;; amdgpu-corpus repo=ROCm/rocThrust kind=compiled arch=gfx906 opt=O3
	.amdgcn_target "amdgcn-amd-amdhsa--gfx906"
	.amdhsa_code_object_version 6
	.text
	.protected	_Z18BinarySearchKerneliPiS_i ; -- Begin function _Z18BinarySearchKerneliPiS_i
	.globl	_Z18BinarySearchKerneliPiS_i
	.p2align	8
	.type	_Z18BinarySearchKerneliPiS_i,@function
_Z18BinarySearchKerneliPiS_i:           ; @_Z18BinarySearchKerneliPiS_i
; %bb.0:
	v_cmp_eq_u32_e32 vcc, 0, v0
	s_and_saveexec_b64 s[0:1], vcc
	s_cbranch_execz .LBB0_7
; %bb.1:
	s_load_dword s8, s[4:5], 0x0
	s_load_dwordx4 s[0:3], s[4:5], 0x8
	s_load_dword s6, s[4:5], 0x18
	s_waitcnt lgkmcnt(0)
	s_ashr_i32 s9, s8, 31
	s_lshl_b64 s[4:5], s[8:9], 2
	s_sub_u32 s4, 0, s4
	s_subb_u32 s5, 0, s5
	s_ashr_i64 s[10:11], s[4:5], 2
	v_cmp_gt_i64_e64 s[12:13], s[10:11], -1
	s_mov_b64 s[4:5], 0
	s_and_b64 vcc, exec, s[12:13]
	s_cbranch_vccnz .LBB0_4
; %bb.2:
	s_sub_u32 s10, 0, s10
	s_subb_u32 s11, 0, s11
.LBB0_3:                                ; =>This Inner Loop Header: Depth=1
	s_sub_u32 s12, s10, s4
	s_subb_u32 s13, s11, s5
	s_lshr_b64 s[12:13], s[12:13], 1
	s_add_u32 s12, s12, s4
	s_addc_u32 s13, s13, s5
	s_lshl_b64 s[14:15], s[12:13], 2
	s_add_u32 s14, s0, s14
	s_addc_u32 s15, s1, s15
	s_load_dword s7, s[14:15], 0x0
	s_add_u32 s14, s12, 1
	s_addc_u32 s15, s13, 0
	s_waitcnt lgkmcnt(0)
	s_cmp_lt_i32 s7, s6
	s_cselect_b32 s10, s10, s12
	s_cselect_b32 s11, s11, s13
	v_mov_b32_e32 v0, s10
	s_cselect_b32 s5, s15, s5
	s_cselect_b32 s4, s14, s4
	v_mov_b32_e32 v1, s11
	v_cmp_lt_i64_e32 vcc, s[4:5], v[0:1]
	s_cbranch_vccnz .LBB0_3
.LBB0_4:
	s_cmp_eq_u64 s[4:5], s[8:9]
	v_mov_b32_e32 v0, 0
	v_mov_b32_e32 v1, 0
	s_cbranch_scc1 .LBB0_6
; %bb.5:
	s_lshl_b64 s[4:5], s[4:5], 2
	s_add_u32 s0, s0, s4
	s_addc_u32 s1, s1, s5
	s_load_dword s0, s[0:1], 0x0
	s_waitcnt lgkmcnt(0)
	s_cmp_ge_i32 s6, s0
	s_cselect_b64 s[0:1], -1, 0
	v_cndmask_b32_e64 v1, 0, 1, s[0:1]
.LBB0_6:
	s_ashr_i32 s7, s6, 31
	s_lshl_b64 s[0:1], s[6:7], 2
	s_add_u32 s0, s2, s0
	s_addc_u32 s1, s3, s1
	global_store_dword v0, v1, s[0:1]
.LBB0_7:
	s_endpgm
	.section	.rodata,"a",@progbits
	.p2align	6, 0x0
	.amdhsa_kernel _Z18BinarySearchKerneliPiS_i
		.amdhsa_group_segment_fixed_size 0
		.amdhsa_private_segment_fixed_size 0
		.amdhsa_kernarg_size 28
		.amdhsa_user_sgpr_count 6
		.amdhsa_user_sgpr_private_segment_buffer 1
		.amdhsa_user_sgpr_dispatch_ptr 0
		.amdhsa_user_sgpr_queue_ptr 0
		.amdhsa_user_sgpr_kernarg_segment_ptr 1
		.amdhsa_user_sgpr_dispatch_id 0
		.amdhsa_user_sgpr_flat_scratch_init 0
		.amdhsa_user_sgpr_private_segment_size 0
		.amdhsa_uses_dynamic_stack 0
		.amdhsa_system_sgpr_private_segment_wavefront_offset 0
		.amdhsa_system_sgpr_workgroup_id_x 1
		.amdhsa_system_sgpr_workgroup_id_y 0
		.amdhsa_system_sgpr_workgroup_id_z 0
		.amdhsa_system_sgpr_workgroup_info 0
		.amdhsa_system_vgpr_workitem_id 0
		.amdhsa_next_free_vgpr 2
		.amdhsa_next_free_sgpr 16
		.amdhsa_reserve_vcc 1
		.amdhsa_reserve_flat_scratch 0
		.amdhsa_float_round_mode_32 0
		.amdhsa_float_round_mode_16_64 0
		.amdhsa_float_denorm_mode_32 3
		.amdhsa_float_denorm_mode_16_64 3
		.amdhsa_dx10_clamp 1
		.amdhsa_ieee_mode 1
		.amdhsa_fp16_overflow 0
		.amdhsa_exception_fp_ieee_invalid_op 0
		.amdhsa_exception_fp_denorm_src 0
		.amdhsa_exception_fp_ieee_div_zero 0
		.amdhsa_exception_fp_ieee_overflow 0
		.amdhsa_exception_fp_ieee_underflow 0
		.amdhsa_exception_fp_ieee_inexact 0
		.amdhsa_exception_int_div_zero 0
	.end_amdhsa_kernel
	.text
.Lfunc_end0:
	.size	_Z18BinarySearchKerneliPiS_i, .Lfunc_end0-_Z18BinarySearchKerneliPiS_i
                                        ; -- End function
	.set _Z18BinarySearchKerneliPiS_i.num_vgpr, 2
	.set _Z18BinarySearchKerneliPiS_i.num_agpr, 0
	.set _Z18BinarySearchKerneliPiS_i.numbered_sgpr, 16
	.set _Z18BinarySearchKerneliPiS_i.num_named_barrier, 0
	.set _Z18BinarySearchKerneliPiS_i.private_seg_size, 0
	.set _Z18BinarySearchKerneliPiS_i.uses_vcc, 1
	.set _Z18BinarySearchKerneliPiS_i.uses_flat_scratch, 0
	.set _Z18BinarySearchKerneliPiS_i.has_dyn_sized_stack, 0
	.set _Z18BinarySearchKerneliPiS_i.has_recursion, 0
	.set _Z18BinarySearchKerneliPiS_i.has_indirect_call, 0
	.section	.AMDGPU.csdata,"",@progbits
; Kernel info:
; codeLenInByte = 260
; TotalNumSgprs: 20
; NumVgprs: 2
; ScratchSize: 0
; MemoryBound: 0
; FloatMode: 240
; IeeeMode: 1
; LDSByteSize: 0 bytes/workgroup (compile time only)
; SGPRBlocks: 2
; VGPRBlocks: 0
; NumSGPRsForWavesPerEU: 20
; NumVGPRsForWavesPerEU: 2
; Occupancy: 10
; WaveLimiterHint : 0
; COMPUTE_PGM_RSRC2:SCRATCH_EN: 0
; COMPUTE_PGM_RSRC2:USER_SGPR: 6
; COMPUTE_PGM_RSRC2:TRAP_HANDLER: 0
; COMPUTE_PGM_RSRC2:TGID_X_EN: 1
; COMPUTE_PGM_RSRC2:TGID_Y_EN: 0
; COMPUTE_PGM_RSRC2:TGID_Z_EN: 0
; COMPUTE_PGM_RSRC2:TIDIG_COMP_CNT: 0
	.section	.text._ZN6thrust23THRUST_200600_302600_NS11hip_rocprim14__parallel_for6kernelILj256ENS1_20__uninitialized_fill7functorINS0_10device_ptrIdEEdEEmLj1EEEvT0_T1_SA_,"axG",@progbits,_ZN6thrust23THRUST_200600_302600_NS11hip_rocprim14__parallel_for6kernelILj256ENS1_20__uninitialized_fill7functorINS0_10device_ptrIdEEdEEmLj1EEEvT0_T1_SA_,comdat
	.protected	_ZN6thrust23THRUST_200600_302600_NS11hip_rocprim14__parallel_for6kernelILj256ENS1_20__uninitialized_fill7functorINS0_10device_ptrIdEEdEEmLj1EEEvT0_T1_SA_ ; -- Begin function _ZN6thrust23THRUST_200600_302600_NS11hip_rocprim14__parallel_for6kernelILj256ENS1_20__uninitialized_fill7functorINS0_10device_ptrIdEEdEEmLj1EEEvT0_T1_SA_
	.globl	_ZN6thrust23THRUST_200600_302600_NS11hip_rocprim14__parallel_for6kernelILj256ENS1_20__uninitialized_fill7functorINS0_10device_ptrIdEEdEEmLj1EEEvT0_T1_SA_
	.p2align	8
	.type	_ZN6thrust23THRUST_200600_302600_NS11hip_rocprim14__parallel_for6kernelILj256ENS1_20__uninitialized_fill7functorINS0_10device_ptrIdEEdEEmLj1EEEvT0_T1_SA_,@function
_ZN6thrust23THRUST_200600_302600_NS11hip_rocprim14__parallel_for6kernelILj256ENS1_20__uninitialized_fill7functorINS0_10device_ptrIdEEdEEmLj1EEEvT0_T1_SA_: ; @_ZN6thrust23THRUST_200600_302600_NS11hip_rocprim14__parallel_for6kernelILj256ENS1_20__uninitialized_fill7functorINS0_10device_ptrIdEEdEEmLj1EEEvT0_T1_SA_
; %bb.0:
	s_load_dwordx8 s[8:15], s[4:5], 0x0
	s_lshl_b32 s0, s6, 8
	v_mov_b32_e32 v1, 0xff
	v_mov_b32_e32 v2, 0
	s_mov_b64 s[4:5], -1
	s_waitcnt lgkmcnt(0)
	s_add_u32 s0, s14, s0
	s_addc_u32 s1, s15, 0
	s_sub_u32 s2, s12, s0
	s_subb_u32 s3, s13, s1
	v_cmp_gt_u64_e32 vcc, s[2:3], v[1:2]
	s_cbranch_vccz .LBB1_3
; %bb.1:
	s_andn2_b64 vcc, exec, s[4:5]
	s_cbranch_vccz .LBB1_6
.LBB1_2:
	s_endpgm
.LBB1_3:
	v_cmp_gt_u32_e32 vcc, s2, v0
	s_and_saveexec_b64 s[2:3], vcc
	s_cbranch_execz .LBB1_5
; %bb.4:
	s_lshl_b64 s[4:5], s[0:1], 3
	s_add_u32 s4, s8, s4
	s_addc_u32 s5, s9, s5
	v_lshlrev_b32_e32 v1, 3, v0
	v_mov_b32_e32 v2, s5
	v_add_co_u32_e32 v1, vcc, s4, v1
	v_mov_b32_e32 v3, s10
	v_addc_co_u32_e32 v2, vcc, 0, v2, vcc
	v_mov_b32_e32 v4, s11
	flat_store_dwordx2 v[1:2], v[3:4]
.LBB1_5:
	s_or_b64 exec, exec, s[2:3]
	s_cbranch_execnz .LBB1_2
.LBB1_6:
	s_lshl_b64 s[0:1], s[0:1], 3
	s_add_u32 s0, s8, s0
	s_addc_u32 s1, s9, s1
	v_lshlrev_b32_e32 v0, 3, v0
	v_mov_b32_e32 v1, s1
	v_add_co_u32_e32 v0, vcc, s0, v0
	v_mov_b32_e32 v2, s10
	v_addc_co_u32_e32 v1, vcc, 0, v1, vcc
	v_mov_b32_e32 v3, s11
	flat_store_dwordx2 v[0:1], v[2:3]
	s_endpgm
	.section	.rodata,"a",@progbits
	.p2align	6, 0x0
	.amdhsa_kernel _ZN6thrust23THRUST_200600_302600_NS11hip_rocprim14__parallel_for6kernelILj256ENS1_20__uninitialized_fill7functorINS0_10device_ptrIdEEdEEmLj1EEEvT0_T1_SA_
		.amdhsa_group_segment_fixed_size 0
		.amdhsa_private_segment_fixed_size 0
		.amdhsa_kernarg_size 32
		.amdhsa_user_sgpr_count 6
		.amdhsa_user_sgpr_private_segment_buffer 1
		.amdhsa_user_sgpr_dispatch_ptr 0
		.amdhsa_user_sgpr_queue_ptr 0
		.amdhsa_user_sgpr_kernarg_segment_ptr 1
		.amdhsa_user_sgpr_dispatch_id 0
		.amdhsa_user_sgpr_flat_scratch_init 0
		.amdhsa_user_sgpr_private_segment_size 0
		.amdhsa_uses_dynamic_stack 0
		.amdhsa_system_sgpr_private_segment_wavefront_offset 0
		.amdhsa_system_sgpr_workgroup_id_x 1
		.amdhsa_system_sgpr_workgroup_id_y 0
		.amdhsa_system_sgpr_workgroup_id_z 0
		.amdhsa_system_sgpr_workgroup_info 0
		.amdhsa_system_vgpr_workitem_id 0
		.amdhsa_next_free_vgpr 5
		.amdhsa_next_free_sgpr 16
		.amdhsa_reserve_vcc 1
		.amdhsa_reserve_flat_scratch 0
		.amdhsa_float_round_mode_32 0
		.amdhsa_float_round_mode_16_64 0
		.amdhsa_float_denorm_mode_32 3
		.amdhsa_float_denorm_mode_16_64 3
		.amdhsa_dx10_clamp 1
		.amdhsa_ieee_mode 1
		.amdhsa_fp16_overflow 0
		.amdhsa_exception_fp_ieee_invalid_op 0
		.amdhsa_exception_fp_denorm_src 0
		.amdhsa_exception_fp_ieee_div_zero 0
		.amdhsa_exception_fp_ieee_overflow 0
		.amdhsa_exception_fp_ieee_underflow 0
		.amdhsa_exception_fp_ieee_inexact 0
		.amdhsa_exception_int_div_zero 0
	.end_amdhsa_kernel
	.section	.text._ZN6thrust23THRUST_200600_302600_NS11hip_rocprim14__parallel_for6kernelILj256ENS1_20__uninitialized_fill7functorINS0_10device_ptrIdEEdEEmLj1EEEvT0_T1_SA_,"axG",@progbits,_ZN6thrust23THRUST_200600_302600_NS11hip_rocprim14__parallel_for6kernelILj256ENS1_20__uninitialized_fill7functorINS0_10device_ptrIdEEdEEmLj1EEEvT0_T1_SA_,comdat
.Lfunc_end1:
	.size	_ZN6thrust23THRUST_200600_302600_NS11hip_rocprim14__parallel_for6kernelILj256ENS1_20__uninitialized_fill7functorINS0_10device_ptrIdEEdEEmLj1EEEvT0_T1_SA_, .Lfunc_end1-_ZN6thrust23THRUST_200600_302600_NS11hip_rocprim14__parallel_for6kernelILj256ENS1_20__uninitialized_fill7functorINS0_10device_ptrIdEEdEEmLj1EEEvT0_T1_SA_
                                        ; -- End function
	.set _ZN6thrust23THRUST_200600_302600_NS11hip_rocprim14__parallel_for6kernelILj256ENS1_20__uninitialized_fill7functorINS0_10device_ptrIdEEdEEmLj1EEEvT0_T1_SA_.num_vgpr, 5
	.set _ZN6thrust23THRUST_200600_302600_NS11hip_rocprim14__parallel_for6kernelILj256ENS1_20__uninitialized_fill7functorINS0_10device_ptrIdEEdEEmLj1EEEvT0_T1_SA_.num_agpr, 0
	.set _ZN6thrust23THRUST_200600_302600_NS11hip_rocprim14__parallel_for6kernelILj256ENS1_20__uninitialized_fill7functorINS0_10device_ptrIdEEdEEmLj1EEEvT0_T1_SA_.numbered_sgpr, 16
	.set _ZN6thrust23THRUST_200600_302600_NS11hip_rocprim14__parallel_for6kernelILj256ENS1_20__uninitialized_fill7functorINS0_10device_ptrIdEEdEEmLj1EEEvT0_T1_SA_.num_named_barrier, 0
	.set _ZN6thrust23THRUST_200600_302600_NS11hip_rocprim14__parallel_for6kernelILj256ENS1_20__uninitialized_fill7functorINS0_10device_ptrIdEEdEEmLj1EEEvT0_T1_SA_.private_seg_size, 0
	.set _ZN6thrust23THRUST_200600_302600_NS11hip_rocprim14__parallel_for6kernelILj256ENS1_20__uninitialized_fill7functorINS0_10device_ptrIdEEdEEmLj1EEEvT0_T1_SA_.uses_vcc, 1
	.set _ZN6thrust23THRUST_200600_302600_NS11hip_rocprim14__parallel_for6kernelILj256ENS1_20__uninitialized_fill7functorINS0_10device_ptrIdEEdEEmLj1EEEvT0_T1_SA_.uses_flat_scratch, 0
	.set _ZN6thrust23THRUST_200600_302600_NS11hip_rocprim14__parallel_for6kernelILj256ENS1_20__uninitialized_fill7functorINS0_10device_ptrIdEEdEEmLj1EEEvT0_T1_SA_.has_dyn_sized_stack, 0
	.set _ZN6thrust23THRUST_200600_302600_NS11hip_rocprim14__parallel_for6kernelILj256ENS1_20__uninitialized_fill7functorINS0_10device_ptrIdEEdEEmLj1EEEvT0_T1_SA_.has_recursion, 0
	.set _ZN6thrust23THRUST_200600_302600_NS11hip_rocprim14__parallel_for6kernelILj256ENS1_20__uninitialized_fill7functorINS0_10device_ptrIdEEdEEmLj1EEEvT0_T1_SA_.has_indirect_call, 0
	.section	.AMDGPU.csdata,"",@progbits
; Kernel info:
; codeLenInByte = 180
; TotalNumSgprs: 20
; NumVgprs: 5
; ScratchSize: 0
; MemoryBound: 0
; FloatMode: 240
; IeeeMode: 1
; LDSByteSize: 0 bytes/workgroup (compile time only)
; SGPRBlocks: 2
; VGPRBlocks: 1
; NumSGPRsForWavesPerEU: 20
; NumVGPRsForWavesPerEU: 5
; Occupancy: 10
; WaveLimiterHint : 0
; COMPUTE_PGM_RSRC2:SCRATCH_EN: 0
; COMPUTE_PGM_RSRC2:USER_SGPR: 6
; COMPUTE_PGM_RSRC2:TRAP_HANDLER: 0
; COMPUTE_PGM_RSRC2:TGID_X_EN: 1
; COMPUTE_PGM_RSRC2:TGID_Y_EN: 0
; COMPUTE_PGM_RSRC2:TGID_Z_EN: 0
; COMPUTE_PGM_RSRC2:TIDIG_COMP_CNT: 0
	.section	.text._ZN6thrust23THRUST_200600_302600_NS11hip_rocprim14__parallel_for6kernelILj256ENS1_20__uninitialized_fill7functorINS0_10device_ptrIlEElEEmLj1EEEvT0_T1_SA_,"axG",@progbits,_ZN6thrust23THRUST_200600_302600_NS11hip_rocprim14__parallel_for6kernelILj256ENS1_20__uninitialized_fill7functorINS0_10device_ptrIlEElEEmLj1EEEvT0_T1_SA_,comdat
	.protected	_ZN6thrust23THRUST_200600_302600_NS11hip_rocprim14__parallel_for6kernelILj256ENS1_20__uninitialized_fill7functorINS0_10device_ptrIlEElEEmLj1EEEvT0_T1_SA_ ; -- Begin function _ZN6thrust23THRUST_200600_302600_NS11hip_rocprim14__parallel_for6kernelILj256ENS1_20__uninitialized_fill7functorINS0_10device_ptrIlEElEEmLj1EEEvT0_T1_SA_
	.globl	_ZN6thrust23THRUST_200600_302600_NS11hip_rocprim14__parallel_for6kernelILj256ENS1_20__uninitialized_fill7functorINS0_10device_ptrIlEElEEmLj1EEEvT0_T1_SA_
	.p2align	8
	.type	_ZN6thrust23THRUST_200600_302600_NS11hip_rocprim14__parallel_for6kernelILj256ENS1_20__uninitialized_fill7functorINS0_10device_ptrIlEElEEmLj1EEEvT0_T1_SA_,@function
_ZN6thrust23THRUST_200600_302600_NS11hip_rocprim14__parallel_for6kernelILj256ENS1_20__uninitialized_fill7functorINS0_10device_ptrIlEElEEmLj1EEEvT0_T1_SA_: ; @_ZN6thrust23THRUST_200600_302600_NS11hip_rocprim14__parallel_for6kernelILj256ENS1_20__uninitialized_fill7functorINS0_10device_ptrIlEElEEmLj1EEEvT0_T1_SA_
; %bb.0:
	s_load_dwordx8 s[8:15], s[4:5], 0x0
	s_lshl_b32 s0, s6, 8
	v_mov_b32_e32 v1, 0xff
	v_mov_b32_e32 v2, 0
	s_mov_b64 s[4:5], -1
	s_waitcnt lgkmcnt(0)
	s_add_u32 s0, s14, s0
	s_addc_u32 s1, s15, 0
	s_sub_u32 s2, s12, s0
	s_subb_u32 s3, s13, s1
	v_cmp_gt_u64_e32 vcc, s[2:3], v[1:2]
	s_cbranch_vccz .LBB2_3
; %bb.1:
	s_andn2_b64 vcc, exec, s[4:5]
	s_cbranch_vccz .LBB2_6
.LBB2_2:
	s_endpgm
.LBB2_3:
	v_cmp_gt_u32_e32 vcc, s2, v0
	s_and_saveexec_b64 s[2:3], vcc
	s_cbranch_execz .LBB2_5
; %bb.4:
	s_lshl_b64 s[4:5], s[0:1], 3
	s_add_u32 s4, s8, s4
	s_addc_u32 s5, s9, s5
	v_lshlrev_b32_e32 v1, 3, v0
	v_mov_b32_e32 v2, s5
	v_add_co_u32_e32 v1, vcc, s4, v1
	v_mov_b32_e32 v3, s10
	v_addc_co_u32_e32 v2, vcc, 0, v2, vcc
	v_mov_b32_e32 v4, s11
	flat_store_dwordx2 v[1:2], v[3:4]
.LBB2_5:
	s_or_b64 exec, exec, s[2:3]
	s_cbranch_execnz .LBB2_2
.LBB2_6:
	s_lshl_b64 s[0:1], s[0:1], 3
	s_add_u32 s0, s8, s0
	s_addc_u32 s1, s9, s1
	v_lshlrev_b32_e32 v0, 3, v0
	v_mov_b32_e32 v1, s1
	v_add_co_u32_e32 v0, vcc, s0, v0
	v_mov_b32_e32 v2, s10
	v_addc_co_u32_e32 v1, vcc, 0, v1, vcc
	v_mov_b32_e32 v3, s11
	flat_store_dwordx2 v[0:1], v[2:3]
	s_endpgm
	.section	.rodata,"a",@progbits
	.p2align	6, 0x0
	.amdhsa_kernel _ZN6thrust23THRUST_200600_302600_NS11hip_rocprim14__parallel_for6kernelILj256ENS1_20__uninitialized_fill7functorINS0_10device_ptrIlEElEEmLj1EEEvT0_T1_SA_
		.amdhsa_group_segment_fixed_size 0
		.amdhsa_private_segment_fixed_size 0
		.amdhsa_kernarg_size 32
		.amdhsa_user_sgpr_count 6
		.amdhsa_user_sgpr_private_segment_buffer 1
		.amdhsa_user_sgpr_dispatch_ptr 0
		.amdhsa_user_sgpr_queue_ptr 0
		.amdhsa_user_sgpr_kernarg_segment_ptr 1
		.amdhsa_user_sgpr_dispatch_id 0
		.amdhsa_user_sgpr_flat_scratch_init 0
		.amdhsa_user_sgpr_private_segment_size 0
		.amdhsa_uses_dynamic_stack 0
		.amdhsa_system_sgpr_private_segment_wavefront_offset 0
		.amdhsa_system_sgpr_workgroup_id_x 1
		.amdhsa_system_sgpr_workgroup_id_y 0
		.amdhsa_system_sgpr_workgroup_id_z 0
		.amdhsa_system_sgpr_workgroup_info 0
		.amdhsa_system_vgpr_workitem_id 0
		.amdhsa_next_free_vgpr 5
		.amdhsa_next_free_sgpr 16
		.amdhsa_reserve_vcc 1
		.amdhsa_reserve_flat_scratch 0
		.amdhsa_float_round_mode_32 0
		.amdhsa_float_round_mode_16_64 0
		.amdhsa_float_denorm_mode_32 3
		.amdhsa_float_denorm_mode_16_64 3
		.amdhsa_dx10_clamp 1
		.amdhsa_ieee_mode 1
		.amdhsa_fp16_overflow 0
		.amdhsa_exception_fp_ieee_invalid_op 0
		.amdhsa_exception_fp_denorm_src 0
		.amdhsa_exception_fp_ieee_div_zero 0
		.amdhsa_exception_fp_ieee_overflow 0
		.amdhsa_exception_fp_ieee_underflow 0
		.amdhsa_exception_fp_ieee_inexact 0
		.amdhsa_exception_int_div_zero 0
	.end_amdhsa_kernel
	.section	.text._ZN6thrust23THRUST_200600_302600_NS11hip_rocprim14__parallel_for6kernelILj256ENS1_20__uninitialized_fill7functorINS0_10device_ptrIlEElEEmLj1EEEvT0_T1_SA_,"axG",@progbits,_ZN6thrust23THRUST_200600_302600_NS11hip_rocprim14__parallel_for6kernelILj256ENS1_20__uninitialized_fill7functorINS0_10device_ptrIlEElEEmLj1EEEvT0_T1_SA_,comdat
.Lfunc_end2:
	.size	_ZN6thrust23THRUST_200600_302600_NS11hip_rocprim14__parallel_for6kernelILj256ENS1_20__uninitialized_fill7functorINS0_10device_ptrIlEElEEmLj1EEEvT0_T1_SA_, .Lfunc_end2-_ZN6thrust23THRUST_200600_302600_NS11hip_rocprim14__parallel_for6kernelILj256ENS1_20__uninitialized_fill7functorINS0_10device_ptrIlEElEEmLj1EEEvT0_T1_SA_
                                        ; -- End function
	.set _ZN6thrust23THRUST_200600_302600_NS11hip_rocprim14__parallel_for6kernelILj256ENS1_20__uninitialized_fill7functorINS0_10device_ptrIlEElEEmLj1EEEvT0_T1_SA_.num_vgpr, 5
	.set _ZN6thrust23THRUST_200600_302600_NS11hip_rocprim14__parallel_for6kernelILj256ENS1_20__uninitialized_fill7functorINS0_10device_ptrIlEElEEmLj1EEEvT0_T1_SA_.num_agpr, 0
	.set _ZN6thrust23THRUST_200600_302600_NS11hip_rocprim14__parallel_for6kernelILj256ENS1_20__uninitialized_fill7functorINS0_10device_ptrIlEElEEmLj1EEEvT0_T1_SA_.numbered_sgpr, 16
	.set _ZN6thrust23THRUST_200600_302600_NS11hip_rocprim14__parallel_for6kernelILj256ENS1_20__uninitialized_fill7functorINS0_10device_ptrIlEElEEmLj1EEEvT0_T1_SA_.num_named_barrier, 0
	.set _ZN6thrust23THRUST_200600_302600_NS11hip_rocprim14__parallel_for6kernelILj256ENS1_20__uninitialized_fill7functorINS0_10device_ptrIlEElEEmLj1EEEvT0_T1_SA_.private_seg_size, 0
	.set _ZN6thrust23THRUST_200600_302600_NS11hip_rocprim14__parallel_for6kernelILj256ENS1_20__uninitialized_fill7functorINS0_10device_ptrIlEElEEmLj1EEEvT0_T1_SA_.uses_vcc, 1
	.set _ZN6thrust23THRUST_200600_302600_NS11hip_rocprim14__parallel_for6kernelILj256ENS1_20__uninitialized_fill7functorINS0_10device_ptrIlEElEEmLj1EEEvT0_T1_SA_.uses_flat_scratch, 0
	.set _ZN6thrust23THRUST_200600_302600_NS11hip_rocprim14__parallel_for6kernelILj256ENS1_20__uninitialized_fill7functorINS0_10device_ptrIlEElEEmLj1EEEvT0_T1_SA_.has_dyn_sized_stack, 0
	.set _ZN6thrust23THRUST_200600_302600_NS11hip_rocprim14__parallel_for6kernelILj256ENS1_20__uninitialized_fill7functorINS0_10device_ptrIlEElEEmLj1EEEvT0_T1_SA_.has_recursion, 0
	.set _ZN6thrust23THRUST_200600_302600_NS11hip_rocprim14__parallel_for6kernelILj256ENS1_20__uninitialized_fill7functorINS0_10device_ptrIlEElEEmLj1EEEvT0_T1_SA_.has_indirect_call, 0
	.section	.AMDGPU.csdata,"",@progbits
; Kernel info:
; codeLenInByte = 180
; TotalNumSgprs: 20
; NumVgprs: 5
; ScratchSize: 0
; MemoryBound: 0
; FloatMode: 240
; IeeeMode: 1
; LDSByteSize: 0 bytes/workgroup (compile time only)
; SGPRBlocks: 2
; VGPRBlocks: 1
; NumSGPRsForWavesPerEU: 20
; NumVGPRsForWavesPerEU: 5
; Occupancy: 10
; WaveLimiterHint : 0
; COMPUTE_PGM_RSRC2:SCRATCH_EN: 0
; COMPUTE_PGM_RSRC2:USER_SGPR: 6
; COMPUTE_PGM_RSRC2:TRAP_HANDLER: 0
; COMPUTE_PGM_RSRC2:TGID_X_EN: 1
; COMPUTE_PGM_RSRC2:TGID_Y_EN: 0
; COMPUTE_PGM_RSRC2:TGID_Z_EN: 0
; COMPUTE_PGM_RSRC2:TIDIG_COMP_CNT: 0
	.section	.text._Z18lower_bound_kernelIdEvmPT_Pl,"axG",@progbits,_Z18lower_bound_kernelIdEvmPT_Pl,comdat
	.protected	_Z18lower_bound_kernelIdEvmPT_Pl ; -- Begin function _Z18lower_bound_kernelIdEvmPT_Pl
	.globl	_Z18lower_bound_kernelIdEvmPT_Pl
	.p2align	8
	.type	_Z18lower_bound_kernelIdEvmPT_Pl,@function
_Z18lower_bound_kernelIdEvmPT_Pl:       ; @_Z18lower_bound_kernelIdEvmPT_Pl
; %bb.0:
	s_load_dwordx4 s[0:3], s[4:5], 0x0
	s_load_dwordx2 s[6:7], s[4:5], 0x10
	s_mov_b64 s[8:9], -1
	s_waitcnt lgkmcnt(0)
	s_lshl_b64 s[0:1], s[0:1], 3
	s_add_u32 s0, s2, s0
	s_addc_u32 s1, s3, s1
	s_sub_u32 s0, s0, s2
	s_subb_u32 s1, s1, s3
	s_ashr_i64 s[4:5], s[0:1], 3
	v_cmp_lt_i64_e64 s[0:1], s[4:5], 1
	s_and_b64 s[0:1], exec, s[0:1]
	s_mov_b64 vcc, s[0:1]
	s_cbranch_vccz .LBB3_2
; %bb.1:
	v_mov_b32_e32 v0, 0
	v_mov_b32_e32 v1, v0
	global_store_dwordx2 v0, v[0:1], s[6:7]
	s_mov_b64 s[8:9], 0
.LBB3_2:
	s_andn2_b64 vcc, exec, s[8:9]
	s_mov_b64 s[8:9], 0
	s_cbranch_vccnz .LBB3_7
; %bb.3:
	s_mov_b64 s[10:11], s[4:5]
.LBB3_4:                                ; =>This Inner Loop Header: Depth=1
	s_sub_u32 s12, s10, s8
	s_subb_u32 s13, s11, s9
	s_lshr_b64 s[12:13], s[12:13], 1
	s_add_u32 s12, s12, s8
	s_addc_u32 s13, s13, s9
	s_lshl_b64 s[14:15], s[12:13], 3
	s_add_u32 s14, s2, s14
	s_addc_u32 s15, s3, s15
	s_load_dwordx2 s[14:15], s[14:15], 0x0
	s_add_u32 s16, s12, 1
	s_addc_u32 s17, s13, 0
	s_waitcnt lgkmcnt(0)
	v_cmp_lt_f64_e64 s[14:15], s[14:15], 0
	s_and_b64 s[14:15], s[14:15], exec
	s_cselect_b32 s10, s10, s12
	s_cselect_b32 s11, s11, s13
	v_mov_b32_e32 v0, s10
	s_cselect_b32 s9, s17, s9
	s_cselect_b32 s8, s16, s8
	v_mov_b32_e32 v1, s11
	v_cmp_lt_i64_e32 vcc, s[8:9], v[0:1]
	s_cbranch_vccnz .LBB3_4
; %bb.5:
	s_lshl_b64 s[8:9], s[8:9], 3
	s_add_u32 s8, s2, s8
	s_addc_u32 s9, s3, s9
	s_sub_u32 s8, s8, s2
	s_subb_u32 s9, s9, s3
	s_ashr_i64 s[8:9], s[8:9], 3
	v_mov_b32_e32 v0, s8
	v_mov_b32_e32 v2, 0
	;; [unrolled: 1-line block ×3, first 2 shown]
	s_mov_b64 s[8:9], 0
	s_mov_b64 s[10:11], s[4:5]
	global_store_dwordx2 v2, v[0:1], s[6:7]
.LBB3_6:                                ; =>This Inner Loop Header: Depth=1
	s_sub_u32 s12, s10, s8
	s_subb_u32 s13, s11, s9
	s_lshr_b64 s[12:13], s[12:13], 1
	s_add_u32 s12, s12, s8
	s_addc_u32 s13, s13, s9
	s_lshl_b64 s[14:15], s[12:13], 3
	s_add_u32 s14, s2, s14
	s_addc_u32 s15, s3, s15
	s_load_dwordx2 s[14:15], s[14:15], 0x0
	s_add_u32 s16, s12, 1
	s_addc_u32 s17, s13, 0
	s_waitcnt lgkmcnt(0)
	v_cmp_lt_f64_e64 s[14:15], s[14:15], 1.0
	s_and_b64 s[14:15], s[14:15], exec
	s_cselect_b32 s10, s10, s12
	s_cselect_b32 s11, s11, s13
	v_mov_b32_e32 v0, s10
	s_cselect_b32 s9, s17, s9
	s_cselect_b32 s8, s16, s8
	v_mov_b32_e32 v1, s11
	v_cmp_ge_i64_e32 vcc, s[8:9], v[0:1]
	s_cbranch_vccz .LBB3_6
.LBB3_7:
	s_lshl_b64 s[8:9], s[8:9], 3
	s_add_u32 s8, s2, s8
	s_addc_u32 s9, s3, s9
	s_sub_u32 s8, s8, s2
	s_subb_u32 s9, s9, s3
	s_ashr_i64 s[8:9], s[8:9], 3
	v_mov_b32_e32 v1, s8
	v_mov_b32_e32 v0, 0
	;; [unrolled: 1-line block ×3, first 2 shown]
	s_mov_b64 s[8:9], -1
	s_mov_b64 vcc, s[0:1]
	global_store_dwordx2 v0, v[1:2], s[6:7] offset:8
	s_cbranch_vccz .LBB3_9
; %bb.8:
	v_mov_b32_e32 v1, v0
	global_store_dwordx2 v0, v[0:1], s[6:7] offset:16
	s_mov_b64 s[8:9], 0
.LBB3_9:
	s_andn2_b64 vcc, exec, s[8:9]
	s_mov_b64 s[8:9], 0
	s_cbranch_vccnz .LBB3_14
; %bb.10:
	s_mov_b64 s[10:11], s[4:5]
.LBB3_11:                               ; =>This Inner Loop Header: Depth=1
	s_sub_u32 s12, s10, s8
	s_subb_u32 s13, s11, s9
	s_lshr_b64 s[12:13], s[12:13], 1
	s_add_u32 s12, s12, s8
	s_addc_u32 s13, s13, s9
	s_lshl_b64 s[14:15], s[12:13], 3
	s_add_u32 s14, s2, s14
	s_addc_u32 s15, s3, s15
	s_load_dwordx2 s[14:15], s[14:15], 0x0
	s_add_u32 s16, s12, 1
	s_addc_u32 s17, s13, 0
	s_waitcnt lgkmcnt(0)
	v_cmp_lt_f64_e64 s[14:15], s[14:15], 2.0
	s_and_b64 s[14:15], s[14:15], exec
	s_cselect_b32 s10, s10, s12
	s_cselect_b32 s11, s11, s13
	v_mov_b32_e32 v0, s10
	s_cselect_b32 s9, s17, s9
	s_cselect_b32 s8, s16, s8
	v_mov_b32_e32 v1, s11
	v_cmp_lt_i64_e32 vcc, s[8:9], v[0:1]
	s_cbranch_vccnz .LBB3_11
; %bb.12:
	s_lshl_b64 s[8:9], s[8:9], 3
	s_add_u32 s8, s2, s8
	s_addc_u32 s9, s3, s9
	s_sub_u32 s8, s8, s2
	s_subb_u32 s9, s9, s3
	s_ashr_i64 s[8:9], s[8:9], 3
	v_mov_b32_e32 v0, s8
	v_mov_b32_e32 v2, 0
	;; [unrolled: 1-line block ×3, first 2 shown]
	global_store_dwordx2 v2, v[0:1], s[6:7] offset:16
	v_mov_b32_e32 v0, 0
	s_mov_b64 s[8:9], 0
	v_mov_b32_e32 v1, 0x40080000
	s_mov_b64 s[10:11], s[4:5]
.LBB3_13:                               ; =>This Inner Loop Header: Depth=1
	s_sub_u32 s12, s10, s8
	s_subb_u32 s13, s11, s9
	s_lshr_b64 s[12:13], s[12:13], 1
	s_add_u32 s12, s12, s8
	s_addc_u32 s13, s13, s9
	s_lshl_b64 s[14:15], s[12:13], 3
	s_add_u32 s14, s2, s14
	s_addc_u32 s15, s3, s15
	s_load_dwordx2 s[14:15], s[14:15], 0x0
	s_add_u32 s16, s12, 1
	s_addc_u32 s17, s13, 0
	s_waitcnt lgkmcnt(0)
	v_cmp_lt_f64_e32 vcc, s[14:15], v[0:1]
	s_and_b64 s[14:15], vcc, exec
	s_cselect_b32 s10, s10, s12
	s_cselect_b32 s11, s11, s13
	v_mov_b32_e32 v2, s10
	s_cselect_b32 s9, s17, s9
	s_cselect_b32 s8, s16, s8
	v_mov_b32_e32 v3, s11
	v_cmp_ge_i64_e32 vcc, s[8:9], v[2:3]
	s_cbranch_vccz .LBB3_13
.LBB3_14:
	s_lshl_b64 s[8:9], s[8:9], 3
	s_add_u32 s8, s2, s8
	s_addc_u32 s9, s3, s9
	s_sub_u32 s8, s8, s2
	s_subb_u32 s9, s9, s3
	s_ashr_i64 s[8:9], s[8:9], 3
	v_mov_b32_e32 v1, s8
	v_mov_b32_e32 v0, 0
	;; [unrolled: 1-line block ×3, first 2 shown]
	s_mov_b64 s[8:9], -1
	s_mov_b64 vcc, s[0:1]
	global_store_dwordx2 v0, v[1:2], s[6:7] offset:24
	s_cbranch_vccz .LBB3_16
; %bb.15:
	v_mov_b32_e32 v1, v0
	global_store_dwordx2 v0, v[0:1], s[6:7] offset:32
	s_mov_b64 s[8:9], 0
.LBB3_16:
	s_andn2_b64 vcc, exec, s[8:9]
	s_mov_b64 s[8:9], 0
	s_cbranch_vccnz .LBB3_21
; %bb.17:
	s_mov_b64 s[10:11], s[4:5]
.LBB3_18:                               ; =>This Inner Loop Header: Depth=1
	s_sub_u32 s12, s10, s8
	s_subb_u32 s13, s11, s9
	s_lshr_b64 s[12:13], s[12:13], 1
	s_add_u32 s12, s12, s8
	s_addc_u32 s13, s13, s9
	s_lshl_b64 s[14:15], s[12:13], 3
	s_add_u32 s14, s2, s14
	s_addc_u32 s15, s3, s15
	s_load_dwordx2 s[14:15], s[14:15], 0x0
	s_add_u32 s16, s12, 1
	s_addc_u32 s17, s13, 0
	s_waitcnt lgkmcnt(0)
	v_cmp_lt_f64_e64 s[14:15], s[14:15], 4.0
	s_and_b64 s[14:15], s[14:15], exec
	s_cselect_b32 s10, s10, s12
	s_cselect_b32 s11, s11, s13
	v_mov_b32_e32 v0, s10
	s_cselect_b32 s9, s17, s9
	s_cselect_b32 s8, s16, s8
	v_mov_b32_e32 v1, s11
	v_cmp_lt_i64_e32 vcc, s[8:9], v[0:1]
	s_cbranch_vccnz .LBB3_18
; %bb.19:
	s_lshl_b64 s[8:9], s[8:9], 3
	s_add_u32 s8, s2, s8
	s_addc_u32 s9, s3, s9
	s_sub_u32 s8, s8, s2
	s_subb_u32 s9, s9, s3
	s_ashr_i64 s[8:9], s[8:9], 3
	v_mov_b32_e32 v0, s8
	v_mov_b32_e32 v2, 0
	;; [unrolled: 1-line block ×3, first 2 shown]
	global_store_dwordx2 v2, v[0:1], s[6:7] offset:32
	v_mov_b32_e32 v0, 0
	s_mov_b64 s[8:9], 0
	v_mov_b32_e32 v1, 0x40140000
	s_mov_b64 s[10:11], s[4:5]
.LBB3_20:                               ; =>This Inner Loop Header: Depth=1
	s_sub_u32 s12, s10, s8
	s_subb_u32 s13, s11, s9
	s_lshr_b64 s[12:13], s[12:13], 1
	s_add_u32 s12, s12, s8
	s_addc_u32 s13, s13, s9
	s_lshl_b64 s[14:15], s[12:13], 3
	s_add_u32 s14, s2, s14
	s_addc_u32 s15, s3, s15
	s_load_dwordx2 s[14:15], s[14:15], 0x0
	s_add_u32 s16, s12, 1
	s_addc_u32 s17, s13, 0
	s_waitcnt lgkmcnt(0)
	v_cmp_lt_f64_e32 vcc, s[14:15], v[0:1]
	s_and_b64 s[14:15], vcc, exec
	s_cselect_b32 s10, s10, s12
	s_cselect_b32 s11, s11, s13
	v_mov_b32_e32 v2, s10
	s_cselect_b32 s9, s17, s9
	s_cselect_b32 s8, s16, s8
	v_mov_b32_e32 v3, s11
	v_cmp_ge_i64_e32 vcc, s[8:9], v[2:3]
	s_cbranch_vccz .LBB3_20
.LBB3_21:
	s_lshl_b64 s[8:9], s[8:9], 3
	s_add_u32 s8, s2, s8
	s_addc_u32 s9, s3, s9
	s_sub_u32 s8, s8, s2
	s_subb_u32 s9, s9, s3
	s_ashr_i64 s[8:9], s[8:9], 3
	v_mov_b32_e32 v1, s8
	v_mov_b32_e32 v0, 0
	;; [unrolled: 1-line block ×3, first 2 shown]
	s_mov_b64 s[8:9], -1
	s_mov_b64 vcc, s[0:1]
	global_store_dwordx2 v0, v[1:2], s[6:7] offset:40
	s_cbranch_vccz .LBB3_23
; %bb.22:
	v_mov_b32_e32 v1, v0
	global_store_dwordx2 v0, v[0:1], s[6:7] offset:48
	s_mov_b64 s[8:9], 0
.LBB3_23:
	s_andn2_b64 vcc, exec, s[8:9]
	s_mov_b64 s[8:9], 0
	s_cbranch_vccnz .LBB3_28
; %bb.24:
	v_mov_b32_e32 v0, 0
	v_mov_b32_e32 v1, 0x40180000
	s_mov_b64 s[10:11], s[4:5]
.LBB3_25:                               ; =>This Inner Loop Header: Depth=1
	s_sub_u32 s12, s10, s8
	s_subb_u32 s13, s11, s9
	s_lshr_b64 s[12:13], s[12:13], 1
	s_add_u32 s12, s12, s8
	s_addc_u32 s13, s13, s9
	s_lshl_b64 s[14:15], s[12:13], 3
	s_add_u32 s14, s2, s14
	s_addc_u32 s15, s3, s15
	s_load_dwordx2 s[14:15], s[14:15], 0x0
	s_add_u32 s16, s12, 1
	s_addc_u32 s17, s13, 0
	s_waitcnt lgkmcnt(0)
	v_cmp_lt_f64_e32 vcc, s[14:15], v[0:1]
	s_and_b64 s[14:15], vcc, exec
	s_cselect_b32 s10, s10, s12
	s_cselect_b32 s11, s11, s13
	v_mov_b32_e32 v2, s10
	s_cselect_b32 s9, s17, s9
	s_cselect_b32 s8, s16, s8
	v_mov_b32_e32 v3, s11
	v_cmp_lt_i64_e32 vcc, s[8:9], v[2:3]
	s_cbranch_vccnz .LBB3_25
; %bb.26:
	s_lshl_b64 s[8:9], s[8:9], 3
	s_add_u32 s8, s2, s8
	s_addc_u32 s9, s3, s9
	s_sub_u32 s8, s8, s2
	s_subb_u32 s9, s9, s3
	s_ashr_i64 s[8:9], s[8:9], 3
	v_mov_b32_e32 v0, s8
	v_mov_b32_e32 v2, 0
	;; [unrolled: 1-line block ×3, first 2 shown]
	global_store_dwordx2 v2, v[0:1], s[6:7] offset:48
	v_mov_b32_e32 v0, 0
	s_mov_b64 s[8:9], 0
	v_mov_b32_e32 v1, 0x401c0000
	s_mov_b64 s[10:11], s[4:5]
.LBB3_27:                               ; =>This Inner Loop Header: Depth=1
	s_sub_u32 s12, s10, s8
	s_subb_u32 s13, s11, s9
	s_lshr_b64 s[12:13], s[12:13], 1
	s_add_u32 s12, s12, s8
	s_addc_u32 s13, s13, s9
	s_lshl_b64 s[14:15], s[12:13], 3
	s_add_u32 s14, s2, s14
	s_addc_u32 s15, s3, s15
	s_load_dwordx2 s[14:15], s[14:15], 0x0
	s_add_u32 s16, s12, 1
	s_addc_u32 s17, s13, 0
	s_waitcnt lgkmcnt(0)
	v_cmp_lt_f64_e32 vcc, s[14:15], v[0:1]
	s_and_b64 s[14:15], vcc, exec
	s_cselect_b32 s10, s10, s12
	s_cselect_b32 s11, s11, s13
	v_mov_b32_e32 v2, s10
	s_cselect_b32 s9, s17, s9
	s_cselect_b32 s8, s16, s8
	v_mov_b32_e32 v3, s11
	v_cmp_ge_i64_e32 vcc, s[8:9], v[2:3]
	s_cbranch_vccz .LBB3_27
.LBB3_28:
	s_lshl_b64 s[8:9], s[8:9], 3
	s_add_u32 s8, s2, s8
	s_addc_u32 s9, s3, s9
	s_sub_u32 s8, s8, s2
	s_subb_u32 s9, s9, s3
	s_ashr_i64 s[8:9], s[8:9], 3
	v_mov_b32_e32 v1, s8
	v_mov_b32_e32 v0, 0
	;; [unrolled: 1-line block ×3, first 2 shown]
	s_mov_b64 s[8:9], -1
	s_mov_b64 vcc, s[0:1]
	global_store_dwordx2 v0, v[1:2], s[6:7] offset:56
	s_cbranch_vccz .LBB3_30
; %bb.29:
	v_mov_b32_e32 v1, v0
	global_store_dwordx2 v0, v[0:1], s[6:7] offset:64
	s_mov_b64 s[8:9], 0
.LBB3_30:
	s_andn2_b64 vcc, exec, s[8:9]
	s_mov_b64 s[0:1], 0
	s_cbranch_vccnz .LBB3_35
; %bb.31:
	v_mov_b32_e32 v0, 0
	v_mov_b32_e32 v1, 0x40200000
	s_mov_b64 s[8:9], s[4:5]
.LBB3_32:                               ; =>This Inner Loop Header: Depth=1
	s_sub_u32 s10, s8, s0
	s_subb_u32 s11, s9, s1
	s_lshr_b64 s[10:11], s[10:11], 1
	s_add_u32 s10, s10, s0
	s_addc_u32 s11, s11, s1
	s_lshl_b64 s[12:13], s[10:11], 3
	s_add_u32 s12, s2, s12
	s_addc_u32 s13, s3, s13
	s_load_dwordx2 s[12:13], s[12:13], 0x0
	s_add_u32 s14, s10, 1
	s_addc_u32 s15, s11, 0
	s_waitcnt lgkmcnt(0)
	v_cmp_lt_f64_e32 vcc, s[12:13], v[0:1]
	s_and_b64 s[12:13], vcc, exec
	s_cselect_b32 s8, s8, s10
	s_cselect_b32 s9, s9, s11
	v_mov_b32_e32 v2, s8
	s_cselect_b32 s1, s15, s1
	s_cselect_b32 s0, s14, s0
	v_mov_b32_e32 v3, s9
	v_cmp_lt_i64_e32 vcc, s[0:1], v[2:3]
	s_cbranch_vccnz .LBB3_32
; %bb.33:
	s_lshl_b64 s[0:1], s[0:1], 3
	s_add_u32 s0, s2, s0
	s_addc_u32 s1, s3, s1
	s_sub_u32 s0, s0, s2
	s_subb_u32 s1, s1, s3
	s_ashr_i64 s[0:1], s[0:1], 3
	v_mov_b32_e32 v0, s0
	v_mov_b32_e32 v2, 0
	;; [unrolled: 1-line block ×3, first 2 shown]
	global_store_dwordx2 v2, v[0:1], s[6:7] offset:64
	v_mov_b32_e32 v0, 0
	v_mov_b32_e32 v1, 0x40220000
	s_mov_b64 s[0:1], 0
.LBB3_34:                               ; =>This Inner Loop Header: Depth=1
	s_sub_u32 s8, s4, s0
	s_subb_u32 s9, s5, s1
	s_lshr_b64 s[8:9], s[8:9], 1
	s_add_u32 s8, s8, s0
	s_addc_u32 s9, s9, s1
	s_lshl_b64 s[10:11], s[8:9], 3
	s_add_u32 s10, s2, s10
	s_addc_u32 s11, s3, s11
	s_load_dwordx2 s[10:11], s[10:11], 0x0
	s_add_u32 s12, s8, 1
	s_addc_u32 s13, s9, 0
	s_waitcnt lgkmcnt(0)
	v_cmp_lt_f64_e32 vcc, s[10:11], v[0:1]
	s_and_b64 s[10:11], vcc, exec
	s_cselect_b32 s4, s4, s8
	s_cselect_b32 s5, s5, s9
	v_mov_b32_e32 v2, s4
	s_cselect_b32 s1, s13, s1
	s_cselect_b32 s0, s12, s0
	v_mov_b32_e32 v3, s5
	v_cmp_ge_i64_e32 vcc, s[0:1], v[2:3]
	s_cbranch_vccz .LBB3_34
.LBB3_35:
	s_lshl_b64 s[0:1], s[0:1], 3
	s_add_u32 s0, s2, s0
	s_addc_u32 s1, s3, s1
	s_sub_u32 s0, s0, s2
	s_subb_u32 s1, s1, s3
	s_ashr_i64 s[0:1], s[0:1], 3
	v_mov_b32_e32 v0, s0
	v_mov_b32_e32 v2, 0
	;; [unrolled: 1-line block ×3, first 2 shown]
	global_store_dwordx2 v2, v[0:1], s[6:7] offset:72
	s_endpgm
	.section	.rodata,"a",@progbits
	.p2align	6, 0x0
	.amdhsa_kernel _Z18lower_bound_kernelIdEvmPT_Pl
		.amdhsa_group_segment_fixed_size 0
		.amdhsa_private_segment_fixed_size 0
		.amdhsa_kernarg_size 24
		.amdhsa_user_sgpr_count 6
		.amdhsa_user_sgpr_private_segment_buffer 1
		.amdhsa_user_sgpr_dispatch_ptr 0
		.amdhsa_user_sgpr_queue_ptr 0
		.amdhsa_user_sgpr_kernarg_segment_ptr 1
		.amdhsa_user_sgpr_dispatch_id 0
		.amdhsa_user_sgpr_flat_scratch_init 0
		.amdhsa_user_sgpr_private_segment_size 0
		.amdhsa_uses_dynamic_stack 0
		.amdhsa_system_sgpr_private_segment_wavefront_offset 0
		.amdhsa_system_sgpr_workgroup_id_x 1
		.amdhsa_system_sgpr_workgroup_id_y 0
		.amdhsa_system_sgpr_workgroup_id_z 0
		.amdhsa_system_sgpr_workgroup_info 0
		.amdhsa_system_vgpr_workitem_id 0
		.amdhsa_next_free_vgpr 4
		.amdhsa_next_free_sgpr 18
		.amdhsa_reserve_vcc 1
		.amdhsa_reserve_flat_scratch 0
		.amdhsa_float_round_mode_32 0
		.amdhsa_float_round_mode_16_64 0
		.amdhsa_float_denorm_mode_32 3
		.amdhsa_float_denorm_mode_16_64 3
		.amdhsa_dx10_clamp 1
		.amdhsa_ieee_mode 1
		.amdhsa_fp16_overflow 0
		.amdhsa_exception_fp_ieee_invalid_op 0
		.amdhsa_exception_fp_denorm_src 0
		.amdhsa_exception_fp_ieee_div_zero 0
		.amdhsa_exception_fp_ieee_overflow 0
		.amdhsa_exception_fp_ieee_underflow 0
		.amdhsa_exception_fp_ieee_inexact 0
		.amdhsa_exception_int_div_zero 0
	.end_amdhsa_kernel
	.section	.text._Z18lower_bound_kernelIdEvmPT_Pl,"axG",@progbits,_Z18lower_bound_kernelIdEvmPT_Pl,comdat
.Lfunc_end3:
	.size	_Z18lower_bound_kernelIdEvmPT_Pl, .Lfunc_end3-_Z18lower_bound_kernelIdEvmPT_Pl
                                        ; -- End function
	.set _Z18lower_bound_kernelIdEvmPT_Pl.num_vgpr, 4
	.set _Z18lower_bound_kernelIdEvmPT_Pl.num_agpr, 0
	.set _Z18lower_bound_kernelIdEvmPT_Pl.numbered_sgpr, 18
	.set _Z18lower_bound_kernelIdEvmPT_Pl.num_named_barrier, 0
	.set _Z18lower_bound_kernelIdEvmPT_Pl.private_seg_size, 0
	.set _Z18lower_bound_kernelIdEvmPT_Pl.uses_vcc, 1
	.set _Z18lower_bound_kernelIdEvmPT_Pl.uses_flat_scratch, 0
	.set _Z18lower_bound_kernelIdEvmPT_Pl.has_dyn_sized_stack, 0
	.set _Z18lower_bound_kernelIdEvmPT_Pl.has_recursion, 0
	.set _Z18lower_bound_kernelIdEvmPT_Pl.has_indirect_call, 0
	.section	.AMDGPU.csdata,"",@progbits
; Kernel info:
; codeLenInByte = 1768
; TotalNumSgprs: 22
; NumVgprs: 4
; ScratchSize: 0
; MemoryBound: 0
; FloatMode: 240
; IeeeMode: 1
; LDSByteSize: 0 bytes/workgroup (compile time only)
; SGPRBlocks: 2
; VGPRBlocks: 0
; NumSGPRsForWavesPerEU: 22
; NumVGPRsForWavesPerEU: 4
; Occupancy: 10
; WaveLimiterHint : 0
; COMPUTE_PGM_RSRC2:SCRATCH_EN: 0
; COMPUTE_PGM_RSRC2:USER_SGPR: 6
; COMPUTE_PGM_RSRC2:TRAP_HANDLER: 0
; COMPUTE_PGM_RSRC2:TGID_X_EN: 1
; COMPUTE_PGM_RSRC2:TGID_Y_EN: 0
; COMPUTE_PGM_RSRC2:TGID_Z_EN: 0
; COMPUTE_PGM_RSRC2:TIDIG_COMP_CNT: 0
	.section	.text._ZN7rocprim17ROCPRIM_400000_NS6detail17trampoline_kernelINS0_14default_configENS1_27lower_bound_config_selectorIdlEEZNS1_14transform_implILb0ES3_S5_N6thrust23THRUST_200600_302600_NS6detail15normal_iteratorINS8_7pointerIdNS8_11hip_rocprim5par_tENS8_11use_defaultESE_EEEENSA_INSB_IlSD_SE_SE_EEEEZNS1_13binary_searchIS3_S5_PdSG_SI_NS1_21lower_bound_search_opENS9_16wrapped_functionI11custom_lessbEEEE10hipError_tPvRmT1_T2_T3_mmT4_T5_P12ihipStream_tbEUlRKdE_EESP_ST_SU_mSV_SY_bEUlT_E_NS1_11comp_targetILNS1_3genE0ELNS1_11target_archE4294967295ELNS1_3gpuE0ELNS1_3repE0EEENS1_30default_config_static_selectorELNS0_4arch9wavefront6targetE1EEEvSS_,"axG",@progbits,_ZN7rocprim17ROCPRIM_400000_NS6detail17trampoline_kernelINS0_14default_configENS1_27lower_bound_config_selectorIdlEEZNS1_14transform_implILb0ES3_S5_N6thrust23THRUST_200600_302600_NS6detail15normal_iteratorINS8_7pointerIdNS8_11hip_rocprim5par_tENS8_11use_defaultESE_EEEENSA_INSB_IlSD_SE_SE_EEEEZNS1_13binary_searchIS3_S5_PdSG_SI_NS1_21lower_bound_search_opENS9_16wrapped_functionI11custom_lessbEEEE10hipError_tPvRmT1_T2_T3_mmT4_T5_P12ihipStream_tbEUlRKdE_EESP_ST_SU_mSV_SY_bEUlT_E_NS1_11comp_targetILNS1_3genE0ELNS1_11target_archE4294967295ELNS1_3gpuE0ELNS1_3repE0EEENS1_30default_config_static_selectorELNS0_4arch9wavefront6targetE1EEEvSS_,comdat
	.protected	_ZN7rocprim17ROCPRIM_400000_NS6detail17trampoline_kernelINS0_14default_configENS1_27lower_bound_config_selectorIdlEEZNS1_14transform_implILb0ES3_S5_N6thrust23THRUST_200600_302600_NS6detail15normal_iteratorINS8_7pointerIdNS8_11hip_rocprim5par_tENS8_11use_defaultESE_EEEENSA_INSB_IlSD_SE_SE_EEEEZNS1_13binary_searchIS3_S5_PdSG_SI_NS1_21lower_bound_search_opENS9_16wrapped_functionI11custom_lessbEEEE10hipError_tPvRmT1_T2_T3_mmT4_T5_P12ihipStream_tbEUlRKdE_EESP_ST_SU_mSV_SY_bEUlT_E_NS1_11comp_targetILNS1_3genE0ELNS1_11target_archE4294967295ELNS1_3gpuE0ELNS1_3repE0EEENS1_30default_config_static_selectorELNS0_4arch9wavefront6targetE1EEEvSS_ ; -- Begin function _ZN7rocprim17ROCPRIM_400000_NS6detail17trampoline_kernelINS0_14default_configENS1_27lower_bound_config_selectorIdlEEZNS1_14transform_implILb0ES3_S5_N6thrust23THRUST_200600_302600_NS6detail15normal_iteratorINS8_7pointerIdNS8_11hip_rocprim5par_tENS8_11use_defaultESE_EEEENSA_INSB_IlSD_SE_SE_EEEEZNS1_13binary_searchIS3_S5_PdSG_SI_NS1_21lower_bound_search_opENS9_16wrapped_functionI11custom_lessbEEEE10hipError_tPvRmT1_T2_T3_mmT4_T5_P12ihipStream_tbEUlRKdE_EESP_ST_SU_mSV_SY_bEUlT_E_NS1_11comp_targetILNS1_3genE0ELNS1_11target_archE4294967295ELNS1_3gpuE0ELNS1_3repE0EEENS1_30default_config_static_selectorELNS0_4arch9wavefront6targetE1EEEvSS_
	.globl	_ZN7rocprim17ROCPRIM_400000_NS6detail17trampoline_kernelINS0_14default_configENS1_27lower_bound_config_selectorIdlEEZNS1_14transform_implILb0ES3_S5_N6thrust23THRUST_200600_302600_NS6detail15normal_iteratorINS8_7pointerIdNS8_11hip_rocprim5par_tENS8_11use_defaultESE_EEEENSA_INSB_IlSD_SE_SE_EEEEZNS1_13binary_searchIS3_S5_PdSG_SI_NS1_21lower_bound_search_opENS9_16wrapped_functionI11custom_lessbEEEE10hipError_tPvRmT1_T2_T3_mmT4_T5_P12ihipStream_tbEUlRKdE_EESP_ST_SU_mSV_SY_bEUlT_E_NS1_11comp_targetILNS1_3genE0ELNS1_11target_archE4294967295ELNS1_3gpuE0ELNS1_3repE0EEENS1_30default_config_static_selectorELNS0_4arch9wavefront6targetE1EEEvSS_
	.p2align	8
	.type	_ZN7rocprim17ROCPRIM_400000_NS6detail17trampoline_kernelINS0_14default_configENS1_27lower_bound_config_selectorIdlEEZNS1_14transform_implILb0ES3_S5_N6thrust23THRUST_200600_302600_NS6detail15normal_iteratorINS8_7pointerIdNS8_11hip_rocprim5par_tENS8_11use_defaultESE_EEEENSA_INSB_IlSD_SE_SE_EEEEZNS1_13binary_searchIS3_S5_PdSG_SI_NS1_21lower_bound_search_opENS9_16wrapped_functionI11custom_lessbEEEE10hipError_tPvRmT1_T2_T3_mmT4_T5_P12ihipStream_tbEUlRKdE_EESP_ST_SU_mSV_SY_bEUlT_E_NS1_11comp_targetILNS1_3genE0ELNS1_11target_archE4294967295ELNS1_3gpuE0ELNS1_3repE0EEENS1_30default_config_static_selectorELNS0_4arch9wavefront6targetE1EEEvSS_,@function
_ZN7rocprim17ROCPRIM_400000_NS6detail17trampoline_kernelINS0_14default_configENS1_27lower_bound_config_selectorIdlEEZNS1_14transform_implILb0ES3_S5_N6thrust23THRUST_200600_302600_NS6detail15normal_iteratorINS8_7pointerIdNS8_11hip_rocprim5par_tENS8_11use_defaultESE_EEEENSA_INSB_IlSD_SE_SE_EEEEZNS1_13binary_searchIS3_S5_PdSG_SI_NS1_21lower_bound_search_opENS9_16wrapped_functionI11custom_lessbEEEE10hipError_tPvRmT1_T2_T3_mmT4_T5_P12ihipStream_tbEUlRKdE_EESP_ST_SU_mSV_SY_bEUlT_E_NS1_11comp_targetILNS1_3genE0ELNS1_11target_archE4294967295ELNS1_3gpuE0ELNS1_3repE0EEENS1_30default_config_static_selectorELNS0_4arch9wavefront6targetE1EEEvSS_: ; @_ZN7rocprim17ROCPRIM_400000_NS6detail17trampoline_kernelINS0_14default_configENS1_27lower_bound_config_selectorIdlEEZNS1_14transform_implILb0ES3_S5_N6thrust23THRUST_200600_302600_NS6detail15normal_iteratorINS8_7pointerIdNS8_11hip_rocprim5par_tENS8_11use_defaultESE_EEEENSA_INSB_IlSD_SE_SE_EEEEZNS1_13binary_searchIS3_S5_PdSG_SI_NS1_21lower_bound_search_opENS9_16wrapped_functionI11custom_lessbEEEE10hipError_tPvRmT1_T2_T3_mmT4_T5_P12ihipStream_tbEUlRKdE_EESP_ST_SU_mSV_SY_bEUlT_E_NS1_11comp_targetILNS1_3genE0ELNS1_11target_archE4294967295ELNS1_3gpuE0ELNS1_3repE0EEENS1_30default_config_static_selectorELNS0_4arch9wavefront6targetE1EEEvSS_
; %bb.0:
	.section	.rodata,"a",@progbits
	.p2align	6, 0x0
	.amdhsa_kernel _ZN7rocprim17ROCPRIM_400000_NS6detail17trampoline_kernelINS0_14default_configENS1_27lower_bound_config_selectorIdlEEZNS1_14transform_implILb0ES3_S5_N6thrust23THRUST_200600_302600_NS6detail15normal_iteratorINS8_7pointerIdNS8_11hip_rocprim5par_tENS8_11use_defaultESE_EEEENSA_INSB_IlSD_SE_SE_EEEEZNS1_13binary_searchIS3_S5_PdSG_SI_NS1_21lower_bound_search_opENS9_16wrapped_functionI11custom_lessbEEEE10hipError_tPvRmT1_T2_T3_mmT4_T5_P12ihipStream_tbEUlRKdE_EESP_ST_SU_mSV_SY_bEUlT_E_NS1_11comp_targetILNS1_3genE0ELNS1_11target_archE4294967295ELNS1_3gpuE0ELNS1_3repE0EEENS1_30default_config_static_selectorELNS0_4arch9wavefront6targetE1EEEvSS_
		.amdhsa_group_segment_fixed_size 0
		.amdhsa_private_segment_fixed_size 0
		.amdhsa_kernarg_size 56
		.amdhsa_user_sgpr_count 6
		.amdhsa_user_sgpr_private_segment_buffer 1
		.amdhsa_user_sgpr_dispatch_ptr 0
		.amdhsa_user_sgpr_queue_ptr 0
		.amdhsa_user_sgpr_kernarg_segment_ptr 1
		.amdhsa_user_sgpr_dispatch_id 0
		.amdhsa_user_sgpr_flat_scratch_init 0
		.amdhsa_user_sgpr_private_segment_size 0
		.amdhsa_uses_dynamic_stack 0
		.amdhsa_system_sgpr_private_segment_wavefront_offset 0
		.amdhsa_system_sgpr_workgroup_id_x 1
		.amdhsa_system_sgpr_workgroup_id_y 0
		.amdhsa_system_sgpr_workgroup_id_z 0
		.amdhsa_system_sgpr_workgroup_info 0
		.amdhsa_system_vgpr_workitem_id 0
		.amdhsa_next_free_vgpr 1
		.amdhsa_next_free_sgpr 0
		.amdhsa_reserve_vcc 0
		.amdhsa_reserve_flat_scratch 0
		.amdhsa_float_round_mode_32 0
		.amdhsa_float_round_mode_16_64 0
		.amdhsa_float_denorm_mode_32 3
		.amdhsa_float_denorm_mode_16_64 3
		.amdhsa_dx10_clamp 1
		.amdhsa_ieee_mode 1
		.amdhsa_fp16_overflow 0
		.amdhsa_exception_fp_ieee_invalid_op 0
		.amdhsa_exception_fp_denorm_src 0
		.amdhsa_exception_fp_ieee_div_zero 0
		.amdhsa_exception_fp_ieee_overflow 0
		.amdhsa_exception_fp_ieee_underflow 0
		.amdhsa_exception_fp_ieee_inexact 0
		.amdhsa_exception_int_div_zero 0
	.end_amdhsa_kernel
	.section	.text._ZN7rocprim17ROCPRIM_400000_NS6detail17trampoline_kernelINS0_14default_configENS1_27lower_bound_config_selectorIdlEEZNS1_14transform_implILb0ES3_S5_N6thrust23THRUST_200600_302600_NS6detail15normal_iteratorINS8_7pointerIdNS8_11hip_rocprim5par_tENS8_11use_defaultESE_EEEENSA_INSB_IlSD_SE_SE_EEEEZNS1_13binary_searchIS3_S5_PdSG_SI_NS1_21lower_bound_search_opENS9_16wrapped_functionI11custom_lessbEEEE10hipError_tPvRmT1_T2_T3_mmT4_T5_P12ihipStream_tbEUlRKdE_EESP_ST_SU_mSV_SY_bEUlT_E_NS1_11comp_targetILNS1_3genE0ELNS1_11target_archE4294967295ELNS1_3gpuE0ELNS1_3repE0EEENS1_30default_config_static_selectorELNS0_4arch9wavefront6targetE1EEEvSS_,"axG",@progbits,_ZN7rocprim17ROCPRIM_400000_NS6detail17trampoline_kernelINS0_14default_configENS1_27lower_bound_config_selectorIdlEEZNS1_14transform_implILb0ES3_S5_N6thrust23THRUST_200600_302600_NS6detail15normal_iteratorINS8_7pointerIdNS8_11hip_rocprim5par_tENS8_11use_defaultESE_EEEENSA_INSB_IlSD_SE_SE_EEEEZNS1_13binary_searchIS3_S5_PdSG_SI_NS1_21lower_bound_search_opENS9_16wrapped_functionI11custom_lessbEEEE10hipError_tPvRmT1_T2_T3_mmT4_T5_P12ihipStream_tbEUlRKdE_EESP_ST_SU_mSV_SY_bEUlT_E_NS1_11comp_targetILNS1_3genE0ELNS1_11target_archE4294967295ELNS1_3gpuE0ELNS1_3repE0EEENS1_30default_config_static_selectorELNS0_4arch9wavefront6targetE1EEEvSS_,comdat
.Lfunc_end4:
	.size	_ZN7rocprim17ROCPRIM_400000_NS6detail17trampoline_kernelINS0_14default_configENS1_27lower_bound_config_selectorIdlEEZNS1_14transform_implILb0ES3_S5_N6thrust23THRUST_200600_302600_NS6detail15normal_iteratorINS8_7pointerIdNS8_11hip_rocprim5par_tENS8_11use_defaultESE_EEEENSA_INSB_IlSD_SE_SE_EEEEZNS1_13binary_searchIS3_S5_PdSG_SI_NS1_21lower_bound_search_opENS9_16wrapped_functionI11custom_lessbEEEE10hipError_tPvRmT1_T2_T3_mmT4_T5_P12ihipStream_tbEUlRKdE_EESP_ST_SU_mSV_SY_bEUlT_E_NS1_11comp_targetILNS1_3genE0ELNS1_11target_archE4294967295ELNS1_3gpuE0ELNS1_3repE0EEENS1_30default_config_static_selectorELNS0_4arch9wavefront6targetE1EEEvSS_, .Lfunc_end4-_ZN7rocprim17ROCPRIM_400000_NS6detail17trampoline_kernelINS0_14default_configENS1_27lower_bound_config_selectorIdlEEZNS1_14transform_implILb0ES3_S5_N6thrust23THRUST_200600_302600_NS6detail15normal_iteratorINS8_7pointerIdNS8_11hip_rocprim5par_tENS8_11use_defaultESE_EEEENSA_INSB_IlSD_SE_SE_EEEEZNS1_13binary_searchIS3_S5_PdSG_SI_NS1_21lower_bound_search_opENS9_16wrapped_functionI11custom_lessbEEEE10hipError_tPvRmT1_T2_T3_mmT4_T5_P12ihipStream_tbEUlRKdE_EESP_ST_SU_mSV_SY_bEUlT_E_NS1_11comp_targetILNS1_3genE0ELNS1_11target_archE4294967295ELNS1_3gpuE0ELNS1_3repE0EEENS1_30default_config_static_selectorELNS0_4arch9wavefront6targetE1EEEvSS_
                                        ; -- End function
	.set _ZN7rocprim17ROCPRIM_400000_NS6detail17trampoline_kernelINS0_14default_configENS1_27lower_bound_config_selectorIdlEEZNS1_14transform_implILb0ES3_S5_N6thrust23THRUST_200600_302600_NS6detail15normal_iteratorINS8_7pointerIdNS8_11hip_rocprim5par_tENS8_11use_defaultESE_EEEENSA_INSB_IlSD_SE_SE_EEEEZNS1_13binary_searchIS3_S5_PdSG_SI_NS1_21lower_bound_search_opENS9_16wrapped_functionI11custom_lessbEEEE10hipError_tPvRmT1_T2_T3_mmT4_T5_P12ihipStream_tbEUlRKdE_EESP_ST_SU_mSV_SY_bEUlT_E_NS1_11comp_targetILNS1_3genE0ELNS1_11target_archE4294967295ELNS1_3gpuE0ELNS1_3repE0EEENS1_30default_config_static_selectorELNS0_4arch9wavefront6targetE1EEEvSS_.num_vgpr, 0
	.set _ZN7rocprim17ROCPRIM_400000_NS6detail17trampoline_kernelINS0_14default_configENS1_27lower_bound_config_selectorIdlEEZNS1_14transform_implILb0ES3_S5_N6thrust23THRUST_200600_302600_NS6detail15normal_iteratorINS8_7pointerIdNS8_11hip_rocprim5par_tENS8_11use_defaultESE_EEEENSA_INSB_IlSD_SE_SE_EEEEZNS1_13binary_searchIS3_S5_PdSG_SI_NS1_21lower_bound_search_opENS9_16wrapped_functionI11custom_lessbEEEE10hipError_tPvRmT1_T2_T3_mmT4_T5_P12ihipStream_tbEUlRKdE_EESP_ST_SU_mSV_SY_bEUlT_E_NS1_11comp_targetILNS1_3genE0ELNS1_11target_archE4294967295ELNS1_3gpuE0ELNS1_3repE0EEENS1_30default_config_static_selectorELNS0_4arch9wavefront6targetE1EEEvSS_.num_agpr, 0
	.set _ZN7rocprim17ROCPRIM_400000_NS6detail17trampoline_kernelINS0_14default_configENS1_27lower_bound_config_selectorIdlEEZNS1_14transform_implILb0ES3_S5_N6thrust23THRUST_200600_302600_NS6detail15normal_iteratorINS8_7pointerIdNS8_11hip_rocprim5par_tENS8_11use_defaultESE_EEEENSA_INSB_IlSD_SE_SE_EEEEZNS1_13binary_searchIS3_S5_PdSG_SI_NS1_21lower_bound_search_opENS9_16wrapped_functionI11custom_lessbEEEE10hipError_tPvRmT1_T2_T3_mmT4_T5_P12ihipStream_tbEUlRKdE_EESP_ST_SU_mSV_SY_bEUlT_E_NS1_11comp_targetILNS1_3genE0ELNS1_11target_archE4294967295ELNS1_3gpuE0ELNS1_3repE0EEENS1_30default_config_static_selectorELNS0_4arch9wavefront6targetE1EEEvSS_.numbered_sgpr, 0
	.set _ZN7rocprim17ROCPRIM_400000_NS6detail17trampoline_kernelINS0_14default_configENS1_27lower_bound_config_selectorIdlEEZNS1_14transform_implILb0ES3_S5_N6thrust23THRUST_200600_302600_NS6detail15normal_iteratorINS8_7pointerIdNS8_11hip_rocprim5par_tENS8_11use_defaultESE_EEEENSA_INSB_IlSD_SE_SE_EEEEZNS1_13binary_searchIS3_S5_PdSG_SI_NS1_21lower_bound_search_opENS9_16wrapped_functionI11custom_lessbEEEE10hipError_tPvRmT1_T2_T3_mmT4_T5_P12ihipStream_tbEUlRKdE_EESP_ST_SU_mSV_SY_bEUlT_E_NS1_11comp_targetILNS1_3genE0ELNS1_11target_archE4294967295ELNS1_3gpuE0ELNS1_3repE0EEENS1_30default_config_static_selectorELNS0_4arch9wavefront6targetE1EEEvSS_.num_named_barrier, 0
	.set _ZN7rocprim17ROCPRIM_400000_NS6detail17trampoline_kernelINS0_14default_configENS1_27lower_bound_config_selectorIdlEEZNS1_14transform_implILb0ES3_S5_N6thrust23THRUST_200600_302600_NS6detail15normal_iteratorINS8_7pointerIdNS8_11hip_rocprim5par_tENS8_11use_defaultESE_EEEENSA_INSB_IlSD_SE_SE_EEEEZNS1_13binary_searchIS3_S5_PdSG_SI_NS1_21lower_bound_search_opENS9_16wrapped_functionI11custom_lessbEEEE10hipError_tPvRmT1_T2_T3_mmT4_T5_P12ihipStream_tbEUlRKdE_EESP_ST_SU_mSV_SY_bEUlT_E_NS1_11comp_targetILNS1_3genE0ELNS1_11target_archE4294967295ELNS1_3gpuE0ELNS1_3repE0EEENS1_30default_config_static_selectorELNS0_4arch9wavefront6targetE1EEEvSS_.private_seg_size, 0
	.set _ZN7rocprim17ROCPRIM_400000_NS6detail17trampoline_kernelINS0_14default_configENS1_27lower_bound_config_selectorIdlEEZNS1_14transform_implILb0ES3_S5_N6thrust23THRUST_200600_302600_NS6detail15normal_iteratorINS8_7pointerIdNS8_11hip_rocprim5par_tENS8_11use_defaultESE_EEEENSA_INSB_IlSD_SE_SE_EEEEZNS1_13binary_searchIS3_S5_PdSG_SI_NS1_21lower_bound_search_opENS9_16wrapped_functionI11custom_lessbEEEE10hipError_tPvRmT1_T2_T3_mmT4_T5_P12ihipStream_tbEUlRKdE_EESP_ST_SU_mSV_SY_bEUlT_E_NS1_11comp_targetILNS1_3genE0ELNS1_11target_archE4294967295ELNS1_3gpuE0ELNS1_3repE0EEENS1_30default_config_static_selectorELNS0_4arch9wavefront6targetE1EEEvSS_.uses_vcc, 0
	.set _ZN7rocprim17ROCPRIM_400000_NS6detail17trampoline_kernelINS0_14default_configENS1_27lower_bound_config_selectorIdlEEZNS1_14transform_implILb0ES3_S5_N6thrust23THRUST_200600_302600_NS6detail15normal_iteratorINS8_7pointerIdNS8_11hip_rocprim5par_tENS8_11use_defaultESE_EEEENSA_INSB_IlSD_SE_SE_EEEEZNS1_13binary_searchIS3_S5_PdSG_SI_NS1_21lower_bound_search_opENS9_16wrapped_functionI11custom_lessbEEEE10hipError_tPvRmT1_T2_T3_mmT4_T5_P12ihipStream_tbEUlRKdE_EESP_ST_SU_mSV_SY_bEUlT_E_NS1_11comp_targetILNS1_3genE0ELNS1_11target_archE4294967295ELNS1_3gpuE0ELNS1_3repE0EEENS1_30default_config_static_selectorELNS0_4arch9wavefront6targetE1EEEvSS_.uses_flat_scratch, 0
	.set _ZN7rocprim17ROCPRIM_400000_NS6detail17trampoline_kernelINS0_14default_configENS1_27lower_bound_config_selectorIdlEEZNS1_14transform_implILb0ES3_S5_N6thrust23THRUST_200600_302600_NS6detail15normal_iteratorINS8_7pointerIdNS8_11hip_rocprim5par_tENS8_11use_defaultESE_EEEENSA_INSB_IlSD_SE_SE_EEEEZNS1_13binary_searchIS3_S5_PdSG_SI_NS1_21lower_bound_search_opENS9_16wrapped_functionI11custom_lessbEEEE10hipError_tPvRmT1_T2_T3_mmT4_T5_P12ihipStream_tbEUlRKdE_EESP_ST_SU_mSV_SY_bEUlT_E_NS1_11comp_targetILNS1_3genE0ELNS1_11target_archE4294967295ELNS1_3gpuE0ELNS1_3repE0EEENS1_30default_config_static_selectorELNS0_4arch9wavefront6targetE1EEEvSS_.has_dyn_sized_stack, 0
	.set _ZN7rocprim17ROCPRIM_400000_NS6detail17trampoline_kernelINS0_14default_configENS1_27lower_bound_config_selectorIdlEEZNS1_14transform_implILb0ES3_S5_N6thrust23THRUST_200600_302600_NS6detail15normal_iteratorINS8_7pointerIdNS8_11hip_rocprim5par_tENS8_11use_defaultESE_EEEENSA_INSB_IlSD_SE_SE_EEEEZNS1_13binary_searchIS3_S5_PdSG_SI_NS1_21lower_bound_search_opENS9_16wrapped_functionI11custom_lessbEEEE10hipError_tPvRmT1_T2_T3_mmT4_T5_P12ihipStream_tbEUlRKdE_EESP_ST_SU_mSV_SY_bEUlT_E_NS1_11comp_targetILNS1_3genE0ELNS1_11target_archE4294967295ELNS1_3gpuE0ELNS1_3repE0EEENS1_30default_config_static_selectorELNS0_4arch9wavefront6targetE1EEEvSS_.has_recursion, 0
	.set _ZN7rocprim17ROCPRIM_400000_NS6detail17trampoline_kernelINS0_14default_configENS1_27lower_bound_config_selectorIdlEEZNS1_14transform_implILb0ES3_S5_N6thrust23THRUST_200600_302600_NS6detail15normal_iteratorINS8_7pointerIdNS8_11hip_rocprim5par_tENS8_11use_defaultESE_EEEENSA_INSB_IlSD_SE_SE_EEEEZNS1_13binary_searchIS3_S5_PdSG_SI_NS1_21lower_bound_search_opENS9_16wrapped_functionI11custom_lessbEEEE10hipError_tPvRmT1_T2_T3_mmT4_T5_P12ihipStream_tbEUlRKdE_EESP_ST_SU_mSV_SY_bEUlT_E_NS1_11comp_targetILNS1_3genE0ELNS1_11target_archE4294967295ELNS1_3gpuE0ELNS1_3repE0EEENS1_30default_config_static_selectorELNS0_4arch9wavefront6targetE1EEEvSS_.has_indirect_call, 0
	.section	.AMDGPU.csdata,"",@progbits
; Kernel info:
; codeLenInByte = 0
; TotalNumSgprs: 4
; NumVgprs: 0
; ScratchSize: 0
; MemoryBound: 0
; FloatMode: 240
; IeeeMode: 1
; LDSByteSize: 0 bytes/workgroup (compile time only)
; SGPRBlocks: 0
; VGPRBlocks: 0
; NumSGPRsForWavesPerEU: 4
; NumVGPRsForWavesPerEU: 1
; Occupancy: 10
; WaveLimiterHint : 0
; COMPUTE_PGM_RSRC2:SCRATCH_EN: 0
; COMPUTE_PGM_RSRC2:USER_SGPR: 6
; COMPUTE_PGM_RSRC2:TRAP_HANDLER: 0
; COMPUTE_PGM_RSRC2:TGID_X_EN: 1
; COMPUTE_PGM_RSRC2:TGID_Y_EN: 0
; COMPUTE_PGM_RSRC2:TGID_Z_EN: 0
; COMPUTE_PGM_RSRC2:TIDIG_COMP_CNT: 0
	.section	.text._ZN7rocprim17ROCPRIM_400000_NS6detail17trampoline_kernelINS0_14default_configENS1_27lower_bound_config_selectorIdlEEZNS1_14transform_implILb0ES3_S5_N6thrust23THRUST_200600_302600_NS6detail15normal_iteratorINS8_7pointerIdNS8_11hip_rocprim5par_tENS8_11use_defaultESE_EEEENSA_INSB_IlSD_SE_SE_EEEEZNS1_13binary_searchIS3_S5_PdSG_SI_NS1_21lower_bound_search_opENS9_16wrapped_functionI11custom_lessbEEEE10hipError_tPvRmT1_T2_T3_mmT4_T5_P12ihipStream_tbEUlRKdE_EESP_ST_SU_mSV_SY_bEUlT_E_NS1_11comp_targetILNS1_3genE5ELNS1_11target_archE942ELNS1_3gpuE9ELNS1_3repE0EEENS1_30default_config_static_selectorELNS0_4arch9wavefront6targetE1EEEvSS_,"axG",@progbits,_ZN7rocprim17ROCPRIM_400000_NS6detail17trampoline_kernelINS0_14default_configENS1_27lower_bound_config_selectorIdlEEZNS1_14transform_implILb0ES3_S5_N6thrust23THRUST_200600_302600_NS6detail15normal_iteratorINS8_7pointerIdNS8_11hip_rocprim5par_tENS8_11use_defaultESE_EEEENSA_INSB_IlSD_SE_SE_EEEEZNS1_13binary_searchIS3_S5_PdSG_SI_NS1_21lower_bound_search_opENS9_16wrapped_functionI11custom_lessbEEEE10hipError_tPvRmT1_T2_T3_mmT4_T5_P12ihipStream_tbEUlRKdE_EESP_ST_SU_mSV_SY_bEUlT_E_NS1_11comp_targetILNS1_3genE5ELNS1_11target_archE942ELNS1_3gpuE9ELNS1_3repE0EEENS1_30default_config_static_selectorELNS0_4arch9wavefront6targetE1EEEvSS_,comdat
	.protected	_ZN7rocprim17ROCPRIM_400000_NS6detail17trampoline_kernelINS0_14default_configENS1_27lower_bound_config_selectorIdlEEZNS1_14transform_implILb0ES3_S5_N6thrust23THRUST_200600_302600_NS6detail15normal_iteratorINS8_7pointerIdNS8_11hip_rocprim5par_tENS8_11use_defaultESE_EEEENSA_INSB_IlSD_SE_SE_EEEEZNS1_13binary_searchIS3_S5_PdSG_SI_NS1_21lower_bound_search_opENS9_16wrapped_functionI11custom_lessbEEEE10hipError_tPvRmT1_T2_T3_mmT4_T5_P12ihipStream_tbEUlRKdE_EESP_ST_SU_mSV_SY_bEUlT_E_NS1_11comp_targetILNS1_3genE5ELNS1_11target_archE942ELNS1_3gpuE9ELNS1_3repE0EEENS1_30default_config_static_selectorELNS0_4arch9wavefront6targetE1EEEvSS_ ; -- Begin function _ZN7rocprim17ROCPRIM_400000_NS6detail17trampoline_kernelINS0_14default_configENS1_27lower_bound_config_selectorIdlEEZNS1_14transform_implILb0ES3_S5_N6thrust23THRUST_200600_302600_NS6detail15normal_iteratorINS8_7pointerIdNS8_11hip_rocprim5par_tENS8_11use_defaultESE_EEEENSA_INSB_IlSD_SE_SE_EEEEZNS1_13binary_searchIS3_S5_PdSG_SI_NS1_21lower_bound_search_opENS9_16wrapped_functionI11custom_lessbEEEE10hipError_tPvRmT1_T2_T3_mmT4_T5_P12ihipStream_tbEUlRKdE_EESP_ST_SU_mSV_SY_bEUlT_E_NS1_11comp_targetILNS1_3genE5ELNS1_11target_archE942ELNS1_3gpuE9ELNS1_3repE0EEENS1_30default_config_static_selectorELNS0_4arch9wavefront6targetE1EEEvSS_
	.globl	_ZN7rocprim17ROCPRIM_400000_NS6detail17trampoline_kernelINS0_14default_configENS1_27lower_bound_config_selectorIdlEEZNS1_14transform_implILb0ES3_S5_N6thrust23THRUST_200600_302600_NS6detail15normal_iteratorINS8_7pointerIdNS8_11hip_rocprim5par_tENS8_11use_defaultESE_EEEENSA_INSB_IlSD_SE_SE_EEEEZNS1_13binary_searchIS3_S5_PdSG_SI_NS1_21lower_bound_search_opENS9_16wrapped_functionI11custom_lessbEEEE10hipError_tPvRmT1_T2_T3_mmT4_T5_P12ihipStream_tbEUlRKdE_EESP_ST_SU_mSV_SY_bEUlT_E_NS1_11comp_targetILNS1_3genE5ELNS1_11target_archE942ELNS1_3gpuE9ELNS1_3repE0EEENS1_30default_config_static_selectorELNS0_4arch9wavefront6targetE1EEEvSS_
	.p2align	8
	.type	_ZN7rocprim17ROCPRIM_400000_NS6detail17trampoline_kernelINS0_14default_configENS1_27lower_bound_config_selectorIdlEEZNS1_14transform_implILb0ES3_S5_N6thrust23THRUST_200600_302600_NS6detail15normal_iteratorINS8_7pointerIdNS8_11hip_rocprim5par_tENS8_11use_defaultESE_EEEENSA_INSB_IlSD_SE_SE_EEEEZNS1_13binary_searchIS3_S5_PdSG_SI_NS1_21lower_bound_search_opENS9_16wrapped_functionI11custom_lessbEEEE10hipError_tPvRmT1_T2_T3_mmT4_T5_P12ihipStream_tbEUlRKdE_EESP_ST_SU_mSV_SY_bEUlT_E_NS1_11comp_targetILNS1_3genE5ELNS1_11target_archE942ELNS1_3gpuE9ELNS1_3repE0EEENS1_30default_config_static_selectorELNS0_4arch9wavefront6targetE1EEEvSS_,@function
_ZN7rocprim17ROCPRIM_400000_NS6detail17trampoline_kernelINS0_14default_configENS1_27lower_bound_config_selectorIdlEEZNS1_14transform_implILb0ES3_S5_N6thrust23THRUST_200600_302600_NS6detail15normal_iteratorINS8_7pointerIdNS8_11hip_rocprim5par_tENS8_11use_defaultESE_EEEENSA_INSB_IlSD_SE_SE_EEEEZNS1_13binary_searchIS3_S5_PdSG_SI_NS1_21lower_bound_search_opENS9_16wrapped_functionI11custom_lessbEEEE10hipError_tPvRmT1_T2_T3_mmT4_T5_P12ihipStream_tbEUlRKdE_EESP_ST_SU_mSV_SY_bEUlT_E_NS1_11comp_targetILNS1_3genE5ELNS1_11target_archE942ELNS1_3gpuE9ELNS1_3repE0EEENS1_30default_config_static_selectorELNS0_4arch9wavefront6targetE1EEEvSS_: ; @_ZN7rocprim17ROCPRIM_400000_NS6detail17trampoline_kernelINS0_14default_configENS1_27lower_bound_config_selectorIdlEEZNS1_14transform_implILb0ES3_S5_N6thrust23THRUST_200600_302600_NS6detail15normal_iteratorINS8_7pointerIdNS8_11hip_rocprim5par_tENS8_11use_defaultESE_EEEENSA_INSB_IlSD_SE_SE_EEEEZNS1_13binary_searchIS3_S5_PdSG_SI_NS1_21lower_bound_search_opENS9_16wrapped_functionI11custom_lessbEEEE10hipError_tPvRmT1_T2_T3_mmT4_T5_P12ihipStream_tbEUlRKdE_EESP_ST_SU_mSV_SY_bEUlT_E_NS1_11comp_targetILNS1_3genE5ELNS1_11target_archE942ELNS1_3gpuE9ELNS1_3repE0EEENS1_30default_config_static_selectorELNS0_4arch9wavefront6targetE1EEEvSS_
; %bb.0:
	.section	.rodata,"a",@progbits
	.p2align	6, 0x0
	.amdhsa_kernel _ZN7rocprim17ROCPRIM_400000_NS6detail17trampoline_kernelINS0_14default_configENS1_27lower_bound_config_selectorIdlEEZNS1_14transform_implILb0ES3_S5_N6thrust23THRUST_200600_302600_NS6detail15normal_iteratorINS8_7pointerIdNS8_11hip_rocprim5par_tENS8_11use_defaultESE_EEEENSA_INSB_IlSD_SE_SE_EEEEZNS1_13binary_searchIS3_S5_PdSG_SI_NS1_21lower_bound_search_opENS9_16wrapped_functionI11custom_lessbEEEE10hipError_tPvRmT1_T2_T3_mmT4_T5_P12ihipStream_tbEUlRKdE_EESP_ST_SU_mSV_SY_bEUlT_E_NS1_11comp_targetILNS1_3genE5ELNS1_11target_archE942ELNS1_3gpuE9ELNS1_3repE0EEENS1_30default_config_static_selectorELNS0_4arch9wavefront6targetE1EEEvSS_
		.amdhsa_group_segment_fixed_size 0
		.amdhsa_private_segment_fixed_size 0
		.amdhsa_kernarg_size 56
		.amdhsa_user_sgpr_count 6
		.amdhsa_user_sgpr_private_segment_buffer 1
		.amdhsa_user_sgpr_dispatch_ptr 0
		.amdhsa_user_sgpr_queue_ptr 0
		.amdhsa_user_sgpr_kernarg_segment_ptr 1
		.amdhsa_user_sgpr_dispatch_id 0
		.amdhsa_user_sgpr_flat_scratch_init 0
		.amdhsa_user_sgpr_private_segment_size 0
		.amdhsa_uses_dynamic_stack 0
		.amdhsa_system_sgpr_private_segment_wavefront_offset 0
		.amdhsa_system_sgpr_workgroup_id_x 1
		.amdhsa_system_sgpr_workgroup_id_y 0
		.amdhsa_system_sgpr_workgroup_id_z 0
		.amdhsa_system_sgpr_workgroup_info 0
		.amdhsa_system_vgpr_workitem_id 0
		.amdhsa_next_free_vgpr 1
		.amdhsa_next_free_sgpr 0
		.amdhsa_reserve_vcc 0
		.amdhsa_reserve_flat_scratch 0
		.amdhsa_float_round_mode_32 0
		.amdhsa_float_round_mode_16_64 0
		.amdhsa_float_denorm_mode_32 3
		.amdhsa_float_denorm_mode_16_64 3
		.amdhsa_dx10_clamp 1
		.amdhsa_ieee_mode 1
		.amdhsa_fp16_overflow 0
		.amdhsa_exception_fp_ieee_invalid_op 0
		.amdhsa_exception_fp_denorm_src 0
		.amdhsa_exception_fp_ieee_div_zero 0
		.amdhsa_exception_fp_ieee_overflow 0
		.amdhsa_exception_fp_ieee_underflow 0
		.amdhsa_exception_fp_ieee_inexact 0
		.amdhsa_exception_int_div_zero 0
	.end_amdhsa_kernel
	.section	.text._ZN7rocprim17ROCPRIM_400000_NS6detail17trampoline_kernelINS0_14default_configENS1_27lower_bound_config_selectorIdlEEZNS1_14transform_implILb0ES3_S5_N6thrust23THRUST_200600_302600_NS6detail15normal_iteratorINS8_7pointerIdNS8_11hip_rocprim5par_tENS8_11use_defaultESE_EEEENSA_INSB_IlSD_SE_SE_EEEEZNS1_13binary_searchIS3_S5_PdSG_SI_NS1_21lower_bound_search_opENS9_16wrapped_functionI11custom_lessbEEEE10hipError_tPvRmT1_T2_T3_mmT4_T5_P12ihipStream_tbEUlRKdE_EESP_ST_SU_mSV_SY_bEUlT_E_NS1_11comp_targetILNS1_3genE5ELNS1_11target_archE942ELNS1_3gpuE9ELNS1_3repE0EEENS1_30default_config_static_selectorELNS0_4arch9wavefront6targetE1EEEvSS_,"axG",@progbits,_ZN7rocprim17ROCPRIM_400000_NS6detail17trampoline_kernelINS0_14default_configENS1_27lower_bound_config_selectorIdlEEZNS1_14transform_implILb0ES3_S5_N6thrust23THRUST_200600_302600_NS6detail15normal_iteratorINS8_7pointerIdNS8_11hip_rocprim5par_tENS8_11use_defaultESE_EEEENSA_INSB_IlSD_SE_SE_EEEEZNS1_13binary_searchIS3_S5_PdSG_SI_NS1_21lower_bound_search_opENS9_16wrapped_functionI11custom_lessbEEEE10hipError_tPvRmT1_T2_T3_mmT4_T5_P12ihipStream_tbEUlRKdE_EESP_ST_SU_mSV_SY_bEUlT_E_NS1_11comp_targetILNS1_3genE5ELNS1_11target_archE942ELNS1_3gpuE9ELNS1_3repE0EEENS1_30default_config_static_selectorELNS0_4arch9wavefront6targetE1EEEvSS_,comdat
.Lfunc_end5:
	.size	_ZN7rocprim17ROCPRIM_400000_NS6detail17trampoline_kernelINS0_14default_configENS1_27lower_bound_config_selectorIdlEEZNS1_14transform_implILb0ES3_S5_N6thrust23THRUST_200600_302600_NS6detail15normal_iteratorINS8_7pointerIdNS8_11hip_rocprim5par_tENS8_11use_defaultESE_EEEENSA_INSB_IlSD_SE_SE_EEEEZNS1_13binary_searchIS3_S5_PdSG_SI_NS1_21lower_bound_search_opENS9_16wrapped_functionI11custom_lessbEEEE10hipError_tPvRmT1_T2_T3_mmT4_T5_P12ihipStream_tbEUlRKdE_EESP_ST_SU_mSV_SY_bEUlT_E_NS1_11comp_targetILNS1_3genE5ELNS1_11target_archE942ELNS1_3gpuE9ELNS1_3repE0EEENS1_30default_config_static_selectorELNS0_4arch9wavefront6targetE1EEEvSS_, .Lfunc_end5-_ZN7rocprim17ROCPRIM_400000_NS6detail17trampoline_kernelINS0_14default_configENS1_27lower_bound_config_selectorIdlEEZNS1_14transform_implILb0ES3_S5_N6thrust23THRUST_200600_302600_NS6detail15normal_iteratorINS8_7pointerIdNS8_11hip_rocprim5par_tENS8_11use_defaultESE_EEEENSA_INSB_IlSD_SE_SE_EEEEZNS1_13binary_searchIS3_S5_PdSG_SI_NS1_21lower_bound_search_opENS9_16wrapped_functionI11custom_lessbEEEE10hipError_tPvRmT1_T2_T3_mmT4_T5_P12ihipStream_tbEUlRKdE_EESP_ST_SU_mSV_SY_bEUlT_E_NS1_11comp_targetILNS1_3genE5ELNS1_11target_archE942ELNS1_3gpuE9ELNS1_3repE0EEENS1_30default_config_static_selectorELNS0_4arch9wavefront6targetE1EEEvSS_
                                        ; -- End function
	.set _ZN7rocprim17ROCPRIM_400000_NS6detail17trampoline_kernelINS0_14default_configENS1_27lower_bound_config_selectorIdlEEZNS1_14transform_implILb0ES3_S5_N6thrust23THRUST_200600_302600_NS6detail15normal_iteratorINS8_7pointerIdNS8_11hip_rocprim5par_tENS8_11use_defaultESE_EEEENSA_INSB_IlSD_SE_SE_EEEEZNS1_13binary_searchIS3_S5_PdSG_SI_NS1_21lower_bound_search_opENS9_16wrapped_functionI11custom_lessbEEEE10hipError_tPvRmT1_T2_T3_mmT4_T5_P12ihipStream_tbEUlRKdE_EESP_ST_SU_mSV_SY_bEUlT_E_NS1_11comp_targetILNS1_3genE5ELNS1_11target_archE942ELNS1_3gpuE9ELNS1_3repE0EEENS1_30default_config_static_selectorELNS0_4arch9wavefront6targetE1EEEvSS_.num_vgpr, 0
	.set _ZN7rocprim17ROCPRIM_400000_NS6detail17trampoline_kernelINS0_14default_configENS1_27lower_bound_config_selectorIdlEEZNS1_14transform_implILb0ES3_S5_N6thrust23THRUST_200600_302600_NS6detail15normal_iteratorINS8_7pointerIdNS8_11hip_rocprim5par_tENS8_11use_defaultESE_EEEENSA_INSB_IlSD_SE_SE_EEEEZNS1_13binary_searchIS3_S5_PdSG_SI_NS1_21lower_bound_search_opENS9_16wrapped_functionI11custom_lessbEEEE10hipError_tPvRmT1_T2_T3_mmT4_T5_P12ihipStream_tbEUlRKdE_EESP_ST_SU_mSV_SY_bEUlT_E_NS1_11comp_targetILNS1_3genE5ELNS1_11target_archE942ELNS1_3gpuE9ELNS1_3repE0EEENS1_30default_config_static_selectorELNS0_4arch9wavefront6targetE1EEEvSS_.num_agpr, 0
	.set _ZN7rocprim17ROCPRIM_400000_NS6detail17trampoline_kernelINS0_14default_configENS1_27lower_bound_config_selectorIdlEEZNS1_14transform_implILb0ES3_S5_N6thrust23THRUST_200600_302600_NS6detail15normal_iteratorINS8_7pointerIdNS8_11hip_rocprim5par_tENS8_11use_defaultESE_EEEENSA_INSB_IlSD_SE_SE_EEEEZNS1_13binary_searchIS3_S5_PdSG_SI_NS1_21lower_bound_search_opENS9_16wrapped_functionI11custom_lessbEEEE10hipError_tPvRmT1_T2_T3_mmT4_T5_P12ihipStream_tbEUlRKdE_EESP_ST_SU_mSV_SY_bEUlT_E_NS1_11comp_targetILNS1_3genE5ELNS1_11target_archE942ELNS1_3gpuE9ELNS1_3repE0EEENS1_30default_config_static_selectorELNS0_4arch9wavefront6targetE1EEEvSS_.numbered_sgpr, 0
	.set _ZN7rocprim17ROCPRIM_400000_NS6detail17trampoline_kernelINS0_14default_configENS1_27lower_bound_config_selectorIdlEEZNS1_14transform_implILb0ES3_S5_N6thrust23THRUST_200600_302600_NS6detail15normal_iteratorINS8_7pointerIdNS8_11hip_rocprim5par_tENS8_11use_defaultESE_EEEENSA_INSB_IlSD_SE_SE_EEEEZNS1_13binary_searchIS3_S5_PdSG_SI_NS1_21lower_bound_search_opENS9_16wrapped_functionI11custom_lessbEEEE10hipError_tPvRmT1_T2_T3_mmT4_T5_P12ihipStream_tbEUlRKdE_EESP_ST_SU_mSV_SY_bEUlT_E_NS1_11comp_targetILNS1_3genE5ELNS1_11target_archE942ELNS1_3gpuE9ELNS1_3repE0EEENS1_30default_config_static_selectorELNS0_4arch9wavefront6targetE1EEEvSS_.num_named_barrier, 0
	.set _ZN7rocprim17ROCPRIM_400000_NS6detail17trampoline_kernelINS0_14default_configENS1_27lower_bound_config_selectorIdlEEZNS1_14transform_implILb0ES3_S5_N6thrust23THRUST_200600_302600_NS6detail15normal_iteratorINS8_7pointerIdNS8_11hip_rocprim5par_tENS8_11use_defaultESE_EEEENSA_INSB_IlSD_SE_SE_EEEEZNS1_13binary_searchIS3_S5_PdSG_SI_NS1_21lower_bound_search_opENS9_16wrapped_functionI11custom_lessbEEEE10hipError_tPvRmT1_T2_T3_mmT4_T5_P12ihipStream_tbEUlRKdE_EESP_ST_SU_mSV_SY_bEUlT_E_NS1_11comp_targetILNS1_3genE5ELNS1_11target_archE942ELNS1_3gpuE9ELNS1_3repE0EEENS1_30default_config_static_selectorELNS0_4arch9wavefront6targetE1EEEvSS_.private_seg_size, 0
	.set _ZN7rocprim17ROCPRIM_400000_NS6detail17trampoline_kernelINS0_14default_configENS1_27lower_bound_config_selectorIdlEEZNS1_14transform_implILb0ES3_S5_N6thrust23THRUST_200600_302600_NS6detail15normal_iteratorINS8_7pointerIdNS8_11hip_rocprim5par_tENS8_11use_defaultESE_EEEENSA_INSB_IlSD_SE_SE_EEEEZNS1_13binary_searchIS3_S5_PdSG_SI_NS1_21lower_bound_search_opENS9_16wrapped_functionI11custom_lessbEEEE10hipError_tPvRmT1_T2_T3_mmT4_T5_P12ihipStream_tbEUlRKdE_EESP_ST_SU_mSV_SY_bEUlT_E_NS1_11comp_targetILNS1_3genE5ELNS1_11target_archE942ELNS1_3gpuE9ELNS1_3repE0EEENS1_30default_config_static_selectorELNS0_4arch9wavefront6targetE1EEEvSS_.uses_vcc, 0
	.set _ZN7rocprim17ROCPRIM_400000_NS6detail17trampoline_kernelINS0_14default_configENS1_27lower_bound_config_selectorIdlEEZNS1_14transform_implILb0ES3_S5_N6thrust23THRUST_200600_302600_NS6detail15normal_iteratorINS8_7pointerIdNS8_11hip_rocprim5par_tENS8_11use_defaultESE_EEEENSA_INSB_IlSD_SE_SE_EEEEZNS1_13binary_searchIS3_S5_PdSG_SI_NS1_21lower_bound_search_opENS9_16wrapped_functionI11custom_lessbEEEE10hipError_tPvRmT1_T2_T3_mmT4_T5_P12ihipStream_tbEUlRKdE_EESP_ST_SU_mSV_SY_bEUlT_E_NS1_11comp_targetILNS1_3genE5ELNS1_11target_archE942ELNS1_3gpuE9ELNS1_3repE0EEENS1_30default_config_static_selectorELNS0_4arch9wavefront6targetE1EEEvSS_.uses_flat_scratch, 0
	.set _ZN7rocprim17ROCPRIM_400000_NS6detail17trampoline_kernelINS0_14default_configENS1_27lower_bound_config_selectorIdlEEZNS1_14transform_implILb0ES3_S5_N6thrust23THRUST_200600_302600_NS6detail15normal_iteratorINS8_7pointerIdNS8_11hip_rocprim5par_tENS8_11use_defaultESE_EEEENSA_INSB_IlSD_SE_SE_EEEEZNS1_13binary_searchIS3_S5_PdSG_SI_NS1_21lower_bound_search_opENS9_16wrapped_functionI11custom_lessbEEEE10hipError_tPvRmT1_T2_T3_mmT4_T5_P12ihipStream_tbEUlRKdE_EESP_ST_SU_mSV_SY_bEUlT_E_NS1_11comp_targetILNS1_3genE5ELNS1_11target_archE942ELNS1_3gpuE9ELNS1_3repE0EEENS1_30default_config_static_selectorELNS0_4arch9wavefront6targetE1EEEvSS_.has_dyn_sized_stack, 0
	.set _ZN7rocprim17ROCPRIM_400000_NS6detail17trampoline_kernelINS0_14default_configENS1_27lower_bound_config_selectorIdlEEZNS1_14transform_implILb0ES3_S5_N6thrust23THRUST_200600_302600_NS6detail15normal_iteratorINS8_7pointerIdNS8_11hip_rocprim5par_tENS8_11use_defaultESE_EEEENSA_INSB_IlSD_SE_SE_EEEEZNS1_13binary_searchIS3_S5_PdSG_SI_NS1_21lower_bound_search_opENS9_16wrapped_functionI11custom_lessbEEEE10hipError_tPvRmT1_T2_T3_mmT4_T5_P12ihipStream_tbEUlRKdE_EESP_ST_SU_mSV_SY_bEUlT_E_NS1_11comp_targetILNS1_3genE5ELNS1_11target_archE942ELNS1_3gpuE9ELNS1_3repE0EEENS1_30default_config_static_selectorELNS0_4arch9wavefront6targetE1EEEvSS_.has_recursion, 0
	.set _ZN7rocprim17ROCPRIM_400000_NS6detail17trampoline_kernelINS0_14default_configENS1_27lower_bound_config_selectorIdlEEZNS1_14transform_implILb0ES3_S5_N6thrust23THRUST_200600_302600_NS6detail15normal_iteratorINS8_7pointerIdNS8_11hip_rocprim5par_tENS8_11use_defaultESE_EEEENSA_INSB_IlSD_SE_SE_EEEEZNS1_13binary_searchIS3_S5_PdSG_SI_NS1_21lower_bound_search_opENS9_16wrapped_functionI11custom_lessbEEEE10hipError_tPvRmT1_T2_T3_mmT4_T5_P12ihipStream_tbEUlRKdE_EESP_ST_SU_mSV_SY_bEUlT_E_NS1_11comp_targetILNS1_3genE5ELNS1_11target_archE942ELNS1_3gpuE9ELNS1_3repE0EEENS1_30default_config_static_selectorELNS0_4arch9wavefront6targetE1EEEvSS_.has_indirect_call, 0
	.section	.AMDGPU.csdata,"",@progbits
; Kernel info:
; codeLenInByte = 0
; TotalNumSgprs: 4
; NumVgprs: 0
; ScratchSize: 0
; MemoryBound: 0
; FloatMode: 240
; IeeeMode: 1
; LDSByteSize: 0 bytes/workgroup (compile time only)
; SGPRBlocks: 0
; VGPRBlocks: 0
; NumSGPRsForWavesPerEU: 4
; NumVGPRsForWavesPerEU: 1
; Occupancy: 10
; WaveLimiterHint : 0
; COMPUTE_PGM_RSRC2:SCRATCH_EN: 0
; COMPUTE_PGM_RSRC2:USER_SGPR: 6
; COMPUTE_PGM_RSRC2:TRAP_HANDLER: 0
; COMPUTE_PGM_RSRC2:TGID_X_EN: 1
; COMPUTE_PGM_RSRC2:TGID_Y_EN: 0
; COMPUTE_PGM_RSRC2:TGID_Z_EN: 0
; COMPUTE_PGM_RSRC2:TIDIG_COMP_CNT: 0
	.section	.text._ZN7rocprim17ROCPRIM_400000_NS6detail17trampoline_kernelINS0_14default_configENS1_27lower_bound_config_selectorIdlEEZNS1_14transform_implILb0ES3_S5_N6thrust23THRUST_200600_302600_NS6detail15normal_iteratorINS8_7pointerIdNS8_11hip_rocprim5par_tENS8_11use_defaultESE_EEEENSA_INSB_IlSD_SE_SE_EEEEZNS1_13binary_searchIS3_S5_PdSG_SI_NS1_21lower_bound_search_opENS9_16wrapped_functionI11custom_lessbEEEE10hipError_tPvRmT1_T2_T3_mmT4_T5_P12ihipStream_tbEUlRKdE_EESP_ST_SU_mSV_SY_bEUlT_E_NS1_11comp_targetILNS1_3genE4ELNS1_11target_archE910ELNS1_3gpuE8ELNS1_3repE0EEENS1_30default_config_static_selectorELNS0_4arch9wavefront6targetE1EEEvSS_,"axG",@progbits,_ZN7rocprim17ROCPRIM_400000_NS6detail17trampoline_kernelINS0_14default_configENS1_27lower_bound_config_selectorIdlEEZNS1_14transform_implILb0ES3_S5_N6thrust23THRUST_200600_302600_NS6detail15normal_iteratorINS8_7pointerIdNS8_11hip_rocprim5par_tENS8_11use_defaultESE_EEEENSA_INSB_IlSD_SE_SE_EEEEZNS1_13binary_searchIS3_S5_PdSG_SI_NS1_21lower_bound_search_opENS9_16wrapped_functionI11custom_lessbEEEE10hipError_tPvRmT1_T2_T3_mmT4_T5_P12ihipStream_tbEUlRKdE_EESP_ST_SU_mSV_SY_bEUlT_E_NS1_11comp_targetILNS1_3genE4ELNS1_11target_archE910ELNS1_3gpuE8ELNS1_3repE0EEENS1_30default_config_static_selectorELNS0_4arch9wavefront6targetE1EEEvSS_,comdat
	.protected	_ZN7rocprim17ROCPRIM_400000_NS6detail17trampoline_kernelINS0_14default_configENS1_27lower_bound_config_selectorIdlEEZNS1_14transform_implILb0ES3_S5_N6thrust23THRUST_200600_302600_NS6detail15normal_iteratorINS8_7pointerIdNS8_11hip_rocprim5par_tENS8_11use_defaultESE_EEEENSA_INSB_IlSD_SE_SE_EEEEZNS1_13binary_searchIS3_S5_PdSG_SI_NS1_21lower_bound_search_opENS9_16wrapped_functionI11custom_lessbEEEE10hipError_tPvRmT1_T2_T3_mmT4_T5_P12ihipStream_tbEUlRKdE_EESP_ST_SU_mSV_SY_bEUlT_E_NS1_11comp_targetILNS1_3genE4ELNS1_11target_archE910ELNS1_3gpuE8ELNS1_3repE0EEENS1_30default_config_static_selectorELNS0_4arch9wavefront6targetE1EEEvSS_ ; -- Begin function _ZN7rocprim17ROCPRIM_400000_NS6detail17trampoline_kernelINS0_14default_configENS1_27lower_bound_config_selectorIdlEEZNS1_14transform_implILb0ES3_S5_N6thrust23THRUST_200600_302600_NS6detail15normal_iteratorINS8_7pointerIdNS8_11hip_rocprim5par_tENS8_11use_defaultESE_EEEENSA_INSB_IlSD_SE_SE_EEEEZNS1_13binary_searchIS3_S5_PdSG_SI_NS1_21lower_bound_search_opENS9_16wrapped_functionI11custom_lessbEEEE10hipError_tPvRmT1_T2_T3_mmT4_T5_P12ihipStream_tbEUlRKdE_EESP_ST_SU_mSV_SY_bEUlT_E_NS1_11comp_targetILNS1_3genE4ELNS1_11target_archE910ELNS1_3gpuE8ELNS1_3repE0EEENS1_30default_config_static_selectorELNS0_4arch9wavefront6targetE1EEEvSS_
	.globl	_ZN7rocprim17ROCPRIM_400000_NS6detail17trampoline_kernelINS0_14default_configENS1_27lower_bound_config_selectorIdlEEZNS1_14transform_implILb0ES3_S5_N6thrust23THRUST_200600_302600_NS6detail15normal_iteratorINS8_7pointerIdNS8_11hip_rocprim5par_tENS8_11use_defaultESE_EEEENSA_INSB_IlSD_SE_SE_EEEEZNS1_13binary_searchIS3_S5_PdSG_SI_NS1_21lower_bound_search_opENS9_16wrapped_functionI11custom_lessbEEEE10hipError_tPvRmT1_T2_T3_mmT4_T5_P12ihipStream_tbEUlRKdE_EESP_ST_SU_mSV_SY_bEUlT_E_NS1_11comp_targetILNS1_3genE4ELNS1_11target_archE910ELNS1_3gpuE8ELNS1_3repE0EEENS1_30default_config_static_selectorELNS0_4arch9wavefront6targetE1EEEvSS_
	.p2align	8
	.type	_ZN7rocprim17ROCPRIM_400000_NS6detail17trampoline_kernelINS0_14default_configENS1_27lower_bound_config_selectorIdlEEZNS1_14transform_implILb0ES3_S5_N6thrust23THRUST_200600_302600_NS6detail15normal_iteratorINS8_7pointerIdNS8_11hip_rocprim5par_tENS8_11use_defaultESE_EEEENSA_INSB_IlSD_SE_SE_EEEEZNS1_13binary_searchIS3_S5_PdSG_SI_NS1_21lower_bound_search_opENS9_16wrapped_functionI11custom_lessbEEEE10hipError_tPvRmT1_T2_T3_mmT4_T5_P12ihipStream_tbEUlRKdE_EESP_ST_SU_mSV_SY_bEUlT_E_NS1_11comp_targetILNS1_3genE4ELNS1_11target_archE910ELNS1_3gpuE8ELNS1_3repE0EEENS1_30default_config_static_selectorELNS0_4arch9wavefront6targetE1EEEvSS_,@function
_ZN7rocprim17ROCPRIM_400000_NS6detail17trampoline_kernelINS0_14default_configENS1_27lower_bound_config_selectorIdlEEZNS1_14transform_implILb0ES3_S5_N6thrust23THRUST_200600_302600_NS6detail15normal_iteratorINS8_7pointerIdNS8_11hip_rocprim5par_tENS8_11use_defaultESE_EEEENSA_INSB_IlSD_SE_SE_EEEEZNS1_13binary_searchIS3_S5_PdSG_SI_NS1_21lower_bound_search_opENS9_16wrapped_functionI11custom_lessbEEEE10hipError_tPvRmT1_T2_T3_mmT4_T5_P12ihipStream_tbEUlRKdE_EESP_ST_SU_mSV_SY_bEUlT_E_NS1_11comp_targetILNS1_3genE4ELNS1_11target_archE910ELNS1_3gpuE8ELNS1_3repE0EEENS1_30default_config_static_selectorELNS0_4arch9wavefront6targetE1EEEvSS_: ; @_ZN7rocprim17ROCPRIM_400000_NS6detail17trampoline_kernelINS0_14default_configENS1_27lower_bound_config_selectorIdlEEZNS1_14transform_implILb0ES3_S5_N6thrust23THRUST_200600_302600_NS6detail15normal_iteratorINS8_7pointerIdNS8_11hip_rocprim5par_tENS8_11use_defaultESE_EEEENSA_INSB_IlSD_SE_SE_EEEEZNS1_13binary_searchIS3_S5_PdSG_SI_NS1_21lower_bound_search_opENS9_16wrapped_functionI11custom_lessbEEEE10hipError_tPvRmT1_T2_T3_mmT4_T5_P12ihipStream_tbEUlRKdE_EESP_ST_SU_mSV_SY_bEUlT_E_NS1_11comp_targetILNS1_3genE4ELNS1_11target_archE910ELNS1_3gpuE8ELNS1_3repE0EEENS1_30default_config_static_selectorELNS0_4arch9wavefront6targetE1EEEvSS_
; %bb.0:
	.section	.rodata,"a",@progbits
	.p2align	6, 0x0
	.amdhsa_kernel _ZN7rocprim17ROCPRIM_400000_NS6detail17trampoline_kernelINS0_14default_configENS1_27lower_bound_config_selectorIdlEEZNS1_14transform_implILb0ES3_S5_N6thrust23THRUST_200600_302600_NS6detail15normal_iteratorINS8_7pointerIdNS8_11hip_rocprim5par_tENS8_11use_defaultESE_EEEENSA_INSB_IlSD_SE_SE_EEEEZNS1_13binary_searchIS3_S5_PdSG_SI_NS1_21lower_bound_search_opENS9_16wrapped_functionI11custom_lessbEEEE10hipError_tPvRmT1_T2_T3_mmT4_T5_P12ihipStream_tbEUlRKdE_EESP_ST_SU_mSV_SY_bEUlT_E_NS1_11comp_targetILNS1_3genE4ELNS1_11target_archE910ELNS1_3gpuE8ELNS1_3repE0EEENS1_30default_config_static_selectorELNS0_4arch9wavefront6targetE1EEEvSS_
		.amdhsa_group_segment_fixed_size 0
		.amdhsa_private_segment_fixed_size 0
		.amdhsa_kernarg_size 56
		.amdhsa_user_sgpr_count 6
		.amdhsa_user_sgpr_private_segment_buffer 1
		.amdhsa_user_sgpr_dispatch_ptr 0
		.amdhsa_user_sgpr_queue_ptr 0
		.amdhsa_user_sgpr_kernarg_segment_ptr 1
		.amdhsa_user_sgpr_dispatch_id 0
		.amdhsa_user_sgpr_flat_scratch_init 0
		.amdhsa_user_sgpr_private_segment_size 0
		.amdhsa_uses_dynamic_stack 0
		.amdhsa_system_sgpr_private_segment_wavefront_offset 0
		.amdhsa_system_sgpr_workgroup_id_x 1
		.amdhsa_system_sgpr_workgroup_id_y 0
		.amdhsa_system_sgpr_workgroup_id_z 0
		.amdhsa_system_sgpr_workgroup_info 0
		.amdhsa_system_vgpr_workitem_id 0
		.amdhsa_next_free_vgpr 1
		.amdhsa_next_free_sgpr 0
		.amdhsa_reserve_vcc 0
		.amdhsa_reserve_flat_scratch 0
		.amdhsa_float_round_mode_32 0
		.amdhsa_float_round_mode_16_64 0
		.amdhsa_float_denorm_mode_32 3
		.amdhsa_float_denorm_mode_16_64 3
		.amdhsa_dx10_clamp 1
		.amdhsa_ieee_mode 1
		.amdhsa_fp16_overflow 0
		.amdhsa_exception_fp_ieee_invalid_op 0
		.amdhsa_exception_fp_denorm_src 0
		.amdhsa_exception_fp_ieee_div_zero 0
		.amdhsa_exception_fp_ieee_overflow 0
		.amdhsa_exception_fp_ieee_underflow 0
		.amdhsa_exception_fp_ieee_inexact 0
		.amdhsa_exception_int_div_zero 0
	.end_amdhsa_kernel
	.section	.text._ZN7rocprim17ROCPRIM_400000_NS6detail17trampoline_kernelINS0_14default_configENS1_27lower_bound_config_selectorIdlEEZNS1_14transform_implILb0ES3_S5_N6thrust23THRUST_200600_302600_NS6detail15normal_iteratorINS8_7pointerIdNS8_11hip_rocprim5par_tENS8_11use_defaultESE_EEEENSA_INSB_IlSD_SE_SE_EEEEZNS1_13binary_searchIS3_S5_PdSG_SI_NS1_21lower_bound_search_opENS9_16wrapped_functionI11custom_lessbEEEE10hipError_tPvRmT1_T2_T3_mmT4_T5_P12ihipStream_tbEUlRKdE_EESP_ST_SU_mSV_SY_bEUlT_E_NS1_11comp_targetILNS1_3genE4ELNS1_11target_archE910ELNS1_3gpuE8ELNS1_3repE0EEENS1_30default_config_static_selectorELNS0_4arch9wavefront6targetE1EEEvSS_,"axG",@progbits,_ZN7rocprim17ROCPRIM_400000_NS6detail17trampoline_kernelINS0_14default_configENS1_27lower_bound_config_selectorIdlEEZNS1_14transform_implILb0ES3_S5_N6thrust23THRUST_200600_302600_NS6detail15normal_iteratorINS8_7pointerIdNS8_11hip_rocprim5par_tENS8_11use_defaultESE_EEEENSA_INSB_IlSD_SE_SE_EEEEZNS1_13binary_searchIS3_S5_PdSG_SI_NS1_21lower_bound_search_opENS9_16wrapped_functionI11custom_lessbEEEE10hipError_tPvRmT1_T2_T3_mmT4_T5_P12ihipStream_tbEUlRKdE_EESP_ST_SU_mSV_SY_bEUlT_E_NS1_11comp_targetILNS1_3genE4ELNS1_11target_archE910ELNS1_3gpuE8ELNS1_3repE0EEENS1_30default_config_static_selectorELNS0_4arch9wavefront6targetE1EEEvSS_,comdat
.Lfunc_end6:
	.size	_ZN7rocprim17ROCPRIM_400000_NS6detail17trampoline_kernelINS0_14default_configENS1_27lower_bound_config_selectorIdlEEZNS1_14transform_implILb0ES3_S5_N6thrust23THRUST_200600_302600_NS6detail15normal_iteratorINS8_7pointerIdNS8_11hip_rocprim5par_tENS8_11use_defaultESE_EEEENSA_INSB_IlSD_SE_SE_EEEEZNS1_13binary_searchIS3_S5_PdSG_SI_NS1_21lower_bound_search_opENS9_16wrapped_functionI11custom_lessbEEEE10hipError_tPvRmT1_T2_T3_mmT4_T5_P12ihipStream_tbEUlRKdE_EESP_ST_SU_mSV_SY_bEUlT_E_NS1_11comp_targetILNS1_3genE4ELNS1_11target_archE910ELNS1_3gpuE8ELNS1_3repE0EEENS1_30default_config_static_selectorELNS0_4arch9wavefront6targetE1EEEvSS_, .Lfunc_end6-_ZN7rocprim17ROCPRIM_400000_NS6detail17trampoline_kernelINS0_14default_configENS1_27lower_bound_config_selectorIdlEEZNS1_14transform_implILb0ES3_S5_N6thrust23THRUST_200600_302600_NS6detail15normal_iteratorINS8_7pointerIdNS8_11hip_rocprim5par_tENS8_11use_defaultESE_EEEENSA_INSB_IlSD_SE_SE_EEEEZNS1_13binary_searchIS3_S5_PdSG_SI_NS1_21lower_bound_search_opENS9_16wrapped_functionI11custom_lessbEEEE10hipError_tPvRmT1_T2_T3_mmT4_T5_P12ihipStream_tbEUlRKdE_EESP_ST_SU_mSV_SY_bEUlT_E_NS1_11comp_targetILNS1_3genE4ELNS1_11target_archE910ELNS1_3gpuE8ELNS1_3repE0EEENS1_30default_config_static_selectorELNS0_4arch9wavefront6targetE1EEEvSS_
                                        ; -- End function
	.set _ZN7rocprim17ROCPRIM_400000_NS6detail17trampoline_kernelINS0_14default_configENS1_27lower_bound_config_selectorIdlEEZNS1_14transform_implILb0ES3_S5_N6thrust23THRUST_200600_302600_NS6detail15normal_iteratorINS8_7pointerIdNS8_11hip_rocprim5par_tENS8_11use_defaultESE_EEEENSA_INSB_IlSD_SE_SE_EEEEZNS1_13binary_searchIS3_S5_PdSG_SI_NS1_21lower_bound_search_opENS9_16wrapped_functionI11custom_lessbEEEE10hipError_tPvRmT1_T2_T3_mmT4_T5_P12ihipStream_tbEUlRKdE_EESP_ST_SU_mSV_SY_bEUlT_E_NS1_11comp_targetILNS1_3genE4ELNS1_11target_archE910ELNS1_3gpuE8ELNS1_3repE0EEENS1_30default_config_static_selectorELNS0_4arch9wavefront6targetE1EEEvSS_.num_vgpr, 0
	.set _ZN7rocprim17ROCPRIM_400000_NS6detail17trampoline_kernelINS0_14default_configENS1_27lower_bound_config_selectorIdlEEZNS1_14transform_implILb0ES3_S5_N6thrust23THRUST_200600_302600_NS6detail15normal_iteratorINS8_7pointerIdNS8_11hip_rocprim5par_tENS8_11use_defaultESE_EEEENSA_INSB_IlSD_SE_SE_EEEEZNS1_13binary_searchIS3_S5_PdSG_SI_NS1_21lower_bound_search_opENS9_16wrapped_functionI11custom_lessbEEEE10hipError_tPvRmT1_T2_T3_mmT4_T5_P12ihipStream_tbEUlRKdE_EESP_ST_SU_mSV_SY_bEUlT_E_NS1_11comp_targetILNS1_3genE4ELNS1_11target_archE910ELNS1_3gpuE8ELNS1_3repE0EEENS1_30default_config_static_selectorELNS0_4arch9wavefront6targetE1EEEvSS_.num_agpr, 0
	.set _ZN7rocprim17ROCPRIM_400000_NS6detail17trampoline_kernelINS0_14default_configENS1_27lower_bound_config_selectorIdlEEZNS1_14transform_implILb0ES3_S5_N6thrust23THRUST_200600_302600_NS6detail15normal_iteratorINS8_7pointerIdNS8_11hip_rocprim5par_tENS8_11use_defaultESE_EEEENSA_INSB_IlSD_SE_SE_EEEEZNS1_13binary_searchIS3_S5_PdSG_SI_NS1_21lower_bound_search_opENS9_16wrapped_functionI11custom_lessbEEEE10hipError_tPvRmT1_T2_T3_mmT4_T5_P12ihipStream_tbEUlRKdE_EESP_ST_SU_mSV_SY_bEUlT_E_NS1_11comp_targetILNS1_3genE4ELNS1_11target_archE910ELNS1_3gpuE8ELNS1_3repE0EEENS1_30default_config_static_selectorELNS0_4arch9wavefront6targetE1EEEvSS_.numbered_sgpr, 0
	.set _ZN7rocprim17ROCPRIM_400000_NS6detail17trampoline_kernelINS0_14default_configENS1_27lower_bound_config_selectorIdlEEZNS1_14transform_implILb0ES3_S5_N6thrust23THRUST_200600_302600_NS6detail15normal_iteratorINS8_7pointerIdNS8_11hip_rocprim5par_tENS8_11use_defaultESE_EEEENSA_INSB_IlSD_SE_SE_EEEEZNS1_13binary_searchIS3_S5_PdSG_SI_NS1_21lower_bound_search_opENS9_16wrapped_functionI11custom_lessbEEEE10hipError_tPvRmT1_T2_T3_mmT4_T5_P12ihipStream_tbEUlRKdE_EESP_ST_SU_mSV_SY_bEUlT_E_NS1_11comp_targetILNS1_3genE4ELNS1_11target_archE910ELNS1_3gpuE8ELNS1_3repE0EEENS1_30default_config_static_selectorELNS0_4arch9wavefront6targetE1EEEvSS_.num_named_barrier, 0
	.set _ZN7rocprim17ROCPRIM_400000_NS6detail17trampoline_kernelINS0_14default_configENS1_27lower_bound_config_selectorIdlEEZNS1_14transform_implILb0ES3_S5_N6thrust23THRUST_200600_302600_NS6detail15normal_iteratorINS8_7pointerIdNS8_11hip_rocprim5par_tENS8_11use_defaultESE_EEEENSA_INSB_IlSD_SE_SE_EEEEZNS1_13binary_searchIS3_S5_PdSG_SI_NS1_21lower_bound_search_opENS9_16wrapped_functionI11custom_lessbEEEE10hipError_tPvRmT1_T2_T3_mmT4_T5_P12ihipStream_tbEUlRKdE_EESP_ST_SU_mSV_SY_bEUlT_E_NS1_11comp_targetILNS1_3genE4ELNS1_11target_archE910ELNS1_3gpuE8ELNS1_3repE0EEENS1_30default_config_static_selectorELNS0_4arch9wavefront6targetE1EEEvSS_.private_seg_size, 0
	.set _ZN7rocprim17ROCPRIM_400000_NS6detail17trampoline_kernelINS0_14default_configENS1_27lower_bound_config_selectorIdlEEZNS1_14transform_implILb0ES3_S5_N6thrust23THRUST_200600_302600_NS6detail15normal_iteratorINS8_7pointerIdNS8_11hip_rocprim5par_tENS8_11use_defaultESE_EEEENSA_INSB_IlSD_SE_SE_EEEEZNS1_13binary_searchIS3_S5_PdSG_SI_NS1_21lower_bound_search_opENS9_16wrapped_functionI11custom_lessbEEEE10hipError_tPvRmT1_T2_T3_mmT4_T5_P12ihipStream_tbEUlRKdE_EESP_ST_SU_mSV_SY_bEUlT_E_NS1_11comp_targetILNS1_3genE4ELNS1_11target_archE910ELNS1_3gpuE8ELNS1_3repE0EEENS1_30default_config_static_selectorELNS0_4arch9wavefront6targetE1EEEvSS_.uses_vcc, 0
	.set _ZN7rocprim17ROCPRIM_400000_NS6detail17trampoline_kernelINS0_14default_configENS1_27lower_bound_config_selectorIdlEEZNS1_14transform_implILb0ES3_S5_N6thrust23THRUST_200600_302600_NS6detail15normal_iteratorINS8_7pointerIdNS8_11hip_rocprim5par_tENS8_11use_defaultESE_EEEENSA_INSB_IlSD_SE_SE_EEEEZNS1_13binary_searchIS3_S5_PdSG_SI_NS1_21lower_bound_search_opENS9_16wrapped_functionI11custom_lessbEEEE10hipError_tPvRmT1_T2_T3_mmT4_T5_P12ihipStream_tbEUlRKdE_EESP_ST_SU_mSV_SY_bEUlT_E_NS1_11comp_targetILNS1_3genE4ELNS1_11target_archE910ELNS1_3gpuE8ELNS1_3repE0EEENS1_30default_config_static_selectorELNS0_4arch9wavefront6targetE1EEEvSS_.uses_flat_scratch, 0
	.set _ZN7rocprim17ROCPRIM_400000_NS6detail17trampoline_kernelINS0_14default_configENS1_27lower_bound_config_selectorIdlEEZNS1_14transform_implILb0ES3_S5_N6thrust23THRUST_200600_302600_NS6detail15normal_iteratorINS8_7pointerIdNS8_11hip_rocprim5par_tENS8_11use_defaultESE_EEEENSA_INSB_IlSD_SE_SE_EEEEZNS1_13binary_searchIS3_S5_PdSG_SI_NS1_21lower_bound_search_opENS9_16wrapped_functionI11custom_lessbEEEE10hipError_tPvRmT1_T2_T3_mmT4_T5_P12ihipStream_tbEUlRKdE_EESP_ST_SU_mSV_SY_bEUlT_E_NS1_11comp_targetILNS1_3genE4ELNS1_11target_archE910ELNS1_3gpuE8ELNS1_3repE0EEENS1_30default_config_static_selectorELNS0_4arch9wavefront6targetE1EEEvSS_.has_dyn_sized_stack, 0
	.set _ZN7rocprim17ROCPRIM_400000_NS6detail17trampoline_kernelINS0_14default_configENS1_27lower_bound_config_selectorIdlEEZNS1_14transform_implILb0ES3_S5_N6thrust23THRUST_200600_302600_NS6detail15normal_iteratorINS8_7pointerIdNS8_11hip_rocprim5par_tENS8_11use_defaultESE_EEEENSA_INSB_IlSD_SE_SE_EEEEZNS1_13binary_searchIS3_S5_PdSG_SI_NS1_21lower_bound_search_opENS9_16wrapped_functionI11custom_lessbEEEE10hipError_tPvRmT1_T2_T3_mmT4_T5_P12ihipStream_tbEUlRKdE_EESP_ST_SU_mSV_SY_bEUlT_E_NS1_11comp_targetILNS1_3genE4ELNS1_11target_archE910ELNS1_3gpuE8ELNS1_3repE0EEENS1_30default_config_static_selectorELNS0_4arch9wavefront6targetE1EEEvSS_.has_recursion, 0
	.set _ZN7rocprim17ROCPRIM_400000_NS6detail17trampoline_kernelINS0_14default_configENS1_27lower_bound_config_selectorIdlEEZNS1_14transform_implILb0ES3_S5_N6thrust23THRUST_200600_302600_NS6detail15normal_iteratorINS8_7pointerIdNS8_11hip_rocprim5par_tENS8_11use_defaultESE_EEEENSA_INSB_IlSD_SE_SE_EEEEZNS1_13binary_searchIS3_S5_PdSG_SI_NS1_21lower_bound_search_opENS9_16wrapped_functionI11custom_lessbEEEE10hipError_tPvRmT1_T2_T3_mmT4_T5_P12ihipStream_tbEUlRKdE_EESP_ST_SU_mSV_SY_bEUlT_E_NS1_11comp_targetILNS1_3genE4ELNS1_11target_archE910ELNS1_3gpuE8ELNS1_3repE0EEENS1_30default_config_static_selectorELNS0_4arch9wavefront6targetE1EEEvSS_.has_indirect_call, 0
	.section	.AMDGPU.csdata,"",@progbits
; Kernel info:
; codeLenInByte = 0
; TotalNumSgprs: 4
; NumVgprs: 0
; ScratchSize: 0
; MemoryBound: 0
; FloatMode: 240
; IeeeMode: 1
; LDSByteSize: 0 bytes/workgroup (compile time only)
; SGPRBlocks: 0
; VGPRBlocks: 0
; NumSGPRsForWavesPerEU: 4
; NumVGPRsForWavesPerEU: 1
; Occupancy: 10
; WaveLimiterHint : 0
; COMPUTE_PGM_RSRC2:SCRATCH_EN: 0
; COMPUTE_PGM_RSRC2:USER_SGPR: 6
; COMPUTE_PGM_RSRC2:TRAP_HANDLER: 0
; COMPUTE_PGM_RSRC2:TGID_X_EN: 1
; COMPUTE_PGM_RSRC2:TGID_Y_EN: 0
; COMPUTE_PGM_RSRC2:TGID_Z_EN: 0
; COMPUTE_PGM_RSRC2:TIDIG_COMP_CNT: 0
	.section	.text._ZN7rocprim17ROCPRIM_400000_NS6detail17trampoline_kernelINS0_14default_configENS1_27lower_bound_config_selectorIdlEEZNS1_14transform_implILb0ES3_S5_N6thrust23THRUST_200600_302600_NS6detail15normal_iteratorINS8_7pointerIdNS8_11hip_rocprim5par_tENS8_11use_defaultESE_EEEENSA_INSB_IlSD_SE_SE_EEEEZNS1_13binary_searchIS3_S5_PdSG_SI_NS1_21lower_bound_search_opENS9_16wrapped_functionI11custom_lessbEEEE10hipError_tPvRmT1_T2_T3_mmT4_T5_P12ihipStream_tbEUlRKdE_EESP_ST_SU_mSV_SY_bEUlT_E_NS1_11comp_targetILNS1_3genE3ELNS1_11target_archE908ELNS1_3gpuE7ELNS1_3repE0EEENS1_30default_config_static_selectorELNS0_4arch9wavefront6targetE1EEEvSS_,"axG",@progbits,_ZN7rocprim17ROCPRIM_400000_NS6detail17trampoline_kernelINS0_14default_configENS1_27lower_bound_config_selectorIdlEEZNS1_14transform_implILb0ES3_S5_N6thrust23THRUST_200600_302600_NS6detail15normal_iteratorINS8_7pointerIdNS8_11hip_rocprim5par_tENS8_11use_defaultESE_EEEENSA_INSB_IlSD_SE_SE_EEEEZNS1_13binary_searchIS3_S5_PdSG_SI_NS1_21lower_bound_search_opENS9_16wrapped_functionI11custom_lessbEEEE10hipError_tPvRmT1_T2_T3_mmT4_T5_P12ihipStream_tbEUlRKdE_EESP_ST_SU_mSV_SY_bEUlT_E_NS1_11comp_targetILNS1_3genE3ELNS1_11target_archE908ELNS1_3gpuE7ELNS1_3repE0EEENS1_30default_config_static_selectorELNS0_4arch9wavefront6targetE1EEEvSS_,comdat
	.protected	_ZN7rocprim17ROCPRIM_400000_NS6detail17trampoline_kernelINS0_14default_configENS1_27lower_bound_config_selectorIdlEEZNS1_14transform_implILb0ES3_S5_N6thrust23THRUST_200600_302600_NS6detail15normal_iteratorINS8_7pointerIdNS8_11hip_rocprim5par_tENS8_11use_defaultESE_EEEENSA_INSB_IlSD_SE_SE_EEEEZNS1_13binary_searchIS3_S5_PdSG_SI_NS1_21lower_bound_search_opENS9_16wrapped_functionI11custom_lessbEEEE10hipError_tPvRmT1_T2_T3_mmT4_T5_P12ihipStream_tbEUlRKdE_EESP_ST_SU_mSV_SY_bEUlT_E_NS1_11comp_targetILNS1_3genE3ELNS1_11target_archE908ELNS1_3gpuE7ELNS1_3repE0EEENS1_30default_config_static_selectorELNS0_4arch9wavefront6targetE1EEEvSS_ ; -- Begin function _ZN7rocprim17ROCPRIM_400000_NS6detail17trampoline_kernelINS0_14default_configENS1_27lower_bound_config_selectorIdlEEZNS1_14transform_implILb0ES3_S5_N6thrust23THRUST_200600_302600_NS6detail15normal_iteratorINS8_7pointerIdNS8_11hip_rocprim5par_tENS8_11use_defaultESE_EEEENSA_INSB_IlSD_SE_SE_EEEEZNS1_13binary_searchIS3_S5_PdSG_SI_NS1_21lower_bound_search_opENS9_16wrapped_functionI11custom_lessbEEEE10hipError_tPvRmT1_T2_T3_mmT4_T5_P12ihipStream_tbEUlRKdE_EESP_ST_SU_mSV_SY_bEUlT_E_NS1_11comp_targetILNS1_3genE3ELNS1_11target_archE908ELNS1_3gpuE7ELNS1_3repE0EEENS1_30default_config_static_selectorELNS0_4arch9wavefront6targetE1EEEvSS_
	.globl	_ZN7rocprim17ROCPRIM_400000_NS6detail17trampoline_kernelINS0_14default_configENS1_27lower_bound_config_selectorIdlEEZNS1_14transform_implILb0ES3_S5_N6thrust23THRUST_200600_302600_NS6detail15normal_iteratorINS8_7pointerIdNS8_11hip_rocprim5par_tENS8_11use_defaultESE_EEEENSA_INSB_IlSD_SE_SE_EEEEZNS1_13binary_searchIS3_S5_PdSG_SI_NS1_21lower_bound_search_opENS9_16wrapped_functionI11custom_lessbEEEE10hipError_tPvRmT1_T2_T3_mmT4_T5_P12ihipStream_tbEUlRKdE_EESP_ST_SU_mSV_SY_bEUlT_E_NS1_11comp_targetILNS1_3genE3ELNS1_11target_archE908ELNS1_3gpuE7ELNS1_3repE0EEENS1_30default_config_static_selectorELNS0_4arch9wavefront6targetE1EEEvSS_
	.p2align	8
	.type	_ZN7rocprim17ROCPRIM_400000_NS6detail17trampoline_kernelINS0_14default_configENS1_27lower_bound_config_selectorIdlEEZNS1_14transform_implILb0ES3_S5_N6thrust23THRUST_200600_302600_NS6detail15normal_iteratorINS8_7pointerIdNS8_11hip_rocprim5par_tENS8_11use_defaultESE_EEEENSA_INSB_IlSD_SE_SE_EEEEZNS1_13binary_searchIS3_S5_PdSG_SI_NS1_21lower_bound_search_opENS9_16wrapped_functionI11custom_lessbEEEE10hipError_tPvRmT1_T2_T3_mmT4_T5_P12ihipStream_tbEUlRKdE_EESP_ST_SU_mSV_SY_bEUlT_E_NS1_11comp_targetILNS1_3genE3ELNS1_11target_archE908ELNS1_3gpuE7ELNS1_3repE0EEENS1_30default_config_static_selectorELNS0_4arch9wavefront6targetE1EEEvSS_,@function
_ZN7rocprim17ROCPRIM_400000_NS6detail17trampoline_kernelINS0_14default_configENS1_27lower_bound_config_selectorIdlEEZNS1_14transform_implILb0ES3_S5_N6thrust23THRUST_200600_302600_NS6detail15normal_iteratorINS8_7pointerIdNS8_11hip_rocprim5par_tENS8_11use_defaultESE_EEEENSA_INSB_IlSD_SE_SE_EEEEZNS1_13binary_searchIS3_S5_PdSG_SI_NS1_21lower_bound_search_opENS9_16wrapped_functionI11custom_lessbEEEE10hipError_tPvRmT1_T2_T3_mmT4_T5_P12ihipStream_tbEUlRKdE_EESP_ST_SU_mSV_SY_bEUlT_E_NS1_11comp_targetILNS1_3genE3ELNS1_11target_archE908ELNS1_3gpuE7ELNS1_3repE0EEENS1_30default_config_static_selectorELNS0_4arch9wavefront6targetE1EEEvSS_: ; @_ZN7rocprim17ROCPRIM_400000_NS6detail17trampoline_kernelINS0_14default_configENS1_27lower_bound_config_selectorIdlEEZNS1_14transform_implILb0ES3_S5_N6thrust23THRUST_200600_302600_NS6detail15normal_iteratorINS8_7pointerIdNS8_11hip_rocprim5par_tENS8_11use_defaultESE_EEEENSA_INSB_IlSD_SE_SE_EEEEZNS1_13binary_searchIS3_S5_PdSG_SI_NS1_21lower_bound_search_opENS9_16wrapped_functionI11custom_lessbEEEE10hipError_tPvRmT1_T2_T3_mmT4_T5_P12ihipStream_tbEUlRKdE_EESP_ST_SU_mSV_SY_bEUlT_E_NS1_11comp_targetILNS1_3genE3ELNS1_11target_archE908ELNS1_3gpuE7ELNS1_3repE0EEENS1_30default_config_static_selectorELNS0_4arch9wavefront6targetE1EEEvSS_
; %bb.0:
	.section	.rodata,"a",@progbits
	.p2align	6, 0x0
	.amdhsa_kernel _ZN7rocprim17ROCPRIM_400000_NS6detail17trampoline_kernelINS0_14default_configENS1_27lower_bound_config_selectorIdlEEZNS1_14transform_implILb0ES3_S5_N6thrust23THRUST_200600_302600_NS6detail15normal_iteratorINS8_7pointerIdNS8_11hip_rocprim5par_tENS8_11use_defaultESE_EEEENSA_INSB_IlSD_SE_SE_EEEEZNS1_13binary_searchIS3_S5_PdSG_SI_NS1_21lower_bound_search_opENS9_16wrapped_functionI11custom_lessbEEEE10hipError_tPvRmT1_T2_T3_mmT4_T5_P12ihipStream_tbEUlRKdE_EESP_ST_SU_mSV_SY_bEUlT_E_NS1_11comp_targetILNS1_3genE3ELNS1_11target_archE908ELNS1_3gpuE7ELNS1_3repE0EEENS1_30default_config_static_selectorELNS0_4arch9wavefront6targetE1EEEvSS_
		.amdhsa_group_segment_fixed_size 0
		.amdhsa_private_segment_fixed_size 0
		.amdhsa_kernarg_size 56
		.amdhsa_user_sgpr_count 6
		.amdhsa_user_sgpr_private_segment_buffer 1
		.amdhsa_user_sgpr_dispatch_ptr 0
		.amdhsa_user_sgpr_queue_ptr 0
		.amdhsa_user_sgpr_kernarg_segment_ptr 1
		.amdhsa_user_sgpr_dispatch_id 0
		.amdhsa_user_sgpr_flat_scratch_init 0
		.amdhsa_user_sgpr_private_segment_size 0
		.amdhsa_uses_dynamic_stack 0
		.amdhsa_system_sgpr_private_segment_wavefront_offset 0
		.amdhsa_system_sgpr_workgroup_id_x 1
		.amdhsa_system_sgpr_workgroup_id_y 0
		.amdhsa_system_sgpr_workgroup_id_z 0
		.amdhsa_system_sgpr_workgroup_info 0
		.amdhsa_system_vgpr_workitem_id 0
		.amdhsa_next_free_vgpr 1
		.amdhsa_next_free_sgpr 0
		.amdhsa_reserve_vcc 0
		.amdhsa_reserve_flat_scratch 0
		.amdhsa_float_round_mode_32 0
		.amdhsa_float_round_mode_16_64 0
		.amdhsa_float_denorm_mode_32 3
		.amdhsa_float_denorm_mode_16_64 3
		.amdhsa_dx10_clamp 1
		.amdhsa_ieee_mode 1
		.amdhsa_fp16_overflow 0
		.amdhsa_exception_fp_ieee_invalid_op 0
		.amdhsa_exception_fp_denorm_src 0
		.amdhsa_exception_fp_ieee_div_zero 0
		.amdhsa_exception_fp_ieee_overflow 0
		.amdhsa_exception_fp_ieee_underflow 0
		.amdhsa_exception_fp_ieee_inexact 0
		.amdhsa_exception_int_div_zero 0
	.end_amdhsa_kernel
	.section	.text._ZN7rocprim17ROCPRIM_400000_NS6detail17trampoline_kernelINS0_14default_configENS1_27lower_bound_config_selectorIdlEEZNS1_14transform_implILb0ES3_S5_N6thrust23THRUST_200600_302600_NS6detail15normal_iteratorINS8_7pointerIdNS8_11hip_rocprim5par_tENS8_11use_defaultESE_EEEENSA_INSB_IlSD_SE_SE_EEEEZNS1_13binary_searchIS3_S5_PdSG_SI_NS1_21lower_bound_search_opENS9_16wrapped_functionI11custom_lessbEEEE10hipError_tPvRmT1_T2_T3_mmT4_T5_P12ihipStream_tbEUlRKdE_EESP_ST_SU_mSV_SY_bEUlT_E_NS1_11comp_targetILNS1_3genE3ELNS1_11target_archE908ELNS1_3gpuE7ELNS1_3repE0EEENS1_30default_config_static_selectorELNS0_4arch9wavefront6targetE1EEEvSS_,"axG",@progbits,_ZN7rocprim17ROCPRIM_400000_NS6detail17trampoline_kernelINS0_14default_configENS1_27lower_bound_config_selectorIdlEEZNS1_14transform_implILb0ES3_S5_N6thrust23THRUST_200600_302600_NS6detail15normal_iteratorINS8_7pointerIdNS8_11hip_rocprim5par_tENS8_11use_defaultESE_EEEENSA_INSB_IlSD_SE_SE_EEEEZNS1_13binary_searchIS3_S5_PdSG_SI_NS1_21lower_bound_search_opENS9_16wrapped_functionI11custom_lessbEEEE10hipError_tPvRmT1_T2_T3_mmT4_T5_P12ihipStream_tbEUlRKdE_EESP_ST_SU_mSV_SY_bEUlT_E_NS1_11comp_targetILNS1_3genE3ELNS1_11target_archE908ELNS1_3gpuE7ELNS1_3repE0EEENS1_30default_config_static_selectorELNS0_4arch9wavefront6targetE1EEEvSS_,comdat
.Lfunc_end7:
	.size	_ZN7rocprim17ROCPRIM_400000_NS6detail17trampoline_kernelINS0_14default_configENS1_27lower_bound_config_selectorIdlEEZNS1_14transform_implILb0ES3_S5_N6thrust23THRUST_200600_302600_NS6detail15normal_iteratorINS8_7pointerIdNS8_11hip_rocprim5par_tENS8_11use_defaultESE_EEEENSA_INSB_IlSD_SE_SE_EEEEZNS1_13binary_searchIS3_S5_PdSG_SI_NS1_21lower_bound_search_opENS9_16wrapped_functionI11custom_lessbEEEE10hipError_tPvRmT1_T2_T3_mmT4_T5_P12ihipStream_tbEUlRKdE_EESP_ST_SU_mSV_SY_bEUlT_E_NS1_11comp_targetILNS1_3genE3ELNS1_11target_archE908ELNS1_3gpuE7ELNS1_3repE0EEENS1_30default_config_static_selectorELNS0_4arch9wavefront6targetE1EEEvSS_, .Lfunc_end7-_ZN7rocprim17ROCPRIM_400000_NS6detail17trampoline_kernelINS0_14default_configENS1_27lower_bound_config_selectorIdlEEZNS1_14transform_implILb0ES3_S5_N6thrust23THRUST_200600_302600_NS6detail15normal_iteratorINS8_7pointerIdNS8_11hip_rocprim5par_tENS8_11use_defaultESE_EEEENSA_INSB_IlSD_SE_SE_EEEEZNS1_13binary_searchIS3_S5_PdSG_SI_NS1_21lower_bound_search_opENS9_16wrapped_functionI11custom_lessbEEEE10hipError_tPvRmT1_T2_T3_mmT4_T5_P12ihipStream_tbEUlRKdE_EESP_ST_SU_mSV_SY_bEUlT_E_NS1_11comp_targetILNS1_3genE3ELNS1_11target_archE908ELNS1_3gpuE7ELNS1_3repE0EEENS1_30default_config_static_selectorELNS0_4arch9wavefront6targetE1EEEvSS_
                                        ; -- End function
	.set _ZN7rocprim17ROCPRIM_400000_NS6detail17trampoline_kernelINS0_14default_configENS1_27lower_bound_config_selectorIdlEEZNS1_14transform_implILb0ES3_S5_N6thrust23THRUST_200600_302600_NS6detail15normal_iteratorINS8_7pointerIdNS8_11hip_rocprim5par_tENS8_11use_defaultESE_EEEENSA_INSB_IlSD_SE_SE_EEEEZNS1_13binary_searchIS3_S5_PdSG_SI_NS1_21lower_bound_search_opENS9_16wrapped_functionI11custom_lessbEEEE10hipError_tPvRmT1_T2_T3_mmT4_T5_P12ihipStream_tbEUlRKdE_EESP_ST_SU_mSV_SY_bEUlT_E_NS1_11comp_targetILNS1_3genE3ELNS1_11target_archE908ELNS1_3gpuE7ELNS1_3repE0EEENS1_30default_config_static_selectorELNS0_4arch9wavefront6targetE1EEEvSS_.num_vgpr, 0
	.set _ZN7rocprim17ROCPRIM_400000_NS6detail17trampoline_kernelINS0_14default_configENS1_27lower_bound_config_selectorIdlEEZNS1_14transform_implILb0ES3_S5_N6thrust23THRUST_200600_302600_NS6detail15normal_iteratorINS8_7pointerIdNS8_11hip_rocprim5par_tENS8_11use_defaultESE_EEEENSA_INSB_IlSD_SE_SE_EEEEZNS1_13binary_searchIS3_S5_PdSG_SI_NS1_21lower_bound_search_opENS9_16wrapped_functionI11custom_lessbEEEE10hipError_tPvRmT1_T2_T3_mmT4_T5_P12ihipStream_tbEUlRKdE_EESP_ST_SU_mSV_SY_bEUlT_E_NS1_11comp_targetILNS1_3genE3ELNS1_11target_archE908ELNS1_3gpuE7ELNS1_3repE0EEENS1_30default_config_static_selectorELNS0_4arch9wavefront6targetE1EEEvSS_.num_agpr, 0
	.set _ZN7rocprim17ROCPRIM_400000_NS6detail17trampoline_kernelINS0_14default_configENS1_27lower_bound_config_selectorIdlEEZNS1_14transform_implILb0ES3_S5_N6thrust23THRUST_200600_302600_NS6detail15normal_iteratorINS8_7pointerIdNS8_11hip_rocprim5par_tENS8_11use_defaultESE_EEEENSA_INSB_IlSD_SE_SE_EEEEZNS1_13binary_searchIS3_S5_PdSG_SI_NS1_21lower_bound_search_opENS9_16wrapped_functionI11custom_lessbEEEE10hipError_tPvRmT1_T2_T3_mmT4_T5_P12ihipStream_tbEUlRKdE_EESP_ST_SU_mSV_SY_bEUlT_E_NS1_11comp_targetILNS1_3genE3ELNS1_11target_archE908ELNS1_3gpuE7ELNS1_3repE0EEENS1_30default_config_static_selectorELNS0_4arch9wavefront6targetE1EEEvSS_.numbered_sgpr, 0
	.set _ZN7rocprim17ROCPRIM_400000_NS6detail17trampoline_kernelINS0_14default_configENS1_27lower_bound_config_selectorIdlEEZNS1_14transform_implILb0ES3_S5_N6thrust23THRUST_200600_302600_NS6detail15normal_iteratorINS8_7pointerIdNS8_11hip_rocprim5par_tENS8_11use_defaultESE_EEEENSA_INSB_IlSD_SE_SE_EEEEZNS1_13binary_searchIS3_S5_PdSG_SI_NS1_21lower_bound_search_opENS9_16wrapped_functionI11custom_lessbEEEE10hipError_tPvRmT1_T2_T3_mmT4_T5_P12ihipStream_tbEUlRKdE_EESP_ST_SU_mSV_SY_bEUlT_E_NS1_11comp_targetILNS1_3genE3ELNS1_11target_archE908ELNS1_3gpuE7ELNS1_3repE0EEENS1_30default_config_static_selectorELNS0_4arch9wavefront6targetE1EEEvSS_.num_named_barrier, 0
	.set _ZN7rocprim17ROCPRIM_400000_NS6detail17trampoline_kernelINS0_14default_configENS1_27lower_bound_config_selectorIdlEEZNS1_14transform_implILb0ES3_S5_N6thrust23THRUST_200600_302600_NS6detail15normal_iteratorINS8_7pointerIdNS8_11hip_rocprim5par_tENS8_11use_defaultESE_EEEENSA_INSB_IlSD_SE_SE_EEEEZNS1_13binary_searchIS3_S5_PdSG_SI_NS1_21lower_bound_search_opENS9_16wrapped_functionI11custom_lessbEEEE10hipError_tPvRmT1_T2_T3_mmT4_T5_P12ihipStream_tbEUlRKdE_EESP_ST_SU_mSV_SY_bEUlT_E_NS1_11comp_targetILNS1_3genE3ELNS1_11target_archE908ELNS1_3gpuE7ELNS1_3repE0EEENS1_30default_config_static_selectorELNS0_4arch9wavefront6targetE1EEEvSS_.private_seg_size, 0
	.set _ZN7rocprim17ROCPRIM_400000_NS6detail17trampoline_kernelINS0_14default_configENS1_27lower_bound_config_selectorIdlEEZNS1_14transform_implILb0ES3_S5_N6thrust23THRUST_200600_302600_NS6detail15normal_iteratorINS8_7pointerIdNS8_11hip_rocprim5par_tENS8_11use_defaultESE_EEEENSA_INSB_IlSD_SE_SE_EEEEZNS1_13binary_searchIS3_S5_PdSG_SI_NS1_21lower_bound_search_opENS9_16wrapped_functionI11custom_lessbEEEE10hipError_tPvRmT1_T2_T3_mmT4_T5_P12ihipStream_tbEUlRKdE_EESP_ST_SU_mSV_SY_bEUlT_E_NS1_11comp_targetILNS1_3genE3ELNS1_11target_archE908ELNS1_3gpuE7ELNS1_3repE0EEENS1_30default_config_static_selectorELNS0_4arch9wavefront6targetE1EEEvSS_.uses_vcc, 0
	.set _ZN7rocprim17ROCPRIM_400000_NS6detail17trampoline_kernelINS0_14default_configENS1_27lower_bound_config_selectorIdlEEZNS1_14transform_implILb0ES3_S5_N6thrust23THRUST_200600_302600_NS6detail15normal_iteratorINS8_7pointerIdNS8_11hip_rocprim5par_tENS8_11use_defaultESE_EEEENSA_INSB_IlSD_SE_SE_EEEEZNS1_13binary_searchIS3_S5_PdSG_SI_NS1_21lower_bound_search_opENS9_16wrapped_functionI11custom_lessbEEEE10hipError_tPvRmT1_T2_T3_mmT4_T5_P12ihipStream_tbEUlRKdE_EESP_ST_SU_mSV_SY_bEUlT_E_NS1_11comp_targetILNS1_3genE3ELNS1_11target_archE908ELNS1_3gpuE7ELNS1_3repE0EEENS1_30default_config_static_selectorELNS0_4arch9wavefront6targetE1EEEvSS_.uses_flat_scratch, 0
	.set _ZN7rocprim17ROCPRIM_400000_NS6detail17trampoline_kernelINS0_14default_configENS1_27lower_bound_config_selectorIdlEEZNS1_14transform_implILb0ES3_S5_N6thrust23THRUST_200600_302600_NS6detail15normal_iteratorINS8_7pointerIdNS8_11hip_rocprim5par_tENS8_11use_defaultESE_EEEENSA_INSB_IlSD_SE_SE_EEEEZNS1_13binary_searchIS3_S5_PdSG_SI_NS1_21lower_bound_search_opENS9_16wrapped_functionI11custom_lessbEEEE10hipError_tPvRmT1_T2_T3_mmT4_T5_P12ihipStream_tbEUlRKdE_EESP_ST_SU_mSV_SY_bEUlT_E_NS1_11comp_targetILNS1_3genE3ELNS1_11target_archE908ELNS1_3gpuE7ELNS1_3repE0EEENS1_30default_config_static_selectorELNS0_4arch9wavefront6targetE1EEEvSS_.has_dyn_sized_stack, 0
	.set _ZN7rocprim17ROCPRIM_400000_NS6detail17trampoline_kernelINS0_14default_configENS1_27lower_bound_config_selectorIdlEEZNS1_14transform_implILb0ES3_S5_N6thrust23THRUST_200600_302600_NS6detail15normal_iteratorINS8_7pointerIdNS8_11hip_rocprim5par_tENS8_11use_defaultESE_EEEENSA_INSB_IlSD_SE_SE_EEEEZNS1_13binary_searchIS3_S5_PdSG_SI_NS1_21lower_bound_search_opENS9_16wrapped_functionI11custom_lessbEEEE10hipError_tPvRmT1_T2_T3_mmT4_T5_P12ihipStream_tbEUlRKdE_EESP_ST_SU_mSV_SY_bEUlT_E_NS1_11comp_targetILNS1_3genE3ELNS1_11target_archE908ELNS1_3gpuE7ELNS1_3repE0EEENS1_30default_config_static_selectorELNS0_4arch9wavefront6targetE1EEEvSS_.has_recursion, 0
	.set _ZN7rocprim17ROCPRIM_400000_NS6detail17trampoline_kernelINS0_14default_configENS1_27lower_bound_config_selectorIdlEEZNS1_14transform_implILb0ES3_S5_N6thrust23THRUST_200600_302600_NS6detail15normal_iteratorINS8_7pointerIdNS8_11hip_rocprim5par_tENS8_11use_defaultESE_EEEENSA_INSB_IlSD_SE_SE_EEEEZNS1_13binary_searchIS3_S5_PdSG_SI_NS1_21lower_bound_search_opENS9_16wrapped_functionI11custom_lessbEEEE10hipError_tPvRmT1_T2_T3_mmT4_T5_P12ihipStream_tbEUlRKdE_EESP_ST_SU_mSV_SY_bEUlT_E_NS1_11comp_targetILNS1_3genE3ELNS1_11target_archE908ELNS1_3gpuE7ELNS1_3repE0EEENS1_30default_config_static_selectorELNS0_4arch9wavefront6targetE1EEEvSS_.has_indirect_call, 0
	.section	.AMDGPU.csdata,"",@progbits
; Kernel info:
; codeLenInByte = 0
; TotalNumSgprs: 4
; NumVgprs: 0
; ScratchSize: 0
; MemoryBound: 0
; FloatMode: 240
; IeeeMode: 1
; LDSByteSize: 0 bytes/workgroup (compile time only)
; SGPRBlocks: 0
; VGPRBlocks: 0
; NumSGPRsForWavesPerEU: 4
; NumVGPRsForWavesPerEU: 1
; Occupancy: 10
; WaveLimiterHint : 0
; COMPUTE_PGM_RSRC2:SCRATCH_EN: 0
; COMPUTE_PGM_RSRC2:USER_SGPR: 6
; COMPUTE_PGM_RSRC2:TRAP_HANDLER: 0
; COMPUTE_PGM_RSRC2:TGID_X_EN: 1
; COMPUTE_PGM_RSRC2:TGID_Y_EN: 0
; COMPUTE_PGM_RSRC2:TGID_Z_EN: 0
; COMPUTE_PGM_RSRC2:TIDIG_COMP_CNT: 0
	.section	.text._ZN7rocprim17ROCPRIM_400000_NS6detail17trampoline_kernelINS0_14default_configENS1_27lower_bound_config_selectorIdlEEZNS1_14transform_implILb0ES3_S5_N6thrust23THRUST_200600_302600_NS6detail15normal_iteratorINS8_7pointerIdNS8_11hip_rocprim5par_tENS8_11use_defaultESE_EEEENSA_INSB_IlSD_SE_SE_EEEEZNS1_13binary_searchIS3_S5_PdSG_SI_NS1_21lower_bound_search_opENS9_16wrapped_functionI11custom_lessbEEEE10hipError_tPvRmT1_T2_T3_mmT4_T5_P12ihipStream_tbEUlRKdE_EESP_ST_SU_mSV_SY_bEUlT_E_NS1_11comp_targetILNS1_3genE2ELNS1_11target_archE906ELNS1_3gpuE6ELNS1_3repE0EEENS1_30default_config_static_selectorELNS0_4arch9wavefront6targetE1EEEvSS_,"axG",@progbits,_ZN7rocprim17ROCPRIM_400000_NS6detail17trampoline_kernelINS0_14default_configENS1_27lower_bound_config_selectorIdlEEZNS1_14transform_implILb0ES3_S5_N6thrust23THRUST_200600_302600_NS6detail15normal_iteratorINS8_7pointerIdNS8_11hip_rocprim5par_tENS8_11use_defaultESE_EEEENSA_INSB_IlSD_SE_SE_EEEEZNS1_13binary_searchIS3_S5_PdSG_SI_NS1_21lower_bound_search_opENS9_16wrapped_functionI11custom_lessbEEEE10hipError_tPvRmT1_T2_T3_mmT4_T5_P12ihipStream_tbEUlRKdE_EESP_ST_SU_mSV_SY_bEUlT_E_NS1_11comp_targetILNS1_3genE2ELNS1_11target_archE906ELNS1_3gpuE6ELNS1_3repE0EEENS1_30default_config_static_selectorELNS0_4arch9wavefront6targetE1EEEvSS_,comdat
	.protected	_ZN7rocprim17ROCPRIM_400000_NS6detail17trampoline_kernelINS0_14default_configENS1_27lower_bound_config_selectorIdlEEZNS1_14transform_implILb0ES3_S5_N6thrust23THRUST_200600_302600_NS6detail15normal_iteratorINS8_7pointerIdNS8_11hip_rocprim5par_tENS8_11use_defaultESE_EEEENSA_INSB_IlSD_SE_SE_EEEEZNS1_13binary_searchIS3_S5_PdSG_SI_NS1_21lower_bound_search_opENS9_16wrapped_functionI11custom_lessbEEEE10hipError_tPvRmT1_T2_T3_mmT4_T5_P12ihipStream_tbEUlRKdE_EESP_ST_SU_mSV_SY_bEUlT_E_NS1_11comp_targetILNS1_3genE2ELNS1_11target_archE906ELNS1_3gpuE6ELNS1_3repE0EEENS1_30default_config_static_selectorELNS0_4arch9wavefront6targetE1EEEvSS_ ; -- Begin function _ZN7rocprim17ROCPRIM_400000_NS6detail17trampoline_kernelINS0_14default_configENS1_27lower_bound_config_selectorIdlEEZNS1_14transform_implILb0ES3_S5_N6thrust23THRUST_200600_302600_NS6detail15normal_iteratorINS8_7pointerIdNS8_11hip_rocprim5par_tENS8_11use_defaultESE_EEEENSA_INSB_IlSD_SE_SE_EEEEZNS1_13binary_searchIS3_S5_PdSG_SI_NS1_21lower_bound_search_opENS9_16wrapped_functionI11custom_lessbEEEE10hipError_tPvRmT1_T2_T3_mmT4_T5_P12ihipStream_tbEUlRKdE_EESP_ST_SU_mSV_SY_bEUlT_E_NS1_11comp_targetILNS1_3genE2ELNS1_11target_archE906ELNS1_3gpuE6ELNS1_3repE0EEENS1_30default_config_static_selectorELNS0_4arch9wavefront6targetE1EEEvSS_
	.globl	_ZN7rocprim17ROCPRIM_400000_NS6detail17trampoline_kernelINS0_14default_configENS1_27lower_bound_config_selectorIdlEEZNS1_14transform_implILb0ES3_S5_N6thrust23THRUST_200600_302600_NS6detail15normal_iteratorINS8_7pointerIdNS8_11hip_rocprim5par_tENS8_11use_defaultESE_EEEENSA_INSB_IlSD_SE_SE_EEEEZNS1_13binary_searchIS3_S5_PdSG_SI_NS1_21lower_bound_search_opENS9_16wrapped_functionI11custom_lessbEEEE10hipError_tPvRmT1_T2_T3_mmT4_T5_P12ihipStream_tbEUlRKdE_EESP_ST_SU_mSV_SY_bEUlT_E_NS1_11comp_targetILNS1_3genE2ELNS1_11target_archE906ELNS1_3gpuE6ELNS1_3repE0EEENS1_30default_config_static_selectorELNS0_4arch9wavefront6targetE1EEEvSS_
	.p2align	8
	.type	_ZN7rocprim17ROCPRIM_400000_NS6detail17trampoline_kernelINS0_14default_configENS1_27lower_bound_config_selectorIdlEEZNS1_14transform_implILb0ES3_S5_N6thrust23THRUST_200600_302600_NS6detail15normal_iteratorINS8_7pointerIdNS8_11hip_rocprim5par_tENS8_11use_defaultESE_EEEENSA_INSB_IlSD_SE_SE_EEEEZNS1_13binary_searchIS3_S5_PdSG_SI_NS1_21lower_bound_search_opENS9_16wrapped_functionI11custom_lessbEEEE10hipError_tPvRmT1_T2_T3_mmT4_T5_P12ihipStream_tbEUlRKdE_EESP_ST_SU_mSV_SY_bEUlT_E_NS1_11comp_targetILNS1_3genE2ELNS1_11target_archE906ELNS1_3gpuE6ELNS1_3repE0EEENS1_30default_config_static_selectorELNS0_4arch9wavefront6targetE1EEEvSS_,@function
_ZN7rocprim17ROCPRIM_400000_NS6detail17trampoline_kernelINS0_14default_configENS1_27lower_bound_config_selectorIdlEEZNS1_14transform_implILb0ES3_S5_N6thrust23THRUST_200600_302600_NS6detail15normal_iteratorINS8_7pointerIdNS8_11hip_rocprim5par_tENS8_11use_defaultESE_EEEENSA_INSB_IlSD_SE_SE_EEEEZNS1_13binary_searchIS3_S5_PdSG_SI_NS1_21lower_bound_search_opENS9_16wrapped_functionI11custom_lessbEEEE10hipError_tPvRmT1_T2_T3_mmT4_T5_P12ihipStream_tbEUlRKdE_EESP_ST_SU_mSV_SY_bEUlT_E_NS1_11comp_targetILNS1_3genE2ELNS1_11target_archE906ELNS1_3gpuE6ELNS1_3repE0EEENS1_30default_config_static_selectorELNS0_4arch9wavefront6targetE1EEEvSS_: ; @_ZN7rocprim17ROCPRIM_400000_NS6detail17trampoline_kernelINS0_14default_configENS1_27lower_bound_config_selectorIdlEEZNS1_14transform_implILb0ES3_S5_N6thrust23THRUST_200600_302600_NS6detail15normal_iteratorINS8_7pointerIdNS8_11hip_rocprim5par_tENS8_11use_defaultESE_EEEENSA_INSB_IlSD_SE_SE_EEEEZNS1_13binary_searchIS3_S5_PdSG_SI_NS1_21lower_bound_search_opENS9_16wrapped_functionI11custom_lessbEEEE10hipError_tPvRmT1_T2_T3_mmT4_T5_P12ihipStream_tbEUlRKdE_EESP_ST_SU_mSV_SY_bEUlT_E_NS1_11comp_targetILNS1_3genE2ELNS1_11target_archE906ELNS1_3gpuE6ELNS1_3repE0EEENS1_30default_config_static_selectorELNS0_4arch9wavefront6targetE1EEEvSS_
; %bb.0:
	s_load_dwordx4 s[0:3], s[4:5], 0x0
	s_load_dwordx4 s[8:11], s[4:5], 0x18
	s_load_dwordx2 s[12:13], s[4:5], 0x28
	s_load_dword s17, s[4:5], 0x38
	s_waitcnt lgkmcnt(0)
	s_lshl_b64 s[2:3], s[2:3], 3
	s_add_u32 s7, s0, s2
	s_addc_u32 s16, s1, s3
	s_add_u32 s14, s8, s2
	s_addc_u32 s15, s9, s3
	s_lshl_b32 s8, s6, 8
	s_add_i32 s17, s17, -1
	s_mov_b32 s9, 0
	s_cmp_lg_u32 s6, s17
	s_mov_b64 s[0:1], -1
	s_cbranch_scc0 .LBB8_7
; %bb.1:
	s_cmp_eq_u64 s[12:13], 0
	s_mov_b64 s[2:3], 0
	s_cbranch_scc1 .LBB8_5
; %bb.2:
	s_lshl_b64 s[0:1], s[8:9], 3
	s_add_u32 s0, s7, s0
	s_addc_u32 s1, s16, s1
	v_lshlrev_b32_e32 v1, 3, v0
	v_mov_b32_e32 v2, s1
	v_add_co_u32_e32 v1, vcc, s0, v1
	v_addc_co_u32_e32 v2, vcc, 0, v2, vcc
	flat_load_dwordx2 v[3:4], v[1:2]
	v_mov_b32_e32 v1, 0
	v_mov_b32_e32 v5, s12
	v_mov_b32_e32 v2, 0
	v_mov_b32_e32 v6, s13
	v_mov_b32_e32 v7, s11
.LBB8_3:                                ; =>This Inner Loop Header: Depth=1
	v_sub_co_u32_e32 v8, vcc, v5, v1
	v_subb_co_u32_e32 v9, vcc, v6, v2, vcc
	v_lshrrev_b64 v[10:11], 1, v[8:9]
	v_lshrrev_b64 v[8:9], 6, v[8:9]
	v_add_co_u32_e32 v10, vcc, v10, v1
	v_addc_co_u32_e32 v11, vcc, v11, v2, vcc
	v_add_co_u32_e32 v8, vcc, v10, v8
	v_addc_co_u32_e32 v9, vcc, v11, v9, vcc
	v_lshlrev_b64 v[10:11], 3, v[8:9]
	v_add_co_u32_e32 v10, vcc, s10, v10
	v_addc_co_u32_e32 v11, vcc, v7, v11, vcc
	global_load_dwordx2 v[10:11], v[10:11], off
	s_waitcnt vmcnt(0) lgkmcnt(0)
	v_cmp_lt_f64_e32 vcc, v[10:11], v[3:4]
	v_add_co_u32_e64 v10, s[0:1], 1, v8
	v_addc_co_u32_e64 v11, s[0:1], 0, v9, s[0:1]
	v_cndmask_b32_e32 v6, v9, v6, vcc
	v_cndmask_b32_e32 v5, v8, v5, vcc
	;; [unrolled: 1-line block ×4, first 2 shown]
	v_cmp_ge_u64_e32 vcc, v[1:2], v[5:6]
	s_or_b64 s[2:3], vcc, s[2:3]
	s_andn2_b64 exec, exec, s[2:3]
	s_cbranch_execnz .LBB8_3
; %bb.4:
	s_or_b64 exec, exec, s[2:3]
	s_branch .LBB8_6
.LBB8_5:
	v_mov_b32_e32 v1, 0
	v_mov_b32_e32 v2, 0
.LBB8_6:
	s_lshl_b64 s[0:1], s[8:9], 3
	s_add_u32 s0, s14, s0
	s_addc_u32 s1, s15, s1
	v_lshlrev_b32_e32 v3, 3, v0
	v_mov_b32_e32 v4, s1
	v_add_co_u32_e32 v3, vcc, s0, v3
	v_addc_co_u32_e32 v4, vcc, 0, v4, vcc
	s_mov_b64 s[0:1], 0
	flat_store_dwordx2 v[3:4], v[1:2]
.LBB8_7:
	s_and_b64 vcc, exec, s[0:1]
	s_cbranch_vccz .LBB8_16
; %bb.8:
	s_load_dword s0, s[4:5], 0x10
                                        ; implicit-def: $vgpr3_vgpr4
	s_waitcnt lgkmcnt(0)
	s_sub_i32 s2, s0, s8
	v_cmp_le_u32_e64 s[0:1], s2, v0
	v_cmp_gt_u32_e32 vcc, s2, v0
	s_and_saveexec_b64 s[4:5], vcc
	s_cbranch_execz .LBB8_10
; %bb.9:
	s_lshl_b64 s[2:3], s[8:9], 3
	s_add_u32 s2, s7, s2
	s_addc_u32 s3, s16, s3
	v_lshlrev_b32_e32 v1, 3, v0
	v_mov_b32_e32 v2, s3
	v_add_co_u32_e64 v1, s[2:3], s2, v1
	v_addc_co_u32_e64 v2, s[2:3], 0, v2, s[2:3]
	flat_load_dwordx2 v[3:4], v[1:2]
.LBB8_10:
	s_or_b64 exec, exec, s[4:5]
	s_cmp_lg_u64 s[12:13], 0
	s_cselect_b64 s[2:3], -1, 0
	s_xor_b64 s[0:1], s[0:1], -1
	v_mov_b32_e32 v1, 0
	s_mov_b64 s[4:5], 0
	v_mov_b32_e32 v2, 0
	s_and_b64 s[0:1], s[0:1], s[2:3]
	s_and_saveexec_b64 s[6:7], s[0:1]
	s_cbranch_execz .LBB8_14
; %bb.11:
	v_mov_b32_e32 v1, 0
	v_mov_b32_e32 v5, s12
	;; [unrolled: 1-line block ×5, first 2 shown]
.LBB8_12:                               ; =>This Inner Loop Header: Depth=1
	v_sub_co_u32_e64 v8, s[0:1], v5, v1
	v_subb_co_u32_e64 v9, s[0:1], v6, v2, s[0:1]
	v_lshrrev_b64 v[10:11], 1, v[8:9]
	v_lshrrev_b64 v[8:9], 6, v[8:9]
	v_add_co_u32_e64 v10, s[0:1], v10, v1
	v_addc_co_u32_e64 v11, s[0:1], v11, v2, s[0:1]
	v_add_co_u32_e64 v8, s[0:1], v10, v8
	v_addc_co_u32_e64 v9, s[0:1], v11, v9, s[0:1]
	v_lshlrev_b64 v[10:11], 3, v[8:9]
	v_add_co_u32_e64 v10, s[0:1], s10, v10
	v_addc_co_u32_e64 v11, s[0:1], v7, v11, s[0:1]
	global_load_dwordx2 v[10:11], v[10:11], off
	s_waitcnt vmcnt(0) lgkmcnt(0)
	v_cmp_lt_f64_e64 s[0:1], v[10:11], v[3:4]
	v_add_co_u32_e64 v10, s[2:3], 1, v8
	v_addc_co_u32_e64 v11, s[2:3], 0, v9, s[2:3]
	v_cndmask_b32_e64 v6, v9, v6, s[0:1]
	v_cndmask_b32_e64 v5, v8, v5, s[0:1]
	;; [unrolled: 1-line block ×4, first 2 shown]
	v_cmp_ge_u64_e64 s[0:1], v[1:2], v[5:6]
	s_or_b64 s[4:5], s[0:1], s[4:5]
	s_andn2_b64 exec, exec, s[4:5]
	s_cbranch_execnz .LBB8_12
; %bb.13:
	s_or_b64 exec, exec, s[4:5]
.LBB8_14:
	s_or_b64 exec, exec, s[6:7]
	s_and_saveexec_b64 s[0:1], vcc
	s_cbranch_execz .LBB8_16
; %bb.15:
	s_lshl_b64 s[0:1], s[8:9], 3
	s_add_u32 s0, s14, s0
	s_addc_u32 s1, s15, s1
	v_lshlrev_b32_e32 v0, 3, v0
	s_waitcnt vmcnt(0) lgkmcnt(0)
	v_mov_b32_e32 v4, s1
	v_add_co_u32_e32 v3, vcc, s0, v0
	v_addc_co_u32_e32 v4, vcc, 0, v4, vcc
	flat_store_dwordx2 v[3:4], v[1:2]
.LBB8_16:
	s_endpgm
	.section	.rodata,"a",@progbits
	.p2align	6, 0x0
	.amdhsa_kernel _ZN7rocprim17ROCPRIM_400000_NS6detail17trampoline_kernelINS0_14default_configENS1_27lower_bound_config_selectorIdlEEZNS1_14transform_implILb0ES3_S5_N6thrust23THRUST_200600_302600_NS6detail15normal_iteratorINS8_7pointerIdNS8_11hip_rocprim5par_tENS8_11use_defaultESE_EEEENSA_INSB_IlSD_SE_SE_EEEEZNS1_13binary_searchIS3_S5_PdSG_SI_NS1_21lower_bound_search_opENS9_16wrapped_functionI11custom_lessbEEEE10hipError_tPvRmT1_T2_T3_mmT4_T5_P12ihipStream_tbEUlRKdE_EESP_ST_SU_mSV_SY_bEUlT_E_NS1_11comp_targetILNS1_3genE2ELNS1_11target_archE906ELNS1_3gpuE6ELNS1_3repE0EEENS1_30default_config_static_selectorELNS0_4arch9wavefront6targetE1EEEvSS_
		.amdhsa_group_segment_fixed_size 0
		.amdhsa_private_segment_fixed_size 0
		.amdhsa_kernarg_size 312
		.amdhsa_user_sgpr_count 6
		.amdhsa_user_sgpr_private_segment_buffer 1
		.amdhsa_user_sgpr_dispatch_ptr 0
		.amdhsa_user_sgpr_queue_ptr 0
		.amdhsa_user_sgpr_kernarg_segment_ptr 1
		.amdhsa_user_sgpr_dispatch_id 0
		.amdhsa_user_sgpr_flat_scratch_init 0
		.amdhsa_user_sgpr_private_segment_size 0
		.amdhsa_uses_dynamic_stack 0
		.amdhsa_system_sgpr_private_segment_wavefront_offset 0
		.amdhsa_system_sgpr_workgroup_id_x 1
		.amdhsa_system_sgpr_workgroup_id_y 0
		.amdhsa_system_sgpr_workgroup_id_z 0
		.amdhsa_system_sgpr_workgroup_info 0
		.amdhsa_system_vgpr_workitem_id 0
		.amdhsa_next_free_vgpr 12
		.amdhsa_next_free_sgpr 18
		.amdhsa_reserve_vcc 1
		.amdhsa_reserve_flat_scratch 0
		.amdhsa_float_round_mode_32 0
		.amdhsa_float_round_mode_16_64 0
		.amdhsa_float_denorm_mode_32 3
		.amdhsa_float_denorm_mode_16_64 3
		.amdhsa_dx10_clamp 1
		.amdhsa_ieee_mode 1
		.amdhsa_fp16_overflow 0
		.amdhsa_exception_fp_ieee_invalid_op 0
		.amdhsa_exception_fp_denorm_src 0
		.amdhsa_exception_fp_ieee_div_zero 0
		.amdhsa_exception_fp_ieee_overflow 0
		.amdhsa_exception_fp_ieee_underflow 0
		.amdhsa_exception_fp_ieee_inexact 0
		.amdhsa_exception_int_div_zero 0
	.end_amdhsa_kernel
	.section	.text._ZN7rocprim17ROCPRIM_400000_NS6detail17trampoline_kernelINS0_14default_configENS1_27lower_bound_config_selectorIdlEEZNS1_14transform_implILb0ES3_S5_N6thrust23THRUST_200600_302600_NS6detail15normal_iteratorINS8_7pointerIdNS8_11hip_rocprim5par_tENS8_11use_defaultESE_EEEENSA_INSB_IlSD_SE_SE_EEEEZNS1_13binary_searchIS3_S5_PdSG_SI_NS1_21lower_bound_search_opENS9_16wrapped_functionI11custom_lessbEEEE10hipError_tPvRmT1_T2_T3_mmT4_T5_P12ihipStream_tbEUlRKdE_EESP_ST_SU_mSV_SY_bEUlT_E_NS1_11comp_targetILNS1_3genE2ELNS1_11target_archE906ELNS1_3gpuE6ELNS1_3repE0EEENS1_30default_config_static_selectorELNS0_4arch9wavefront6targetE1EEEvSS_,"axG",@progbits,_ZN7rocprim17ROCPRIM_400000_NS6detail17trampoline_kernelINS0_14default_configENS1_27lower_bound_config_selectorIdlEEZNS1_14transform_implILb0ES3_S5_N6thrust23THRUST_200600_302600_NS6detail15normal_iteratorINS8_7pointerIdNS8_11hip_rocprim5par_tENS8_11use_defaultESE_EEEENSA_INSB_IlSD_SE_SE_EEEEZNS1_13binary_searchIS3_S5_PdSG_SI_NS1_21lower_bound_search_opENS9_16wrapped_functionI11custom_lessbEEEE10hipError_tPvRmT1_T2_T3_mmT4_T5_P12ihipStream_tbEUlRKdE_EESP_ST_SU_mSV_SY_bEUlT_E_NS1_11comp_targetILNS1_3genE2ELNS1_11target_archE906ELNS1_3gpuE6ELNS1_3repE0EEENS1_30default_config_static_selectorELNS0_4arch9wavefront6targetE1EEEvSS_,comdat
.Lfunc_end8:
	.size	_ZN7rocprim17ROCPRIM_400000_NS6detail17trampoline_kernelINS0_14default_configENS1_27lower_bound_config_selectorIdlEEZNS1_14transform_implILb0ES3_S5_N6thrust23THRUST_200600_302600_NS6detail15normal_iteratorINS8_7pointerIdNS8_11hip_rocprim5par_tENS8_11use_defaultESE_EEEENSA_INSB_IlSD_SE_SE_EEEEZNS1_13binary_searchIS3_S5_PdSG_SI_NS1_21lower_bound_search_opENS9_16wrapped_functionI11custom_lessbEEEE10hipError_tPvRmT1_T2_T3_mmT4_T5_P12ihipStream_tbEUlRKdE_EESP_ST_SU_mSV_SY_bEUlT_E_NS1_11comp_targetILNS1_3genE2ELNS1_11target_archE906ELNS1_3gpuE6ELNS1_3repE0EEENS1_30default_config_static_selectorELNS0_4arch9wavefront6targetE1EEEvSS_, .Lfunc_end8-_ZN7rocprim17ROCPRIM_400000_NS6detail17trampoline_kernelINS0_14default_configENS1_27lower_bound_config_selectorIdlEEZNS1_14transform_implILb0ES3_S5_N6thrust23THRUST_200600_302600_NS6detail15normal_iteratorINS8_7pointerIdNS8_11hip_rocprim5par_tENS8_11use_defaultESE_EEEENSA_INSB_IlSD_SE_SE_EEEEZNS1_13binary_searchIS3_S5_PdSG_SI_NS1_21lower_bound_search_opENS9_16wrapped_functionI11custom_lessbEEEE10hipError_tPvRmT1_T2_T3_mmT4_T5_P12ihipStream_tbEUlRKdE_EESP_ST_SU_mSV_SY_bEUlT_E_NS1_11comp_targetILNS1_3genE2ELNS1_11target_archE906ELNS1_3gpuE6ELNS1_3repE0EEENS1_30default_config_static_selectorELNS0_4arch9wavefront6targetE1EEEvSS_
                                        ; -- End function
	.set _ZN7rocprim17ROCPRIM_400000_NS6detail17trampoline_kernelINS0_14default_configENS1_27lower_bound_config_selectorIdlEEZNS1_14transform_implILb0ES3_S5_N6thrust23THRUST_200600_302600_NS6detail15normal_iteratorINS8_7pointerIdNS8_11hip_rocprim5par_tENS8_11use_defaultESE_EEEENSA_INSB_IlSD_SE_SE_EEEEZNS1_13binary_searchIS3_S5_PdSG_SI_NS1_21lower_bound_search_opENS9_16wrapped_functionI11custom_lessbEEEE10hipError_tPvRmT1_T2_T3_mmT4_T5_P12ihipStream_tbEUlRKdE_EESP_ST_SU_mSV_SY_bEUlT_E_NS1_11comp_targetILNS1_3genE2ELNS1_11target_archE906ELNS1_3gpuE6ELNS1_3repE0EEENS1_30default_config_static_selectorELNS0_4arch9wavefront6targetE1EEEvSS_.num_vgpr, 12
	.set _ZN7rocprim17ROCPRIM_400000_NS6detail17trampoline_kernelINS0_14default_configENS1_27lower_bound_config_selectorIdlEEZNS1_14transform_implILb0ES3_S5_N6thrust23THRUST_200600_302600_NS6detail15normal_iteratorINS8_7pointerIdNS8_11hip_rocprim5par_tENS8_11use_defaultESE_EEEENSA_INSB_IlSD_SE_SE_EEEEZNS1_13binary_searchIS3_S5_PdSG_SI_NS1_21lower_bound_search_opENS9_16wrapped_functionI11custom_lessbEEEE10hipError_tPvRmT1_T2_T3_mmT4_T5_P12ihipStream_tbEUlRKdE_EESP_ST_SU_mSV_SY_bEUlT_E_NS1_11comp_targetILNS1_3genE2ELNS1_11target_archE906ELNS1_3gpuE6ELNS1_3repE0EEENS1_30default_config_static_selectorELNS0_4arch9wavefront6targetE1EEEvSS_.num_agpr, 0
	.set _ZN7rocprim17ROCPRIM_400000_NS6detail17trampoline_kernelINS0_14default_configENS1_27lower_bound_config_selectorIdlEEZNS1_14transform_implILb0ES3_S5_N6thrust23THRUST_200600_302600_NS6detail15normal_iteratorINS8_7pointerIdNS8_11hip_rocprim5par_tENS8_11use_defaultESE_EEEENSA_INSB_IlSD_SE_SE_EEEEZNS1_13binary_searchIS3_S5_PdSG_SI_NS1_21lower_bound_search_opENS9_16wrapped_functionI11custom_lessbEEEE10hipError_tPvRmT1_T2_T3_mmT4_T5_P12ihipStream_tbEUlRKdE_EESP_ST_SU_mSV_SY_bEUlT_E_NS1_11comp_targetILNS1_3genE2ELNS1_11target_archE906ELNS1_3gpuE6ELNS1_3repE0EEENS1_30default_config_static_selectorELNS0_4arch9wavefront6targetE1EEEvSS_.numbered_sgpr, 18
	.set _ZN7rocprim17ROCPRIM_400000_NS6detail17trampoline_kernelINS0_14default_configENS1_27lower_bound_config_selectorIdlEEZNS1_14transform_implILb0ES3_S5_N6thrust23THRUST_200600_302600_NS6detail15normal_iteratorINS8_7pointerIdNS8_11hip_rocprim5par_tENS8_11use_defaultESE_EEEENSA_INSB_IlSD_SE_SE_EEEEZNS1_13binary_searchIS3_S5_PdSG_SI_NS1_21lower_bound_search_opENS9_16wrapped_functionI11custom_lessbEEEE10hipError_tPvRmT1_T2_T3_mmT4_T5_P12ihipStream_tbEUlRKdE_EESP_ST_SU_mSV_SY_bEUlT_E_NS1_11comp_targetILNS1_3genE2ELNS1_11target_archE906ELNS1_3gpuE6ELNS1_3repE0EEENS1_30default_config_static_selectorELNS0_4arch9wavefront6targetE1EEEvSS_.num_named_barrier, 0
	.set _ZN7rocprim17ROCPRIM_400000_NS6detail17trampoline_kernelINS0_14default_configENS1_27lower_bound_config_selectorIdlEEZNS1_14transform_implILb0ES3_S5_N6thrust23THRUST_200600_302600_NS6detail15normal_iteratorINS8_7pointerIdNS8_11hip_rocprim5par_tENS8_11use_defaultESE_EEEENSA_INSB_IlSD_SE_SE_EEEEZNS1_13binary_searchIS3_S5_PdSG_SI_NS1_21lower_bound_search_opENS9_16wrapped_functionI11custom_lessbEEEE10hipError_tPvRmT1_T2_T3_mmT4_T5_P12ihipStream_tbEUlRKdE_EESP_ST_SU_mSV_SY_bEUlT_E_NS1_11comp_targetILNS1_3genE2ELNS1_11target_archE906ELNS1_3gpuE6ELNS1_3repE0EEENS1_30default_config_static_selectorELNS0_4arch9wavefront6targetE1EEEvSS_.private_seg_size, 0
	.set _ZN7rocprim17ROCPRIM_400000_NS6detail17trampoline_kernelINS0_14default_configENS1_27lower_bound_config_selectorIdlEEZNS1_14transform_implILb0ES3_S5_N6thrust23THRUST_200600_302600_NS6detail15normal_iteratorINS8_7pointerIdNS8_11hip_rocprim5par_tENS8_11use_defaultESE_EEEENSA_INSB_IlSD_SE_SE_EEEEZNS1_13binary_searchIS3_S5_PdSG_SI_NS1_21lower_bound_search_opENS9_16wrapped_functionI11custom_lessbEEEE10hipError_tPvRmT1_T2_T3_mmT4_T5_P12ihipStream_tbEUlRKdE_EESP_ST_SU_mSV_SY_bEUlT_E_NS1_11comp_targetILNS1_3genE2ELNS1_11target_archE906ELNS1_3gpuE6ELNS1_3repE0EEENS1_30default_config_static_selectorELNS0_4arch9wavefront6targetE1EEEvSS_.uses_vcc, 1
	.set _ZN7rocprim17ROCPRIM_400000_NS6detail17trampoline_kernelINS0_14default_configENS1_27lower_bound_config_selectorIdlEEZNS1_14transform_implILb0ES3_S5_N6thrust23THRUST_200600_302600_NS6detail15normal_iteratorINS8_7pointerIdNS8_11hip_rocprim5par_tENS8_11use_defaultESE_EEEENSA_INSB_IlSD_SE_SE_EEEEZNS1_13binary_searchIS3_S5_PdSG_SI_NS1_21lower_bound_search_opENS9_16wrapped_functionI11custom_lessbEEEE10hipError_tPvRmT1_T2_T3_mmT4_T5_P12ihipStream_tbEUlRKdE_EESP_ST_SU_mSV_SY_bEUlT_E_NS1_11comp_targetILNS1_3genE2ELNS1_11target_archE906ELNS1_3gpuE6ELNS1_3repE0EEENS1_30default_config_static_selectorELNS0_4arch9wavefront6targetE1EEEvSS_.uses_flat_scratch, 0
	.set _ZN7rocprim17ROCPRIM_400000_NS6detail17trampoline_kernelINS0_14default_configENS1_27lower_bound_config_selectorIdlEEZNS1_14transform_implILb0ES3_S5_N6thrust23THRUST_200600_302600_NS6detail15normal_iteratorINS8_7pointerIdNS8_11hip_rocprim5par_tENS8_11use_defaultESE_EEEENSA_INSB_IlSD_SE_SE_EEEEZNS1_13binary_searchIS3_S5_PdSG_SI_NS1_21lower_bound_search_opENS9_16wrapped_functionI11custom_lessbEEEE10hipError_tPvRmT1_T2_T3_mmT4_T5_P12ihipStream_tbEUlRKdE_EESP_ST_SU_mSV_SY_bEUlT_E_NS1_11comp_targetILNS1_3genE2ELNS1_11target_archE906ELNS1_3gpuE6ELNS1_3repE0EEENS1_30default_config_static_selectorELNS0_4arch9wavefront6targetE1EEEvSS_.has_dyn_sized_stack, 0
	.set _ZN7rocprim17ROCPRIM_400000_NS6detail17trampoline_kernelINS0_14default_configENS1_27lower_bound_config_selectorIdlEEZNS1_14transform_implILb0ES3_S5_N6thrust23THRUST_200600_302600_NS6detail15normal_iteratorINS8_7pointerIdNS8_11hip_rocprim5par_tENS8_11use_defaultESE_EEEENSA_INSB_IlSD_SE_SE_EEEEZNS1_13binary_searchIS3_S5_PdSG_SI_NS1_21lower_bound_search_opENS9_16wrapped_functionI11custom_lessbEEEE10hipError_tPvRmT1_T2_T3_mmT4_T5_P12ihipStream_tbEUlRKdE_EESP_ST_SU_mSV_SY_bEUlT_E_NS1_11comp_targetILNS1_3genE2ELNS1_11target_archE906ELNS1_3gpuE6ELNS1_3repE0EEENS1_30default_config_static_selectorELNS0_4arch9wavefront6targetE1EEEvSS_.has_recursion, 0
	.set _ZN7rocprim17ROCPRIM_400000_NS6detail17trampoline_kernelINS0_14default_configENS1_27lower_bound_config_selectorIdlEEZNS1_14transform_implILb0ES3_S5_N6thrust23THRUST_200600_302600_NS6detail15normal_iteratorINS8_7pointerIdNS8_11hip_rocprim5par_tENS8_11use_defaultESE_EEEENSA_INSB_IlSD_SE_SE_EEEEZNS1_13binary_searchIS3_S5_PdSG_SI_NS1_21lower_bound_search_opENS9_16wrapped_functionI11custom_lessbEEEE10hipError_tPvRmT1_T2_T3_mmT4_T5_P12ihipStream_tbEUlRKdE_EESP_ST_SU_mSV_SY_bEUlT_E_NS1_11comp_targetILNS1_3genE2ELNS1_11target_archE906ELNS1_3gpuE6ELNS1_3repE0EEENS1_30default_config_static_selectorELNS0_4arch9wavefront6targetE1EEEvSS_.has_indirect_call, 0
	.section	.AMDGPU.csdata,"",@progbits
; Kernel info:
; codeLenInByte = 708
; TotalNumSgprs: 22
; NumVgprs: 12
; ScratchSize: 0
; MemoryBound: 0
; FloatMode: 240
; IeeeMode: 1
; LDSByteSize: 0 bytes/workgroup (compile time only)
; SGPRBlocks: 2
; VGPRBlocks: 2
; NumSGPRsForWavesPerEU: 22
; NumVGPRsForWavesPerEU: 12
; Occupancy: 10
; WaveLimiterHint : 0
; COMPUTE_PGM_RSRC2:SCRATCH_EN: 0
; COMPUTE_PGM_RSRC2:USER_SGPR: 6
; COMPUTE_PGM_RSRC2:TRAP_HANDLER: 0
; COMPUTE_PGM_RSRC2:TGID_X_EN: 1
; COMPUTE_PGM_RSRC2:TGID_Y_EN: 0
; COMPUTE_PGM_RSRC2:TGID_Z_EN: 0
; COMPUTE_PGM_RSRC2:TIDIG_COMP_CNT: 0
	.section	.text._ZN7rocprim17ROCPRIM_400000_NS6detail17trampoline_kernelINS0_14default_configENS1_27lower_bound_config_selectorIdlEEZNS1_14transform_implILb0ES3_S5_N6thrust23THRUST_200600_302600_NS6detail15normal_iteratorINS8_7pointerIdNS8_11hip_rocprim5par_tENS8_11use_defaultESE_EEEENSA_INSB_IlSD_SE_SE_EEEEZNS1_13binary_searchIS3_S5_PdSG_SI_NS1_21lower_bound_search_opENS9_16wrapped_functionI11custom_lessbEEEE10hipError_tPvRmT1_T2_T3_mmT4_T5_P12ihipStream_tbEUlRKdE_EESP_ST_SU_mSV_SY_bEUlT_E_NS1_11comp_targetILNS1_3genE10ELNS1_11target_archE1201ELNS1_3gpuE5ELNS1_3repE0EEENS1_30default_config_static_selectorELNS0_4arch9wavefront6targetE1EEEvSS_,"axG",@progbits,_ZN7rocprim17ROCPRIM_400000_NS6detail17trampoline_kernelINS0_14default_configENS1_27lower_bound_config_selectorIdlEEZNS1_14transform_implILb0ES3_S5_N6thrust23THRUST_200600_302600_NS6detail15normal_iteratorINS8_7pointerIdNS8_11hip_rocprim5par_tENS8_11use_defaultESE_EEEENSA_INSB_IlSD_SE_SE_EEEEZNS1_13binary_searchIS3_S5_PdSG_SI_NS1_21lower_bound_search_opENS9_16wrapped_functionI11custom_lessbEEEE10hipError_tPvRmT1_T2_T3_mmT4_T5_P12ihipStream_tbEUlRKdE_EESP_ST_SU_mSV_SY_bEUlT_E_NS1_11comp_targetILNS1_3genE10ELNS1_11target_archE1201ELNS1_3gpuE5ELNS1_3repE0EEENS1_30default_config_static_selectorELNS0_4arch9wavefront6targetE1EEEvSS_,comdat
	.protected	_ZN7rocprim17ROCPRIM_400000_NS6detail17trampoline_kernelINS0_14default_configENS1_27lower_bound_config_selectorIdlEEZNS1_14transform_implILb0ES3_S5_N6thrust23THRUST_200600_302600_NS6detail15normal_iteratorINS8_7pointerIdNS8_11hip_rocprim5par_tENS8_11use_defaultESE_EEEENSA_INSB_IlSD_SE_SE_EEEEZNS1_13binary_searchIS3_S5_PdSG_SI_NS1_21lower_bound_search_opENS9_16wrapped_functionI11custom_lessbEEEE10hipError_tPvRmT1_T2_T3_mmT4_T5_P12ihipStream_tbEUlRKdE_EESP_ST_SU_mSV_SY_bEUlT_E_NS1_11comp_targetILNS1_3genE10ELNS1_11target_archE1201ELNS1_3gpuE5ELNS1_3repE0EEENS1_30default_config_static_selectorELNS0_4arch9wavefront6targetE1EEEvSS_ ; -- Begin function _ZN7rocprim17ROCPRIM_400000_NS6detail17trampoline_kernelINS0_14default_configENS1_27lower_bound_config_selectorIdlEEZNS1_14transform_implILb0ES3_S5_N6thrust23THRUST_200600_302600_NS6detail15normal_iteratorINS8_7pointerIdNS8_11hip_rocprim5par_tENS8_11use_defaultESE_EEEENSA_INSB_IlSD_SE_SE_EEEEZNS1_13binary_searchIS3_S5_PdSG_SI_NS1_21lower_bound_search_opENS9_16wrapped_functionI11custom_lessbEEEE10hipError_tPvRmT1_T2_T3_mmT4_T5_P12ihipStream_tbEUlRKdE_EESP_ST_SU_mSV_SY_bEUlT_E_NS1_11comp_targetILNS1_3genE10ELNS1_11target_archE1201ELNS1_3gpuE5ELNS1_3repE0EEENS1_30default_config_static_selectorELNS0_4arch9wavefront6targetE1EEEvSS_
	.globl	_ZN7rocprim17ROCPRIM_400000_NS6detail17trampoline_kernelINS0_14default_configENS1_27lower_bound_config_selectorIdlEEZNS1_14transform_implILb0ES3_S5_N6thrust23THRUST_200600_302600_NS6detail15normal_iteratorINS8_7pointerIdNS8_11hip_rocprim5par_tENS8_11use_defaultESE_EEEENSA_INSB_IlSD_SE_SE_EEEEZNS1_13binary_searchIS3_S5_PdSG_SI_NS1_21lower_bound_search_opENS9_16wrapped_functionI11custom_lessbEEEE10hipError_tPvRmT1_T2_T3_mmT4_T5_P12ihipStream_tbEUlRKdE_EESP_ST_SU_mSV_SY_bEUlT_E_NS1_11comp_targetILNS1_3genE10ELNS1_11target_archE1201ELNS1_3gpuE5ELNS1_3repE0EEENS1_30default_config_static_selectorELNS0_4arch9wavefront6targetE1EEEvSS_
	.p2align	8
	.type	_ZN7rocprim17ROCPRIM_400000_NS6detail17trampoline_kernelINS0_14default_configENS1_27lower_bound_config_selectorIdlEEZNS1_14transform_implILb0ES3_S5_N6thrust23THRUST_200600_302600_NS6detail15normal_iteratorINS8_7pointerIdNS8_11hip_rocprim5par_tENS8_11use_defaultESE_EEEENSA_INSB_IlSD_SE_SE_EEEEZNS1_13binary_searchIS3_S5_PdSG_SI_NS1_21lower_bound_search_opENS9_16wrapped_functionI11custom_lessbEEEE10hipError_tPvRmT1_T2_T3_mmT4_T5_P12ihipStream_tbEUlRKdE_EESP_ST_SU_mSV_SY_bEUlT_E_NS1_11comp_targetILNS1_3genE10ELNS1_11target_archE1201ELNS1_3gpuE5ELNS1_3repE0EEENS1_30default_config_static_selectorELNS0_4arch9wavefront6targetE1EEEvSS_,@function
_ZN7rocprim17ROCPRIM_400000_NS6detail17trampoline_kernelINS0_14default_configENS1_27lower_bound_config_selectorIdlEEZNS1_14transform_implILb0ES3_S5_N6thrust23THRUST_200600_302600_NS6detail15normal_iteratorINS8_7pointerIdNS8_11hip_rocprim5par_tENS8_11use_defaultESE_EEEENSA_INSB_IlSD_SE_SE_EEEEZNS1_13binary_searchIS3_S5_PdSG_SI_NS1_21lower_bound_search_opENS9_16wrapped_functionI11custom_lessbEEEE10hipError_tPvRmT1_T2_T3_mmT4_T5_P12ihipStream_tbEUlRKdE_EESP_ST_SU_mSV_SY_bEUlT_E_NS1_11comp_targetILNS1_3genE10ELNS1_11target_archE1201ELNS1_3gpuE5ELNS1_3repE0EEENS1_30default_config_static_selectorELNS0_4arch9wavefront6targetE1EEEvSS_: ; @_ZN7rocprim17ROCPRIM_400000_NS6detail17trampoline_kernelINS0_14default_configENS1_27lower_bound_config_selectorIdlEEZNS1_14transform_implILb0ES3_S5_N6thrust23THRUST_200600_302600_NS6detail15normal_iteratorINS8_7pointerIdNS8_11hip_rocprim5par_tENS8_11use_defaultESE_EEEENSA_INSB_IlSD_SE_SE_EEEEZNS1_13binary_searchIS3_S5_PdSG_SI_NS1_21lower_bound_search_opENS9_16wrapped_functionI11custom_lessbEEEE10hipError_tPvRmT1_T2_T3_mmT4_T5_P12ihipStream_tbEUlRKdE_EESP_ST_SU_mSV_SY_bEUlT_E_NS1_11comp_targetILNS1_3genE10ELNS1_11target_archE1201ELNS1_3gpuE5ELNS1_3repE0EEENS1_30default_config_static_selectorELNS0_4arch9wavefront6targetE1EEEvSS_
; %bb.0:
	.section	.rodata,"a",@progbits
	.p2align	6, 0x0
	.amdhsa_kernel _ZN7rocprim17ROCPRIM_400000_NS6detail17trampoline_kernelINS0_14default_configENS1_27lower_bound_config_selectorIdlEEZNS1_14transform_implILb0ES3_S5_N6thrust23THRUST_200600_302600_NS6detail15normal_iteratorINS8_7pointerIdNS8_11hip_rocprim5par_tENS8_11use_defaultESE_EEEENSA_INSB_IlSD_SE_SE_EEEEZNS1_13binary_searchIS3_S5_PdSG_SI_NS1_21lower_bound_search_opENS9_16wrapped_functionI11custom_lessbEEEE10hipError_tPvRmT1_T2_T3_mmT4_T5_P12ihipStream_tbEUlRKdE_EESP_ST_SU_mSV_SY_bEUlT_E_NS1_11comp_targetILNS1_3genE10ELNS1_11target_archE1201ELNS1_3gpuE5ELNS1_3repE0EEENS1_30default_config_static_selectorELNS0_4arch9wavefront6targetE1EEEvSS_
		.amdhsa_group_segment_fixed_size 0
		.amdhsa_private_segment_fixed_size 0
		.amdhsa_kernarg_size 56
		.amdhsa_user_sgpr_count 6
		.amdhsa_user_sgpr_private_segment_buffer 1
		.amdhsa_user_sgpr_dispatch_ptr 0
		.amdhsa_user_sgpr_queue_ptr 0
		.amdhsa_user_sgpr_kernarg_segment_ptr 1
		.amdhsa_user_sgpr_dispatch_id 0
		.amdhsa_user_sgpr_flat_scratch_init 0
		.amdhsa_user_sgpr_private_segment_size 0
		.amdhsa_uses_dynamic_stack 0
		.amdhsa_system_sgpr_private_segment_wavefront_offset 0
		.amdhsa_system_sgpr_workgroup_id_x 1
		.amdhsa_system_sgpr_workgroup_id_y 0
		.amdhsa_system_sgpr_workgroup_id_z 0
		.amdhsa_system_sgpr_workgroup_info 0
		.amdhsa_system_vgpr_workitem_id 0
		.amdhsa_next_free_vgpr 1
		.amdhsa_next_free_sgpr 0
		.amdhsa_reserve_vcc 0
		.amdhsa_reserve_flat_scratch 0
		.amdhsa_float_round_mode_32 0
		.amdhsa_float_round_mode_16_64 0
		.amdhsa_float_denorm_mode_32 3
		.amdhsa_float_denorm_mode_16_64 3
		.amdhsa_dx10_clamp 1
		.amdhsa_ieee_mode 1
		.amdhsa_fp16_overflow 0
		.amdhsa_exception_fp_ieee_invalid_op 0
		.amdhsa_exception_fp_denorm_src 0
		.amdhsa_exception_fp_ieee_div_zero 0
		.amdhsa_exception_fp_ieee_overflow 0
		.amdhsa_exception_fp_ieee_underflow 0
		.amdhsa_exception_fp_ieee_inexact 0
		.amdhsa_exception_int_div_zero 0
	.end_amdhsa_kernel
	.section	.text._ZN7rocprim17ROCPRIM_400000_NS6detail17trampoline_kernelINS0_14default_configENS1_27lower_bound_config_selectorIdlEEZNS1_14transform_implILb0ES3_S5_N6thrust23THRUST_200600_302600_NS6detail15normal_iteratorINS8_7pointerIdNS8_11hip_rocprim5par_tENS8_11use_defaultESE_EEEENSA_INSB_IlSD_SE_SE_EEEEZNS1_13binary_searchIS3_S5_PdSG_SI_NS1_21lower_bound_search_opENS9_16wrapped_functionI11custom_lessbEEEE10hipError_tPvRmT1_T2_T3_mmT4_T5_P12ihipStream_tbEUlRKdE_EESP_ST_SU_mSV_SY_bEUlT_E_NS1_11comp_targetILNS1_3genE10ELNS1_11target_archE1201ELNS1_3gpuE5ELNS1_3repE0EEENS1_30default_config_static_selectorELNS0_4arch9wavefront6targetE1EEEvSS_,"axG",@progbits,_ZN7rocprim17ROCPRIM_400000_NS6detail17trampoline_kernelINS0_14default_configENS1_27lower_bound_config_selectorIdlEEZNS1_14transform_implILb0ES3_S5_N6thrust23THRUST_200600_302600_NS6detail15normal_iteratorINS8_7pointerIdNS8_11hip_rocprim5par_tENS8_11use_defaultESE_EEEENSA_INSB_IlSD_SE_SE_EEEEZNS1_13binary_searchIS3_S5_PdSG_SI_NS1_21lower_bound_search_opENS9_16wrapped_functionI11custom_lessbEEEE10hipError_tPvRmT1_T2_T3_mmT4_T5_P12ihipStream_tbEUlRKdE_EESP_ST_SU_mSV_SY_bEUlT_E_NS1_11comp_targetILNS1_3genE10ELNS1_11target_archE1201ELNS1_3gpuE5ELNS1_3repE0EEENS1_30default_config_static_selectorELNS0_4arch9wavefront6targetE1EEEvSS_,comdat
.Lfunc_end9:
	.size	_ZN7rocprim17ROCPRIM_400000_NS6detail17trampoline_kernelINS0_14default_configENS1_27lower_bound_config_selectorIdlEEZNS1_14transform_implILb0ES3_S5_N6thrust23THRUST_200600_302600_NS6detail15normal_iteratorINS8_7pointerIdNS8_11hip_rocprim5par_tENS8_11use_defaultESE_EEEENSA_INSB_IlSD_SE_SE_EEEEZNS1_13binary_searchIS3_S5_PdSG_SI_NS1_21lower_bound_search_opENS9_16wrapped_functionI11custom_lessbEEEE10hipError_tPvRmT1_T2_T3_mmT4_T5_P12ihipStream_tbEUlRKdE_EESP_ST_SU_mSV_SY_bEUlT_E_NS1_11comp_targetILNS1_3genE10ELNS1_11target_archE1201ELNS1_3gpuE5ELNS1_3repE0EEENS1_30default_config_static_selectorELNS0_4arch9wavefront6targetE1EEEvSS_, .Lfunc_end9-_ZN7rocprim17ROCPRIM_400000_NS6detail17trampoline_kernelINS0_14default_configENS1_27lower_bound_config_selectorIdlEEZNS1_14transform_implILb0ES3_S5_N6thrust23THRUST_200600_302600_NS6detail15normal_iteratorINS8_7pointerIdNS8_11hip_rocprim5par_tENS8_11use_defaultESE_EEEENSA_INSB_IlSD_SE_SE_EEEEZNS1_13binary_searchIS3_S5_PdSG_SI_NS1_21lower_bound_search_opENS9_16wrapped_functionI11custom_lessbEEEE10hipError_tPvRmT1_T2_T3_mmT4_T5_P12ihipStream_tbEUlRKdE_EESP_ST_SU_mSV_SY_bEUlT_E_NS1_11comp_targetILNS1_3genE10ELNS1_11target_archE1201ELNS1_3gpuE5ELNS1_3repE0EEENS1_30default_config_static_selectorELNS0_4arch9wavefront6targetE1EEEvSS_
                                        ; -- End function
	.set _ZN7rocprim17ROCPRIM_400000_NS6detail17trampoline_kernelINS0_14default_configENS1_27lower_bound_config_selectorIdlEEZNS1_14transform_implILb0ES3_S5_N6thrust23THRUST_200600_302600_NS6detail15normal_iteratorINS8_7pointerIdNS8_11hip_rocprim5par_tENS8_11use_defaultESE_EEEENSA_INSB_IlSD_SE_SE_EEEEZNS1_13binary_searchIS3_S5_PdSG_SI_NS1_21lower_bound_search_opENS9_16wrapped_functionI11custom_lessbEEEE10hipError_tPvRmT1_T2_T3_mmT4_T5_P12ihipStream_tbEUlRKdE_EESP_ST_SU_mSV_SY_bEUlT_E_NS1_11comp_targetILNS1_3genE10ELNS1_11target_archE1201ELNS1_3gpuE5ELNS1_3repE0EEENS1_30default_config_static_selectorELNS0_4arch9wavefront6targetE1EEEvSS_.num_vgpr, 0
	.set _ZN7rocprim17ROCPRIM_400000_NS6detail17trampoline_kernelINS0_14default_configENS1_27lower_bound_config_selectorIdlEEZNS1_14transform_implILb0ES3_S5_N6thrust23THRUST_200600_302600_NS6detail15normal_iteratorINS8_7pointerIdNS8_11hip_rocprim5par_tENS8_11use_defaultESE_EEEENSA_INSB_IlSD_SE_SE_EEEEZNS1_13binary_searchIS3_S5_PdSG_SI_NS1_21lower_bound_search_opENS9_16wrapped_functionI11custom_lessbEEEE10hipError_tPvRmT1_T2_T3_mmT4_T5_P12ihipStream_tbEUlRKdE_EESP_ST_SU_mSV_SY_bEUlT_E_NS1_11comp_targetILNS1_3genE10ELNS1_11target_archE1201ELNS1_3gpuE5ELNS1_3repE0EEENS1_30default_config_static_selectorELNS0_4arch9wavefront6targetE1EEEvSS_.num_agpr, 0
	.set _ZN7rocprim17ROCPRIM_400000_NS6detail17trampoline_kernelINS0_14default_configENS1_27lower_bound_config_selectorIdlEEZNS1_14transform_implILb0ES3_S5_N6thrust23THRUST_200600_302600_NS6detail15normal_iteratorINS8_7pointerIdNS8_11hip_rocprim5par_tENS8_11use_defaultESE_EEEENSA_INSB_IlSD_SE_SE_EEEEZNS1_13binary_searchIS3_S5_PdSG_SI_NS1_21lower_bound_search_opENS9_16wrapped_functionI11custom_lessbEEEE10hipError_tPvRmT1_T2_T3_mmT4_T5_P12ihipStream_tbEUlRKdE_EESP_ST_SU_mSV_SY_bEUlT_E_NS1_11comp_targetILNS1_3genE10ELNS1_11target_archE1201ELNS1_3gpuE5ELNS1_3repE0EEENS1_30default_config_static_selectorELNS0_4arch9wavefront6targetE1EEEvSS_.numbered_sgpr, 0
	.set _ZN7rocprim17ROCPRIM_400000_NS6detail17trampoline_kernelINS0_14default_configENS1_27lower_bound_config_selectorIdlEEZNS1_14transform_implILb0ES3_S5_N6thrust23THRUST_200600_302600_NS6detail15normal_iteratorINS8_7pointerIdNS8_11hip_rocprim5par_tENS8_11use_defaultESE_EEEENSA_INSB_IlSD_SE_SE_EEEEZNS1_13binary_searchIS3_S5_PdSG_SI_NS1_21lower_bound_search_opENS9_16wrapped_functionI11custom_lessbEEEE10hipError_tPvRmT1_T2_T3_mmT4_T5_P12ihipStream_tbEUlRKdE_EESP_ST_SU_mSV_SY_bEUlT_E_NS1_11comp_targetILNS1_3genE10ELNS1_11target_archE1201ELNS1_3gpuE5ELNS1_3repE0EEENS1_30default_config_static_selectorELNS0_4arch9wavefront6targetE1EEEvSS_.num_named_barrier, 0
	.set _ZN7rocprim17ROCPRIM_400000_NS6detail17trampoline_kernelINS0_14default_configENS1_27lower_bound_config_selectorIdlEEZNS1_14transform_implILb0ES3_S5_N6thrust23THRUST_200600_302600_NS6detail15normal_iteratorINS8_7pointerIdNS8_11hip_rocprim5par_tENS8_11use_defaultESE_EEEENSA_INSB_IlSD_SE_SE_EEEEZNS1_13binary_searchIS3_S5_PdSG_SI_NS1_21lower_bound_search_opENS9_16wrapped_functionI11custom_lessbEEEE10hipError_tPvRmT1_T2_T3_mmT4_T5_P12ihipStream_tbEUlRKdE_EESP_ST_SU_mSV_SY_bEUlT_E_NS1_11comp_targetILNS1_3genE10ELNS1_11target_archE1201ELNS1_3gpuE5ELNS1_3repE0EEENS1_30default_config_static_selectorELNS0_4arch9wavefront6targetE1EEEvSS_.private_seg_size, 0
	.set _ZN7rocprim17ROCPRIM_400000_NS6detail17trampoline_kernelINS0_14default_configENS1_27lower_bound_config_selectorIdlEEZNS1_14transform_implILb0ES3_S5_N6thrust23THRUST_200600_302600_NS6detail15normal_iteratorINS8_7pointerIdNS8_11hip_rocprim5par_tENS8_11use_defaultESE_EEEENSA_INSB_IlSD_SE_SE_EEEEZNS1_13binary_searchIS3_S5_PdSG_SI_NS1_21lower_bound_search_opENS9_16wrapped_functionI11custom_lessbEEEE10hipError_tPvRmT1_T2_T3_mmT4_T5_P12ihipStream_tbEUlRKdE_EESP_ST_SU_mSV_SY_bEUlT_E_NS1_11comp_targetILNS1_3genE10ELNS1_11target_archE1201ELNS1_3gpuE5ELNS1_3repE0EEENS1_30default_config_static_selectorELNS0_4arch9wavefront6targetE1EEEvSS_.uses_vcc, 0
	.set _ZN7rocprim17ROCPRIM_400000_NS6detail17trampoline_kernelINS0_14default_configENS1_27lower_bound_config_selectorIdlEEZNS1_14transform_implILb0ES3_S5_N6thrust23THRUST_200600_302600_NS6detail15normal_iteratorINS8_7pointerIdNS8_11hip_rocprim5par_tENS8_11use_defaultESE_EEEENSA_INSB_IlSD_SE_SE_EEEEZNS1_13binary_searchIS3_S5_PdSG_SI_NS1_21lower_bound_search_opENS9_16wrapped_functionI11custom_lessbEEEE10hipError_tPvRmT1_T2_T3_mmT4_T5_P12ihipStream_tbEUlRKdE_EESP_ST_SU_mSV_SY_bEUlT_E_NS1_11comp_targetILNS1_3genE10ELNS1_11target_archE1201ELNS1_3gpuE5ELNS1_3repE0EEENS1_30default_config_static_selectorELNS0_4arch9wavefront6targetE1EEEvSS_.uses_flat_scratch, 0
	.set _ZN7rocprim17ROCPRIM_400000_NS6detail17trampoline_kernelINS0_14default_configENS1_27lower_bound_config_selectorIdlEEZNS1_14transform_implILb0ES3_S5_N6thrust23THRUST_200600_302600_NS6detail15normal_iteratorINS8_7pointerIdNS8_11hip_rocprim5par_tENS8_11use_defaultESE_EEEENSA_INSB_IlSD_SE_SE_EEEEZNS1_13binary_searchIS3_S5_PdSG_SI_NS1_21lower_bound_search_opENS9_16wrapped_functionI11custom_lessbEEEE10hipError_tPvRmT1_T2_T3_mmT4_T5_P12ihipStream_tbEUlRKdE_EESP_ST_SU_mSV_SY_bEUlT_E_NS1_11comp_targetILNS1_3genE10ELNS1_11target_archE1201ELNS1_3gpuE5ELNS1_3repE0EEENS1_30default_config_static_selectorELNS0_4arch9wavefront6targetE1EEEvSS_.has_dyn_sized_stack, 0
	.set _ZN7rocprim17ROCPRIM_400000_NS6detail17trampoline_kernelINS0_14default_configENS1_27lower_bound_config_selectorIdlEEZNS1_14transform_implILb0ES3_S5_N6thrust23THRUST_200600_302600_NS6detail15normal_iteratorINS8_7pointerIdNS8_11hip_rocprim5par_tENS8_11use_defaultESE_EEEENSA_INSB_IlSD_SE_SE_EEEEZNS1_13binary_searchIS3_S5_PdSG_SI_NS1_21lower_bound_search_opENS9_16wrapped_functionI11custom_lessbEEEE10hipError_tPvRmT1_T2_T3_mmT4_T5_P12ihipStream_tbEUlRKdE_EESP_ST_SU_mSV_SY_bEUlT_E_NS1_11comp_targetILNS1_3genE10ELNS1_11target_archE1201ELNS1_3gpuE5ELNS1_3repE0EEENS1_30default_config_static_selectorELNS0_4arch9wavefront6targetE1EEEvSS_.has_recursion, 0
	.set _ZN7rocprim17ROCPRIM_400000_NS6detail17trampoline_kernelINS0_14default_configENS1_27lower_bound_config_selectorIdlEEZNS1_14transform_implILb0ES3_S5_N6thrust23THRUST_200600_302600_NS6detail15normal_iteratorINS8_7pointerIdNS8_11hip_rocprim5par_tENS8_11use_defaultESE_EEEENSA_INSB_IlSD_SE_SE_EEEEZNS1_13binary_searchIS3_S5_PdSG_SI_NS1_21lower_bound_search_opENS9_16wrapped_functionI11custom_lessbEEEE10hipError_tPvRmT1_T2_T3_mmT4_T5_P12ihipStream_tbEUlRKdE_EESP_ST_SU_mSV_SY_bEUlT_E_NS1_11comp_targetILNS1_3genE10ELNS1_11target_archE1201ELNS1_3gpuE5ELNS1_3repE0EEENS1_30default_config_static_selectorELNS0_4arch9wavefront6targetE1EEEvSS_.has_indirect_call, 0
	.section	.AMDGPU.csdata,"",@progbits
; Kernel info:
; codeLenInByte = 0
; TotalNumSgprs: 4
; NumVgprs: 0
; ScratchSize: 0
; MemoryBound: 0
; FloatMode: 240
; IeeeMode: 1
; LDSByteSize: 0 bytes/workgroup (compile time only)
; SGPRBlocks: 0
; VGPRBlocks: 0
; NumSGPRsForWavesPerEU: 4
; NumVGPRsForWavesPerEU: 1
; Occupancy: 10
; WaveLimiterHint : 0
; COMPUTE_PGM_RSRC2:SCRATCH_EN: 0
; COMPUTE_PGM_RSRC2:USER_SGPR: 6
; COMPUTE_PGM_RSRC2:TRAP_HANDLER: 0
; COMPUTE_PGM_RSRC2:TGID_X_EN: 1
; COMPUTE_PGM_RSRC2:TGID_Y_EN: 0
; COMPUTE_PGM_RSRC2:TGID_Z_EN: 0
; COMPUTE_PGM_RSRC2:TIDIG_COMP_CNT: 0
	.section	.text._ZN7rocprim17ROCPRIM_400000_NS6detail17trampoline_kernelINS0_14default_configENS1_27lower_bound_config_selectorIdlEEZNS1_14transform_implILb0ES3_S5_N6thrust23THRUST_200600_302600_NS6detail15normal_iteratorINS8_7pointerIdNS8_11hip_rocprim5par_tENS8_11use_defaultESE_EEEENSA_INSB_IlSD_SE_SE_EEEEZNS1_13binary_searchIS3_S5_PdSG_SI_NS1_21lower_bound_search_opENS9_16wrapped_functionI11custom_lessbEEEE10hipError_tPvRmT1_T2_T3_mmT4_T5_P12ihipStream_tbEUlRKdE_EESP_ST_SU_mSV_SY_bEUlT_E_NS1_11comp_targetILNS1_3genE10ELNS1_11target_archE1200ELNS1_3gpuE4ELNS1_3repE0EEENS1_30default_config_static_selectorELNS0_4arch9wavefront6targetE1EEEvSS_,"axG",@progbits,_ZN7rocprim17ROCPRIM_400000_NS6detail17trampoline_kernelINS0_14default_configENS1_27lower_bound_config_selectorIdlEEZNS1_14transform_implILb0ES3_S5_N6thrust23THRUST_200600_302600_NS6detail15normal_iteratorINS8_7pointerIdNS8_11hip_rocprim5par_tENS8_11use_defaultESE_EEEENSA_INSB_IlSD_SE_SE_EEEEZNS1_13binary_searchIS3_S5_PdSG_SI_NS1_21lower_bound_search_opENS9_16wrapped_functionI11custom_lessbEEEE10hipError_tPvRmT1_T2_T3_mmT4_T5_P12ihipStream_tbEUlRKdE_EESP_ST_SU_mSV_SY_bEUlT_E_NS1_11comp_targetILNS1_3genE10ELNS1_11target_archE1200ELNS1_3gpuE4ELNS1_3repE0EEENS1_30default_config_static_selectorELNS0_4arch9wavefront6targetE1EEEvSS_,comdat
	.protected	_ZN7rocprim17ROCPRIM_400000_NS6detail17trampoline_kernelINS0_14default_configENS1_27lower_bound_config_selectorIdlEEZNS1_14transform_implILb0ES3_S5_N6thrust23THRUST_200600_302600_NS6detail15normal_iteratorINS8_7pointerIdNS8_11hip_rocprim5par_tENS8_11use_defaultESE_EEEENSA_INSB_IlSD_SE_SE_EEEEZNS1_13binary_searchIS3_S5_PdSG_SI_NS1_21lower_bound_search_opENS9_16wrapped_functionI11custom_lessbEEEE10hipError_tPvRmT1_T2_T3_mmT4_T5_P12ihipStream_tbEUlRKdE_EESP_ST_SU_mSV_SY_bEUlT_E_NS1_11comp_targetILNS1_3genE10ELNS1_11target_archE1200ELNS1_3gpuE4ELNS1_3repE0EEENS1_30default_config_static_selectorELNS0_4arch9wavefront6targetE1EEEvSS_ ; -- Begin function _ZN7rocprim17ROCPRIM_400000_NS6detail17trampoline_kernelINS0_14default_configENS1_27lower_bound_config_selectorIdlEEZNS1_14transform_implILb0ES3_S5_N6thrust23THRUST_200600_302600_NS6detail15normal_iteratorINS8_7pointerIdNS8_11hip_rocprim5par_tENS8_11use_defaultESE_EEEENSA_INSB_IlSD_SE_SE_EEEEZNS1_13binary_searchIS3_S5_PdSG_SI_NS1_21lower_bound_search_opENS9_16wrapped_functionI11custom_lessbEEEE10hipError_tPvRmT1_T2_T3_mmT4_T5_P12ihipStream_tbEUlRKdE_EESP_ST_SU_mSV_SY_bEUlT_E_NS1_11comp_targetILNS1_3genE10ELNS1_11target_archE1200ELNS1_3gpuE4ELNS1_3repE0EEENS1_30default_config_static_selectorELNS0_4arch9wavefront6targetE1EEEvSS_
	.globl	_ZN7rocprim17ROCPRIM_400000_NS6detail17trampoline_kernelINS0_14default_configENS1_27lower_bound_config_selectorIdlEEZNS1_14transform_implILb0ES3_S5_N6thrust23THRUST_200600_302600_NS6detail15normal_iteratorINS8_7pointerIdNS8_11hip_rocprim5par_tENS8_11use_defaultESE_EEEENSA_INSB_IlSD_SE_SE_EEEEZNS1_13binary_searchIS3_S5_PdSG_SI_NS1_21lower_bound_search_opENS9_16wrapped_functionI11custom_lessbEEEE10hipError_tPvRmT1_T2_T3_mmT4_T5_P12ihipStream_tbEUlRKdE_EESP_ST_SU_mSV_SY_bEUlT_E_NS1_11comp_targetILNS1_3genE10ELNS1_11target_archE1200ELNS1_3gpuE4ELNS1_3repE0EEENS1_30default_config_static_selectorELNS0_4arch9wavefront6targetE1EEEvSS_
	.p2align	8
	.type	_ZN7rocprim17ROCPRIM_400000_NS6detail17trampoline_kernelINS0_14default_configENS1_27lower_bound_config_selectorIdlEEZNS1_14transform_implILb0ES3_S5_N6thrust23THRUST_200600_302600_NS6detail15normal_iteratorINS8_7pointerIdNS8_11hip_rocprim5par_tENS8_11use_defaultESE_EEEENSA_INSB_IlSD_SE_SE_EEEEZNS1_13binary_searchIS3_S5_PdSG_SI_NS1_21lower_bound_search_opENS9_16wrapped_functionI11custom_lessbEEEE10hipError_tPvRmT1_T2_T3_mmT4_T5_P12ihipStream_tbEUlRKdE_EESP_ST_SU_mSV_SY_bEUlT_E_NS1_11comp_targetILNS1_3genE10ELNS1_11target_archE1200ELNS1_3gpuE4ELNS1_3repE0EEENS1_30default_config_static_selectorELNS0_4arch9wavefront6targetE1EEEvSS_,@function
_ZN7rocprim17ROCPRIM_400000_NS6detail17trampoline_kernelINS0_14default_configENS1_27lower_bound_config_selectorIdlEEZNS1_14transform_implILb0ES3_S5_N6thrust23THRUST_200600_302600_NS6detail15normal_iteratorINS8_7pointerIdNS8_11hip_rocprim5par_tENS8_11use_defaultESE_EEEENSA_INSB_IlSD_SE_SE_EEEEZNS1_13binary_searchIS3_S5_PdSG_SI_NS1_21lower_bound_search_opENS9_16wrapped_functionI11custom_lessbEEEE10hipError_tPvRmT1_T2_T3_mmT4_T5_P12ihipStream_tbEUlRKdE_EESP_ST_SU_mSV_SY_bEUlT_E_NS1_11comp_targetILNS1_3genE10ELNS1_11target_archE1200ELNS1_3gpuE4ELNS1_3repE0EEENS1_30default_config_static_selectorELNS0_4arch9wavefront6targetE1EEEvSS_: ; @_ZN7rocprim17ROCPRIM_400000_NS6detail17trampoline_kernelINS0_14default_configENS1_27lower_bound_config_selectorIdlEEZNS1_14transform_implILb0ES3_S5_N6thrust23THRUST_200600_302600_NS6detail15normal_iteratorINS8_7pointerIdNS8_11hip_rocprim5par_tENS8_11use_defaultESE_EEEENSA_INSB_IlSD_SE_SE_EEEEZNS1_13binary_searchIS3_S5_PdSG_SI_NS1_21lower_bound_search_opENS9_16wrapped_functionI11custom_lessbEEEE10hipError_tPvRmT1_T2_T3_mmT4_T5_P12ihipStream_tbEUlRKdE_EESP_ST_SU_mSV_SY_bEUlT_E_NS1_11comp_targetILNS1_3genE10ELNS1_11target_archE1200ELNS1_3gpuE4ELNS1_3repE0EEENS1_30default_config_static_selectorELNS0_4arch9wavefront6targetE1EEEvSS_
; %bb.0:
	.section	.rodata,"a",@progbits
	.p2align	6, 0x0
	.amdhsa_kernel _ZN7rocprim17ROCPRIM_400000_NS6detail17trampoline_kernelINS0_14default_configENS1_27lower_bound_config_selectorIdlEEZNS1_14transform_implILb0ES3_S5_N6thrust23THRUST_200600_302600_NS6detail15normal_iteratorINS8_7pointerIdNS8_11hip_rocprim5par_tENS8_11use_defaultESE_EEEENSA_INSB_IlSD_SE_SE_EEEEZNS1_13binary_searchIS3_S5_PdSG_SI_NS1_21lower_bound_search_opENS9_16wrapped_functionI11custom_lessbEEEE10hipError_tPvRmT1_T2_T3_mmT4_T5_P12ihipStream_tbEUlRKdE_EESP_ST_SU_mSV_SY_bEUlT_E_NS1_11comp_targetILNS1_3genE10ELNS1_11target_archE1200ELNS1_3gpuE4ELNS1_3repE0EEENS1_30default_config_static_selectorELNS0_4arch9wavefront6targetE1EEEvSS_
		.amdhsa_group_segment_fixed_size 0
		.amdhsa_private_segment_fixed_size 0
		.amdhsa_kernarg_size 56
		.amdhsa_user_sgpr_count 6
		.amdhsa_user_sgpr_private_segment_buffer 1
		.amdhsa_user_sgpr_dispatch_ptr 0
		.amdhsa_user_sgpr_queue_ptr 0
		.amdhsa_user_sgpr_kernarg_segment_ptr 1
		.amdhsa_user_sgpr_dispatch_id 0
		.amdhsa_user_sgpr_flat_scratch_init 0
		.amdhsa_user_sgpr_private_segment_size 0
		.amdhsa_uses_dynamic_stack 0
		.amdhsa_system_sgpr_private_segment_wavefront_offset 0
		.amdhsa_system_sgpr_workgroup_id_x 1
		.amdhsa_system_sgpr_workgroup_id_y 0
		.amdhsa_system_sgpr_workgroup_id_z 0
		.amdhsa_system_sgpr_workgroup_info 0
		.amdhsa_system_vgpr_workitem_id 0
		.amdhsa_next_free_vgpr 1
		.amdhsa_next_free_sgpr 0
		.amdhsa_reserve_vcc 0
		.amdhsa_reserve_flat_scratch 0
		.amdhsa_float_round_mode_32 0
		.amdhsa_float_round_mode_16_64 0
		.amdhsa_float_denorm_mode_32 3
		.amdhsa_float_denorm_mode_16_64 3
		.amdhsa_dx10_clamp 1
		.amdhsa_ieee_mode 1
		.amdhsa_fp16_overflow 0
		.amdhsa_exception_fp_ieee_invalid_op 0
		.amdhsa_exception_fp_denorm_src 0
		.amdhsa_exception_fp_ieee_div_zero 0
		.amdhsa_exception_fp_ieee_overflow 0
		.amdhsa_exception_fp_ieee_underflow 0
		.amdhsa_exception_fp_ieee_inexact 0
		.amdhsa_exception_int_div_zero 0
	.end_amdhsa_kernel
	.section	.text._ZN7rocprim17ROCPRIM_400000_NS6detail17trampoline_kernelINS0_14default_configENS1_27lower_bound_config_selectorIdlEEZNS1_14transform_implILb0ES3_S5_N6thrust23THRUST_200600_302600_NS6detail15normal_iteratorINS8_7pointerIdNS8_11hip_rocprim5par_tENS8_11use_defaultESE_EEEENSA_INSB_IlSD_SE_SE_EEEEZNS1_13binary_searchIS3_S5_PdSG_SI_NS1_21lower_bound_search_opENS9_16wrapped_functionI11custom_lessbEEEE10hipError_tPvRmT1_T2_T3_mmT4_T5_P12ihipStream_tbEUlRKdE_EESP_ST_SU_mSV_SY_bEUlT_E_NS1_11comp_targetILNS1_3genE10ELNS1_11target_archE1200ELNS1_3gpuE4ELNS1_3repE0EEENS1_30default_config_static_selectorELNS0_4arch9wavefront6targetE1EEEvSS_,"axG",@progbits,_ZN7rocprim17ROCPRIM_400000_NS6detail17trampoline_kernelINS0_14default_configENS1_27lower_bound_config_selectorIdlEEZNS1_14transform_implILb0ES3_S5_N6thrust23THRUST_200600_302600_NS6detail15normal_iteratorINS8_7pointerIdNS8_11hip_rocprim5par_tENS8_11use_defaultESE_EEEENSA_INSB_IlSD_SE_SE_EEEEZNS1_13binary_searchIS3_S5_PdSG_SI_NS1_21lower_bound_search_opENS9_16wrapped_functionI11custom_lessbEEEE10hipError_tPvRmT1_T2_T3_mmT4_T5_P12ihipStream_tbEUlRKdE_EESP_ST_SU_mSV_SY_bEUlT_E_NS1_11comp_targetILNS1_3genE10ELNS1_11target_archE1200ELNS1_3gpuE4ELNS1_3repE0EEENS1_30default_config_static_selectorELNS0_4arch9wavefront6targetE1EEEvSS_,comdat
.Lfunc_end10:
	.size	_ZN7rocprim17ROCPRIM_400000_NS6detail17trampoline_kernelINS0_14default_configENS1_27lower_bound_config_selectorIdlEEZNS1_14transform_implILb0ES3_S5_N6thrust23THRUST_200600_302600_NS6detail15normal_iteratorINS8_7pointerIdNS8_11hip_rocprim5par_tENS8_11use_defaultESE_EEEENSA_INSB_IlSD_SE_SE_EEEEZNS1_13binary_searchIS3_S5_PdSG_SI_NS1_21lower_bound_search_opENS9_16wrapped_functionI11custom_lessbEEEE10hipError_tPvRmT1_T2_T3_mmT4_T5_P12ihipStream_tbEUlRKdE_EESP_ST_SU_mSV_SY_bEUlT_E_NS1_11comp_targetILNS1_3genE10ELNS1_11target_archE1200ELNS1_3gpuE4ELNS1_3repE0EEENS1_30default_config_static_selectorELNS0_4arch9wavefront6targetE1EEEvSS_, .Lfunc_end10-_ZN7rocprim17ROCPRIM_400000_NS6detail17trampoline_kernelINS0_14default_configENS1_27lower_bound_config_selectorIdlEEZNS1_14transform_implILb0ES3_S5_N6thrust23THRUST_200600_302600_NS6detail15normal_iteratorINS8_7pointerIdNS8_11hip_rocprim5par_tENS8_11use_defaultESE_EEEENSA_INSB_IlSD_SE_SE_EEEEZNS1_13binary_searchIS3_S5_PdSG_SI_NS1_21lower_bound_search_opENS9_16wrapped_functionI11custom_lessbEEEE10hipError_tPvRmT1_T2_T3_mmT4_T5_P12ihipStream_tbEUlRKdE_EESP_ST_SU_mSV_SY_bEUlT_E_NS1_11comp_targetILNS1_3genE10ELNS1_11target_archE1200ELNS1_3gpuE4ELNS1_3repE0EEENS1_30default_config_static_selectorELNS0_4arch9wavefront6targetE1EEEvSS_
                                        ; -- End function
	.set _ZN7rocprim17ROCPRIM_400000_NS6detail17trampoline_kernelINS0_14default_configENS1_27lower_bound_config_selectorIdlEEZNS1_14transform_implILb0ES3_S5_N6thrust23THRUST_200600_302600_NS6detail15normal_iteratorINS8_7pointerIdNS8_11hip_rocprim5par_tENS8_11use_defaultESE_EEEENSA_INSB_IlSD_SE_SE_EEEEZNS1_13binary_searchIS3_S5_PdSG_SI_NS1_21lower_bound_search_opENS9_16wrapped_functionI11custom_lessbEEEE10hipError_tPvRmT1_T2_T3_mmT4_T5_P12ihipStream_tbEUlRKdE_EESP_ST_SU_mSV_SY_bEUlT_E_NS1_11comp_targetILNS1_3genE10ELNS1_11target_archE1200ELNS1_3gpuE4ELNS1_3repE0EEENS1_30default_config_static_selectorELNS0_4arch9wavefront6targetE1EEEvSS_.num_vgpr, 0
	.set _ZN7rocprim17ROCPRIM_400000_NS6detail17trampoline_kernelINS0_14default_configENS1_27lower_bound_config_selectorIdlEEZNS1_14transform_implILb0ES3_S5_N6thrust23THRUST_200600_302600_NS6detail15normal_iteratorINS8_7pointerIdNS8_11hip_rocprim5par_tENS8_11use_defaultESE_EEEENSA_INSB_IlSD_SE_SE_EEEEZNS1_13binary_searchIS3_S5_PdSG_SI_NS1_21lower_bound_search_opENS9_16wrapped_functionI11custom_lessbEEEE10hipError_tPvRmT1_T2_T3_mmT4_T5_P12ihipStream_tbEUlRKdE_EESP_ST_SU_mSV_SY_bEUlT_E_NS1_11comp_targetILNS1_3genE10ELNS1_11target_archE1200ELNS1_3gpuE4ELNS1_3repE0EEENS1_30default_config_static_selectorELNS0_4arch9wavefront6targetE1EEEvSS_.num_agpr, 0
	.set _ZN7rocprim17ROCPRIM_400000_NS6detail17trampoline_kernelINS0_14default_configENS1_27lower_bound_config_selectorIdlEEZNS1_14transform_implILb0ES3_S5_N6thrust23THRUST_200600_302600_NS6detail15normal_iteratorINS8_7pointerIdNS8_11hip_rocprim5par_tENS8_11use_defaultESE_EEEENSA_INSB_IlSD_SE_SE_EEEEZNS1_13binary_searchIS3_S5_PdSG_SI_NS1_21lower_bound_search_opENS9_16wrapped_functionI11custom_lessbEEEE10hipError_tPvRmT1_T2_T3_mmT4_T5_P12ihipStream_tbEUlRKdE_EESP_ST_SU_mSV_SY_bEUlT_E_NS1_11comp_targetILNS1_3genE10ELNS1_11target_archE1200ELNS1_3gpuE4ELNS1_3repE0EEENS1_30default_config_static_selectorELNS0_4arch9wavefront6targetE1EEEvSS_.numbered_sgpr, 0
	.set _ZN7rocprim17ROCPRIM_400000_NS6detail17trampoline_kernelINS0_14default_configENS1_27lower_bound_config_selectorIdlEEZNS1_14transform_implILb0ES3_S5_N6thrust23THRUST_200600_302600_NS6detail15normal_iteratorINS8_7pointerIdNS8_11hip_rocprim5par_tENS8_11use_defaultESE_EEEENSA_INSB_IlSD_SE_SE_EEEEZNS1_13binary_searchIS3_S5_PdSG_SI_NS1_21lower_bound_search_opENS9_16wrapped_functionI11custom_lessbEEEE10hipError_tPvRmT1_T2_T3_mmT4_T5_P12ihipStream_tbEUlRKdE_EESP_ST_SU_mSV_SY_bEUlT_E_NS1_11comp_targetILNS1_3genE10ELNS1_11target_archE1200ELNS1_3gpuE4ELNS1_3repE0EEENS1_30default_config_static_selectorELNS0_4arch9wavefront6targetE1EEEvSS_.num_named_barrier, 0
	.set _ZN7rocprim17ROCPRIM_400000_NS6detail17trampoline_kernelINS0_14default_configENS1_27lower_bound_config_selectorIdlEEZNS1_14transform_implILb0ES3_S5_N6thrust23THRUST_200600_302600_NS6detail15normal_iteratorINS8_7pointerIdNS8_11hip_rocprim5par_tENS8_11use_defaultESE_EEEENSA_INSB_IlSD_SE_SE_EEEEZNS1_13binary_searchIS3_S5_PdSG_SI_NS1_21lower_bound_search_opENS9_16wrapped_functionI11custom_lessbEEEE10hipError_tPvRmT1_T2_T3_mmT4_T5_P12ihipStream_tbEUlRKdE_EESP_ST_SU_mSV_SY_bEUlT_E_NS1_11comp_targetILNS1_3genE10ELNS1_11target_archE1200ELNS1_3gpuE4ELNS1_3repE0EEENS1_30default_config_static_selectorELNS0_4arch9wavefront6targetE1EEEvSS_.private_seg_size, 0
	.set _ZN7rocprim17ROCPRIM_400000_NS6detail17trampoline_kernelINS0_14default_configENS1_27lower_bound_config_selectorIdlEEZNS1_14transform_implILb0ES3_S5_N6thrust23THRUST_200600_302600_NS6detail15normal_iteratorINS8_7pointerIdNS8_11hip_rocprim5par_tENS8_11use_defaultESE_EEEENSA_INSB_IlSD_SE_SE_EEEEZNS1_13binary_searchIS3_S5_PdSG_SI_NS1_21lower_bound_search_opENS9_16wrapped_functionI11custom_lessbEEEE10hipError_tPvRmT1_T2_T3_mmT4_T5_P12ihipStream_tbEUlRKdE_EESP_ST_SU_mSV_SY_bEUlT_E_NS1_11comp_targetILNS1_3genE10ELNS1_11target_archE1200ELNS1_3gpuE4ELNS1_3repE0EEENS1_30default_config_static_selectorELNS0_4arch9wavefront6targetE1EEEvSS_.uses_vcc, 0
	.set _ZN7rocprim17ROCPRIM_400000_NS6detail17trampoline_kernelINS0_14default_configENS1_27lower_bound_config_selectorIdlEEZNS1_14transform_implILb0ES3_S5_N6thrust23THRUST_200600_302600_NS6detail15normal_iteratorINS8_7pointerIdNS8_11hip_rocprim5par_tENS8_11use_defaultESE_EEEENSA_INSB_IlSD_SE_SE_EEEEZNS1_13binary_searchIS3_S5_PdSG_SI_NS1_21lower_bound_search_opENS9_16wrapped_functionI11custom_lessbEEEE10hipError_tPvRmT1_T2_T3_mmT4_T5_P12ihipStream_tbEUlRKdE_EESP_ST_SU_mSV_SY_bEUlT_E_NS1_11comp_targetILNS1_3genE10ELNS1_11target_archE1200ELNS1_3gpuE4ELNS1_3repE0EEENS1_30default_config_static_selectorELNS0_4arch9wavefront6targetE1EEEvSS_.uses_flat_scratch, 0
	.set _ZN7rocprim17ROCPRIM_400000_NS6detail17trampoline_kernelINS0_14default_configENS1_27lower_bound_config_selectorIdlEEZNS1_14transform_implILb0ES3_S5_N6thrust23THRUST_200600_302600_NS6detail15normal_iteratorINS8_7pointerIdNS8_11hip_rocprim5par_tENS8_11use_defaultESE_EEEENSA_INSB_IlSD_SE_SE_EEEEZNS1_13binary_searchIS3_S5_PdSG_SI_NS1_21lower_bound_search_opENS9_16wrapped_functionI11custom_lessbEEEE10hipError_tPvRmT1_T2_T3_mmT4_T5_P12ihipStream_tbEUlRKdE_EESP_ST_SU_mSV_SY_bEUlT_E_NS1_11comp_targetILNS1_3genE10ELNS1_11target_archE1200ELNS1_3gpuE4ELNS1_3repE0EEENS1_30default_config_static_selectorELNS0_4arch9wavefront6targetE1EEEvSS_.has_dyn_sized_stack, 0
	.set _ZN7rocprim17ROCPRIM_400000_NS6detail17trampoline_kernelINS0_14default_configENS1_27lower_bound_config_selectorIdlEEZNS1_14transform_implILb0ES3_S5_N6thrust23THRUST_200600_302600_NS6detail15normal_iteratorINS8_7pointerIdNS8_11hip_rocprim5par_tENS8_11use_defaultESE_EEEENSA_INSB_IlSD_SE_SE_EEEEZNS1_13binary_searchIS3_S5_PdSG_SI_NS1_21lower_bound_search_opENS9_16wrapped_functionI11custom_lessbEEEE10hipError_tPvRmT1_T2_T3_mmT4_T5_P12ihipStream_tbEUlRKdE_EESP_ST_SU_mSV_SY_bEUlT_E_NS1_11comp_targetILNS1_3genE10ELNS1_11target_archE1200ELNS1_3gpuE4ELNS1_3repE0EEENS1_30default_config_static_selectorELNS0_4arch9wavefront6targetE1EEEvSS_.has_recursion, 0
	.set _ZN7rocprim17ROCPRIM_400000_NS6detail17trampoline_kernelINS0_14default_configENS1_27lower_bound_config_selectorIdlEEZNS1_14transform_implILb0ES3_S5_N6thrust23THRUST_200600_302600_NS6detail15normal_iteratorINS8_7pointerIdNS8_11hip_rocprim5par_tENS8_11use_defaultESE_EEEENSA_INSB_IlSD_SE_SE_EEEEZNS1_13binary_searchIS3_S5_PdSG_SI_NS1_21lower_bound_search_opENS9_16wrapped_functionI11custom_lessbEEEE10hipError_tPvRmT1_T2_T3_mmT4_T5_P12ihipStream_tbEUlRKdE_EESP_ST_SU_mSV_SY_bEUlT_E_NS1_11comp_targetILNS1_3genE10ELNS1_11target_archE1200ELNS1_3gpuE4ELNS1_3repE0EEENS1_30default_config_static_selectorELNS0_4arch9wavefront6targetE1EEEvSS_.has_indirect_call, 0
	.section	.AMDGPU.csdata,"",@progbits
; Kernel info:
; codeLenInByte = 0
; TotalNumSgprs: 4
; NumVgprs: 0
; ScratchSize: 0
; MemoryBound: 0
; FloatMode: 240
; IeeeMode: 1
; LDSByteSize: 0 bytes/workgroup (compile time only)
; SGPRBlocks: 0
; VGPRBlocks: 0
; NumSGPRsForWavesPerEU: 4
; NumVGPRsForWavesPerEU: 1
; Occupancy: 10
; WaveLimiterHint : 0
; COMPUTE_PGM_RSRC2:SCRATCH_EN: 0
; COMPUTE_PGM_RSRC2:USER_SGPR: 6
; COMPUTE_PGM_RSRC2:TRAP_HANDLER: 0
; COMPUTE_PGM_RSRC2:TGID_X_EN: 1
; COMPUTE_PGM_RSRC2:TGID_Y_EN: 0
; COMPUTE_PGM_RSRC2:TGID_Z_EN: 0
; COMPUTE_PGM_RSRC2:TIDIG_COMP_CNT: 0
	.section	.text._ZN7rocprim17ROCPRIM_400000_NS6detail17trampoline_kernelINS0_14default_configENS1_27lower_bound_config_selectorIdlEEZNS1_14transform_implILb0ES3_S5_N6thrust23THRUST_200600_302600_NS6detail15normal_iteratorINS8_7pointerIdNS8_11hip_rocprim5par_tENS8_11use_defaultESE_EEEENSA_INSB_IlSD_SE_SE_EEEEZNS1_13binary_searchIS3_S5_PdSG_SI_NS1_21lower_bound_search_opENS9_16wrapped_functionI11custom_lessbEEEE10hipError_tPvRmT1_T2_T3_mmT4_T5_P12ihipStream_tbEUlRKdE_EESP_ST_SU_mSV_SY_bEUlT_E_NS1_11comp_targetILNS1_3genE9ELNS1_11target_archE1100ELNS1_3gpuE3ELNS1_3repE0EEENS1_30default_config_static_selectorELNS0_4arch9wavefront6targetE1EEEvSS_,"axG",@progbits,_ZN7rocprim17ROCPRIM_400000_NS6detail17trampoline_kernelINS0_14default_configENS1_27lower_bound_config_selectorIdlEEZNS1_14transform_implILb0ES3_S5_N6thrust23THRUST_200600_302600_NS6detail15normal_iteratorINS8_7pointerIdNS8_11hip_rocprim5par_tENS8_11use_defaultESE_EEEENSA_INSB_IlSD_SE_SE_EEEEZNS1_13binary_searchIS3_S5_PdSG_SI_NS1_21lower_bound_search_opENS9_16wrapped_functionI11custom_lessbEEEE10hipError_tPvRmT1_T2_T3_mmT4_T5_P12ihipStream_tbEUlRKdE_EESP_ST_SU_mSV_SY_bEUlT_E_NS1_11comp_targetILNS1_3genE9ELNS1_11target_archE1100ELNS1_3gpuE3ELNS1_3repE0EEENS1_30default_config_static_selectorELNS0_4arch9wavefront6targetE1EEEvSS_,comdat
	.protected	_ZN7rocprim17ROCPRIM_400000_NS6detail17trampoline_kernelINS0_14default_configENS1_27lower_bound_config_selectorIdlEEZNS1_14transform_implILb0ES3_S5_N6thrust23THRUST_200600_302600_NS6detail15normal_iteratorINS8_7pointerIdNS8_11hip_rocprim5par_tENS8_11use_defaultESE_EEEENSA_INSB_IlSD_SE_SE_EEEEZNS1_13binary_searchIS3_S5_PdSG_SI_NS1_21lower_bound_search_opENS9_16wrapped_functionI11custom_lessbEEEE10hipError_tPvRmT1_T2_T3_mmT4_T5_P12ihipStream_tbEUlRKdE_EESP_ST_SU_mSV_SY_bEUlT_E_NS1_11comp_targetILNS1_3genE9ELNS1_11target_archE1100ELNS1_3gpuE3ELNS1_3repE0EEENS1_30default_config_static_selectorELNS0_4arch9wavefront6targetE1EEEvSS_ ; -- Begin function _ZN7rocprim17ROCPRIM_400000_NS6detail17trampoline_kernelINS0_14default_configENS1_27lower_bound_config_selectorIdlEEZNS1_14transform_implILb0ES3_S5_N6thrust23THRUST_200600_302600_NS6detail15normal_iteratorINS8_7pointerIdNS8_11hip_rocprim5par_tENS8_11use_defaultESE_EEEENSA_INSB_IlSD_SE_SE_EEEEZNS1_13binary_searchIS3_S5_PdSG_SI_NS1_21lower_bound_search_opENS9_16wrapped_functionI11custom_lessbEEEE10hipError_tPvRmT1_T2_T3_mmT4_T5_P12ihipStream_tbEUlRKdE_EESP_ST_SU_mSV_SY_bEUlT_E_NS1_11comp_targetILNS1_3genE9ELNS1_11target_archE1100ELNS1_3gpuE3ELNS1_3repE0EEENS1_30default_config_static_selectorELNS0_4arch9wavefront6targetE1EEEvSS_
	.globl	_ZN7rocprim17ROCPRIM_400000_NS6detail17trampoline_kernelINS0_14default_configENS1_27lower_bound_config_selectorIdlEEZNS1_14transform_implILb0ES3_S5_N6thrust23THRUST_200600_302600_NS6detail15normal_iteratorINS8_7pointerIdNS8_11hip_rocprim5par_tENS8_11use_defaultESE_EEEENSA_INSB_IlSD_SE_SE_EEEEZNS1_13binary_searchIS3_S5_PdSG_SI_NS1_21lower_bound_search_opENS9_16wrapped_functionI11custom_lessbEEEE10hipError_tPvRmT1_T2_T3_mmT4_T5_P12ihipStream_tbEUlRKdE_EESP_ST_SU_mSV_SY_bEUlT_E_NS1_11comp_targetILNS1_3genE9ELNS1_11target_archE1100ELNS1_3gpuE3ELNS1_3repE0EEENS1_30default_config_static_selectorELNS0_4arch9wavefront6targetE1EEEvSS_
	.p2align	8
	.type	_ZN7rocprim17ROCPRIM_400000_NS6detail17trampoline_kernelINS0_14default_configENS1_27lower_bound_config_selectorIdlEEZNS1_14transform_implILb0ES3_S5_N6thrust23THRUST_200600_302600_NS6detail15normal_iteratorINS8_7pointerIdNS8_11hip_rocprim5par_tENS8_11use_defaultESE_EEEENSA_INSB_IlSD_SE_SE_EEEEZNS1_13binary_searchIS3_S5_PdSG_SI_NS1_21lower_bound_search_opENS9_16wrapped_functionI11custom_lessbEEEE10hipError_tPvRmT1_T2_T3_mmT4_T5_P12ihipStream_tbEUlRKdE_EESP_ST_SU_mSV_SY_bEUlT_E_NS1_11comp_targetILNS1_3genE9ELNS1_11target_archE1100ELNS1_3gpuE3ELNS1_3repE0EEENS1_30default_config_static_selectorELNS0_4arch9wavefront6targetE1EEEvSS_,@function
_ZN7rocprim17ROCPRIM_400000_NS6detail17trampoline_kernelINS0_14default_configENS1_27lower_bound_config_selectorIdlEEZNS1_14transform_implILb0ES3_S5_N6thrust23THRUST_200600_302600_NS6detail15normal_iteratorINS8_7pointerIdNS8_11hip_rocprim5par_tENS8_11use_defaultESE_EEEENSA_INSB_IlSD_SE_SE_EEEEZNS1_13binary_searchIS3_S5_PdSG_SI_NS1_21lower_bound_search_opENS9_16wrapped_functionI11custom_lessbEEEE10hipError_tPvRmT1_T2_T3_mmT4_T5_P12ihipStream_tbEUlRKdE_EESP_ST_SU_mSV_SY_bEUlT_E_NS1_11comp_targetILNS1_3genE9ELNS1_11target_archE1100ELNS1_3gpuE3ELNS1_3repE0EEENS1_30default_config_static_selectorELNS0_4arch9wavefront6targetE1EEEvSS_: ; @_ZN7rocprim17ROCPRIM_400000_NS6detail17trampoline_kernelINS0_14default_configENS1_27lower_bound_config_selectorIdlEEZNS1_14transform_implILb0ES3_S5_N6thrust23THRUST_200600_302600_NS6detail15normal_iteratorINS8_7pointerIdNS8_11hip_rocprim5par_tENS8_11use_defaultESE_EEEENSA_INSB_IlSD_SE_SE_EEEEZNS1_13binary_searchIS3_S5_PdSG_SI_NS1_21lower_bound_search_opENS9_16wrapped_functionI11custom_lessbEEEE10hipError_tPvRmT1_T2_T3_mmT4_T5_P12ihipStream_tbEUlRKdE_EESP_ST_SU_mSV_SY_bEUlT_E_NS1_11comp_targetILNS1_3genE9ELNS1_11target_archE1100ELNS1_3gpuE3ELNS1_3repE0EEENS1_30default_config_static_selectorELNS0_4arch9wavefront6targetE1EEEvSS_
; %bb.0:
	.section	.rodata,"a",@progbits
	.p2align	6, 0x0
	.amdhsa_kernel _ZN7rocprim17ROCPRIM_400000_NS6detail17trampoline_kernelINS0_14default_configENS1_27lower_bound_config_selectorIdlEEZNS1_14transform_implILb0ES3_S5_N6thrust23THRUST_200600_302600_NS6detail15normal_iteratorINS8_7pointerIdNS8_11hip_rocprim5par_tENS8_11use_defaultESE_EEEENSA_INSB_IlSD_SE_SE_EEEEZNS1_13binary_searchIS3_S5_PdSG_SI_NS1_21lower_bound_search_opENS9_16wrapped_functionI11custom_lessbEEEE10hipError_tPvRmT1_T2_T3_mmT4_T5_P12ihipStream_tbEUlRKdE_EESP_ST_SU_mSV_SY_bEUlT_E_NS1_11comp_targetILNS1_3genE9ELNS1_11target_archE1100ELNS1_3gpuE3ELNS1_3repE0EEENS1_30default_config_static_selectorELNS0_4arch9wavefront6targetE1EEEvSS_
		.amdhsa_group_segment_fixed_size 0
		.amdhsa_private_segment_fixed_size 0
		.amdhsa_kernarg_size 56
		.amdhsa_user_sgpr_count 6
		.amdhsa_user_sgpr_private_segment_buffer 1
		.amdhsa_user_sgpr_dispatch_ptr 0
		.amdhsa_user_sgpr_queue_ptr 0
		.amdhsa_user_sgpr_kernarg_segment_ptr 1
		.amdhsa_user_sgpr_dispatch_id 0
		.amdhsa_user_sgpr_flat_scratch_init 0
		.amdhsa_user_sgpr_private_segment_size 0
		.amdhsa_uses_dynamic_stack 0
		.amdhsa_system_sgpr_private_segment_wavefront_offset 0
		.amdhsa_system_sgpr_workgroup_id_x 1
		.amdhsa_system_sgpr_workgroup_id_y 0
		.amdhsa_system_sgpr_workgroup_id_z 0
		.amdhsa_system_sgpr_workgroup_info 0
		.amdhsa_system_vgpr_workitem_id 0
		.amdhsa_next_free_vgpr 1
		.amdhsa_next_free_sgpr 0
		.amdhsa_reserve_vcc 0
		.amdhsa_reserve_flat_scratch 0
		.amdhsa_float_round_mode_32 0
		.amdhsa_float_round_mode_16_64 0
		.amdhsa_float_denorm_mode_32 3
		.amdhsa_float_denorm_mode_16_64 3
		.amdhsa_dx10_clamp 1
		.amdhsa_ieee_mode 1
		.amdhsa_fp16_overflow 0
		.amdhsa_exception_fp_ieee_invalid_op 0
		.amdhsa_exception_fp_denorm_src 0
		.amdhsa_exception_fp_ieee_div_zero 0
		.amdhsa_exception_fp_ieee_overflow 0
		.amdhsa_exception_fp_ieee_underflow 0
		.amdhsa_exception_fp_ieee_inexact 0
		.amdhsa_exception_int_div_zero 0
	.end_amdhsa_kernel
	.section	.text._ZN7rocprim17ROCPRIM_400000_NS6detail17trampoline_kernelINS0_14default_configENS1_27lower_bound_config_selectorIdlEEZNS1_14transform_implILb0ES3_S5_N6thrust23THRUST_200600_302600_NS6detail15normal_iteratorINS8_7pointerIdNS8_11hip_rocprim5par_tENS8_11use_defaultESE_EEEENSA_INSB_IlSD_SE_SE_EEEEZNS1_13binary_searchIS3_S5_PdSG_SI_NS1_21lower_bound_search_opENS9_16wrapped_functionI11custom_lessbEEEE10hipError_tPvRmT1_T2_T3_mmT4_T5_P12ihipStream_tbEUlRKdE_EESP_ST_SU_mSV_SY_bEUlT_E_NS1_11comp_targetILNS1_3genE9ELNS1_11target_archE1100ELNS1_3gpuE3ELNS1_3repE0EEENS1_30default_config_static_selectorELNS0_4arch9wavefront6targetE1EEEvSS_,"axG",@progbits,_ZN7rocprim17ROCPRIM_400000_NS6detail17trampoline_kernelINS0_14default_configENS1_27lower_bound_config_selectorIdlEEZNS1_14transform_implILb0ES3_S5_N6thrust23THRUST_200600_302600_NS6detail15normal_iteratorINS8_7pointerIdNS8_11hip_rocprim5par_tENS8_11use_defaultESE_EEEENSA_INSB_IlSD_SE_SE_EEEEZNS1_13binary_searchIS3_S5_PdSG_SI_NS1_21lower_bound_search_opENS9_16wrapped_functionI11custom_lessbEEEE10hipError_tPvRmT1_T2_T3_mmT4_T5_P12ihipStream_tbEUlRKdE_EESP_ST_SU_mSV_SY_bEUlT_E_NS1_11comp_targetILNS1_3genE9ELNS1_11target_archE1100ELNS1_3gpuE3ELNS1_3repE0EEENS1_30default_config_static_selectorELNS0_4arch9wavefront6targetE1EEEvSS_,comdat
.Lfunc_end11:
	.size	_ZN7rocprim17ROCPRIM_400000_NS6detail17trampoline_kernelINS0_14default_configENS1_27lower_bound_config_selectorIdlEEZNS1_14transform_implILb0ES3_S5_N6thrust23THRUST_200600_302600_NS6detail15normal_iteratorINS8_7pointerIdNS8_11hip_rocprim5par_tENS8_11use_defaultESE_EEEENSA_INSB_IlSD_SE_SE_EEEEZNS1_13binary_searchIS3_S5_PdSG_SI_NS1_21lower_bound_search_opENS9_16wrapped_functionI11custom_lessbEEEE10hipError_tPvRmT1_T2_T3_mmT4_T5_P12ihipStream_tbEUlRKdE_EESP_ST_SU_mSV_SY_bEUlT_E_NS1_11comp_targetILNS1_3genE9ELNS1_11target_archE1100ELNS1_3gpuE3ELNS1_3repE0EEENS1_30default_config_static_selectorELNS0_4arch9wavefront6targetE1EEEvSS_, .Lfunc_end11-_ZN7rocprim17ROCPRIM_400000_NS6detail17trampoline_kernelINS0_14default_configENS1_27lower_bound_config_selectorIdlEEZNS1_14transform_implILb0ES3_S5_N6thrust23THRUST_200600_302600_NS6detail15normal_iteratorINS8_7pointerIdNS8_11hip_rocprim5par_tENS8_11use_defaultESE_EEEENSA_INSB_IlSD_SE_SE_EEEEZNS1_13binary_searchIS3_S5_PdSG_SI_NS1_21lower_bound_search_opENS9_16wrapped_functionI11custom_lessbEEEE10hipError_tPvRmT1_T2_T3_mmT4_T5_P12ihipStream_tbEUlRKdE_EESP_ST_SU_mSV_SY_bEUlT_E_NS1_11comp_targetILNS1_3genE9ELNS1_11target_archE1100ELNS1_3gpuE3ELNS1_3repE0EEENS1_30default_config_static_selectorELNS0_4arch9wavefront6targetE1EEEvSS_
                                        ; -- End function
	.set _ZN7rocprim17ROCPRIM_400000_NS6detail17trampoline_kernelINS0_14default_configENS1_27lower_bound_config_selectorIdlEEZNS1_14transform_implILb0ES3_S5_N6thrust23THRUST_200600_302600_NS6detail15normal_iteratorINS8_7pointerIdNS8_11hip_rocprim5par_tENS8_11use_defaultESE_EEEENSA_INSB_IlSD_SE_SE_EEEEZNS1_13binary_searchIS3_S5_PdSG_SI_NS1_21lower_bound_search_opENS9_16wrapped_functionI11custom_lessbEEEE10hipError_tPvRmT1_T2_T3_mmT4_T5_P12ihipStream_tbEUlRKdE_EESP_ST_SU_mSV_SY_bEUlT_E_NS1_11comp_targetILNS1_3genE9ELNS1_11target_archE1100ELNS1_3gpuE3ELNS1_3repE0EEENS1_30default_config_static_selectorELNS0_4arch9wavefront6targetE1EEEvSS_.num_vgpr, 0
	.set _ZN7rocprim17ROCPRIM_400000_NS6detail17trampoline_kernelINS0_14default_configENS1_27lower_bound_config_selectorIdlEEZNS1_14transform_implILb0ES3_S5_N6thrust23THRUST_200600_302600_NS6detail15normal_iteratorINS8_7pointerIdNS8_11hip_rocprim5par_tENS8_11use_defaultESE_EEEENSA_INSB_IlSD_SE_SE_EEEEZNS1_13binary_searchIS3_S5_PdSG_SI_NS1_21lower_bound_search_opENS9_16wrapped_functionI11custom_lessbEEEE10hipError_tPvRmT1_T2_T3_mmT4_T5_P12ihipStream_tbEUlRKdE_EESP_ST_SU_mSV_SY_bEUlT_E_NS1_11comp_targetILNS1_3genE9ELNS1_11target_archE1100ELNS1_3gpuE3ELNS1_3repE0EEENS1_30default_config_static_selectorELNS0_4arch9wavefront6targetE1EEEvSS_.num_agpr, 0
	.set _ZN7rocprim17ROCPRIM_400000_NS6detail17trampoline_kernelINS0_14default_configENS1_27lower_bound_config_selectorIdlEEZNS1_14transform_implILb0ES3_S5_N6thrust23THRUST_200600_302600_NS6detail15normal_iteratorINS8_7pointerIdNS8_11hip_rocprim5par_tENS8_11use_defaultESE_EEEENSA_INSB_IlSD_SE_SE_EEEEZNS1_13binary_searchIS3_S5_PdSG_SI_NS1_21lower_bound_search_opENS9_16wrapped_functionI11custom_lessbEEEE10hipError_tPvRmT1_T2_T3_mmT4_T5_P12ihipStream_tbEUlRKdE_EESP_ST_SU_mSV_SY_bEUlT_E_NS1_11comp_targetILNS1_3genE9ELNS1_11target_archE1100ELNS1_3gpuE3ELNS1_3repE0EEENS1_30default_config_static_selectorELNS0_4arch9wavefront6targetE1EEEvSS_.numbered_sgpr, 0
	.set _ZN7rocprim17ROCPRIM_400000_NS6detail17trampoline_kernelINS0_14default_configENS1_27lower_bound_config_selectorIdlEEZNS1_14transform_implILb0ES3_S5_N6thrust23THRUST_200600_302600_NS6detail15normal_iteratorINS8_7pointerIdNS8_11hip_rocprim5par_tENS8_11use_defaultESE_EEEENSA_INSB_IlSD_SE_SE_EEEEZNS1_13binary_searchIS3_S5_PdSG_SI_NS1_21lower_bound_search_opENS9_16wrapped_functionI11custom_lessbEEEE10hipError_tPvRmT1_T2_T3_mmT4_T5_P12ihipStream_tbEUlRKdE_EESP_ST_SU_mSV_SY_bEUlT_E_NS1_11comp_targetILNS1_3genE9ELNS1_11target_archE1100ELNS1_3gpuE3ELNS1_3repE0EEENS1_30default_config_static_selectorELNS0_4arch9wavefront6targetE1EEEvSS_.num_named_barrier, 0
	.set _ZN7rocprim17ROCPRIM_400000_NS6detail17trampoline_kernelINS0_14default_configENS1_27lower_bound_config_selectorIdlEEZNS1_14transform_implILb0ES3_S5_N6thrust23THRUST_200600_302600_NS6detail15normal_iteratorINS8_7pointerIdNS8_11hip_rocprim5par_tENS8_11use_defaultESE_EEEENSA_INSB_IlSD_SE_SE_EEEEZNS1_13binary_searchIS3_S5_PdSG_SI_NS1_21lower_bound_search_opENS9_16wrapped_functionI11custom_lessbEEEE10hipError_tPvRmT1_T2_T3_mmT4_T5_P12ihipStream_tbEUlRKdE_EESP_ST_SU_mSV_SY_bEUlT_E_NS1_11comp_targetILNS1_3genE9ELNS1_11target_archE1100ELNS1_3gpuE3ELNS1_3repE0EEENS1_30default_config_static_selectorELNS0_4arch9wavefront6targetE1EEEvSS_.private_seg_size, 0
	.set _ZN7rocprim17ROCPRIM_400000_NS6detail17trampoline_kernelINS0_14default_configENS1_27lower_bound_config_selectorIdlEEZNS1_14transform_implILb0ES3_S5_N6thrust23THRUST_200600_302600_NS6detail15normal_iteratorINS8_7pointerIdNS8_11hip_rocprim5par_tENS8_11use_defaultESE_EEEENSA_INSB_IlSD_SE_SE_EEEEZNS1_13binary_searchIS3_S5_PdSG_SI_NS1_21lower_bound_search_opENS9_16wrapped_functionI11custom_lessbEEEE10hipError_tPvRmT1_T2_T3_mmT4_T5_P12ihipStream_tbEUlRKdE_EESP_ST_SU_mSV_SY_bEUlT_E_NS1_11comp_targetILNS1_3genE9ELNS1_11target_archE1100ELNS1_3gpuE3ELNS1_3repE0EEENS1_30default_config_static_selectorELNS0_4arch9wavefront6targetE1EEEvSS_.uses_vcc, 0
	.set _ZN7rocprim17ROCPRIM_400000_NS6detail17trampoline_kernelINS0_14default_configENS1_27lower_bound_config_selectorIdlEEZNS1_14transform_implILb0ES3_S5_N6thrust23THRUST_200600_302600_NS6detail15normal_iteratorINS8_7pointerIdNS8_11hip_rocprim5par_tENS8_11use_defaultESE_EEEENSA_INSB_IlSD_SE_SE_EEEEZNS1_13binary_searchIS3_S5_PdSG_SI_NS1_21lower_bound_search_opENS9_16wrapped_functionI11custom_lessbEEEE10hipError_tPvRmT1_T2_T3_mmT4_T5_P12ihipStream_tbEUlRKdE_EESP_ST_SU_mSV_SY_bEUlT_E_NS1_11comp_targetILNS1_3genE9ELNS1_11target_archE1100ELNS1_3gpuE3ELNS1_3repE0EEENS1_30default_config_static_selectorELNS0_4arch9wavefront6targetE1EEEvSS_.uses_flat_scratch, 0
	.set _ZN7rocprim17ROCPRIM_400000_NS6detail17trampoline_kernelINS0_14default_configENS1_27lower_bound_config_selectorIdlEEZNS1_14transform_implILb0ES3_S5_N6thrust23THRUST_200600_302600_NS6detail15normal_iteratorINS8_7pointerIdNS8_11hip_rocprim5par_tENS8_11use_defaultESE_EEEENSA_INSB_IlSD_SE_SE_EEEEZNS1_13binary_searchIS3_S5_PdSG_SI_NS1_21lower_bound_search_opENS9_16wrapped_functionI11custom_lessbEEEE10hipError_tPvRmT1_T2_T3_mmT4_T5_P12ihipStream_tbEUlRKdE_EESP_ST_SU_mSV_SY_bEUlT_E_NS1_11comp_targetILNS1_3genE9ELNS1_11target_archE1100ELNS1_3gpuE3ELNS1_3repE0EEENS1_30default_config_static_selectorELNS0_4arch9wavefront6targetE1EEEvSS_.has_dyn_sized_stack, 0
	.set _ZN7rocprim17ROCPRIM_400000_NS6detail17trampoline_kernelINS0_14default_configENS1_27lower_bound_config_selectorIdlEEZNS1_14transform_implILb0ES3_S5_N6thrust23THRUST_200600_302600_NS6detail15normal_iteratorINS8_7pointerIdNS8_11hip_rocprim5par_tENS8_11use_defaultESE_EEEENSA_INSB_IlSD_SE_SE_EEEEZNS1_13binary_searchIS3_S5_PdSG_SI_NS1_21lower_bound_search_opENS9_16wrapped_functionI11custom_lessbEEEE10hipError_tPvRmT1_T2_T3_mmT4_T5_P12ihipStream_tbEUlRKdE_EESP_ST_SU_mSV_SY_bEUlT_E_NS1_11comp_targetILNS1_3genE9ELNS1_11target_archE1100ELNS1_3gpuE3ELNS1_3repE0EEENS1_30default_config_static_selectorELNS0_4arch9wavefront6targetE1EEEvSS_.has_recursion, 0
	.set _ZN7rocprim17ROCPRIM_400000_NS6detail17trampoline_kernelINS0_14default_configENS1_27lower_bound_config_selectorIdlEEZNS1_14transform_implILb0ES3_S5_N6thrust23THRUST_200600_302600_NS6detail15normal_iteratorINS8_7pointerIdNS8_11hip_rocprim5par_tENS8_11use_defaultESE_EEEENSA_INSB_IlSD_SE_SE_EEEEZNS1_13binary_searchIS3_S5_PdSG_SI_NS1_21lower_bound_search_opENS9_16wrapped_functionI11custom_lessbEEEE10hipError_tPvRmT1_T2_T3_mmT4_T5_P12ihipStream_tbEUlRKdE_EESP_ST_SU_mSV_SY_bEUlT_E_NS1_11comp_targetILNS1_3genE9ELNS1_11target_archE1100ELNS1_3gpuE3ELNS1_3repE0EEENS1_30default_config_static_selectorELNS0_4arch9wavefront6targetE1EEEvSS_.has_indirect_call, 0
	.section	.AMDGPU.csdata,"",@progbits
; Kernel info:
; codeLenInByte = 0
; TotalNumSgprs: 4
; NumVgprs: 0
; ScratchSize: 0
; MemoryBound: 0
; FloatMode: 240
; IeeeMode: 1
; LDSByteSize: 0 bytes/workgroup (compile time only)
; SGPRBlocks: 0
; VGPRBlocks: 0
; NumSGPRsForWavesPerEU: 4
; NumVGPRsForWavesPerEU: 1
; Occupancy: 10
; WaveLimiterHint : 0
; COMPUTE_PGM_RSRC2:SCRATCH_EN: 0
; COMPUTE_PGM_RSRC2:USER_SGPR: 6
; COMPUTE_PGM_RSRC2:TRAP_HANDLER: 0
; COMPUTE_PGM_RSRC2:TGID_X_EN: 1
; COMPUTE_PGM_RSRC2:TGID_Y_EN: 0
; COMPUTE_PGM_RSRC2:TGID_Z_EN: 0
; COMPUTE_PGM_RSRC2:TIDIG_COMP_CNT: 0
	.section	.text._ZN7rocprim17ROCPRIM_400000_NS6detail17trampoline_kernelINS0_14default_configENS1_27lower_bound_config_selectorIdlEEZNS1_14transform_implILb0ES3_S5_N6thrust23THRUST_200600_302600_NS6detail15normal_iteratorINS8_7pointerIdNS8_11hip_rocprim5par_tENS8_11use_defaultESE_EEEENSA_INSB_IlSD_SE_SE_EEEEZNS1_13binary_searchIS3_S5_PdSG_SI_NS1_21lower_bound_search_opENS9_16wrapped_functionI11custom_lessbEEEE10hipError_tPvRmT1_T2_T3_mmT4_T5_P12ihipStream_tbEUlRKdE_EESP_ST_SU_mSV_SY_bEUlT_E_NS1_11comp_targetILNS1_3genE8ELNS1_11target_archE1030ELNS1_3gpuE2ELNS1_3repE0EEENS1_30default_config_static_selectorELNS0_4arch9wavefront6targetE1EEEvSS_,"axG",@progbits,_ZN7rocprim17ROCPRIM_400000_NS6detail17trampoline_kernelINS0_14default_configENS1_27lower_bound_config_selectorIdlEEZNS1_14transform_implILb0ES3_S5_N6thrust23THRUST_200600_302600_NS6detail15normal_iteratorINS8_7pointerIdNS8_11hip_rocprim5par_tENS8_11use_defaultESE_EEEENSA_INSB_IlSD_SE_SE_EEEEZNS1_13binary_searchIS3_S5_PdSG_SI_NS1_21lower_bound_search_opENS9_16wrapped_functionI11custom_lessbEEEE10hipError_tPvRmT1_T2_T3_mmT4_T5_P12ihipStream_tbEUlRKdE_EESP_ST_SU_mSV_SY_bEUlT_E_NS1_11comp_targetILNS1_3genE8ELNS1_11target_archE1030ELNS1_3gpuE2ELNS1_3repE0EEENS1_30default_config_static_selectorELNS0_4arch9wavefront6targetE1EEEvSS_,comdat
	.protected	_ZN7rocprim17ROCPRIM_400000_NS6detail17trampoline_kernelINS0_14default_configENS1_27lower_bound_config_selectorIdlEEZNS1_14transform_implILb0ES3_S5_N6thrust23THRUST_200600_302600_NS6detail15normal_iteratorINS8_7pointerIdNS8_11hip_rocprim5par_tENS8_11use_defaultESE_EEEENSA_INSB_IlSD_SE_SE_EEEEZNS1_13binary_searchIS3_S5_PdSG_SI_NS1_21lower_bound_search_opENS9_16wrapped_functionI11custom_lessbEEEE10hipError_tPvRmT1_T2_T3_mmT4_T5_P12ihipStream_tbEUlRKdE_EESP_ST_SU_mSV_SY_bEUlT_E_NS1_11comp_targetILNS1_3genE8ELNS1_11target_archE1030ELNS1_3gpuE2ELNS1_3repE0EEENS1_30default_config_static_selectorELNS0_4arch9wavefront6targetE1EEEvSS_ ; -- Begin function _ZN7rocprim17ROCPRIM_400000_NS6detail17trampoline_kernelINS0_14default_configENS1_27lower_bound_config_selectorIdlEEZNS1_14transform_implILb0ES3_S5_N6thrust23THRUST_200600_302600_NS6detail15normal_iteratorINS8_7pointerIdNS8_11hip_rocprim5par_tENS8_11use_defaultESE_EEEENSA_INSB_IlSD_SE_SE_EEEEZNS1_13binary_searchIS3_S5_PdSG_SI_NS1_21lower_bound_search_opENS9_16wrapped_functionI11custom_lessbEEEE10hipError_tPvRmT1_T2_T3_mmT4_T5_P12ihipStream_tbEUlRKdE_EESP_ST_SU_mSV_SY_bEUlT_E_NS1_11comp_targetILNS1_3genE8ELNS1_11target_archE1030ELNS1_3gpuE2ELNS1_3repE0EEENS1_30default_config_static_selectorELNS0_4arch9wavefront6targetE1EEEvSS_
	.globl	_ZN7rocprim17ROCPRIM_400000_NS6detail17trampoline_kernelINS0_14default_configENS1_27lower_bound_config_selectorIdlEEZNS1_14transform_implILb0ES3_S5_N6thrust23THRUST_200600_302600_NS6detail15normal_iteratorINS8_7pointerIdNS8_11hip_rocprim5par_tENS8_11use_defaultESE_EEEENSA_INSB_IlSD_SE_SE_EEEEZNS1_13binary_searchIS3_S5_PdSG_SI_NS1_21lower_bound_search_opENS9_16wrapped_functionI11custom_lessbEEEE10hipError_tPvRmT1_T2_T3_mmT4_T5_P12ihipStream_tbEUlRKdE_EESP_ST_SU_mSV_SY_bEUlT_E_NS1_11comp_targetILNS1_3genE8ELNS1_11target_archE1030ELNS1_3gpuE2ELNS1_3repE0EEENS1_30default_config_static_selectorELNS0_4arch9wavefront6targetE1EEEvSS_
	.p2align	8
	.type	_ZN7rocprim17ROCPRIM_400000_NS6detail17trampoline_kernelINS0_14default_configENS1_27lower_bound_config_selectorIdlEEZNS1_14transform_implILb0ES3_S5_N6thrust23THRUST_200600_302600_NS6detail15normal_iteratorINS8_7pointerIdNS8_11hip_rocprim5par_tENS8_11use_defaultESE_EEEENSA_INSB_IlSD_SE_SE_EEEEZNS1_13binary_searchIS3_S5_PdSG_SI_NS1_21lower_bound_search_opENS9_16wrapped_functionI11custom_lessbEEEE10hipError_tPvRmT1_T2_T3_mmT4_T5_P12ihipStream_tbEUlRKdE_EESP_ST_SU_mSV_SY_bEUlT_E_NS1_11comp_targetILNS1_3genE8ELNS1_11target_archE1030ELNS1_3gpuE2ELNS1_3repE0EEENS1_30default_config_static_selectorELNS0_4arch9wavefront6targetE1EEEvSS_,@function
_ZN7rocprim17ROCPRIM_400000_NS6detail17trampoline_kernelINS0_14default_configENS1_27lower_bound_config_selectorIdlEEZNS1_14transform_implILb0ES3_S5_N6thrust23THRUST_200600_302600_NS6detail15normal_iteratorINS8_7pointerIdNS8_11hip_rocprim5par_tENS8_11use_defaultESE_EEEENSA_INSB_IlSD_SE_SE_EEEEZNS1_13binary_searchIS3_S5_PdSG_SI_NS1_21lower_bound_search_opENS9_16wrapped_functionI11custom_lessbEEEE10hipError_tPvRmT1_T2_T3_mmT4_T5_P12ihipStream_tbEUlRKdE_EESP_ST_SU_mSV_SY_bEUlT_E_NS1_11comp_targetILNS1_3genE8ELNS1_11target_archE1030ELNS1_3gpuE2ELNS1_3repE0EEENS1_30default_config_static_selectorELNS0_4arch9wavefront6targetE1EEEvSS_: ; @_ZN7rocprim17ROCPRIM_400000_NS6detail17trampoline_kernelINS0_14default_configENS1_27lower_bound_config_selectorIdlEEZNS1_14transform_implILb0ES3_S5_N6thrust23THRUST_200600_302600_NS6detail15normal_iteratorINS8_7pointerIdNS8_11hip_rocprim5par_tENS8_11use_defaultESE_EEEENSA_INSB_IlSD_SE_SE_EEEEZNS1_13binary_searchIS3_S5_PdSG_SI_NS1_21lower_bound_search_opENS9_16wrapped_functionI11custom_lessbEEEE10hipError_tPvRmT1_T2_T3_mmT4_T5_P12ihipStream_tbEUlRKdE_EESP_ST_SU_mSV_SY_bEUlT_E_NS1_11comp_targetILNS1_3genE8ELNS1_11target_archE1030ELNS1_3gpuE2ELNS1_3repE0EEENS1_30default_config_static_selectorELNS0_4arch9wavefront6targetE1EEEvSS_
; %bb.0:
	.section	.rodata,"a",@progbits
	.p2align	6, 0x0
	.amdhsa_kernel _ZN7rocprim17ROCPRIM_400000_NS6detail17trampoline_kernelINS0_14default_configENS1_27lower_bound_config_selectorIdlEEZNS1_14transform_implILb0ES3_S5_N6thrust23THRUST_200600_302600_NS6detail15normal_iteratorINS8_7pointerIdNS8_11hip_rocprim5par_tENS8_11use_defaultESE_EEEENSA_INSB_IlSD_SE_SE_EEEEZNS1_13binary_searchIS3_S5_PdSG_SI_NS1_21lower_bound_search_opENS9_16wrapped_functionI11custom_lessbEEEE10hipError_tPvRmT1_T2_T3_mmT4_T5_P12ihipStream_tbEUlRKdE_EESP_ST_SU_mSV_SY_bEUlT_E_NS1_11comp_targetILNS1_3genE8ELNS1_11target_archE1030ELNS1_3gpuE2ELNS1_3repE0EEENS1_30default_config_static_selectorELNS0_4arch9wavefront6targetE1EEEvSS_
		.amdhsa_group_segment_fixed_size 0
		.amdhsa_private_segment_fixed_size 0
		.amdhsa_kernarg_size 56
		.amdhsa_user_sgpr_count 6
		.amdhsa_user_sgpr_private_segment_buffer 1
		.amdhsa_user_sgpr_dispatch_ptr 0
		.amdhsa_user_sgpr_queue_ptr 0
		.amdhsa_user_sgpr_kernarg_segment_ptr 1
		.amdhsa_user_sgpr_dispatch_id 0
		.amdhsa_user_sgpr_flat_scratch_init 0
		.amdhsa_user_sgpr_private_segment_size 0
		.amdhsa_uses_dynamic_stack 0
		.amdhsa_system_sgpr_private_segment_wavefront_offset 0
		.amdhsa_system_sgpr_workgroup_id_x 1
		.amdhsa_system_sgpr_workgroup_id_y 0
		.amdhsa_system_sgpr_workgroup_id_z 0
		.amdhsa_system_sgpr_workgroup_info 0
		.amdhsa_system_vgpr_workitem_id 0
		.amdhsa_next_free_vgpr 1
		.amdhsa_next_free_sgpr 0
		.amdhsa_reserve_vcc 0
		.amdhsa_reserve_flat_scratch 0
		.amdhsa_float_round_mode_32 0
		.amdhsa_float_round_mode_16_64 0
		.amdhsa_float_denorm_mode_32 3
		.amdhsa_float_denorm_mode_16_64 3
		.amdhsa_dx10_clamp 1
		.amdhsa_ieee_mode 1
		.amdhsa_fp16_overflow 0
		.amdhsa_exception_fp_ieee_invalid_op 0
		.amdhsa_exception_fp_denorm_src 0
		.amdhsa_exception_fp_ieee_div_zero 0
		.amdhsa_exception_fp_ieee_overflow 0
		.amdhsa_exception_fp_ieee_underflow 0
		.amdhsa_exception_fp_ieee_inexact 0
		.amdhsa_exception_int_div_zero 0
	.end_amdhsa_kernel
	.section	.text._ZN7rocprim17ROCPRIM_400000_NS6detail17trampoline_kernelINS0_14default_configENS1_27lower_bound_config_selectorIdlEEZNS1_14transform_implILb0ES3_S5_N6thrust23THRUST_200600_302600_NS6detail15normal_iteratorINS8_7pointerIdNS8_11hip_rocprim5par_tENS8_11use_defaultESE_EEEENSA_INSB_IlSD_SE_SE_EEEEZNS1_13binary_searchIS3_S5_PdSG_SI_NS1_21lower_bound_search_opENS9_16wrapped_functionI11custom_lessbEEEE10hipError_tPvRmT1_T2_T3_mmT4_T5_P12ihipStream_tbEUlRKdE_EESP_ST_SU_mSV_SY_bEUlT_E_NS1_11comp_targetILNS1_3genE8ELNS1_11target_archE1030ELNS1_3gpuE2ELNS1_3repE0EEENS1_30default_config_static_selectorELNS0_4arch9wavefront6targetE1EEEvSS_,"axG",@progbits,_ZN7rocprim17ROCPRIM_400000_NS6detail17trampoline_kernelINS0_14default_configENS1_27lower_bound_config_selectorIdlEEZNS1_14transform_implILb0ES3_S5_N6thrust23THRUST_200600_302600_NS6detail15normal_iteratorINS8_7pointerIdNS8_11hip_rocprim5par_tENS8_11use_defaultESE_EEEENSA_INSB_IlSD_SE_SE_EEEEZNS1_13binary_searchIS3_S5_PdSG_SI_NS1_21lower_bound_search_opENS9_16wrapped_functionI11custom_lessbEEEE10hipError_tPvRmT1_T2_T3_mmT4_T5_P12ihipStream_tbEUlRKdE_EESP_ST_SU_mSV_SY_bEUlT_E_NS1_11comp_targetILNS1_3genE8ELNS1_11target_archE1030ELNS1_3gpuE2ELNS1_3repE0EEENS1_30default_config_static_selectorELNS0_4arch9wavefront6targetE1EEEvSS_,comdat
.Lfunc_end12:
	.size	_ZN7rocprim17ROCPRIM_400000_NS6detail17trampoline_kernelINS0_14default_configENS1_27lower_bound_config_selectorIdlEEZNS1_14transform_implILb0ES3_S5_N6thrust23THRUST_200600_302600_NS6detail15normal_iteratorINS8_7pointerIdNS8_11hip_rocprim5par_tENS8_11use_defaultESE_EEEENSA_INSB_IlSD_SE_SE_EEEEZNS1_13binary_searchIS3_S5_PdSG_SI_NS1_21lower_bound_search_opENS9_16wrapped_functionI11custom_lessbEEEE10hipError_tPvRmT1_T2_T3_mmT4_T5_P12ihipStream_tbEUlRKdE_EESP_ST_SU_mSV_SY_bEUlT_E_NS1_11comp_targetILNS1_3genE8ELNS1_11target_archE1030ELNS1_3gpuE2ELNS1_3repE0EEENS1_30default_config_static_selectorELNS0_4arch9wavefront6targetE1EEEvSS_, .Lfunc_end12-_ZN7rocprim17ROCPRIM_400000_NS6detail17trampoline_kernelINS0_14default_configENS1_27lower_bound_config_selectorIdlEEZNS1_14transform_implILb0ES3_S5_N6thrust23THRUST_200600_302600_NS6detail15normal_iteratorINS8_7pointerIdNS8_11hip_rocprim5par_tENS8_11use_defaultESE_EEEENSA_INSB_IlSD_SE_SE_EEEEZNS1_13binary_searchIS3_S5_PdSG_SI_NS1_21lower_bound_search_opENS9_16wrapped_functionI11custom_lessbEEEE10hipError_tPvRmT1_T2_T3_mmT4_T5_P12ihipStream_tbEUlRKdE_EESP_ST_SU_mSV_SY_bEUlT_E_NS1_11comp_targetILNS1_3genE8ELNS1_11target_archE1030ELNS1_3gpuE2ELNS1_3repE0EEENS1_30default_config_static_selectorELNS0_4arch9wavefront6targetE1EEEvSS_
                                        ; -- End function
	.set _ZN7rocprim17ROCPRIM_400000_NS6detail17trampoline_kernelINS0_14default_configENS1_27lower_bound_config_selectorIdlEEZNS1_14transform_implILb0ES3_S5_N6thrust23THRUST_200600_302600_NS6detail15normal_iteratorINS8_7pointerIdNS8_11hip_rocprim5par_tENS8_11use_defaultESE_EEEENSA_INSB_IlSD_SE_SE_EEEEZNS1_13binary_searchIS3_S5_PdSG_SI_NS1_21lower_bound_search_opENS9_16wrapped_functionI11custom_lessbEEEE10hipError_tPvRmT1_T2_T3_mmT4_T5_P12ihipStream_tbEUlRKdE_EESP_ST_SU_mSV_SY_bEUlT_E_NS1_11comp_targetILNS1_3genE8ELNS1_11target_archE1030ELNS1_3gpuE2ELNS1_3repE0EEENS1_30default_config_static_selectorELNS0_4arch9wavefront6targetE1EEEvSS_.num_vgpr, 0
	.set _ZN7rocprim17ROCPRIM_400000_NS6detail17trampoline_kernelINS0_14default_configENS1_27lower_bound_config_selectorIdlEEZNS1_14transform_implILb0ES3_S5_N6thrust23THRUST_200600_302600_NS6detail15normal_iteratorINS8_7pointerIdNS8_11hip_rocprim5par_tENS8_11use_defaultESE_EEEENSA_INSB_IlSD_SE_SE_EEEEZNS1_13binary_searchIS3_S5_PdSG_SI_NS1_21lower_bound_search_opENS9_16wrapped_functionI11custom_lessbEEEE10hipError_tPvRmT1_T2_T3_mmT4_T5_P12ihipStream_tbEUlRKdE_EESP_ST_SU_mSV_SY_bEUlT_E_NS1_11comp_targetILNS1_3genE8ELNS1_11target_archE1030ELNS1_3gpuE2ELNS1_3repE0EEENS1_30default_config_static_selectorELNS0_4arch9wavefront6targetE1EEEvSS_.num_agpr, 0
	.set _ZN7rocprim17ROCPRIM_400000_NS6detail17trampoline_kernelINS0_14default_configENS1_27lower_bound_config_selectorIdlEEZNS1_14transform_implILb0ES3_S5_N6thrust23THRUST_200600_302600_NS6detail15normal_iteratorINS8_7pointerIdNS8_11hip_rocprim5par_tENS8_11use_defaultESE_EEEENSA_INSB_IlSD_SE_SE_EEEEZNS1_13binary_searchIS3_S5_PdSG_SI_NS1_21lower_bound_search_opENS9_16wrapped_functionI11custom_lessbEEEE10hipError_tPvRmT1_T2_T3_mmT4_T5_P12ihipStream_tbEUlRKdE_EESP_ST_SU_mSV_SY_bEUlT_E_NS1_11comp_targetILNS1_3genE8ELNS1_11target_archE1030ELNS1_3gpuE2ELNS1_3repE0EEENS1_30default_config_static_selectorELNS0_4arch9wavefront6targetE1EEEvSS_.numbered_sgpr, 0
	.set _ZN7rocprim17ROCPRIM_400000_NS6detail17trampoline_kernelINS0_14default_configENS1_27lower_bound_config_selectorIdlEEZNS1_14transform_implILb0ES3_S5_N6thrust23THRUST_200600_302600_NS6detail15normal_iteratorINS8_7pointerIdNS8_11hip_rocprim5par_tENS8_11use_defaultESE_EEEENSA_INSB_IlSD_SE_SE_EEEEZNS1_13binary_searchIS3_S5_PdSG_SI_NS1_21lower_bound_search_opENS9_16wrapped_functionI11custom_lessbEEEE10hipError_tPvRmT1_T2_T3_mmT4_T5_P12ihipStream_tbEUlRKdE_EESP_ST_SU_mSV_SY_bEUlT_E_NS1_11comp_targetILNS1_3genE8ELNS1_11target_archE1030ELNS1_3gpuE2ELNS1_3repE0EEENS1_30default_config_static_selectorELNS0_4arch9wavefront6targetE1EEEvSS_.num_named_barrier, 0
	.set _ZN7rocprim17ROCPRIM_400000_NS6detail17trampoline_kernelINS0_14default_configENS1_27lower_bound_config_selectorIdlEEZNS1_14transform_implILb0ES3_S5_N6thrust23THRUST_200600_302600_NS6detail15normal_iteratorINS8_7pointerIdNS8_11hip_rocprim5par_tENS8_11use_defaultESE_EEEENSA_INSB_IlSD_SE_SE_EEEEZNS1_13binary_searchIS3_S5_PdSG_SI_NS1_21lower_bound_search_opENS9_16wrapped_functionI11custom_lessbEEEE10hipError_tPvRmT1_T2_T3_mmT4_T5_P12ihipStream_tbEUlRKdE_EESP_ST_SU_mSV_SY_bEUlT_E_NS1_11comp_targetILNS1_3genE8ELNS1_11target_archE1030ELNS1_3gpuE2ELNS1_3repE0EEENS1_30default_config_static_selectorELNS0_4arch9wavefront6targetE1EEEvSS_.private_seg_size, 0
	.set _ZN7rocprim17ROCPRIM_400000_NS6detail17trampoline_kernelINS0_14default_configENS1_27lower_bound_config_selectorIdlEEZNS1_14transform_implILb0ES3_S5_N6thrust23THRUST_200600_302600_NS6detail15normal_iteratorINS8_7pointerIdNS8_11hip_rocprim5par_tENS8_11use_defaultESE_EEEENSA_INSB_IlSD_SE_SE_EEEEZNS1_13binary_searchIS3_S5_PdSG_SI_NS1_21lower_bound_search_opENS9_16wrapped_functionI11custom_lessbEEEE10hipError_tPvRmT1_T2_T3_mmT4_T5_P12ihipStream_tbEUlRKdE_EESP_ST_SU_mSV_SY_bEUlT_E_NS1_11comp_targetILNS1_3genE8ELNS1_11target_archE1030ELNS1_3gpuE2ELNS1_3repE0EEENS1_30default_config_static_selectorELNS0_4arch9wavefront6targetE1EEEvSS_.uses_vcc, 0
	.set _ZN7rocprim17ROCPRIM_400000_NS6detail17trampoline_kernelINS0_14default_configENS1_27lower_bound_config_selectorIdlEEZNS1_14transform_implILb0ES3_S5_N6thrust23THRUST_200600_302600_NS6detail15normal_iteratorINS8_7pointerIdNS8_11hip_rocprim5par_tENS8_11use_defaultESE_EEEENSA_INSB_IlSD_SE_SE_EEEEZNS1_13binary_searchIS3_S5_PdSG_SI_NS1_21lower_bound_search_opENS9_16wrapped_functionI11custom_lessbEEEE10hipError_tPvRmT1_T2_T3_mmT4_T5_P12ihipStream_tbEUlRKdE_EESP_ST_SU_mSV_SY_bEUlT_E_NS1_11comp_targetILNS1_3genE8ELNS1_11target_archE1030ELNS1_3gpuE2ELNS1_3repE0EEENS1_30default_config_static_selectorELNS0_4arch9wavefront6targetE1EEEvSS_.uses_flat_scratch, 0
	.set _ZN7rocprim17ROCPRIM_400000_NS6detail17trampoline_kernelINS0_14default_configENS1_27lower_bound_config_selectorIdlEEZNS1_14transform_implILb0ES3_S5_N6thrust23THRUST_200600_302600_NS6detail15normal_iteratorINS8_7pointerIdNS8_11hip_rocprim5par_tENS8_11use_defaultESE_EEEENSA_INSB_IlSD_SE_SE_EEEEZNS1_13binary_searchIS3_S5_PdSG_SI_NS1_21lower_bound_search_opENS9_16wrapped_functionI11custom_lessbEEEE10hipError_tPvRmT1_T2_T3_mmT4_T5_P12ihipStream_tbEUlRKdE_EESP_ST_SU_mSV_SY_bEUlT_E_NS1_11comp_targetILNS1_3genE8ELNS1_11target_archE1030ELNS1_3gpuE2ELNS1_3repE0EEENS1_30default_config_static_selectorELNS0_4arch9wavefront6targetE1EEEvSS_.has_dyn_sized_stack, 0
	.set _ZN7rocprim17ROCPRIM_400000_NS6detail17trampoline_kernelINS0_14default_configENS1_27lower_bound_config_selectorIdlEEZNS1_14transform_implILb0ES3_S5_N6thrust23THRUST_200600_302600_NS6detail15normal_iteratorINS8_7pointerIdNS8_11hip_rocprim5par_tENS8_11use_defaultESE_EEEENSA_INSB_IlSD_SE_SE_EEEEZNS1_13binary_searchIS3_S5_PdSG_SI_NS1_21lower_bound_search_opENS9_16wrapped_functionI11custom_lessbEEEE10hipError_tPvRmT1_T2_T3_mmT4_T5_P12ihipStream_tbEUlRKdE_EESP_ST_SU_mSV_SY_bEUlT_E_NS1_11comp_targetILNS1_3genE8ELNS1_11target_archE1030ELNS1_3gpuE2ELNS1_3repE0EEENS1_30default_config_static_selectorELNS0_4arch9wavefront6targetE1EEEvSS_.has_recursion, 0
	.set _ZN7rocprim17ROCPRIM_400000_NS6detail17trampoline_kernelINS0_14default_configENS1_27lower_bound_config_selectorIdlEEZNS1_14transform_implILb0ES3_S5_N6thrust23THRUST_200600_302600_NS6detail15normal_iteratorINS8_7pointerIdNS8_11hip_rocprim5par_tENS8_11use_defaultESE_EEEENSA_INSB_IlSD_SE_SE_EEEEZNS1_13binary_searchIS3_S5_PdSG_SI_NS1_21lower_bound_search_opENS9_16wrapped_functionI11custom_lessbEEEE10hipError_tPvRmT1_T2_T3_mmT4_T5_P12ihipStream_tbEUlRKdE_EESP_ST_SU_mSV_SY_bEUlT_E_NS1_11comp_targetILNS1_3genE8ELNS1_11target_archE1030ELNS1_3gpuE2ELNS1_3repE0EEENS1_30default_config_static_selectorELNS0_4arch9wavefront6targetE1EEEvSS_.has_indirect_call, 0
	.section	.AMDGPU.csdata,"",@progbits
; Kernel info:
; codeLenInByte = 0
; TotalNumSgprs: 4
; NumVgprs: 0
; ScratchSize: 0
; MemoryBound: 0
; FloatMode: 240
; IeeeMode: 1
; LDSByteSize: 0 bytes/workgroup (compile time only)
; SGPRBlocks: 0
; VGPRBlocks: 0
; NumSGPRsForWavesPerEU: 4
; NumVGPRsForWavesPerEU: 1
; Occupancy: 10
; WaveLimiterHint : 0
; COMPUTE_PGM_RSRC2:SCRATCH_EN: 0
; COMPUTE_PGM_RSRC2:USER_SGPR: 6
; COMPUTE_PGM_RSRC2:TRAP_HANDLER: 0
; COMPUTE_PGM_RSRC2:TGID_X_EN: 1
; COMPUTE_PGM_RSRC2:TGID_Y_EN: 0
; COMPUTE_PGM_RSRC2:TGID_Z_EN: 0
; COMPUTE_PGM_RSRC2:TIDIG_COMP_CNT: 0
	.section	.text._ZN7rocprim17ROCPRIM_400000_NS6detail17trampoline_kernelINS0_14default_configENS1_27lower_bound_config_selectorIdlEEZNS1_14transform_implILb0ES3_S5_N6thrust23THRUST_200600_302600_NS6detail15normal_iteratorINS8_7pointerIdNS8_11hip_rocprim5par_tENS8_11use_defaultESE_EEEENSA_INSB_IlSD_SE_SE_EEEEZNS1_13binary_searchIS3_S5_PdSG_SI_NS1_21lower_bound_search_opENS9_16wrapped_functionINS8_6system6detail7generic6detail18binary_search_lessEbEEEE10hipError_tPvRmT1_T2_T3_mmT4_T5_P12ihipStream_tbEUlRKdE_EEST_SX_SY_mSZ_S12_bEUlT_E_NS1_11comp_targetILNS1_3genE0ELNS1_11target_archE4294967295ELNS1_3gpuE0ELNS1_3repE0EEENS1_30default_config_static_selectorELNS0_4arch9wavefront6targetE1EEEvSW_,"axG",@progbits,_ZN7rocprim17ROCPRIM_400000_NS6detail17trampoline_kernelINS0_14default_configENS1_27lower_bound_config_selectorIdlEEZNS1_14transform_implILb0ES3_S5_N6thrust23THRUST_200600_302600_NS6detail15normal_iteratorINS8_7pointerIdNS8_11hip_rocprim5par_tENS8_11use_defaultESE_EEEENSA_INSB_IlSD_SE_SE_EEEEZNS1_13binary_searchIS3_S5_PdSG_SI_NS1_21lower_bound_search_opENS9_16wrapped_functionINS8_6system6detail7generic6detail18binary_search_lessEbEEEE10hipError_tPvRmT1_T2_T3_mmT4_T5_P12ihipStream_tbEUlRKdE_EEST_SX_SY_mSZ_S12_bEUlT_E_NS1_11comp_targetILNS1_3genE0ELNS1_11target_archE4294967295ELNS1_3gpuE0ELNS1_3repE0EEENS1_30default_config_static_selectorELNS0_4arch9wavefront6targetE1EEEvSW_,comdat
	.protected	_ZN7rocprim17ROCPRIM_400000_NS6detail17trampoline_kernelINS0_14default_configENS1_27lower_bound_config_selectorIdlEEZNS1_14transform_implILb0ES3_S5_N6thrust23THRUST_200600_302600_NS6detail15normal_iteratorINS8_7pointerIdNS8_11hip_rocprim5par_tENS8_11use_defaultESE_EEEENSA_INSB_IlSD_SE_SE_EEEEZNS1_13binary_searchIS3_S5_PdSG_SI_NS1_21lower_bound_search_opENS9_16wrapped_functionINS8_6system6detail7generic6detail18binary_search_lessEbEEEE10hipError_tPvRmT1_T2_T3_mmT4_T5_P12ihipStream_tbEUlRKdE_EEST_SX_SY_mSZ_S12_bEUlT_E_NS1_11comp_targetILNS1_3genE0ELNS1_11target_archE4294967295ELNS1_3gpuE0ELNS1_3repE0EEENS1_30default_config_static_selectorELNS0_4arch9wavefront6targetE1EEEvSW_ ; -- Begin function _ZN7rocprim17ROCPRIM_400000_NS6detail17trampoline_kernelINS0_14default_configENS1_27lower_bound_config_selectorIdlEEZNS1_14transform_implILb0ES3_S5_N6thrust23THRUST_200600_302600_NS6detail15normal_iteratorINS8_7pointerIdNS8_11hip_rocprim5par_tENS8_11use_defaultESE_EEEENSA_INSB_IlSD_SE_SE_EEEEZNS1_13binary_searchIS3_S5_PdSG_SI_NS1_21lower_bound_search_opENS9_16wrapped_functionINS8_6system6detail7generic6detail18binary_search_lessEbEEEE10hipError_tPvRmT1_T2_T3_mmT4_T5_P12ihipStream_tbEUlRKdE_EEST_SX_SY_mSZ_S12_bEUlT_E_NS1_11comp_targetILNS1_3genE0ELNS1_11target_archE4294967295ELNS1_3gpuE0ELNS1_3repE0EEENS1_30default_config_static_selectorELNS0_4arch9wavefront6targetE1EEEvSW_
	.globl	_ZN7rocprim17ROCPRIM_400000_NS6detail17trampoline_kernelINS0_14default_configENS1_27lower_bound_config_selectorIdlEEZNS1_14transform_implILb0ES3_S5_N6thrust23THRUST_200600_302600_NS6detail15normal_iteratorINS8_7pointerIdNS8_11hip_rocprim5par_tENS8_11use_defaultESE_EEEENSA_INSB_IlSD_SE_SE_EEEEZNS1_13binary_searchIS3_S5_PdSG_SI_NS1_21lower_bound_search_opENS9_16wrapped_functionINS8_6system6detail7generic6detail18binary_search_lessEbEEEE10hipError_tPvRmT1_T2_T3_mmT4_T5_P12ihipStream_tbEUlRKdE_EEST_SX_SY_mSZ_S12_bEUlT_E_NS1_11comp_targetILNS1_3genE0ELNS1_11target_archE4294967295ELNS1_3gpuE0ELNS1_3repE0EEENS1_30default_config_static_selectorELNS0_4arch9wavefront6targetE1EEEvSW_
	.p2align	8
	.type	_ZN7rocprim17ROCPRIM_400000_NS6detail17trampoline_kernelINS0_14default_configENS1_27lower_bound_config_selectorIdlEEZNS1_14transform_implILb0ES3_S5_N6thrust23THRUST_200600_302600_NS6detail15normal_iteratorINS8_7pointerIdNS8_11hip_rocprim5par_tENS8_11use_defaultESE_EEEENSA_INSB_IlSD_SE_SE_EEEEZNS1_13binary_searchIS3_S5_PdSG_SI_NS1_21lower_bound_search_opENS9_16wrapped_functionINS8_6system6detail7generic6detail18binary_search_lessEbEEEE10hipError_tPvRmT1_T2_T3_mmT4_T5_P12ihipStream_tbEUlRKdE_EEST_SX_SY_mSZ_S12_bEUlT_E_NS1_11comp_targetILNS1_3genE0ELNS1_11target_archE4294967295ELNS1_3gpuE0ELNS1_3repE0EEENS1_30default_config_static_selectorELNS0_4arch9wavefront6targetE1EEEvSW_,@function
_ZN7rocprim17ROCPRIM_400000_NS6detail17trampoline_kernelINS0_14default_configENS1_27lower_bound_config_selectorIdlEEZNS1_14transform_implILb0ES3_S5_N6thrust23THRUST_200600_302600_NS6detail15normal_iteratorINS8_7pointerIdNS8_11hip_rocprim5par_tENS8_11use_defaultESE_EEEENSA_INSB_IlSD_SE_SE_EEEEZNS1_13binary_searchIS3_S5_PdSG_SI_NS1_21lower_bound_search_opENS9_16wrapped_functionINS8_6system6detail7generic6detail18binary_search_lessEbEEEE10hipError_tPvRmT1_T2_T3_mmT4_T5_P12ihipStream_tbEUlRKdE_EEST_SX_SY_mSZ_S12_bEUlT_E_NS1_11comp_targetILNS1_3genE0ELNS1_11target_archE4294967295ELNS1_3gpuE0ELNS1_3repE0EEENS1_30default_config_static_selectorELNS0_4arch9wavefront6targetE1EEEvSW_: ; @_ZN7rocprim17ROCPRIM_400000_NS6detail17trampoline_kernelINS0_14default_configENS1_27lower_bound_config_selectorIdlEEZNS1_14transform_implILb0ES3_S5_N6thrust23THRUST_200600_302600_NS6detail15normal_iteratorINS8_7pointerIdNS8_11hip_rocprim5par_tENS8_11use_defaultESE_EEEENSA_INSB_IlSD_SE_SE_EEEEZNS1_13binary_searchIS3_S5_PdSG_SI_NS1_21lower_bound_search_opENS9_16wrapped_functionINS8_6system6detail7generic6detail18binary_search_lessEbEEEE10hipError_tPvRmT1_T2_T3_mmT4_T5_P12ihipStream_tbEUlRKdE_EEST_SX_SY_mSZ_S12_bEUlT_E_NS1_11comp_targetILNS1_3genE0ELNS1_11target_archE4294967295ELNS1_3gpuE0ELNS1_3repE0EEENS1_30default_config_static_selectorELNS0_4arch9wavefront6targetE1EEEvSW_
; %bb.0:
	.section	.rodata,"a",@progbits
	.p2align	6, 0x0
	.amdhsa_kernel _ZN7rocprim17ROCPRIM_400000_NS6detail17trampoline_kernelINS0_14default_configENS1_27lower_bound_config_selectorIdlEEZNS1_14transform_implILb0ES3_S5_N6thrust23THRUST_200600_302600_NS6detail15normal_iteratorINS8_7pointerIdNS8_11hip_rocprim5par_tENS8_11use_defaultESE_EEEENSA_INSB_IlSD_SE_SE_EEEEZNS1_13binary_searchIS3_S5_PdSG_SI_NS1_21lower_bound_search_opENS9_16wrapped_functionINS8_6system6detail7generic6detail18binary_search_lessEbEEEE10hipError_tPvRmT1_T2_T3_mmT4_T5_P12ihipStream_tbEUlRKdE_EEST_SX_SY_mSZ_S12_bEUlT_E_NS1_11comp_targetILNS1_3genE0ELNS1_11target_archE4294967295ELNS1_3gpuE0ELNS1_3repE0EEENS1_30default_config_static_selectorELNS0_4arch9wavefront6targetE1EEEvSW_
		.amdhsa_group_segment_fixed_size 0
		.amdhsa_private_segment_fixed_size 0
		.amdhsa_kernarg_size 56
		.amdhsa_user_sgpr_count 6
		.amdhsa_user_sgpr_private_segment_buffer 1
		.amdhsa_user_sgpr_dispatch_ptr 0
		.amdhsa_user_sgpr_queue_ptr 0
		.amdhsa_user_sgpr_kernarg_segment_ptr 1
		.amdhsa_user_sgpr_dispatch_id 0
		.amdhsa_user_sgpr_flat_scratch_init 0
		.amdhsa_user_sgpr_private_segment_size 0
		.amdhsa_uses_dynamic_stack 0
		.amdhsa_system_sgpr_private_segment_wavefront_offset 0
		.amdhsa_system_sgpr_workgroup_id_x 1
		.amdhsa_system_sgpr_workgroup_id_y 0
		.amdhsa_system_sgpr_workgroup_id_z 0
		.amdhsa_system_sgpr_workgroup_info 0
		.amdhsa_system_vgpr_workitem_id 0
		.amdhsa_next_free_vgpr 1
		.amdhsa_next_free_sgpr 0
		.amdhsa_reserve_vcc 0
		.amdhsa_reserve_flat_scratch 0
		.amdhsa_float_round_mode_32 0
		.amdhsa_float_round_mode_16_64 0
		.amdhsa_float_denorm_mode_32 3
		.amdhsa_float_denorm_mode_16_64 3
		.amdhsa_dx10_clamp 1
		.amdhsa_ieee_mode 1
		.amdhsa_fp16_overflow 0
		.amdhsa_exception_fp_ieee_invalid_op 0
		.amdhsa_exception_fp_denorm_src 0
		.amdhsa_exception_fp_ieee_div_zero 0
		.amdhsa_exception_fp_ieee_overflow 0
		.amdhsa_exception_fp_ieee_underflow 0
		.amdhsa_exception_fp_ieee_inexact 0
		.amdhsa_exception_int_div_zero 0
	.end_amdhsa_kernel
	.section	.text._ZN7rocprim17ROCPRIM_400000_NS6detail17trampoline_kernelINS0_14default_configENS1_27lower_bound_config_selectorIdlEEZNS1_14transform_implILb0ES3_S5_N6thrust23THRUST_200600_302600_NS6detail15normal_iteratorINS8_7pointerIdNS8_11hip_rocprim5par_tENS8_11use_defaultESE_EEEENSA_INSB_IlSD_SE_SE_EEEEZNS1_13binary_searchIS3_S5_PdSG_SI_NS1_21lower_bound_search_opENS9_16wrapped_functionINS8_6system6detail7generic6detail18binary_search_lessEbEEEE10hipError_tPvRmT1_T2_T3_mmT4_T5_P12ihipStream_tbEUlRKdE_EEST_SX_SY_mSZ_S12_bEUlT_E_NS1_11comp_targetILNS1_3genE0ELNS1_11target_archE4294967295ELNS1_3gpuE0ELNS1_3repE0EEENS1_30default_config_static_selectorELNS0_4arch9wavefront6targetE1EEEvSW_,"axG",@progbits,_ZN7rocprim17ROCPRIM_400000_NS6detail17trampoline_kernelINS0_14default_configENS1_27lower_bound_config_selectorIdlEEZNS1_14transform_implILb0ES3_S5_N6thrust23THRUST_200600_302600_NS6detail15normal_iteratorINS8_7pointerIdNS8_11hip_rocprim5par_tENS8_11use_defaultESE_EEEENSA_INSB_IlSD_SE_SE_EEEEZNS1_13binary_searchIS3_S5_PdSG_SI_NS1_21lower_bound_search_opENS9_16wrapped_functionINS8_6system6detail7generic6detail18binary_search_lessEbEEEE10hipError_tPvRmT1_T2_T3_mmT4_T5_P12ihipStream_tbEUlRKdE_EEST_SX_SY_mSZ_S12_bEUlT_E_NS1_11comp_targetILNS1_3genE0ELNS1_11target_archE4294967295ELNS1_3gpuE0ELNS1_3repE0EEENS1_30default_config_static_selectorELNS0_4arch9wavefront6targetE1EEEvSW_,comdat
.Lfunc_end13:
	.size	_ZN7rocprim17ROCPRIM_400000_NS6detail17trampoline_kernelINS0_14default_configENS1_27lower_bound_config_selectorIdlEEZNS1_14transform_implILb0ES3_S5_N6thrust23THRUST_200600_302600_NS6detail15normal_iteratorINS8_7pointerIdNS8_11hip_rocprim5par_tENS8_11use_defaultESE_EEEENSA_INSB_IlSD_SE_SE_EEEEZNS1_13binary_searchIS3_S5_PdSG_SI_NS1_21lower_bound_search_opENS9_16wrapped_functionINS8_6system6detail7generic6detail18binary_search_lessEbEEEE10hipError_tPvRmT1_T2_T3_mmT4_T5_P12ihipStream_tbEUlRKdE_EEST_SX_SY_mSZ_S12_bEUlT_E_NS1_11comp_targetILNS1_3genE0ELNS1_11target_archE4294967295ELNS1_3gpuE0ELNS1_3repE0EEENS1_30default_config_static_selectorELNS0_4arch9wavefront6targetE1EEEvSW_, .Lfunc_end13-_ZN7rocprim17ROCPRIM_400000_NS6detail17trampoline_kernelINS0_14default_configENS1_27lower_bound_config_selectorIdlEEZNS1_14transform_implILb0ES3_S5_N6thrust23THRUST_200600_302600_NS6detail15normal_iteratorINS8_7pointerIdNS8_11hip_rocprim5par_tENS8_11use_defaultESE_EEEENSA_INSB_IlSD_SE_SE_EEEEZNS1_13binary_searchIS3_S5_PdSG_SI_NS1_21lower_bound_search_opENS9_16wrapped_functionINS8_6system6detail7generic6detail18binary_search_lessEbEEEE10hipError_tPvRmT1_T2_T3_mmT4_T5_P12ihipStream_tbEUlRKdE_EEST_SX_SY_mSZ_S12_bEUlT_E_NS1_11comp_targetILNS1_3genE0ELNS1_11target_archE4294967295ELNS1_3gpuE0ELNS1_3repE0EEENS1_30default_config_static_selectorELNS0_4arch9wavefront6targetE1EEEvSW_
                                        ; -- End function
	.set _ZN7rocprim17ROCPRIM_400000_NS6detail17trampoline_kernelINS0_14default_configENS1_27lower_bound_config_selectorIdlEEZNS1_14transform_implILb0ES3_S5_N6thrust23THRUST_200600_302600_NS6detail15normal_iteratorINS8_7pointerIdNS8_11hip_rocprim5par_tENS8_11use_defaultESE_EEEENSA_INSB_IlSD_SE_SE_EEEEZNS1_13binary_searchIS3_S5_PdSG_SI_NS1_21lower_bound_search_opENS9_16wrapped_functionINS8_6system6detail7generic6detail18binary_search_lessEbEEEE10hipError_tPvRmT1_T2_T3_mmT4_T5_P12ihipStream_tbEUlRKdE_EEST_SX_SY_mSZ_S12_bEUlT_E_NS1_11comp_targetILNS1_3genE0ELNS1_11target_archE4294967295ELNS1_3gpuE0ELNS1_3repE0EEENS1_30default_config_static_selectorELNS0_4arch9wavefront6targetE1EEEvSW_.num_vgpr, 0
	.set _ZN7rocprim17ROCPRIM_400000_NS6detail17trampoline_kernelINS0_14default_configENS1_27lower_bound_config_selectorIdlEEZNS1_14transform_implILb0ES3_S5_N6thrust23THRUST_200600_302600_NS6detail15normal_iteratorINS8_7pointerIdNS8_11hip_rocprim5par_tENS8_11use_defaultESE_EEEENSA_INSB_IlSD_SE_SE_EEEEZNS1_13binary_searchIS3_S5_PdSG_SI_NS1_21lower_bound_search_opENS9_16wrapped_functionINS8_6system6detail7generic6detail18binary_search_lessEbEEEE10hipError_tPvRmT1_T2_T3_mmT4_T5_P12ihipStream_tbEUlRKdE_EEST_SX_SY_mSZ_S12_bEUlT_E_NS1_11comp_targetILNS1_3genE0ELNS1_11target_archE4294967295ELNS1_3gpuE0ELNS1_3repE0EEENS1_30default_config_static_selectorELNS0_4arch9wavefront6targetE1EEEvSW_.num_agpr, 0
	.set _ZN7rocprim17ROCPRIM_400000_NS6detail17trampoline_kernelINS0_14default_configENS1_27lower_bound_config_selectorIdlEEZNS1_14transform_implILb0ES3_S5_N6thrust23THRUST_200600_302600_NS6detail15normal_iteratorINS8_7pointerIdNS8_11hip_rocprim5par_tENS8_11use_defaultESE_EEEENSA_INSB_IlSD_SE_SE_EEEEZNS1_13binary_searchIS3_S5_PdSG_SI_NS1_21lower_bound_search_opENS9_16wrapped_functionINS8_6system6detail7generic6detail18binary_search_lessEbEEEE10hipError_tPvRmT1_T2_T3_mmT4_T5_P12ihipStream_tbEUlRKdE_EEST_SX_SY_mSZ_S12_bEUlT_E_NS1_11comp_targetILNS1_3genE0ELNS1_11target_archE4294967295ELNS1_3gpuE0ELNS1_3repE0EEENS1_30default_config_static_selectorELNS0_4arch9wavefront6targetE1EEEvSW_.numbered_sgpr, 0
	.set _ZN7rocprim17ROCPRIM_400000_NS6detail17trampoline_kernelINS0_14default_configENS1_27lower_bound_config_selectorIdlEEZNS1_14transform_implILb0ES3_S5_N6thrust23THRUST_200600_302600_NS6detail15normal_iteratorINS8_7pointerIdNS8_11hip_rocprim5par_tENS8_11use_defaultESE_EEEENSA_INSB_IlSD_SE_SE_EEEEZNS1_13binary_searchIS3_S5_PdSG_SI_NS1_21lower_bound_search_opENS9_16wrapped_functionINS8_6system6detail7generic6detail18binary_search_lessEbEEEE10hipError_tPvRmT1_T2_T3_mmT4_T5_P12ihipStream_tbEUlRKdE_EEST_SX_SY_mSZ_S12_bEUlT_E_NS1_11comp_targetILNS1_3genE0ELNS1_11target_archE4294967295ELNS1_3gpuE0ELNS1_3repE0EEENS1_30default_config_static_selectorELNS0_4arch9wavefront6targetE1EEEvSW_.num_named_barrier, 0
	.set _ZN7rocprim17ROCPRIM_400000_NS6detail17trampoline_kernelINS0_14default_configENS1_27lower_bound_config_selectorIdlEEZNS1_14transform_implILb0ES3_S5_N6thrust23THRUST_200600_302600_NS6detail15normal_iteratorINS8_7pointerIdNS8_11hip_rocprim5par_tENS8_11use_defaultESE_EEEENSA_INSB_IlSD_SE_SE_EEEEZNS1_13binary_searchIS3_S5_PdSG_SI_NS1_21lower_bound_search_opENS9_16wrapped_functionINS8_6system6detail7generic6detail18binary_search_lessEbEEEE10hipError_tPvRmT1_T2_T3_mmT4_T5_P12ihipStream_tbEUlRKdE_EEST_SX_SY_mSZ_S12_bEUlT_E_NS1_11comp_targetILNS1_3genE0ELNS1_11target_archE4294967295ELNS1_3gpuE0ELNS1_3repE0EEENS1_30default_config_static_selectorELNS0_4arch9wavefront6targetE1EEEvSW_.private_seg_size, 0
	.set _ZN7rocprim17ROCPRIM_400000_NS6detail17trampoline_kernelINS0_14default_configENS1_27lower_bound_config_selectorIdlEEZNS1_14transform_implILb0ES3_S5_N6thrust23THRUST_200600_302600_NS6detail15normal_iteratorINS8_7pointerIdNS8_11hip_rocprim5par_tENS8_11use_defaultESE_EEEENSA_INSB_IlSD_SE_SE_EEEEZNS1_13binary_searchIS3_S5_PdSG_SI_NS1_21lower_bound_search_opENS9_16wrapped_functionINS8_6system6detail7generic6detail18binary_search_lessEbEEEE10hipError_tPvRmT1_T2_T3_mmT4_T5_P12ihipStream_tbEUlRKdE_EEST_SX_SY_mSZ_S12_bEUlT_E_NS1_11comp_targetILNS1_3genE0ELNS1_11target_archE4294967295ELNS1_3gpuE0ELNS1_3repE0EEENS1_30default_config_static_selectorELNS0_4arch9wavefront6targetE1EEEvSW_.uses_vcc, 0
	.set _ZN7rocprim17ROCPRIM_400000_NS6detail17trampoline_kernelINS0_14default_configENS1_27lower_bound_config_selectorIdlEEZNS1_14transform_implILb0ES3_S5_N6thrust23THRUST_200600_302600_NS6detail15normal_iteratorINS8_7pointerIdNS8_11hip_rocprim5par_tENS8_11use_defaultESE_EEEENSA_INSB_IlSD_SE_SE_EEEEZNS1_13binary_searchIS3_S5_PdSG_SI_NS1_21lower_bound_search_opENS9_16wrapped_functionINS8_6system6detail7generic6detail18binary_search_lessEbEEEE10hipError_tPvRmT1_T2_T3_mmT4_T5_P12ihipStream_tbEUlRKdE_EEST_SX_SY_mSZ_S12_bEUlT_E_NS1_11comp_targetILNS1_3genE0ELNS1_11target_archE4294967295ELNS1_3gpuE0ELNS1_3repE0EEENS1_30default_config_static_selectorELNS0_4arch9wavefront6targetE1EEEvSW_.uses_flat_scratch, 0
	.set _ZN7rocprim17ROCPRIM_400000_NS6detail17trampoline_kernelINS0_14default_configENS1_27lower_bound_config_selectorIdlEEZNS1_14transform_implILb0ES3_S5_N6thrust23THRUST_200600_302600_NS6detail15normal_iteratorINS8_7pointerIdNS8_11hip_rocprim5par_tENS8_11use_defaultESE_EEEENSA_INSB_IlSD_SE_SE_EEEEZNS1_13binary_searchIS3_S5_PdSG_SI_NS1_21lower_bound_search_opENS9_16wrapped_functionINS8_6system6detail7generic6detail18binary_search_lessEbEEEE10hipError_tPvRmT1_T2_T3_mmT4_T5_P12ihipStream_tbEUlRKdE_EEST_SX_SY_mSZ_S12_bEUlT_E_NS1_11comp_targetILNS1_3genE0ELNS1_11target_archE4294967295ELNS1_3gpuE0ELNS1_3repE0EEENS1_30default_config_static_selectorELNS0_4arch9wavefront6targetE1EEEvSW_.has_dyn_sized_stack, 0
	.set _ZN7rocprim17ROCPRIM_400000_NS6detail17trampoline_kernelINS0_14default_configENS1_27lower_bound_config_selectorIdlEEZNS1_14transform_implILb0ES3_S5_N6thrust23THRUST_200600_302600_NS6detail15normal_iteratorINS8_7pointerIdNS8_11hip_rocprim5par_tENS8_11use_defaultESE_EEEENSA_INSB_IlSD_SE_SE_EEEEZNS1_13binary_searchIS3_S5_PdSG_SI_NS1_21lower_bound_search_opENS9_16wrapped_functionINS8_6system6detail7generic6detail18binary_search_lessEbEEEE10hipError_tPvRmT1_T2_T3_mmT4_T5_P12ihipStream_tbEUlRKdE_EEST_SX_SY_mSZ_S12_bEUlT_E_NS1_11comp_targetILNS1_3genE0ELNS1_11target_archE4294967295ELNS1_3gpuE0ELNS1_3repE0EEENS1_30default_config_static_selectorELNS0_4arch9wavefront6targetE1EEEvSW_.has_recursion, 0
	.set _ZN7rocprim17ROCPRIM_400000_NS6detail17trampoline_kernelINS0_14default_configENS1_27lower_bound_config_selectorIdlEEZNS1_14transform_implILb0ES3_S5_N6thrust23THRUST_200600_302600_NS6detail15normal_iteratorINS8_7pointerIdNS8_11hip_rocprim5par_tENS8_11use_defaultESE_EEEENSA_INSB_IlSD_SE_SE_EEEEZNS1_13binary_searchIS3_S5_PdSG_SI_NS1_21lower_bound_search_opENS9_16wrapped_functionINS8_6system6detail7generic6detail18binary_search_lessEbEEEE10hipError_tPvRmT1_T2_T3_mmT4_T5_P12ihipStream_tbEUlRKdE_EEST_SX_SY_mSZ_S12_bEUlT_E_NS1_11comp_targetILNS1_3genE0ELNS1_11target_archE4294967295ELNS1_3gpuE0ELNS1_3repE0EEENS1_30default_config_static_selectorELNS0_4arch9wavefront6targetE1EEEvSW_.has_indirect_call, 0
	.section	.AMDGPU.csdata,"",@progbits
; Kernel info:
; codeLenInByte = 0
; TotalNumSgprs: 4
; NumVgprs: 0
; ScratchSize: 0
; MemoryBound: 0
; FloatMode: 240
; IeeeMode: 1
; LDSByteSize: 0 bytes/workgroup (compile time only)
; SGPRBlocks: 0
; VGPRBlocks: 0
; NumSGPRsForWavesPerEU: 4
; NumVGPRsForWavesPerEU: 1
; Occupancy: 10
; WaveLimiterHint : 0
; COMPUTE_PGM_RSRC2:SCRATCH_EN: 0
; COMPUTE_PGM_RSRC2:USER_SGPR: 6
; COMPUTE_PGM_RSRC2:TRAP_HANDLER: 0
; COMPUTE_PGM_RSRC2:TGID_X_EN: 1
; COMPUTE_PGM_RSRC2:TGID_Y_EN: 0
; COMPUTE_PGM_RSRC2:TGID_Z_EN: 0
; COMPUTE_PGM_RSRC2:TIDIG_COMP_CNT: 0
	.section	.text._ZN7rocprim17ROCPRIM_400000_NS6detail17trampoline_kernelINS0_14default_configENS1_27lower_bound_config_selectorIdlEEZNS1_14transform_implILb0ES3_S5_N6thrust23THRUST_200600_302600_NS6detail15normal_iteratorINS8_7pointerIdNS8_11hip_rocprim5par_tENS8_11use_defaultESE_EEEENSA_INSB_IlSD_SE_SE_EEEEZNS1_13binary_searchIS3_S5_PdSG_SI_NS1_21lower_bound_search_opENS9_16wrapped_functionINS8_6system6detail7generic6detail18binary_search_lessEbEEEE10hipError_tPvRmT1_T2_T3_mmT4_T5_P12ihipStream_tbEUlRKdE_EEST_SX_SY_mSZ_S12_bEUlT_E_NS1_11comp_targetILNS1_3genE5ELNS1_11target_archE942ELNS1_3gpuE9ELNS1_3repE0EEENS1_30default_config_static_selectorELNS0_4arch9wavefront6targetE1EEEvSW_,"axG",@progbits,_ZN7rocprim17ROCPRIM_400000_NS6detail17trampoline_kernelINS0_14default_configENS1_27lower_bound_config_selectorIdlEEZNS1_14transform_implILb0ES3_S5_N6thrust23THRUST_200600_302600_NS6detail15normal_iteratorINS8_7pointerIdNS8_11hip_rocprim5par_tENS8_11use_defaultESE_EEEENSA_INSB_IlSD_SE_SE_EEEEZNS1_13binary_searchIS3_S5_PdSG_SI_NS1_21lower_bound_search_opENS9_16wrapped_functionINS8_6system6detail7generic6detail18binary_search_lessEbEEEE10hipError_tPvRmT1_T2_T3_mmT4_T5_P12ihipStream_tbEUlRKdE_EEST_SX_SY_mSZ_S12_bEUlT_E_NS1_11comp_targetILNS1_3genE5ELNS1_11target_archE942ELNS1_3gpuE9ELNS1_3repE0EEENS1_30default_config_static_selectorELNS0_4arch9wavefront6targetE1EEEvSW_,comdat
	.protected	_ZN7rocprim17ROCPRIM_400000_NS6detail17trampoline_kernelINS0_14default_configENS1_27lower_bound_config_selectorIdlEEZNS1_14transform_implILb0ES3_S5_N6thrust23THRUST_200600_302600_NS6detail15normal_iteratorINS8_7pointerIdNS8_11hip_rocprim5par_tENS8_11use_defaultESE_EEEENSA_INSB_IlSD_SE_SE_EEEEZNS1_13binary_searchIS3_S5_PdSG_SI_NS1_21lower_bound_search_opENS9_16wrapped_functionINS8_6system6detail7generic6detail18binary_search_lessEbEEEE10hipError_tPvRmT1_T2_T3_mmT4_T5_P12ihipStream_tbEUlRKdE_EEST_SX_SY_mSZ_S12_bEUlT_E_NS1_11comp_targetILNS1_3genE5ELNS1_11target_archE942ELNS1_3gpuE9ELNS1_3repE0EEENS1_30default_config_static_selectorELNS0_4arch9wavefront6targetE1EEEvSW_ ; -- Begin function _ZN7rocprim17ROCPRIM_400000_NS6detail17trampoline_kernelINS0_14default_configENS1_27lower_bound_config_selectorIdlEEZNS1_14transform_implILb0ES3_S5_N6thrust23THRUST_200600_302600_NS6detail15normal_iteratorINS8_7pointerIdNS8_11hip_rocprim5par_tENS8_11use_defaultESE_EEEENSA_INSB_IlSD_SE_SE_EEEEZNS1_13binary_searchIS3_S5_PdSG_SI_NS1_21lower_bound_search_opENS9_16wrapped_functionINS8_6system6detail7generic6detail18binary_search_lessEbEEEE10hipError_tPvRmT1_T2_T3_mmT4_T5_P12ihipStream_tbEUlRKdE_EEST_SX_SY_mSZ_S12_bEUlT_E_NS1_11comp_targetILNS1_3genE5ELNS1_11target_archE942ELNS1_3gpuE9ELNS1_3repE0EEENS1_30default_config_static_selectorELNS0_4arch9wavefront6targetE1EEEvSW_
	.globl	_ZN7rocprim17ROCPRIM_400000_NS6detail17trampoline_kernelINS0_14default_configENS1_27lower_bound_config_selectorIdlEEZNS1_14transform_implILb0ES3_S5_N6thrust23THRUST_200600_302600_NS6detail15normal_iteratorINS8_7pointerIdNS8_11hip_rocprim5par_tENS8_11use_defaultESE_EEEENSA_INSB_IlSD_SE_SE_EEEEZNS1_13binary_searchIS3_S5_PdSG_SI_NS1_21lower_bound_search_opENS9_16wrapped_functionINS8_6system6detail7generic6detail18binary_search_lessEbEEEE10hipError_tPvRmT1_T2_T3_mmT4_T5_P12ihipStream_tbEUlRKdE_EEST_SX_SY_mSZ_S12_bEUlT_E_NS1_11comp_targetILNS1_3genE5ELNS1_11target_archE942ELNS1_3gpuE9ELNS1_3repE0EEENS1_30default_config_static_selectorELNS0_4arch9wavefront6targetE1EEEvSW_
	.p2align	8
	.type	_ZN7rocprim17ROCPRIM_400000_NS6detail17trampoline_kernelINS0_14default_configENS1_27lower_bound_config_selectorIdlEEZNS1_14transform_implILb0ES3_S5_N6thrust23THRUST_200600_302600_NS6detail15normal_iteratorINS8_7pointerIdNS8_11hip_rocprim5par_tENS8_11use_defaultESE_EEEENSA_INSB_IlSD_SE_SE_EEEEZNS1_13binary_searchIS3_S5_PdSG_SI_NS1_21lower_bound_search_opENS9_16wrapped_functionINS8_6system6detail7generic6detail18binary_search_lessEbEEEE10hipError_tPvRmT1_T2_T3_mmT4_T5_P12ihipStream_tbEUlRKdE_EEST_SX_SY_mSZ_S12_bEUlT_E_NS1_11comp_targetILNS1_3genE5ELNS1_11target_archE942ELNS1_3gpuE9ELNS1_3repE0EEENS1_30default_config_static_selectorELNS0_4arch9wavefront6targetE1EEEvSW_,@function
_ZN7rocprim17ROCPRIM_400000_NS6detail17trampoline_kernelINS0_14default_configENS1_27lower_bound_config_selectorIdlEEZNS1_14transform_implILb0ES3_S5_N6thrust23THRUST_200600_302600_NS6detail15normal_iteratorINS8_7pointerIdNS8_11hip_rocprim5par_tENS8_11use_defaultESE_EEEENSA_INSB_IlSD_SE_SE_EEEEZNS1_13binary_searchIS3_S5_PdSG_SI_NS1_21lower_bound_search_opENS9_16wrapped_functionINS8_6system6detail7generic6detail18binary_search_lessEbEEEE10hipError_tPvRmT1_T2_T3_mmT4_T5_P12ihipStream_tbEUlRKdE_EEST_SX_SY_mSZ_S12_bEUlT_E_NS1_11comp_targetILNS1_3genE5ELNS1_11target_archE942ELNS1_3gpuE9ELNS1_3repE0EEENS1_30default_config_static_selectorELNS0_4arch9wavefront6targetE1EEEvSW_: ; @_ZN7rocprim17ROCPRIM_400000_NS6detail17trampoline_kernelINS0_14default_configENS1_27lower_bound_config_selectorIdlEEZNS1_14transform_implILb0ES3_S5_N6thrust23THRUST_200600_302600_NS6detail15normal_iteratorINS8_7pointerIdNS8_11hip_rocprim5par_tENS8_11use_defaultESE_EEEENSA_INSB_IlSD_SE_SE_EEEEZNS1_13binary_searchIS3_S5_PdSG_SI_NS1_21lower_bound_search_opENS9_16wrapped_functionINS8_6system6detail7generic6detail18binary_search_lessEbEEEE10hipError_tPvRmT1_T2_T3_mmT4_T5_P12ihipStream_tbEUlRKdE_EEST_SX_SY_mSZ_S12_bEUlT_E_NS1_11comp_targetILNS1_3genE5ELNS1_11target_archE942ELNS1_3gpuE9ELNS1_3repE0EEENS1_30default_config_static_selectorELNS0_4arch9wavefront6targetE1EEEvSW_
; %bb.0:
	.section	.rodata,"a",@progbits
	.p2align	6, 0x0
	.amdhsa_kernel _ZN7rocprim17ROCPRIM_400000_NS6detail17trampoline_kernelINS0_14default_configENS1_27lower_bound_config_selectorIdlEEZNS1_14transform_implILb0ES3_S5_N6thrust23THRUST_200600_302600_NS6detail15normal_iteratorINS8_7pointerIdNS8_11hip_rocprim5par_tENS8_11use_defaultESE_EEEENSA_INSB_IlSD_SE_SE_EEEEZNS1_13binary_searchIS3_S5_PdSG_SI_NS1_21lower_bound_search_opENS9_16wrapped_functionINS8_6system6detail7generic6detail18binary_search_lessEbEEEE10hipError_tPvRmT1_T2_T3_mmT4_T5_P12ihipStream_tbEUlRKdE_EEST_SX_SY_mSZ_S12_bEUlT_E_NS1_11comp_targetILNS1_3genE5ELNS1_11target_archE942ELNS1_3gpuE9ELNS1_3repE0EEENS1_30default_config_static_selectorELNS0_4arch9wavefront6targetE1EEEvSW_
		.amdhsa_group_segment_fixed_size 0
		.amdhsa_private_segment_fixed_size 0
		.amdhsa_kernarg_size 56
		.amdhsa_user_sgpr_count 6
		.amdhsa_user_sgpr_private_segment_buffer 1
		.amdhsa_user_sgpr_dispatch_ptr 0
		.amdhsa_user_sgpr_queue_ptr 0
		.amdhsa_user_sgpr_kernarg_segment_ptr 1
		.amdhsa_user_sgpr_dispatch_id 0
		.amdhsa_user_sgpr_flat_scratch_init 0
		.amdhsa_user_sgpr_private_segment_size 0
		.amdhsa_uses_dynamic_stack 0
		.amdhsa_system_sgpr_private_segment_wavefront_offset 0
		.amdhsa_system_sgpr_workgroup_id_x 1
		.amdhsa_system_sgpr_workgroup_id_y 0
		.amdhsa_system_sgpr_workgroup_id_z 0
		.amdhsa_system_sgpr_workgroup_info 0
		.amdhsa_system_vgpr_workitem_id 0
		.amdhsa_next_free_vgpr 1
		.amdhsa_next_free_sgpr 0
		.amdhsa_reserve_vcc 0
		.amdhsa_reserve_flat_scratch 0
		.amdhsa_float_round_mode_32 0
		.amdhsa_float_round_mode_16_64 0
		.amdhsa_float_denorm_mode_32 3
		.amdhsa_float_denorm_mode_16_64 3
		.amdhsa_dx10_clamp 1
		.amdhsa_ieee_mode 1
		.amdhsa_fp16_overflow 0
		.amdhsa_exception_fp_ieee_invalid_op 0
		.amdhsa_exception_fp_denorm_src 0
		.amdhsa_exception_fp_ieee_div_zero 0
		.amdhsa_exception_fp_ieee_overflow 0
		.amdhsa_exception_fp_ieee_underflow 0
		.amdhsa_exception_fp_ieee_inexact 0
		.amdhsa_exception_int_div_zero 0
	.end_amdhsa_kernel
	.section	.text._ZN7rocprim17ROCPRIM_400000_NS6detail17trampoline_kernelINS0_14default_configENS1_27lower_bound_config_selectorIdlEEZNS1_14transform_implILb0ES3_S5_N6thrust23THRUST_200600_302600_NS6detail15normal_iteratorINS8_7pointerIdNS8_11hip_rocprim5par_tENS8_11use_defaultESE_EEEENSA_INSB_IlSD_SE_SE_EEEEZNS1_13binary_searchIS3_S5_PdSG_SI_NS1_21lower_bound_search_opENS9_16wrapped_functionINS8_6system6detail7generic6detail18binary_search_lessEbEEEE10hipError_tPvRmT1_T2_T3_mmT4_T5_P12ihipStream_tbEUlRKdE_EEST_SX_SY_mSZ_S12_bEUlT_E_NS1_11comp_targetILNS1_3genE5ELNS1_11target_archE942ELNS1_3gpuE9ELNS1_3repE0EEENS1_30default_config_static_selectorELNS0_4arch9wavefront6targetE1EEEvSW_,"axG",@progbits,_ZN7rocprim17ROCPRIM_400000_NS6detail17trampoline_kernelINS0_14default_configENS1_27lower_bound_config_selectorIdlEEZNS1_14transform_implILb0ES3_S5_N6thrust23THRUST_200600_302600_NS6detail15normal_iteratorINS8_7pointerIdNS8_11hip_rocprim5par_tENS8_11use_defaultESE_EEEENSA_INSB_IlSD_SE_SE_EEEEZNS1_13binary_searchIS3_S5_PdSG_SI_NS1_21lower_bound_search_opENS9_16wrapped_functionINS8_6system6detail7generic6detail18binary_search_lessEbEEEE10hipError_tPvRmT1_T2_T3_mmT4_T5_P12ihipStream_tbEUlRKdE_EEST_SX_SY_mSZ_S12_bEUlT_E_NS1_11comp_targetILNS1_3genE5ELNS1_11target_archE942ELNS1_3gpuE9ELNS1_3repE0EEENS1_30default_config_static_selectorELNS0_4arch9wavefront6targetE1EEEvSW_,comdat
.Lfunc_end14:
	.size	_ZN7rocprim17ROCPRIM_400000_NS6detail17trampoline_kernelINS0_14default_configENS1_27lower_bound_config_selectorIdlEEZNS1_14transform_implILb0ES3_S5_N6thrust23THRUST_200600_302600_NS6detail15normal_iteratorINS8_7pointerIdNS8_11hip_rocprim5par_tENS8_11use_defaultESE_EEEENSA_INSB_IlSD_SE_SE_EEEEZNS1_13binary_searchIS3_S5_PdSG_SI_NS1_21lower_bound_search_opENS9_16wrapped_functionINS8_6system6detail7generic6detail18binary_search_lessEbEEEE10hipError_tPvRmT1_T2_T3_mmT4_T5_P12ihipStream_tbEUlRKdE_EEST_SX_SY_mSZ_S12_bEUlT_E_NS1_11comp_targetILNS1_3genE5ELNS1_11target_archE942ELNS1_3gpuE9ELNS1_3repE0EEENS1_30default_config_static_selectorELNS0_4arch9wavefront6targetE1EEEvSW_, .Lfunc_end14-_ZN7rocprim17ROCPRIM_400000_NS6detail17trampoline_kernelINS0_14default_configENS1_27lower_bound_config_selectorIdlEEZNS1_14transform_implILb0ES3_S5_N6thrust23THRUST_200600_302600_NS6detail15normal_iteratorINS8_7pointerIdNS8_11hip_rocprim5par_tENS8_11use_defaultESE_EEEENSA_INSB_IlSD_SE_SE_EEEEZNS1_13binary_searchIS3_S5_PdSG_SI_NS1_21lower_bound_search_opENS9_16wrapped_functionINS8_6system6detail7generic6detail18binary_search_lessEbEEEE10hipError_tPvRmT1_T2_T3_mmT4_T5_P12ihipStream_tbEUlRKdE_EEST_SX_SY_mSZ_S12_bEUlT_E_NS1_11comp_targetILNS1_3genE5ELNS1_11target_archE942ELNS1_3gpuE9ELNS1_3repE0EEENS1_30default_config_static_selectorELNS0_4arch9wavefront6targetE1EEEvSW_
                                        ; -- End function
	.set _ZN7rocprim17ROCPRIM_400000_NS6detail17trampoline_kernelINS0_14default_configENS1_27lower_bound_config_selectorIdlEEZNS1_14transform_implILb0ES3_S5_N6thrust23THRUST_200600_302600_NS6detail15normal_iteratorINS8_7pointerIdNS8_11hip_rocprim5par_tENS8_11use_defaultESE_EEEENSA_INSB_IlSD_SE_SE_EEEEZNS1_13binary_searchIS3_S5_PdSG_SI_NS1_21lower_bound_search_opENS9_16wrapped_functionINS8_6system6detail7generic6detail18binary_search_lessEbEEEE10hipError_tPvRmT1_T2_T3_mmT4_T5_P12ihipStream_tbEUlRKdE_EEST_SX_SY_mSZ_S12_bEUlT_E_NS1_11comp_targetILNS1_3genE5ELNS1_11target_archE942ELNS1_3gpuE9ELNS1_3repE0EEENS1_30default_config_static_selectorELNS0_4arch9wavefront6targetE1EEEvSW_.num_vgpr, 0
	.set _ZN7rocprim17ROCPRIM_400000_NS6detail17trampoline_kernelINS0_14default_configENS1_27lower_bound_config_selectorIdlEEZNS1_14transform_implILb0ES3_S5_N6thrust23THRUST_200600_302600_NS6detail15normal_iteratorINS8_7pointerIdNS8_11hip_rocprim5par_tENS8_11use_defaultESE_EEEENSA_INSB_IlSD_SE_SE_EEEEZNS1_13binary_searchIS3_S5_PdSG_SI_NS1_21lower_bound_search_opENS9_16wrapped_functionINS8_6system6detail7generic6detail18binary_search_lessEbEEEE10hipError_tPvRmT1_T2_T3_mmT4_T5_P12ihipStream_tbEUlRKdE_EEST_SX_SY_mSZ_S12_bEUlT_E_NS1_11comp_targetILNS1_3genE5ELNS1_11target_archE942ELNS1_3gpuE9ELNS1_3repE0EEENS1_30default_config_static_selectorELNS0_4arch9wavefront6targetE1EEEvSW_.num_agpr, 0
	.set _ZN7rocprim17ROCPRIM_400000_NS6detail17trampoline_kernelINS0_14default_configENS1_27lower_bound_config_selectorIdlEEZNS1_14transform_implILb0ES3_S5_N6thrust23THRUST_200600_302600_NS6detail15normal_iteratorINS8_7pointerIdNS8_11hip_rocprim5par_tENS8_11use_defaultESE_EEEENSA_INSB_IlSD_SE_SE_EEEEZNS1_13binary_searchIS3_S5_PdSG_SI_NS1_21lower_bound_search_opENS9_16wrapped_functionINS8_6system6detail7generic6detail18binary_search_lessEbEEEE10hipError_tPvRmT1_T2_T3_mmT4_T5_P12ihipStream_tbEUlRKdE_EEST_SX_SY_mSZ_S12_bEUlT_E_NS1_11comp_targetILNS1_3genE5ELNS1_11target_archE942ELNS1_3gpuE9ELNS1_3repE0EEENS1_30default_config_static_selectorELNS0_4arch9wavefront6targetE1EEEvSW_.numbered_sgpr, 0
	.set _ZN7rocprim17ROCPRIM_400000_NS6detail17trampoline_kernelINS0_14default_configENS1_27lower_bound_config_selectorIdlEEZNS1_14transform_implILb0ES3_S5_N6thrust23THRUST_200600_302600_NS6detail15normal_iteratorINS8_7pointerIdNS8_11hip_rocprim5par_tENS8_11use_defaultESE_EEEENSA_INSB_IlSD_SE_SE_EEEEZNS1_13binary_searchIS3_S5_PdSG_SI_NS1_21lower_bound_search_opENS9_16wrapped_functionINS8_6system6detail7generic6detail18binary_search_lessEbEEEE10hipError_tPvRmT1_T2_T3_mmT4_T5_P12ihipStream_tbEUlRKdE_EEST_SX_SY_mSZ_S12_bEUlT_E_NS1_11comp_targetILNS1_3genE5ELNS1_11target_archE942ELNS1_3gpuE9ELNS1_3repE0EEENS1_30default_config_static_selectorELNS0_4arch9wavefront6targetE1EEEvSW_.num_named_barrier, 0
	.set _ZN7rocprim17ROCPRIM_400000_NS6detail17trampoline_kernelINS0_14default_configENS1_27lower_bound_config_selectorIdlEEZNS1_14transform_implILb0ES3_S5_N6thrust23THRUST_200600_302600_NS6detail15normal_iteratorINS8_7pointerIdNS8_11hip_rocprim5par_tENS8_11use_defaultESE_EEEENSA_INSB_IlSD_SE_SE_EEEEZNS1_13binary_searchIS3_S5_PdSG_SI_NS1_21lower_bound_search_opENS9_16wrapped_functionINS8_6system6detail7generic6detail18binary_search_lessEbEEEE10hipError_tPvRmT1_T2_T3_mmT4_T5_P12ihipStream_tbEUlRKdE_EEST_SX_SY_mSZ_S12_bEUlT_E_NS1_11comp_targetILNS1_3genE5ELNS1_11target_archE942ELNS1_3gpuE9ELNS1_3repE0EEENS1_30default_config_static_selectorELNS0_4arch9wavefront6targetE1EEEvSW_.private_seg_size, 0
	.set _ZN7rocprim17ROCPRIM_400000_NS6detail17trampoline_kernelINS0_14default_configENS1_27lower_bound_config_selectorIdlEEZNS1_14transform_implILb0ES3_S5_N6thrust23THRUST_200600_302600_NS6detail15normal_iteratorINS8_7pointerIdNS8_11hip_rocprim5par_tENS8_11use_defaultESE_EEEENSA_INSB_IlSD_SE_SE_EEEEZNS1_13binary_searchIS3_S5_PdSG_SI_NS1_21lower_bound_search_opENS9_16wrapped_functionINS8_6system6detail7generic6detail18binary_search_lessEbEEEE10hipError_tPvRmT1_T2_T3_mmT4_T5_P12ihipStream_tbEUlRKdE_EEST_SX_SY_mSZ_S12_bEUlT_E_NS1_11comp_targetILNS1_3genE5ELNS1_11target_archE942ELNS1_3gpuE9ELNS1_3repE0EEENS1_30default_config_static_selectorELNS0_4arch9wavefront6targetE1EEEvSW_.uses_vcc, 0
	.set _ZN7rocprim17ROCPRIM_400000_NS6detail17trampoline_kernelINS0_14default_configENS1_27lower_bound_config_selectorIdlEEZNS1_14transform_implILb0ES3_S5_N6thrust23THRUST_200600_302600_NS6detail15normal_iteratorINS8_7pointerIdNS8_11hip_rocprim5par_tENS8_11use_defaultESE_EEEENSA_INSB_IlSD_SE_SE_EEEEZNS1_13binary_searchIS3_S5_PdSG_SI_NS1_21lower_bound_search_opENS9_16wrapped_functionINS8_6system6detail7generic6detail18binary_search_lessEbEEEE10hipError_tPvRmT1_T2_T3_mmT4_T5_P12ihipStream_tbEUlRKdE_EEST_SX_SY_mSZ_S12_bEUlT_E_NS1_11comp_targetILNS1_3genE5ELNS1_11target_archE942ELNS1_3gpuE9ELNS1_3repE0EEENS1_30default_config_static_selectorELNS0_4arch9wavefront6targetE1EEEvSW_.uses_flat_scratch, 0
	.set _ZN7rocprim17ROCPRIM_400000_NS6detail17trampoline_kernelINS0_14default_configENS1_27lower_bound_config_selectorIdlEEZNS1_14transform_implILb0ES3_S5_N6thrust23THRUST_200600_302600_NS6detail15normal_iteratorINS8_7pointerIdNS8_11hip_rocprim5par_tENS8_11use_defaultESE_EEEENSA_INSB_IlSD_SE_SE_EEEEZNS1_13binary_searchIS3_S5_PdSG_SI_NS1_21lower_bound_search_opENS9_16wrapped_functionINS8_6system6detail7generic6detail18binary_search_lessEbEEEE10hipError_tPvRmT1_T2_T3_mmT4_T5_P12ihipStream_tbEUlRKdE_EEST_SX_SY_mSZ_S12_bEUlT_E_NS1_11comp_targetILNS1_3genE5ELNS1_11target_archE942ELNS1_3gpuE9ELNS1_3repE0EEENS1_30default_config_static_selectorELNS0_4arch9wavefront6targetE1EEEvSW_.has_dyn_sized_stack, 0
	.set _ZN7rocprim17ROCPRIM_400000_NS6detail17trampoline_kernelINS0_14default_configENS1_27lower_bound_config_selectorIdlEEZNS1_14transform_implILb0ES3_S5_N6thrust23THRUST_200600_302600_NS6detail15normal_iteratorINS8_7pointerIdNS8_11hip_rocprim5par_tENS8_11use_defaultESE_EEEENSA_INSB_IlSD_SE_SE_EEEEZNS1_13binary_searchIS3_S5_PdSG_SI_NS1_21lower_bound_search_opENS9_16wrapped_functionINS8_6system6detail7generic6detail18binary_search_lessEbEEEE10hipError_tPvRmT1_T2_T3_mmT4_T5_P12ihipStream_tbEUlRKdE_EEST_SX_SY_mSZ_S12_bEUlT_E_NS1_11comp_targetILNS1_3genE5ELNS1_11target_archE942ELNS1_3gpuE9ELNS1_3repE0EEENS1_30default_config_static_selectorELNS0_4arch9wavefront6targetE1EEEvSW_.has_recursion, 0
	.set _ZN7rocprim17ROCPRIM_400000_NS6detail17trampoline_kernelINS0_14default_configENS1_27lower_bound_config_selectorIdlEEZNS1_14transform_implILb0ES3_S5_N6thrust23THRUST_200600_302600_NS6detail15normal_iteratorINS8_7pointerIdNS8_11hip_rocprim5par_tENS8_11use_defaultESE_EEEENSA_INSB_IlSD_SE_SE_EEEEZNS1_13binary_searchIS3_S5_PdSG_SI_NS1_21lower_bound_search_opENS9_16wrapped_functionINS8_6system6detail7generic6detail18binary_search_lessEbEEEE10hipError_tPvRmT1_T2_T3_mmT4_T5_P12ihipStream_tbEUlRKdE_EEST_SX_SY_mSZ_S12_bEUlT_E_NS1_11comp_targetILNS1_3genE5ELNS1_11target_archE942ELNS1_3gpuE9ELNS1_3repE0EEENS1_30default_config_static_selectorELNS0_4arch9wavefront6targetE1EEEvSW_.has_indirect_call, 0
	.section	.AMDGPU.csdata,"",@progbits
; Kernel info:
; codeLenInByte = 0
; TotalNumSgprs: 4
; NumVgprs: 0
; ScratchSize: 0
; MemoryBound: 0
; FloatMode: 240
; IeeeMode: 1
; LDSByteSize: 0 bytes/workgroup (compile time only)
; SGPRBlocks: 0
; VGPRBlocks: 0
; NumSGPRsForWavesPerEU: 4
; NumVGPRsForWavesPerEU: 1
; Occupancy: 10
; WaveLimiterHint : 0
; COMPUTE_PGM_RSRC2:SCRATCH_EN: 0
; COMPUTE_PGM_RSRC2:USER_SGPR: 6
; COMPUTE_PGM_RSRC2:TRAP_HANDLER: 0
; COMPUTE_PGM_RSRC2:TGID_X_EN: 1
; COMPUTE_PGM_RSRC2:TGID_Y_EN: 0
; COMPUTE_PGM_RSRC2:TGID_Z_EN: 0
; COMPUTE_PGM_RSRC2:TIDIG_COMP_CNT: 0
	.section	.text._ZN7rocprim17ROCPRIM_400000_NS6detail17trampoline_kernelINS0_14default_configENS1_27lower_bound_config_selectorIdlEEZNS1_14transform_implILb0ES3_S5_N6thrust23THRUST_200600_302600_NS6detail15normal_iteratorINS8_7pointerIdNS8_11hip_rocprim5par_tENS8_11use_defaultESE_EEEENSA_INSB_IlSD_SE_SE_EEEEZNS1_13binary_searchIS3_S5_PdSG_SI_NS1_21lower_bound_search_opENS9_16wrapped_functionINS8_6system6detail7generic6detail18binary_search_lessEbEEEE10hipError_tPvRmT1_T2_T3_mmT4_T5_P12ihipStream_tbEUlRKdE_EEST_SX_SY_mSZ_S12_bEUlT_E_NS1_11comp_targetILNS1_3genE4ELNS1_11target_archE910ELNS1_3gpuE8ELNS1_3repE0EEENS1_30default_config_static_selectorELNS0_4arch9wavefront6targetE1EEEvSW_,"axG",@progbits,_ZN7rocprim17ROCPRIM_400000_NS6detail17trampoline_kernelINS0_14default_configENS1_27lower_bound_config_selectorIdlEEZNS1_14transform_implILb0ES3_S5_N6thrust23THRUST_200600_302600_NS6detail15normal_iteratorINS8_7pointerIdNS8_11hip_rocprim5par_tENS8_11use_defaultESE_EEEENSA_INSB_IlSD_SE_SE_EEEEZNS1_13binary_searchIS3_S5_PdSG_SI_NS1_21lower_bound_search_opENS9_16wrapped_functionINS8_6system6detail7generic6detail18binary_search_lessEbEEEE10hipError_tPvRmT1_T2_T3_mmT4_T5_P12ihipStream_tbEUlRKdE_EEST_SX_SY_mSZ_S12_bEUlT_E_NS1_11comp_targetILNS1_3genE4ELNS1_11target_archE910ELNS1_3gpuE8ELNS1_3repE0EEENS1_30default_config_static_selectorELNS0_4arch9wavefront6targetE1EEEvSW_,comdat
	.protected	_ZN7rocprim17ROCPRIM_400000_NS6detail17trampoline_kernelINS0_14default_configENS1_27lower_bound_config_selectorIdlEEZNS1_14transform_implILb0ES3_S5_N6thrust23THRUST_200600_302600_NS6detail15normal_iteratorINS8_7pointerIdNS8_11hip_rocprim5par_tENS8_11use_defaultESE_EEEENSA_INSB_IlSD_SE_SE_EEEEZNS1_13binary_searchIS3_S5_PdSG_SI_NS1_21lower_bound_search_opENS9_16wrapped_functionINS8_6system6detail7generic6detail18binary_search_lessEbEEEE10hipError_tPvRmT1_T2_T3_mmT4_T5_P12ihipStream_tbEUlRKdE_EEST_SX_SY_mSZ_S12_bEUlT_E_NS1_11comp_targetILNS1_3genE4ELNS1_11target_archE910ELNS1_3gpuE8ELNS1_3repE0EEENS1_30default_config_static_selectorELNS0_4arch9wavefront6targetE1EEEvSW_ ; -- Begin function _ZN7rocprim17ROCPRIM_400000_NS6detail17trampoline_kernelINS0_14default_configENS1_27lower_bound_config_selectorIdlEEZNS1_14transform_implILb0ES3_S5_N6thrust23THRUST_200600_302600_NS6detail15normal_iteratorINS8_7pointerIdNS8_11hip_rocprim5par_tENS8_11use_defaultESE_EEEENSA_INSB_IlSD_SE_SE_EEEEZNS1_13binary_searchIS3_S5_PdSG_SI_NS1_21lower_bound_search_opENS9_16wrapped_functionINS8_6system6detail7generic6detail18binary_search_lessEbEEEE10hipError_tPvRmT1_T2_T3_mmT4_T5_P12ihipStream_tbEUlRKdE_EEST_SX_SY_mSZ_S12_bEUlT_E_NS1_11comp_targetILNS1_3genE4ELNS1_11target_archE910ELNS1_3gpuE8ELNS1_3repE0EEENS1_30default_config_static_selectorELNS0_4arch9wavefront6targetE1EEEvSW_
	.globl	_ZN7rocprim17ROCPRIM_400000_NS6detail17trampoline_kernelINS0_14default_configENS1_27lower_bound_config_selectorIdlEEZNS1_14transform_implILb0ES3_S5_N6thrust23THRUST_200600_302600_NS6detail15normal_iteratorINS8_7pointerIdNS8_11hip_rocprim5par_tENS8_11use_defaultESE_EEEENSA_INSB_IlSD_SE_SE_EEEEZNS1_13binary_searchIS3_S5_PdSG_SI_NS1_21lower_bound_search_opENS9_16wrapped_functionINS8_6system6detail7generic6detail18binary_search_lessEbEEEE10hipError_tPvRmT1_T2_T3_mmT4_T5_P12ihipStream_tbEUlRKdE_EEST_SX_SY_mSZ_S12_bEUlT_E_NS1_11comp_targetILNS1_3genE4ELNS1_11target_archE910ELNS1_3gpuE8ELNS1_3repE0EEENS1_30default_config_static_selectorELNS0_4arch9wavefront6targetE1EEEvSW_
	.p2align	8
	.type	_ZN7rocprim17ROCPRIM_400000_NS6detail17trampoline_kernelINS0_14default_configENS1_27lower_bound_config_selectorIdlEEZNS1_14transform_implILb0ES3_S5_N6thrust23THRUST_200600_302600_NS6detail15normal_iteratorINS8_7pointerIdNS8_11hip_rocprim5par_tENS8_11use_defaultESE_EEEENSA_INSB_IlSD_SE_SE_EEEEZNS1_13binary_searchIS3_S5_PdSG_SI_NS1_21lower_bound_search_opENS9_16wrapped_functionINS8_6system6detail7generic6detail18binary_search_lessEbEEEE10hipError_tPvRmT1_T2_T3_mmT4_T5_P12ihipStream_tbEUlRKdE_EEST_SX_SY_mSZ_S12_bEUlT_E_NS1_11comp_targetILNS1_3genE4ELNS1_11target_archE910ELNS1_3gpuE8ELNS1_3repE0EEENS1_30default_config_static_selectorELNS0_4arch9wavefront6targetE1EEEvSW_,@function
_ZN7rocprim17ROCPRIM_400000_NS6detail17trampoline_kernelINS0_14default_configENS1_27lower_bound_config_selectorIdlEEZNS1_14transform_implILb0ES3_S5_N6thrust23THRUST_200600_302600_NS6detail15normal_iteratorINS8_7pointerIdNS8_11hip_rocprim5par_tENS8_11use_defaultESE_EEEENSA_INSB_IlSD_SE_SE_EEEEZNS1_13binary_searchIS3_S5_PdSG_SI_NS1_21lower_bound_search_opENS9_16wrapped_functionINS8_6system6detail7generic6detail18binary_search_lessEbEEEE10hipError_tPvRmT1_T2_T3_mmT4_T5_P12ihipStream_tbEUlRKdE_EEST_SX_SY_mSZ_S12_bEUlT_E_NS1_11comp_targetILNS1_3genE4ELNS1_11target_archE910ELNS1_3gpuE8ELNS1_3repE0EEENS1_30default_config_static_selectorELNS0_4arch9wavefront6targetE1EEEvSW_: ; @_ZN7rocprim17ROCPRIM_400000_NS6detail17trampoline_kernelINS0_14default_configENS1_27lower_bound_config_selectorIdlEEZNS1_14transform_implILb0ES3_S5_N6thrust23THRUST_200600_302600_NS6detail15normal_iteratorINS8_7pointerIdNS8_11hip_rocprim5par_tENS8_11use_defaultESE_EEEENSA_INSB_IlSD_SE_SE_EEEEZNS1_13binary_searchIS3_S5_PdSG_SI_NS1_21lower_bound_search_opENS9_16wrapped_functionINS8_6system6detail7generic6detail18binary_search_lessEbEEEE10hipError_tPvRmT1_T2_T3_mmT4_T5_P12ihipStream_tbEUlRKdE_EEST_SX_SY_mSZ_S12_bEUlT_E_NS1_11comp_targetILNS1_3genE4ELNS1_11target_archE910ELNS1_3gpuE8ELNS1_3repE0EEENS1_30default_config_static_selectorELNS0_4arch9wavefront6targetE1EEEvSW_
; %bb.0:
	.section	.rodata,"a",@progbits
	.p2align	6, 0x0
	.amdhsa_kernel _ZN7rocprim17ROCPRIM_400000_NS6detail17trampoline_kernelINS0_14default_configENS1_27lower_bound_config_selectorIdlEEZNS1_14transform_implILb0ES3_S5_N6thrust23THRUST_200600_302600_NS6detail15normal_iteratorINS8_7pointerIdNS8_11hip_rocprim5par_tENS8_11use_defaultESE_EEEENSA_INSB_IlSD_SE_SE_EEEEZNS1_13binary_searchIS3_S5_PdSG_SI_NS1_21lower_bound_search_opENS9_16wrapped_functionINS8_6system6detail7generic6detail18binary_search_lessEbEEEE10hipError_tPvRmT1_T2_T3_mmT4_T5_P12ihipStream_tbEUlRKdE_EEST_SX_SY_mSZ_S12_bEUlT_E_NS1_11comp_targetILNS1_3genE4ELNS1_11target_archE910ELNS1_3gpuE8ELNS1_3repE0EEENS1_30default_config_static_selectorELNS0_4arch9wavefront6targetE1EEEvSW_
		.amdhsa_group_segment_fixed_size 0
		.amdhsa_private_segment_fixed_size 0
		.amdhsa_kernarg_size 56
		.amdhsa_user_sgpr_count 6
		.amdhsa_user_sgpr_private_segment_buffer 1
		.amdhsa_user_sgpr_dispatch_ptr 0
		.amdhsa_user_sgpr_queue_ptr 0
		.amdhsa_user_sgpr_kernarg_segment_ptr 1
		.amdhsa_user_sgpr_dispatch_id 0
		.amdhsa_user_sgpr_flat_scratch_init 0
		.amdhsa_user_sgpr_private_segment_size 0
		.amdhsa_uses_dynamic_stack 0
		.amdhsa_system_sgpr_private_segment_wavefront_offset 0
		.amdhsa_system_sgpr_workgroup_id_x 1
		.amdhsa_system_sgpr_workgroup_id_y 0
		.amdhsa_system_sgpr_workgroup_id_z 0
		.amdhsa_system_sgpr_workgroup_info 0
		.amdhsa_system_vgpr_workitem_id 0
		.amdhsa_next_free_vgpr 1
		.amdhsa_next_free_sgpr 0
		.amdhsa_reserve_vcc 0
		.amdhsa_reserve_flat_scratch 0
		.amdhsa_float_round_mode_32 0
		.amdhsa_float_round_mode_16_64 0
		.amdhsa_float_denorm_mode_32 3
		.amdhsa_float_denorm_mode_16_64 3
		.amdhsa_dx10_clamp 1
		.amdhsa_ieee_mode 1
		.amdhsa_fp16_overflow 0
		.amdhsa_exception_fp_ieee_invalid_op 0
		.amdhsa_exception_fp_denorm_src 0
		.amdhsa_exception_fp_ieee_div_zero 0
		.amdhsa_exception_fp_ieee_overflow 0
		.amdhsa_exception_fp_ieee_underflow 0
		.amdhsa_exception_fp_ieee_inexact 0
		.amdhsa_exception_int_div_zero 0
	.end_amdhsa_kernel
	.section	.text._ZN7rocprim17ROCPRIM_400000_NS6detail17trampoline_kernelINS0_14default_configENS1_27lower_bound_config_selectorIdlEEZNS1_14transform_implILb0ES3_S5_N6thrust23THRUST_200600_302600_NS6detail15normal_iteratorINS8_7pointerIdNS8_11hip_rocprim5par_tENS8_11use_defaultESE_EEEENSA_INSB_IlSD_SE_SE_EEEEZNS1_13binary_searchIS3_S5_PdSG_SI_NS1_21lower_bound_search_opENS9_16wrapped_functionINS8_6system6detail7generic6detail18binary_search_lessEbEEEE10hipError_tPvRmT1_T2_T3_mmT4_T5_P12ihipStream_tbEUlRKdE_EEST_SX_SY_mSZ_S12_bEUlT_E_NS1_11comp_targetILNS1_3genE4ELNS1_11target_archE910ELNS1_3gpuE8ELNS1_3repE0EEENS1_30default_config_static_selectorELNS0_4arch9wavefront6targetE1EEEvSW_,"axG",@progbits,_ZN7rocprim17ROCPRIM_400000_NS6detail17trampoline_kernelINS0_14default_configENS1_27lower_bound_config_selectorIdlEEZNS1_14transform_implILb0ES3_S5_N6thrust23THRUST_200600_302600_NS6detail15normal_iteratorINS8_7pointerIdNS8_11hip_rocprim5par_tENS8_11use_defaultESE_EEEENSA_INSB_IlSD_SE_SE_EEEEZNS1_13binary_searchIS3_S5_PdSG_SI_NS1_21lower_bound_search_opENS9_16wrapped_functionINS8_6system6detail7generic6detail18binary_search_lessEbEEEE10hipError_tPvRmT1_T2_T3_mmT4_T5_P12ihipStream_tbEUlRKdE_EEST_SX_SY_mSZ_S12_bEUlT_E_NS1_11comp_targetILNS1_3genE4ELNS1_11target_archE910ELNS1_3gpuE8ELNS1_3repE0EEENS1_30default_config_static_selectorELNS0_4arch9wavefront6targetE1EEEvSW_,comdat
.Lfunc_end15:
	.size	_ZN7rocprim17ROCPRIM_400000_NS6detail17trampoline_kernelINS0_14default_configENS1_27lower_bound_config_selectorIdlEEZNS1_14transform_implILb0ES3_S5_N6thrust23THRUST_200600_302600_NS6detail15normal_iteratorINS8_7pointerIdNS8_11hip_rocprim5par_tENS8_11use_defaultESE_EEEENSA_INSB_IlSD_SE_SE_EEEEZNS1_13binary_searchIS3_S5_PdSG_SI_NS1_21lower_bound_search_opENS9_16wrapped_functionINS8_6system6detail7generic6detail18binary_search_lessEbEEEE10hipError_tPvRmT1_T2_T3_mmT4_T5_P12ihipStream_tbEUlRKdE_EEST_SX_SY_mSZ_S12_bEUlT_E_NS1_11comp_targetILNS1_3genE4ELNS1_11target_archE910ELNS1_3gpuE8ELNS1_3repE0EEENS1_30default_config_static_selectorELNS0_4arch9wavefront6targetE1EEEvSW_, .Lfunc_end15-_ZN7rocprim17ROCPRIM_400000_NS6detail17trampoline_kernelINS0_14default_configENS1_27lower_bound_config_selectorIdlEEZNS1_14transform_implILb0ES3_S5_N6thrust23THRUST_200600_302600_NS6detail15normal_iteratorINS8_7pointerIdNS8_11hip_rocprim5par_tENS8_11use_defaultESE_EEEENSA_INSB_IlSD_SE_SE_EEEEZNS1_13binary_searchIS3_S5_PdSG_SI_NS1_21lower_bound_search_opENS9_16wrapped_functionINS8_6system6detail7generic6detail18binary_search_lessEbEEEE10hipError_tPvRmT1_T2_T3_mmT4_T5_P12ihipStream_tbEUlRKdE_EEST_SX_SY_mSZ_S12_bEUlT_E_NS1_11comp_targetILNS1_3genE4ELNS1_11target_archE910ELNS1_3gpuE8ELNS1_3repE0EEENS1_30default_config_static_selectorELNS0_4arch9wavefront6targetE1EEEvSW_
                                        ; -- End function
	.set _ZN7rocprim17ROCPRIM_400000_NS6detail17trampoline_kernelINS0_14default_configENS1_27lower_bound_config_selectorIdlEEZNS1_14transform_implILb0ES3_S5_N6thrust23THRUST_200600_302600_NS6detail15normal_iteratorINS8_7pointerIdNS8_11hip_rocprim5par_tENS8_11use_defaultESE_EEEENSA_INSB_IlSD_SE_SE_EEEEZNS1_13binary_searchIS3_S5_PdSG_SI_NS1_21lower_bound_search_opENS9_16wrapped_functionINS8_6system6detail7generic6detail18binary_search_lessEbEEEE10hipError_tPvRmT1_T2_T3_mmT4_T5_P12ihipStream_tbEUlRKdE_EEST_SX_SY_mSZ_S12_bEUlT_E_NS1_11comp_targetILNS1_3genE4ELNS1_11target_archE910ELNS1_3gpuE8ELNS1_3repE0EEENS1_30default_config_static_selectorELNS0_4arch9wavefront6targetE1EEEvSW_.num_vgpr, 0
	.set _ZN7rocprim17ROCPRIM_400000_NS6detail17trampoline_kernelINS0_14default_configENS1_27lower_bound_config_selectorIdlEEZNS1_14transform_implILb0ES3_S5_N6thrust23THRUST_200600_302600_NS6detail15normal_iteratorINS8_7pointerIdNS8_11hip_rocprim5par_tENS8_11use_defaultESE_EEEENSA_INSB_IlSD_SE_SE_EEEEZNS1_13binary_searchIS3_S5_PdSG_SI_NS1_21lower_bound_search_opENS9_16wrapped_functionINS8_6system6detail7generic6detail18binary_search_lessEbEEEE10hipError_tPvRmT1_T2_T3_mmT4_T5_P12ihipStream_tbEUlRKdE_EEST_SX_SY_mSZ_S12_bEUlT_E_NS1_11comp_targetILNS1_3genE4ELNS1_11target_archE910ELNS1_3gpuE8ELNS1_3repE0EEENS1_30default_config_static_selectorELNS0_4arch9wavefront6targetE1EEEvSW_.num_agpr, 0
	.set _ZN7rocprim17ROCPRIM_400000_NS6detail17trampoline_kernelINS0_14default_configENS1_27lower_bound_config_selectorIdlEEZNS1_14transform_implILb0ES3_S5_N6thrust23THRUST_200600_302600_NS6detail15normal_iteratorINS8_7pointerIdNS8_11hip_rocprim5par_tENS8_11use_defaultESE_EEEENSA_INSB_IlSD_SE_SE_EEEEZNS1_13binary_searchIS3_S5_PdSG_SI_NS1_21lower_bound_search_opENS9_16wrapped_functionINS8_6system6detail7generic6detail18binary_search_lessEbEEEE10hipError_tPvRmT1_T2_T3_mmT4_T5_P12ihipStream_tbEUlRKdE_EEST_SX_SY_mSZ_S12_bEUlT_E_NS1_11comp_targetILNS1_3genE4ELNS1_11target_archE910ELNS1_3gpuE8ELNS1_3repE0EEENS1_30default_config_static_selectorELNS0_4arch9wavefront6targetE1EEEvSW_.numbered_sgpr, 0
	.set _ZN7rocprim17ROCPRIM_400000_NS6detail17trampoline_kernelINS0_14default_configENS1_27lower_bound_config_selectorIdlEEZNS1_14transform_implILb0ES3_S5_N6thrust23THRUST_200600_302600_NS6detail15normal_iteratorINS8_7pointerIdNS8_11hip_rocprim5par_tENS8_11use_defaultESE_EEEENSA_INSB_IlSD_SE_SE_EEEEZNS1_13binary_searchIS3_S5_PdSG_SI_NS1_21lower_bound_search_opENS9_16wrapped_functionINS8_6system6detail7generic6detail18binary_search_lessEbEEEE10hipError_tPvRmT1_T2_T3_mmT4_T5_P12ihipStream_tbEUlRKdE_EEST_SX_SY_mSZ_S12_bEUlT_E_NS1_11comp_targetILNS1_3genE4ELNS1_11target_archE910ELNS1_3gpuE8ELNS1_3repE0EEENS1_30default_config_static_selectorELNS0_4arch9wavefront6targetE1EEEvSW_.num_named_barrier, 0
	.set _ZN7rocprim17ROCPRIM_400000_NS6detail17trampoline_kernelINS0_14default_configENS1_27lower_bound_config_selectorIdlEEZNS1_14transform_implILb0ES3_S5_N6thrust23THRUST_200600_302600_NS6detail15normal_iteratorINS8_7pointerIdNS8_11hip_rocprim5par_tENS8_11use_defaultESE_EEEENSA_INSB_IlSD_SE_SE_EEEEZNS1_13binary_searchIS3_S5_PdSG_SI_NS1_21lower_bound_search_opENS9_16wrapped_functionINS8_6system6detail7generic6detail18binary_search_lessEbEEEE10hipError_tPvRmT1_T2_T3_mmT4_T5_P12ihipStream_tbEUlRKdE_EEST_SX_SY_mSZ_S12_bEUlT_E_NS1_11comp_targetILNS1_3genE4ELNS1_11target_archE910ELNS1_3gpuE8ELNS1_3repE0EEENS1_30default_config_static_selectorELNS0_4arch9wavefront6targetE1EEEvSW_.private_seg_size, 0
	.set _ZN7rocprim17ROCPRIM_400000_NS6detail17trampoline_kernelINS0_14default_configENS1_27lower_bound_config_selectorIdlEEZNS1_14transform_implILb0ES3_S5_N6thrust23THRUST_200600_302600_NS6detail15normal_iteratorINS8_7pointerIdNS8_11hip_rocprim5par_tENS8_11use_defaultESE_EEEENSA_INSB_IlSD_SE_SE_EEEEZNS1_13binary_searchIS3_S5_PdSG_SI_NS1_21lower_bound_search_opENS9_16wrapped_functionINS8_6system6detail7generic6detail18binary_search_lessEbEEEE10hipError_tPvRmT1_T2_T3_mmT4_T5_P12ihipStream_tbEUlRKdE_EEST_SX_SY_mSZ_S12_bEUlT_E_NS1_11comp_targetILNS1_3genE4ELNS1_11target_archE910ELNS1_3gpuE8ELNS1_3repE0EEENS1_30default_config_static_selectorELNS0_4arch9wavefront6targetE1EEEvSW_.uses_vcc, 0
	.set _ZN7rocprim17ROCPRIM_400000_NS6detail17trampoline_kernelINS0_14default_configENS1_27lower_bound_config_selectorIdlEEZNS1_14transform_implILb0ES3_S5_N6thrust23THRUST_200600_302600_NS6detail15normal_iteratorINS8_7pointerIdNS8_11hip_rocprim5par_tENS8_11use_defaultESE_EEEENSA_INSB_IlSD_SE_SE_EEEEZNS1_13binary_searchIS3_S5_PdSG_SI_NS1_21lower_bound_search_opENS9_16wrapped_functionINS8_6system6detail7generic6detail18binary_search_lessEbEEEE10hipError_tPvRmT1_T2_T3_mmT4_T5_P12ihipStream_tbEUlRKdE_EEST_SX_SY_mSZ_S12_bEUlT_E_NS1_11comp_targetILNS1_3genE4ELNS1_11target_archE910ELNS1_3gpuE8ELNS1_3repE0EEENS1_30default_config_static_selectorELNS0_4arch9wavefront6targetE1EEEvSW_.uses_flat_scratch, 0
	.set _ZN7rocprim17ROCPRIM_400000_NS6detail17trampoline_kernelINS0_14default_configENS1_27lower_bound_config_selectorIdlEEZNS1_14transform_implILb0ES3_S5_N6thrust23THRUST_200600_302600_NS6detail15normal_iteratorINS8_7pointerIdNS8_11hip_rocprim5par_tENS8_11use_defaultESE_EEEENSA_INSB_IlSD_SE_SE_EEEEZNS1_13binary_searchIS3_S5_PdSG_SI_NS1_21lower_bound_search_opENS9_16wrapped_functionINS8_6system6detail7generic6detail18binary_search_lessEbEEEE10hipError_tPvRmT1_T2_T3_mmT4_T5_P12ihipStream_tbEUlRKdE_EEST_SX_SY_mSZ_S12_bEUlT_E_NS1_11comp_targetILNS1_3genE4ELNS1_11target_archE910ELNS1_3gpuE8ELNS1_3repE0EEENS1_30default_config_static_selectorELNS0_4arch9wavefront6targetE1EEEvSW_.has_dyn_sized_stack, 0
	.set _ZN7rocprim17ROCPRIM_400000_NS6detail17trampoline_kernelINS0_14default_configENS1_27lower_bound_config_selectorIdlEEZNS1_14transform_implILb0ES3_S5_N6thrust23THRUST_200600_302600_NS6detail15normal_iteratorINS8_7pointerIdNS8_11hip_rocprim5par_tENS8_11use_defaultESE_EEEENSA_INSB_IlSD_SE_SE_EEEEZNS1_13binary_searchIS3_S5_PdSG_SI_NS1_21lower_bound_search_opENS9_16wrapped_functionINS8_6system6detail7generic6detail18binary_search_lessEbEEEE10hipError_tPvRmT1_T2_T3_mmT4_T5_P12ihipStream_tbEUlRKdE_EEST_SX_SY_mSZ_S12_bEUlT_E_NS1_11comp_targetILNS1_3genE4ELNS1_11target_archE910ELNS1_3gpuE8ELNS1_3repE0EEENS1_30default_config_static_selectorELNS0_4arch9wavefront6targetE1EEEvSW_.has_recursion, 0
	.set _ZN7rocprim17ROCPRIM_400000_NS6detail17trampoline_kernelINS0_14default_configENS1_27lower_bound_config_selectorIdlEEZNS1_14transform_implILb0ES3_S5_N6thrust23THRUST_200600_302600_NS6detail15normal_iteratorINS8_7pointerIdNS8_11hip_rocprim5par_tENS8_11use_defaultESE_EEEENSA_INSB_IlSD_SE_SE_EEEEZNS1_13binary_searchIS3_S5_PdSG_SI_NS1_21lower_bound_search_opENS9_16wrapped_functionINS8_6system6detail7generic6detail18binary_search_lessEbEEEE10hipError_tPvRmT1_T2_T3_mmT4_T5_P12ihipStream_tbEUlRKdE_EEST_SX_SY_mSZ_S12_bEUlT_E_NS1_11comp_targetILNS1_3genE4ELNS1_11target_archE910ELNS1_3gpuE8ELNS1_3repE0EEENS1_30default_config_static_selectorELNS0_4arch9wavefront6targetE1EEEvSW_.has_indirect_call, 0
	.section	.AMDGPU.csdata,"",@progbits
; Kernel info:
; codeLenInByte = 0
; TotalNumSgprs: 4
; NumVgprs: 0
; ScratchSize: 0
; MemoryBound: 0
; FloatMode: 240
; IeeeMode: 1
; LDSByteSize: 0 bytes/workgroup (compile time only)
; SGPRBlocks: 0
; VGPRBlocks: 0
; NumSGPRsForWavesPerEU: 4
; NumVGPRsForWavesPerEU: 1
; Occupancy: 10
; WaveLimiterHint : 0
; COMPUTE_PGM_RSRC2:SCRATCH_EN: 0
; COMPUTE_PGM_RSRC2:USER_SGPR: 6
; COMPUTE_PGM_RSRC2:TRAP_HANDLER: 0
; COMPUTE_PGM_RSRC2:TGID_X_EN: 1
; COMPUTE_PGM_RSRC2:TGID_Y_EN: 0
; COMPUTE_PGM_RSRC2:TGID_Z_EN: 0
; COMPUTE_PGM_RSRC2:TIDIG_COMP_CNT: 0
	.section	.text._ZN7rocprim17ROCPRIM_400000_NS6detail17trampoline_kernelINS0_14default_configENS1_27lower_bound_config_selectorIdlEEZNS1_14transform_implILb0ES3_S5_N6thrust23THRUST_200600_302600_NS6detail15normal_iteratorINS8_7pointerIdNS8_11hip_rocprim5par_tENS8_11use_defaultESE_EEEENSA_INSB_IlSD_SE_SE_EEEEZNS1_13binary_searchIS3_S5_PdSG_SI_NS1_21lower_bound_search_opENS9_16wrapped_functionINS8_6system6detail7generic6detail18binary_search_lessEbEEEE10hipError_tPvRmT1_T2_T3_mmT4_T5_P12ihipStream_tbEUlRKdE_EEST_SX_SY_mSZ_S12_bEUlT_E_NS1_11comp_targetILNS1_3genE3ELNS1_11target_archE908ELNS1_3gpuE7ELNS1_3repE0EEENS1_30default_config_static_selectorELNS0_4arch9wavefront6targetE1EEEvSW_,"axG",@progbits,_ZN7rocprim17ROCPRIM_400000_NS6detail17trampoline_kernelINS0_14default_configENS1_27lower_bound_config_selectorIdlEEZNS1_14transform_implILb0ES3_S5_N6thrust23THRUST_200600_302600_NS6detail15normal_iteratorINS8_7pointerIdNS8_11hip_rocprim5par_tENS8_11use_defaultESE_EEEENSA_INSB_IlSD_SE_SE_EEEEZNS1_13binary_searchIS3_S5_PdSG_SI_NS1_21lower_bound_search_opENS9_16wrapped_functionINS8_6system6detail7generic6detail18binary_search_lessEbEEEE10hipError_tPvRmT1_T2_T3_mmT4_T5_P12ihipStream_tbEUlRKdE_EEST_SX_SY_mSZ_S12_bEUlT_E_NS1_11comp_targetILNS1_3genE3ELNS1_11target_archE908ELNS1_3gpuE7ELNS1_3repE0EEENS1_30default_config_static_selectorELNS0_4arch9wavefront6targetE1EEEvSW_,comdat
	.protected	_ZN7rocprim17ROCPRIM_400000_NS6detail17trampoline_kernelINS0_14default_configENS1_27lower_bound_config_selectorIdlEEZNS1_14transform_implILb0ES3_S5_N6thrust23THRUST_200600_302600_NS6detail15normal_iteratorINS8_7pointerIdNS8_11hip_rocprim5par_tENS8_11use_defaultESE_EEEENSA_INSB_IlSD_SE_SE_EEEEZNS1_13binary_searchIS3_S5_PdSG_SI_NS1_21lower_bound_search_opENS9_16wrapped_functionINS8_6system6detail7generic6detail18binary_search_lessEbEEEE10hipError_tPvRmT1_T2_T3_mmT4_T5_P12ihipStream_tbEUlRKdE_EEST_SX_SY_mSZ_S12_bEUlT_E_NS1_11comp_targetILNS1_3genE3ELNS1_11target_archE908ELNS1_3gpuE7ELNS1_3repE0EEENS1_30default_config_static_selectorELNS0_4arch9wavefront6targetE1EEEvSW_ ; -- Begin function _ZN7rocprim17ROCPRIM_400000_NS6detail17trampoline_kernelINS0_14default_configENS1_27lower_bound_config_selectorIdlEEZNS1_14transform_implILb0ES3_S5_N6thrust23THRUST_200600_302600_NS6detail15normal_iteratorINS8_7pointerIdNS8_11hip_rocprim5par_tENS8_11use_defaultESE_EEEENSA_INSB_IlSD_SE_SE_EEEEZNS1_13binary_searchIS3_S5_PdSG_SI_NS1_21lower_bound_search_opENS9_16wrapped_functionINS8_6system6detail7generic6detail18binary_search_lessEbEEEE10hipError_tPvRmT1_T2_T3_mmT4_T5_P12ihipStream_tbEUlRKdE_EEST_SX_SY_mSZ_S12_bEUlT_E_NS1_11comp_targetILNS1_3genE3ELNS1_11target_archE908ELNS1_3gpuE7ELNS1_3repE0EEENS1_30default_config_static_selectorELNS0_4arch9wavefront6targetE1EEEvSW_
	.globl	_ZN7rocprim17ROCPRIM_400000_NS6detail17trampoline_kernelINS0_14default_configENS1_27lower_bound_config_selectorIdlEEZNS1_14transform_implILb0ES3_S5_N6thrust23THRUST_200600_302600_NS6detail15normal_iteratorINS8_7pointerIdNS8_11hip_rocprim5par_tENS8_11use_defaultESE_EEEENSA_INSB_IlSD_SE_SE_EEEEZNS1_13binary_searchIS3_S5_PdSG_SI_NS1_21lower_bound_search_opENS9_16wrapped_functionINS8_6system6detail7generic6detail18binary_search_lessEbEEEE10hipError_tPvRmT1_T2_T3_mmT4_T5_P12ihipStream_tbEUlRKdE_EEST_SX_SY_mSZ_S12_bEUlT_E_NS1_11comp_targetILNS1_3genE3ELNS1_11target_archE908ELNS1_3gpuE7ELNS1_3repE0EEENS1_30default_config_static_selectorELNS0_4arch9wavefront6targetE1EEEvSW_
	.p2align	8
	.type	_ZN7rocprim17ROCPRIM_400000_NS6detail17trampoline_kernelINS0_14default_configENS1_27lower_bound_config_selectorIdlEEZNS1_14transform_implILb0ES3_S5_N6thrust23THRUST_200600_302600_NS6detail15normal_iteratorINS8_7pointerIdNS8_11hip_rocprim5par_tENS8_11use_defaultESE_EEEENSA_INSB_IlSD_SE_SE_EEEEZNS1_13binary_searchIS3_S5_PdSG_SI_NS1_21lower_bound_search_opENS9_16wrapped_functionINS8_6system6detail7generic6detail18binary_search_lessEbEEEE10hipError_tPvRmT1_T2_T3_mmT4_T5_P12ihipStream_tbEUlRKdE_EEST_SX_SY_mSZ_S12_bEUlT_E_NS1_11comp_targetILNS1_3genE3ELNS1_11target_archE908ELNS1_3gpuE7ELNS1_3repE0EEENS1_30default_config_static_selectorELNS0_4arch9wavefront6targetE1EEEvSW_,@function
_ZN7rocprim17ROCPRIM_400000_NS6detail17trampoline_kernelINS0_14default_configENS1_27lower_bound_config_selectorIdlEEZNS1_14transform_implILb0ES3_S5_N6thrust23THRUST_200600_302600_NS6detail15normal_iteratorINS8_7pointerIdNS8_11hip_rocprim5par_tENS8_11use_defaultESE_EEEENSA_INSB_IlSD_SE_SE_EEEEZNS1_13binary_searchIS3_S5_PdSG_SI_NS1_21lower_bound_search_opENS9_16wrapped_functionINS8_6system6detail7generic6detail18binary_search_lessEbEEEE10hipError_tPvRmT1_T2_T3_mmT4_T5_P12ihipStream_tbEUlRKdE_EEST_SX_SY_mSZ_S12_bEUlT_E_NS1_11comp_targetILNS1_3genE3ELNS1_11target_archE908ELNS1_3gpuE7ELNS1_3repE0EEENS1_30default_config_static_selectorELNS0_4arch9wavefront6targetE1EEEvSW_: ; @_ZN7rocprim17ROCPRIM_400000_NS6detail17trampoline_kernelINS0_14default_configENS1_27lower_bound_config_selectorIdlEEZNS1_14transform_implILb0ES3_S5_N6thrust23THRUST_200600_302600_NS6detail15normal_iteratorINS8_7pointerIdNS8_11hip_rocprim5par_tENS8_11use_defaultESE_EEEENSA_INSB_IlSD_SE_SE_EEEEZNS1_13binary_searchIS3_S5_PdSG_SI_NS1_21lower_bound_search_opENS9_16wrapped_functionINS8_6system6detail7generic6detail18binary_search_lessEbEEEE10hipError_tPvRmT1_T2_T3_mmT4_T5_P12ihipStream_tbEUlRKdE_EEST_SX_SY_mSZ_S12_bEUlT_E_NS1_11comp_targetILNS1_3genE3ELNS1_11target_archE908ELNS1_3gpuE7ELNS1_3repE0EEENS1_30default_config_static_selectorELNS0_4arch9wavefront6targetE1EEEvSW_
; %bb.0:
	.section	.rodata,"a",@progbits
	.p2align	6, 0x0
	.amdhsa_kernel _ZN7rocprim17ROCPRIM_400000_NS6detail17trampoline_kernelINS0_14default_configENS1_27lower_bound_config_selectorIdlEEZNS1_14transform_implILb0ES3_S5_N6thrust23THRUST_200600_302600_NS6detail15normal_iteratorINS8_7pointerIdNS8_11hip_rocprim5par_tENS8_11use_defaultESE_EEEENSA_INSB_IlSD_SE_SE_EEEEZNS1_13binary_searchIS3_S5_PdSG_SI_NS1_21lower_bound_search_opENS9_16wrapped_functionINS8_6system6detail7generic6detail18binary_search_lessEbEEEE10hipError_tPvRmT1_T2_T3_mmT4_T5_P12ihipStream_tbEUlRKdE_EEST_SX_SY_mSZ_S12_bEUlT_E_NS1_11comp_targetILNS1_3genE3ELNS1_11target_archE908ELNS1_3gpuE7ELNS1_3repE0EEENS1_30default_config_static_selectorELNS0_4arch9wavefront6targetE1EEEvSW_
		.amdhsa_group_segment_fixed_size 0
		.amdhsa_private_segment_fixed_size 0
		.amdhsa_kernarg_size 56
		.amdhsa_user_sgpr_count 6
		.amdhsa_user_sgpr_private_segment_buffer 1
		.amdhsa_user_sgpr_dispatch_ptr 0
		.amdhsa_user_sgpr_queue_ptr 0
		.amdhsa_user_sgpr_kernarg_segment_ptr 1
		.amdhsa_user_sgpr_dispatch_id 0
		.amdhsa_user_sgpr_flat_scratch_init 0
		.amdhsa_user_sgpr_private_segment_size 0
		.amdhsa_uses_dynamic_stack 0
		.amdhsa_system_sgpr_private_segment_wavefront_offset 0
		.amdhsa_system_sgpr_workgroup_id_x 1
		.amdhsa_system_sgpr_workgroup_id_y 0
		.amdhsa_system_sgpr_workgroup_id_z 0
		.amdhsa_system_sgpr_workgroup_info 0
		.amdhsa_system_vgpr_workitem_id 0
		.amdhsa_next_free_vgpr 1
		.amdhsa_next_free_sgpr 0
		.amdhsa_reserve_vcc 0
		.amdhsa_reserve_flat_scratch 0
		.amdhsa_float_round_mode_32 0
		.amdhsa_float_round_mode_16_64 0
		.amdhsa_float_denorm_mode_32 3
		.amdhsa_float_denorm_mode_16_64 3
		.amdhsa_dx10_clamp 1
		.amdhsa_ieee_mode 1
		.amdhsa_fp16_overflow 0
		.amdhsa_exception_fp_ieee_invalid_op 0
		.amdhsa_exception_fp_denorm_src 0
		.amdhsa_exception_fp_ieee_div_zero 0
		.amdhsa_exception_fp_ieee_overflow 0
		.amdhsa_exception_fp_ieee_underflow 0
		.amdhsa_exception_fp_ieee_inexact 0
		.amdhsa_exception_int_div_zero 0
	.end_amdhsa_kernel
	.section	.text._ZN7rocprim17ROCPRIM_400000_NS6detail17trampoline_kernelINS0_14default_configENS1_27lower_bound_config_selectorIdlEEZNS1_14transform_implILb0ES3_S5_N6thrust23THRUST_200600_302600_NS6detail15normal_iteratorINS8_7pointerIdNS8_11hip_rocprim5par_tENS8_11use_defaultESE_EEEENSA_INSB_IlSD_SE_SE_EEEEZNS1_13binary_searchIS3_S5_PdSG_SI_NS1_21lower_bound_search_opENS9_16wrapped_functionINS8_6system6detail7generic6detail18binary_search_lessEbEEEE10hipError_tPvRmT1_T2_T3_mmT4_T5_P12ihipStream_tbEUlRKdE_EEST_SX_SY_mSZ_S12_bEUlT_E_NS1_11comp_targetILNS1_3genE3ELNS1_11target_archE908ELNS1_3gpuE7ELNS1_3repE0EEENS1_30default_config_static_selectorELNS0_4arch9wavefront6targetE1EEEvSW_,"axG",@progbits,_ZN7rocprim17ROCPRIM_400000_NS6detail17trampoline_kernelINS0_14default_configENS1_27lower_bound_config_selectorIdlEEZNS1_14transform_implILb0ES3_S5_N6thrust23THRUST_200600_302600_NS6detail15normal_iteratorINS8_7pointerIdNS8_11hip_rocprim5par_tENS8_11use_defaultESE_EEEENSA_INSB_IlSD_SE_SE_EEEEZNS1_13binary_searchIS3_S5_PdSG_SI_NS1_21lower_bound_search_opENS9_16wrapped_functionINS8_6system6detail7generic6detail18binary_search_lessEbEEEE10hipError_tPvRmT1_T2_T3_mmT4_T5_P12ihipStream_tbEUlRKdE_EEST_SX_SY_mSZ_S12_bEUlT_E_NS1_11comp_targetILNS1_3genE3ELNS1_11target_archE908ELNS1_3gpuE7ELNS1_3repE0EEENS1_30default_config_static_selectorELNS0_4arch9wavefront6targetE1EEEvSW_,comdat
.Lfunc_end16:
	.size	_ZN7rocprim17ROCPRIM_400000_NS6detail17trampoline_kernelINS0_14default_configENS1_27lower_bound_config_selectorIdlEEZNS1_14transform_implILb0ES3_S5_N6thrust23THRUST_200600_302600_NS6detail15normal_iteratorINS8_7pointerIdNS8_11hip_rocprim5par_tENS8_11use_defaultESE_EEEENSA_INSB_IlSD_SE_SE_EEEEZNS1_13binary_searchIS3_S5_PdSG_SI_NS1_21lower_bound_search_opENS9_16wrapped_functionINS8_6system6detail7generic6detail18binary_search_lessEbEEEE10hipError_tPvRmT1_T2_T3_mmT4_T5_P12ihipStream_tbEUlRKdE_EEST_SX_SY_mSZ_S12_bEUlT_E_NS1_11comp_targetILNS1_3genE3ELNS1_11target_archE908ELNS1_3gpuE7ELNS1_3repE0EEENS1_30default_config_static_selectorELNS0_4arch9wavefront6targetE1EEEvSW_, .Lfunc_end16-_ZN7rocprim17ROCPRIM_400000_NS6detail17trampoline_kernelINS0_14default_configENS1_27lower_bound_config_selectorIdlEEZNS1_14transform_implILb0ES3_S5_N6thrust23THRUST_200600_302600_NS6detail15normal_iteratorINS8_7pointerIdNS8_11hip_rocprim5par_tENS8_11use_defaultESE_EEEENSA_INSB_IlSD_SE_SE_EEEEZNS1_13binary_searchIS3_S5_PdSG_SI_NS1_21lower_bound_search_opENS9_16wrapped_functionINS8_6system6detail7generic6detail18binary_search_lessEbEEEE10hipError_tPvRmT1_T2_T3_mmT4_T5_P12ihipStream_tbEUlRKdE_EEST_SX_SY_mSZ_S12_bEUlT_E_NS1_11comp_targetILNS1_3genE3ELNS1_11target_archE908ELNS1_3gpuE7ELNS1_3repE0EEENS1_30default_config_static_selectorELNS0_4arch9wavefront6targetE1EEEvSW_
                                        ; -- End function
	.set _ZN7rocprim17ROCPRIM_400000_NS6detail17trampoline_kernelINS0_14default_configENS1_27lower_bound_config_selectorIdlEEZNS1_14transform_implILb0ES3_S5_N6thrust23THRUST_200600_302600_NS6detail15normal_iteratorINS8_7pointerIdNS8_11hip_rocprim5par_tENS8_11use_defaultESE_EEEENSA_INSB_IlSD_SE_SE_EEEEZNS1_13binary_searchIS3_S5_PdSG_SI_NS1_21lower_bound_search_opENS9_16wrapped_functionINS8_6system6detail7generic6detail18binary_search_lessEbEEEE10hipError_tPvRmT1_T2_T3_mmT4_T5_P12ihipStream_tbEUlRKdE_EEST_SX_SY_mSZ_S12_bEUlT_E_NS1_11comp_targetILNS1_3genE3ELNS1_11target_archE908ELNS1_3gpuE7ELNS1_3repE0EEENS1_30default_config_static_selectorELNS0_4arch9wavefront6targetE1EEEvSW_.num_vgpr, 0
	.set _ZN7rocprim17ROCPRIM_400000_NS6detail17trampoline_kernelINS0_14default_configENS1_27lower_bound_config_selectorIdlEEZNS1_14transform_implILb0ES3_S5_N6thrust23THRUST_200600_302600_NS6detail15normal_iteratorINS8_7pointerIdNS8_11hip_rocprim5par_tENS8_11use_defaultESE_EEEENSA_INSB_IlSD_SE_SE_EEEEZNS1_13binary_searchIS3_S5_PdSG_SI_NS1_21lower_bound_search_opENS9_16wrapped_functionINS8_6system6detail7generic6detail18binary_search_lessEbEEEE10hipError_tPvRmT1_T2_T3_mmT4_T5_P12ihipStream_tbEUlRKdE_EEST_SX_SY_mSZ_S12_bEUlT_E_NS1_11comp_targetILNS1_3genE3ELNS1_11target_archE908ELNS1_3gpuE7ELNS1_3repE0EEENS1_30default_config_static_selectorELNS0_4arch9wavefront6targetE1EEEvSW_.num_agpr, 0
	.set _ZN7rocprim17ROCPRIM_400000_NS6detail17trampoline_kernelINS0_14default_configENS1_27lower_bound_config_selectorIdlEEZNS1_14transform_implILb0ES3_S5_N6thrust23THRUST_200600_302600_NS6detail15normal_iteratorINS8_7pointerIdNS8_11hip_rocprim5par_tENS8_11use_defaultESE_EEEENSA_INSB_IlSD_SE_SE_EEEEZNS1_13binary_searchIS3_S5_PdSG_SI_NS1_21lower_bound_search_opENS9_16wrapped_functionINS8_6system6detail7generic6detail18binary_search_lessEbEEEE10hipError_tPvRmT1_T2_T3_mmT4_T5_P12ihipStream_tbEUlRKdE_EEST_SX_SY_mSZ_S12_bEUlT_E_NS1_11comp_targetILNS1_3genE3ELNS1_11target_archE908ELNS1_3gpuE7ELNS1_3repE0EEENS1_30default_config_static_selectorELNS0_4arch9wavefront6targetE1EEEvSW_.numbered_sgpr, 0
	.set _ZN7rocprim17ROCPRIM_400000_NS6detail17trampoline_kernelINS0_14default_configENS1_27lower_bound_config_selectorIdlEEZNS1_14transform_implILb0ES3_S5_N6thrust23THRUST_200600_302600_NS6detail15normal_iteratorINS8_7pointerIdNS8_11hip_rocprim5par_tENS8_11use_defaultESE_EEEENSA_INSB_IlSD_SE_SE_EEEEZNS1_13binary_searchIS3_S5_PdSG_SI_NS1_21lower_bound_search_opENS9_16wrapped_functionINS8_6system6detail7generic6detail18binary_search_lessEbEEEE10hipError_tPvRmT1_T2_T3_mmT4_T5_P12ihipStream_tbEUlRKdE_EEST_SX_SY_mSZ_S12_bEUlT_E_NS1_11comp_targetILNS1_3genE3ELNS1_11target_archE908ELNS1_3gpuE7ELNS1_3repE0EEENS1_30default_config_static_selectorELNS0_4arch9wavefront6targetE1EEEvSW_.num_named_barrier, 0
	.set _ZN7rocprim17ROCPRIM_400000_NS6detail17trampoline_kernelINS0_14default_configENS1_27lower_bound_config_selectorIdlEEZNS1_14transform_implILb0ES3_S5_N6thrust23THRUST_200600_302600_NS6detail15normal_iteratorINS8_7pointerIdNS8_11hip_rocprim5par_tENS8_11use_defaultESE_EEEENSA_INSB_IlSD_SE_SE_EEEEZNS1_13binary_searchIS3_S5_PdSG_SI_NS1_21lower_bound_search_opENS9_16wrapped_functionINS8_6system6detail7generic6detail18binary_search_lessEbEEEE10hipError_tPvRmT1_T2_T3_mmT4_T5_P12ihipStream_tbEUlRKdE_EEST_SX_SY_mSZ_S12_bEUlT_E_NS1_11comp_targetILNS1_3genE3ELNS1_11target_archE908ELNS1_3gpuE7ELNS1_3repE0EEENS1_30default_config_static_selectorELNS0_4arch9wavefront6targetE1EEEvSW_.private_seg_size, 0
	.set _ZN7rocprim17ROCPRIM_400000_NS6detail17trampoline_kernelINS0_14default_configENS1_27lower_bound_config_selectorIdlEEZNS1_14transform_implILb0ES3_S5_N6thrust23THRUST_200600_302600_NS6detail15normal_iteratorINS8_7pointerIdNS8_11hip_rocprim5par_tENS8_11use_defaultESE_EEEENSA_INSB_IlSD_SE_SE_EEEEZNS1_13binary_searchIS3_S5_PdSG_SI_NS1_21lower_bound_search_opENS9_16wrapped_functionINS8_6system6detail7generic6detail18binary_search_lessEbEEEE10hipError_tPvRmT1_T2_T3_mmT4_T5_P12ihipStream_tbEUlRKdE_EEST_SX_SY_mSZ_S12_bEUlT_E_NS1_11comp_targetILNS1_3genE3ELNS1_11target_archE908ELNS1_3gpuE7ELNS1_3repE0EEENS1_30default_config_static_selectorELNS0_4arch9wavefront6targetE1EEEvSW_.uses_vcc, 0
	.set _ZN7rocprim17ROCPRIM_400000_NS6detail17trampoline_kernelINS0_14default_configENS1_27lower_bound_config_selectorIdlEEZNS1_14transform_implILb0ES3_S5_N6thrust23THRUST_200600_302600_NS6detail15normal_iteratorINS8_7pointerIdNS8_11hip_rocprim5par_tENS8_11use_defaultESE_EEEENSA_INSB_IlSD_SE_SE_EEEEZNS1_13binary_searchIS3_S5_PdSG_SI_NS1_21lower_bound_search_opENS9_16wrapped_functionINS8_6system6detail7generic6detail18binary_search_lessEbEEEE10hipError_tPvRmT1_T2_T3_mmT4_T5_P12ihipStream_tbEUlRKdE_EEST_SX_SY_mSZ_S12_bEUlT_E_NS1_11comp_targetILNS1_3genE3ELNS1_11target_archE908ELNS1_3gpuE7ELNS1_3repE0EEENS1_30default_config_static_selectorELNS0_4arch9wavefront6targetE1EEEvSW_.uses_flat_scratch, 0
	.set _ZN7rocprim17ROCPRIM_400000_NS6detail17trampoline_kernelINS0_14default_configENS1_27lower_bound_config_selectorIdlEEZNS1_14transform_implILb0ES3_S5_N6thrust23THRUST_200600_302600_NS6detail15normal_iteratorINS8_7pointerIdNS8_11hip_rocprim5par_tENS8_11use_defaultESE_EEEENSA_INSB_IlSD_SE_SE_EEEEZNS1_13binary_searchIS3_S5_PdSG_SI_NS1_21lower_bound_search_opENS9_16wrapped_functionINS8_6system6detail7generic6detail18binary_search_lessEbEEEE10hipError_tPvRmT1_T2_T3_mmT4_T5_P12ihipStream_tbEUlRKdE_EEST_SX_SY_mSZ_S12_bEUlT_E_NS1_11comp_targetILNS1_3genE3ELNS1_11target_archE908ELNS1_3gpuE7ELNS1_3repE0EEENS1_30default_config_static_selectorELNS0_4arch9wavefront6targetE1EEEvSW_.has_dyn_sized_stack, 0
	.set _ZN7rocprim17ROCPRIM_400000_NS6detail17trampoline_kernelINS0_14default_configENS1_27lower_bound_config_selectorIdlEEZNS1_14transform_implILb0ES3_S5_N6thrust23THRUST_200600_302600_NS6detail15normal_iteratorINS8_7pointerIdNS8_11hip_rocprim5par_tENS8_11use_defaultESE_EEEENSA_INSB_IlSD_SE_SE_EEEEZNS1_13binary_searchIS3_S5_PdSG_SI_NS1_21lower_bound_search_opENS9_16wrapped_functionINS8_6system6detail7generic6detail18binary_search_lessEbEEEE10hipError_tPvRmT1_T2_T3_mmT4_T5_P12ihipStream_tbEUlRKdE_EEST_SX_SY_mSZ_S12_bEUlT_E_NS1_11comp_targetILNS1_3genE3ELNS1_11target_archE908ELNS1_3gpuE7ELNS1_3repE0EEENS1_30default_config_static_selectorELNS0_4arch9wavefront6targetE1EEEvSW_.has_recursion, 0
	.set _ZN7rocprim17ROCPRIM_400000_NS6detail17trampoline_kernelINS0_14default_configENS1_27lower_bound_config_selectorIdlEEZNS1_14transform_implILb0ES3_S5_N6thrust23THRUST_200600_302600_NS6detail15normal_iteratorINS8_7pointerIdNS8_11hip_rocprim5par_tENS8_11use_defaultESE_EEEENSA_INSB_IlSD_SE_SE_EEEEZNS1_13binary_searchIS3_S5_PdSG_SI_NS1_21lower_bound_search_opENS9_16wrapped_functionINS8_6system6detail7generic6detail18binary_search_lessEbEEEE10hipError_tPvRmT1_T2_T3_mmT4_T5_P12ihipStream_tbEUlRKdE_EEST_SX_SY_mSZ_S12_bEUlT_E_NS1_11comp_targetILNS1_3genE3ELNS1_11target_archE908ELNS1_3gpuE7ELNS1_3repE0EEENS1_30default_config_static_selectorELNS0_4arch9wavefront6targetE1EEEvSW_.has_indirect_call, 0
	.section	.AMDGPU.csdata,"",@progbits
; Kernel info:
; codeLenInByte = 0
; TotalNumSgprs: 4
; NumVgprs: 0
; ScratchSize: 0
; MemoryBound: 0
; FloatMode: 240
; IeeeMode: 1
; LDSByteSize: 0 bytes/workgroup (compile time only)
; SGPRBlocks: 0
; VGPRBlocks: 0
; NumSGPRsForWavesPerEU: 4
; NumVGPRsForWavesPerEU: 1
; Occupancy: 10
; WaveLimiterHint : 0
; COMPUTE_PGM_RSRC2:SCRATCH_EN: 0
; COMPUTE_PGM_RSRC2:USER_SGPR: 6
; COMPUTE_PGM_RSRC2:TRAP_HANDLER: 0
; COMPUTE_PGM_RSRC2:TGID_X_EN: 1
; COMPUTE_PGM_RSRC2:TGID_Y_EN: 0
; COMPUTE_PGM_RSRC2:TGID_Z_EN: 0
; COMPUTE_PGM_RSRC2:TIDIG_COMP_CNT: 0
	.section	.text._ZN7rocprim17ROCPRIM_400000_NS6detail17trampoline_kernelINS0_14default_configENS1_27lower_bound_config_selectorIdlEEZNS1_14transform_implILb0ES3_S5_N6thrust23THRUST_200600_302600_NS6detail15normal_iteratorINS8_7pointerIdNS8_11hip_rocprim5par_tENS8_11use_defaultESE_EEEENSA_INSB_IlSD_SE_SE_EEEEZNS1_13binary_searchIS3_S5_PdSG_SI_NS1_21lower_bound_search_opENS9_16wrapped_functionINS8_6system6detail7generic6detail18binary_search_lessEbEEEE10hipError_tPvRmT1_T2_T3_mmT4_T5_P12ihipStream_tbEUlRKdE_EEST_SX_SY_mSZ_S12_bEUlT_E_NS1_11comp_targetILNS1_3genE2ELNS1_11target_archE906ELNS1_3gpuE6ELNS1_3repE0EEENS1_30default_config_static_selectorELNS0_4arch9wavefront6targetE1EEEvSW_,"axG",@progbits,_ZN7rocprim17ROCPRIM_400000_NS6detail17trampoline_kernelINS0_14default_configENS1_27lower_bound_config_selectorIdlEEZNS1_14transform_implILb0ES3_S5_N6thrust23THRUST_200600_302600_NS6detail15normal_iteratorINS8_7pointerIdNS8_11hip_rocprim5par_tENS8_11use_defaultESE_EEEENSA_INSB_IlSD_SE_SE_EEEEZNS1_13binary_searchIS3_S5_PdSG_SI_NS1_21lower_bound_search_opENS9_16wrapped_functionINS8_6system6detail7generic6detail18binary_search_lessEbEEEE10hipError_tPvRmT1_T2_T3_mmT4_T5_P12ihipStream_tbEUlRKdE_EEST_SX_SY_mSZ_S12_bEUlT_E_NS1_11comp_targetILNS1_3genE2ELNS1_11target_archE906ELNS1_3gpuE6ELNS1_3repE0EEENS1_30default_config_static_selectorELNS0_4arch9wavefront6targetE1EEEvSW_,comdat
	.protected	_ZN7rocprim17ROCPRIM_400000_NS6detail17trampoline_kernelINS0_14default_configENS1_27lower_bound_config_selectorIdlEEZNS1_14transform_implILb0ES3_S5_N6thrust23THRUST_200600_302600_NS6detail15normal_iteratorINS8_7pointerIdNS8_11hip_rocprim5par_tENS8_11use_defaultESE_EEEENSA_INSB_IlSD_SE_SE_EEEEZNS1_13binary_searchIS3_S5_PdSG_SI_NS1_21lower_bound_search_opENS9_16wrapped_functionINS8_6system6detail7generic6detail18binary_search_lessEbEEEE10hipError_tPvRmT1_T2_T3_mmT4_T5_P12ihipStream_tbEUlRKdE_EEST_SX_SY_mSZ_S12_bEUlT_E_NS1_11comp_targetILNS1_3genE2ELNS1_11target_archE906ELNS1_3gpuE6ELNS1_3repE0EEENS1_30default_config_static_selectorELNS0_4arch9wavefront6targetE1EEEvSW_ ; -- Begin function _ZN7rocprim17ROCPRIM_400000_NS6detail17trampoline_kernelINS0_14default_configENS1_27lower_bound_config_selectorIdlEEZNS1_14transform_implILb0ES3_S5_N6thrust23THRUST_200600_302600_NS6detail15normal_iteratorINS8_7pointerIdNS8_11hip_rocprim5par_tENS8_11use_defaultESE_EEEENSA_INSB_IlSD_SE_SE_EEEEZNS1_13binary_searchIS3_S5_PdSG_SI_NS1_21lower_bound_search_opENS9_16wrapped_functionINS8_6system6detail7generic6detail18binary_search_lessEbEEEE10hipError_tPvRmT1_T2_T3_mmT4_T5_P12ihipStream_tbEUlRKdE_EEST_SX_SY_mSZ_S12_bEUlT_E_NS1_11comp_targetILNS1_3genE2ELNS1_11target_archE906ELNS1_3gpuE6ELNS1_3repE0EEENS1_30default_config_static_selectorELNS0_4arch9wavefront6targetE1EEEvSW_
	.globl	_ZN7rocprim17ROCPRIM_400000_NS6detail17trampoline_kernelINS0_14default_configENS1_27lower_bound_config_selectorIdlEEZNS1_14transform_implILb0ES3_S5_N6thrust23THRUST_200600_302600_NS6detail15normal_iteratorINS8_7pointerIdNS8_11hip_rocprim5par_tENS8_11use_defaultESE_EEEENSA_INSB_IlSD_SE_SE_EEEEZNS1_13binary_searchIS3_S5_PdSG_SI_NS1_21lower_bound_search_opENS9_16wrapped_functionINS8_6system6detail7generic6detail18binary_search_lessEbEEEE10hipError_tPvRmT1_T2_T3_mmT4_T5_P12ihipStream_tbEUlRKdE_EEST_SX_SY_mSZ_S12_bEUlT_E_NS1_11comp_targetILNS1_3genE2ELNS1_11target_archE906ELNS1_3gpuE6ELNS1_3repE0EEENS1_30default_config_static_selectorELNS0_4arch9wavefront6targetE1EEEvSW_
	.p2align	8
	.type	_ZN7rocprim17ROCPRIM_400000_NS6detail17trampoline_kernelINS0_14default_configENS1_27lower_bound_config_selectorIdlEEZNS1_14transform_implILb0ES3_S5_N6thrust23THRUST_200600_302600_NS6detail15normal_iteratorINS8_7pointerIdNS8_11hip_rocprim5par_tENS8_11use_defaultESE_EEEENSA_INSB_IlSD_SE_SE_EEEEZNS1_13binary_searchIS3_S5_PdSG_SI_NS1_21lower_bound_search_opENS9_16wrapped_functionINS8_6system6detail7generic6detail18binary_search_lessEbEEEE10hipError_tPvRmT1_T2_T3_mmT4_T5_P12ihipStream_tbEUlRKdE_EEST_SX_SY_mSZ_S12_bEUlT_E_NS1_11comp_targetILNS1_3genE2ELNS1_11target_archE906ELNS1_3gpuE6ELNS1_3repE0EEENS1_30default_config_static_selectorELNS0_4arch9wavefront6targetE1EEEvSW_,@function
_ZN7rocprim17ROCPRIM_400000_NS6detail17trampoline_kernelINS0_14default_configENS1_27lower_bound_config_selectorIdlEEZNS1_14transform_implILb0ES3_S5_N6thrust23THRUST_200600_302600_NS6detail15normal_iteratorINS8_7pointerIdNS8_11hip_rocprim5par_tENS8_11use_defaultESE_EEEENSA_INSB_IlSD_SE_SE_EEEEZNS1_13binary_searchIS3_S5_PdSG_SI_NS1_21lower_bound_search_opENS9_16wrapped_functionINS8_6system6detail7generic6detail18binary_search_lessEbEEEE10hipError_tPvRmT1_T2_T3_mmT4_T5_P12ihipStream_tbEUlRKdE_EEST_SX_SY_mSZ_S12_bEUlT_E_NS1_11comp_targetILNS1_3genE2ELNS1_11target_archE906ELNS1_3gpuE6ELNS1_3repE0EEENS1_30default_config_static_selectorELNS0_4arch9wavefront6targetE1EEEvSW_: ; @_ZN7rocprim17ROCPRIM_400000_NS6detail17trampoline_kernelINS0_14default_configENS1_27lower_bound_config_selectorIdlEEZNS1_14transform_implILb0ES3_S5_N6thrust23THRUST_200600_302600_NS6detail15normal_iteratorINS8_7pointerIdNS8_11hip_rocprim5par_tENS8_11use_defaultESE_EEEENSA_INSB_IlSD_SE_SE_EEEEZNS1_13binary_searchIS3_S5_PdSG_SI_NS1_21lower_bound_search_opENS9_16wrapped_functionINS8_6system6detail7generic6detail18binary_search_lessEbEEEE10hipError_tPvRmT1_T2_T3_mmT4_T5_P12ihipStream_tbEUlRKdE_EEST_SX_SY_mSZ_S12_bEUlT_E_NS1_11comp_targetILNS1_3genE2ELNS1_11target_archE906ELNS1_3gpuE6ELNS1_3repE0EEENS1_30default_config_static_selectorELNS0_4arch9wavefront6targetE1EEEvSW_
; %bb.0:
	s_load_dwordx4 s[0:3], s[4:5], 0x0
	s_load_dwordx4 s[8:11], s[4:5], 0x18
	s_load_dwordx2 s[12:13], s[4:5], 0x28
	s_load_dword s17, s[4:5], 0x38
	s_waitcnt lgkmcnt(0)
	s_lshl_b64 s[2:3], s[2:3], 3
	s_add_u32 s7, s0, s2
	s_addc_u32 s16, s1, s3
	s_add_u32 s14, s8, s2
	s_addc_u32 s15, s9, s3
	s_lshl_b32 s8, s6, 8
	s_add_i32 s17, s17, -1
	s_mov_b32 s9, 0
	s_cmp_lg_u32 s6, s17
	s_mov_b64 s[0:1], -1
	s_cbranch_scc0 .LBB17_7
; %bb.1:
	s_cmp_eq_u64 s[12:13], 0
	s_mov_b64 s[2:3], 0
	s_cbranch_scc1 .LBB17_5
; %bb.2:
	s_lshl_b64 s[0:1], s[8:9], 3
	s_add_u32 s0, s7, s0
	s_addc_u32 s1, s16, s1
	v_lshlrev_b32_e32 v1, 3, v0
	v_mov_b32_e32 v2, s1
	v_add_co_u32_e32 v1, vcc, s0, v1
	v_addc_co_u32_e32 v2, vcc, 0, v2, vcc
	flat_load_dwordx2 v[3:4], v[1:2]
	v_mov_b32_e32 v1, 0
	v_mov_b32_e32 v5, s12
	;; [unrolled: 1-line block ×5, first 2 shown]
.LBB17_3:                               ; =>This Inner Loop Header: Depth=1
	v_sub_co_u32_e32 v8, vcc, v5, v1
	v_subb_co_u32_e32 v9, vcc, v6, v2, vcc
	v_lshrrev_b64 v[10:11], 1, v[8:9]
	v_lshrrev_b64 v[8:9], 6, v[8:9]
	v_add_co_u32_e32 v10, vcc, v10, v1
	v_addc_co_u32_e32 v11, vcc, v11, v2, vcc
	v_add_co_u32_e32 v8, vcc, v10, v8
	v_addc_co_u32_e32 v9, vcc, v11, v9, vcc
	v_lshlrev_b64 v[10:11], 3, v[8:9]
	v_add_co_u32_e32 v10, vcc, s10, v10
	v_addc_co_u32_e32 v11, vcc, v7, v11, vcc
	global_load_dwordx2 v[10:11], v[10:11], off
	s_waitcnt vmcnt(0) lgkmcnt(0)
	v_cmp_lt_f64_e32 vcc, v[10:11], v[3:4]
	v_add_co_u32_e64 v10, s[0:1], 1, v8
	v_addc_co_u32_e64 v11, s[0:1], 0, v9, s[0:1]
	v_cndmask_b32_e32 v6, v9, v6, vcc
	v_cndmask_b32_e32 v5, v8, v5, vcc
	;; [unrolled: 1-line block ×4, first 2 shown]
	v_cmp_ge_u64_e32 vcc, v[1:2], v[5:6]
	s_or_b64 s[2:3], vcc, s[2:3]
	s_andn2_b64 exec, exec, s[2:3]
	s_cbranch_execnz .LBB17_3
; %bb.4:
	s_or_b64 exec, exec, s[2:3]
	s_branch .LBB17_6
.LBB17_5:
	v_mov_b32_e32 v1, 0
	v_mov_b32_e32 v2, 0
.LBB17_6:
	s_lshl_b64 s[0:1], s[8:9], 3
	s_add_u32 s0, s14, s0
	s_addc_u32 s1, s15, s1
	v_lshlrev_b32_e32 v3, 3, v0
	v_mov_b32_e32 v4, s1
	v_add_co_u32_e32 v3, vcc, s0, v3
	v_addc_co_u32_e32 v4, vcc, 0, v4, vcc
	s_mov_b64 s[0:1], 0
	flat_store_dwordx2 v[3:4], v[1:2]
.LBB17_7:
	s_and_b64 vcc, exec, s[0:1]
	s_cbranch_vccz .LBB17_16
; %bb.8:
	s_load_dword s0, s[4:5], 0x10
                                        ; implicit-def: $vgpr3_vgpr4
	s_waitcnt lgkmcnt(0)
	s_sub_i32 s2, s0, s8
	v_cmp_le_u32_e64 s[0:1], s2, v0
	v_cmp_gt_u32_e32 vcc, s2, v0
	s_and_saveexec_b64 s[4:5], vcc
	s_cbranch_execz .LBB17_10
; %bb.9:
	s_lshl_b64 s[2:3], s[8:9], 3
	s_add_u32 s2, s7, s2
	s_addc_u32 s3, s16, s3
	v_lshlrev_b32_e32 v1, 3, v0
	v_mov_b32_e32 v2, s3
	v_add_co_u32_e64 v1, s[2:3], s2, v1
	v_addc_co_u32_e64 v2, s[2:3], 0, v2, s[2:3]
	flat_load_dwordx2 v[3:4], v[1:2]
.LBB17_10:
	s_or_b64 exec, exec, s[4:5]
	s_cmp_lg_u64 s[12:13], 0
	s_cselect_b64 s[2:3], -1, 0
	s_xor_b64 s[0:1], s[0:1], -1
	v_mov_b32_e32 v1, 0
	s_mov_b64 s[4:5], 0
	v_mov_b32_e32 v2, 0
	s_and_b64 s[0:1], s[0:1], s[2:3]
	s_and_saveexec_b64 s[6:7], s[0:1]
	s_cbranch_execz .LBB17_14
; %bb.11:
	v_mov_b32_e32 v1, 0
	v_mov_b32_e32 v5, s12
	;; [unrolled: 1-line block ×5, first 2 shown]
.LBB17_12:                              ; =>This Inner Loop Header: Depth=1
	v_sub_co_u32_e64 v8, s[0:1], v5, v1
	v_subb_co_u32_e64 v9, s[0:1], v6, v2, s[0:1]
	v_lshrrev_b64 v[10:11], 1, v[8:9]
	v_lshrrev_b64 v[8:9], 6, v[8:9]
	v_add_co_u32_e64 v10, s[0:1], v10, v1
	v_addc_co_u32_e64 v11, s[0:1], v11, v2, s[0:1]
	v_add_co_u32_e64 v8, s[0:1], v10, v8
	v_addc_co_u32_e64 v9, s[0:1], v11, v9, s[0:1]
	v_lshlrev_b64 v[10:11], 3, v[8:9]
	v_add_co_u32_e64 v10, s[0:1], s10, v10
	v_addc_co_u32_e64 v11, s[0:1], v7, v11, s[0:1]
	global_load_dwordx2 v[10:11], v[10:11], off
	s_waitcnt vmcnt(0) lgkmcnt(0)
	v_cmp_lt_f64_e64 s[0:1], v[10:11], v[3:4]
	v_add_co_u32_e64 v10, s[2:3], 1, v8
	v_addc_co_u32_e64 v11, s[2:3], 0, v9, s[2:3]
	v_cndmask_b32_e64 v6, v9, v6, s[0:1]
	v_cndmask_b32_e64 v5, v8, v5, s[0:1]
	;; [unrolled: 1-line block ×4, first 2 shown]
	v_cmp_ge_u64_e64 s[0:1], v[1:2], v[5:6]
	s_or_b64 s[4:5], s[0:1], s[4:5]
	s_andn2_b64 exec, exec, s[4:5]
	s_cbranch_execnz .LBB17_12
; %bb.13:
	s_or_b64 exec, exec, s[4:5]
.LBB17_14:
	s_or_b64 exec, exec, s[6:7]
	s_and_saveexec_b64 s[0:1], vcc
	s_cbranch_execz .LBB17_16
; %bb.15:
	s_lshl_b64 s[0:1], s[8:9], 3
	s_add_u32 s0, s14, s0
	s_addc_u32 s1, s15, s1
	v_lshlrev_b32_e32 v0, 3, v0
	s_waitcnt vmcnt(0) lgkmcnt(0)
	v_mov_b32_e32 v4, s1
	v_add_co_u32_e32 v3, vcc, s0, v0
	v_addc_co_u32_e32 v4, vcc, 0, v4, vcc
	flat_store_dwordx2 v[3:4], v[1:2]
.LBB17_16:
	s_endpgm
	.section	.rodata,"a",@progbits
	.p2align	6, 0x0
	.amdhsa_kernel _ZN7rocprim17ROCPRIM_400000_NS6detail17trampoline_kernelINS0_14default_configENS1_27lower_bound_config_selectorIdlEEZNS1_14transform_implILb0ES3_S5_N6thrust23THRUST_200600_302600_NS6detail15normal_iteratorINS8_7pointerIdNS8_11hip_rocprim5par_tENS8_11use_defaultESE_EEEENSA_INSB_IlSD_SE_SE_EEEEZNS1_13binary_searchIS3_S5_PdSG_SI_NS1_21lower_bound_search_opENS9_16wrapped_functionINS8_6system6detail7generic6detail18binary_search_lessEbEEEE10hipError_tPvRmT1_T2_T3_mmT4_T5_P12ihipStream_tbEUlRKdE_EEST_SX_SY_mSZ_S12_bEUlT_E_NS1_11comp_targetILNS1_3genE2ELNS1_11target_archE906ELNS1_3gpuE6ELNS1_3repE0EEENS1_30default_config_static_selectorELNS0_4arch9wavefront6targetE1EEEvSW_
		.amdhsa_group_segment_fixed_size 0
		.amdhsa_private_segment_fixed_size 0
		.amdhsa_kernarg_size 312
		.amdhsa_user_sgpr_count 6
		.amdhsa_user_sgpr_private_segment_buffer 1
		.amdhsa_user_sgpr_dispatch_ptr 0
		.amdhsa_user_sgpr_queue_ptr 0
		.amdhsa_user_sgpr_kernarg_segment_ptr 1
		.amdhsa_user_sgpr_dispatch_id 0
		.amdhsa_user_sgpr_flat_scratch_init 0
		.amdhsa_user_sgpr_private_segment_size 0
		.amdhsa_uses_dynamic_stack 0
		.amdhsa_system_sgpr_private_segment_wavefront_offset 0
		.amdhsa_system_sgpr_workgroup_id_x 1
		.amdhsa_system_sgpr_workgroup_id_y 0
		.amdhsa_system_sgpr_workgroup_id_z 0
		.amdhsa_system_sgpr_workgroup_info 0
		.amdhsa_system_vgpr_workitem_id 0
		.amdhsa_next_free_vgpr 12
		.amdhsa_next_free_sgpr 18
		.amdhsa_reserve_vcc 1
		.amdhsa_reserve_flat_scratch 0
		.amdhsa_float_round_mode_32 0
		.amdhsa_float_round_mode_16_64 0
		.amdhsa_float_denorm_mode_32 3
		.amdhsa_float_denorm_mode_16_64 3
		.amdhsa_dx10_clamp 1
		.amdhsa_ieee_mode 1
		.amdhsa_fp16_overflow 0
		.amdhsa_exception_fp_ieee_invalid_op 0
		.amdhsa_exception_fp_denorm_src 0
		.amdhsa_exception_fp_ieee_div_zero 0
		.amdhsa_exception_fp_ieee_overflow 0
		.amdhsa_exception_fp_ieee_underflow 0
		.amdhsa_exception_fp_ieee_inexact 0
		.amdhsa_exception_int_div_zero 0
	.end_amdhsa_kernel
	.section	.text._ZN7rocprim17ROCPRIM_400000_NS6detail17trampoline_kernelINS0_14default_configENS1_27lower_bound_config_selectorIdlEEZNS1_14transform_implILb0ES3_S5_N6thrust23THRUST_200600_302600_NS6detail15normal_iteratorINS8_7pointerIdNS8_11hip_rocprim5par_tENS8_11use_defaultESE_EEEENSA_INSB_IlSD_SE_SE_EEEEZNS1_13binary_searchIS3_S5_PdSG_SI_NS1_21lower_bound_search_opENS9_16wrapped_functionINS8_6system6detail7generic6detail18binary_search_lessEbEEEE10hipError_tPvRmT1_T2_T3_mmT4_T5_P12ihipStream_tbEUlRKdE_EEST_SX_SY_mSZ_S12_bEUlT_E_NS1_11comp_targetILNS1_3genE2ELNS1_11target_archE906ELNS1_3gpuE6ELNS1_3repE0EEENS1_30default_config_static_selectorELNS0_4arch9wavefront6targetE1EEEvSW_,"axG",@progbits,_ZN7rocprim17ROCPRIM_400000_NS6detail17trampoline_kernelINS0_14default_configENS1_27lower_bound_config_selectorIdlEEZNS1_14transform_implILb0ES3_S5_N6thrust23THRUST_200600_302600_NS6detail15normal_iteratorINS8_7pointerIdNS8_11hip_rocprim5par_tENS8_11use_defaultESE_EEEENSA_INSB_IlSD_SE_SE_EEEEZNS1_13binary_searchIS3_S5_PdSG_SI_NS1_21lower_bound_search_opENS9_16wrapped_functionINS8_6system6detail7generic6detail18binary_search_lessEbEEEE10hipError_tPvRmT1_T2_T3_mmT4_T5_P12ihipStream_tbEUlRKdE_EEST_SX_SY_mSZ_S12_bEUlT_E_NS1_11comp_targetILNS1_3genE2ELNS1_11target_archE906ELNS1_3gpuE6ELNS1_3repE0EEENS1_30default_config_static_selectorELNS0_4arch9wavefront6targetE1EEEvSW_,comdat
.Lfunc_end17:
	.size	_ZN7rocprim17ROCPRIM_400000_NS6detail17trampoline_kernelINS0_14default_configENS1_27lower_bound_config_selectorIdlEEZNS1_14transform_implILb0ES3_S5_N6thrust23THRUST_200600_302600_NS6detail15normal_iteratorINS8_7pointerIdNS8_11hip_rocprim5par_tENS8_11use_defaultESE_EEEENSA_INSB_IlSD_SE_SE_EEEEZNS1_13binary_searchIS3_S5_PdSG_SI_NS1_21lower_bound_search_opENS9_16wrapped_functionINS8_6system6detail7generic6detail18binary_search_lessEbEEEE10hipError_tPvRmT1_T2_T3_mmT4_T5_P12ihipStream_tbEUlRKdE_EEST_SX_SY_mSZ_S12_bEUlT_E_NS1_11comp_targetILNS1_3genE2ELNS1_11target_archE906ELNS1_3gpuE6ELNS1_3repE0EEENS1_30default_config_static_selectorELNS0_4arch9wavefront6targetE1EEEvSW_, .Lfunc_end17-_ZN7rocprim17ROCPRIM_400000_NS6detail17trampoline_kernelINS0_14default_configENS1_27lower_bound_config_selectorIdlEEZNS1_14transform_implILb0ES3_S5_N6thrust23THRUST_200600_302600_NS6detail15normal_iteratorINS8_7pointerIdNS8_11hip_rocprim5par_tENS8_11use_defaultESE_EEEENSA_INSB_IlSD_SE_SE_EEEEZNS1_13binary_searchIS3_S5_PdSG_SI_NS1_21lower_bound_search_opENS9_16wrapped_functionINS8_6system6detail7generic6detail18binary_search_lessEbEEEE10hipError_tPvRmT1_T2_T3_mmT4_T5_P12ihipStream_tbEUlRKdE_EEST_SX_SY_mSZ_S12_bEUlT_E_NS1_11comp_targetILNS1_3genE2ELNS1_11target_archE906ELNS1_3gpuE6ELNS1_3repE0EEENS1_30default_config_static_selectorELNS0_4arch9wavefront6targetE1EEEvSW_
                                        ; -- End function
	.set _ZN7rocprim17ROCPRIM_400000_NS6detail17trampoline_kernelINS0_14default_configENS1_27lower_bound_config_selectorIdlEEZNS1_14transform_implILb0ES3_S5_N6thrust23THRUST_200600_302600_NS6detail15normal_iteratorINS8_7pointerIdNS8_11hip_rocprim5par_tENS8_11use_defaultESE_EEEENSA_INSB_IlSD_SE_SE_EEEEZNS1_13binary_searchIS3_S5_PdSG_SI_NS1_21lower_bound_search_opENS9_16wrapped_functionINS8_6system6detail7generic6detail18binary_search_lessEbEEEE10hipError_tPvRmT1_T2_T3_mmT4_T5_P12ihipStream_tbEUlRKdE_EEST_SX_SY_mSZ_S12_bEUlT_E_NS1_11comp_targetILNS1_3genE2ELNS1_11target_archE906ELNS1_3gpuE6ELNS1_3repE0EEENS1_30default_config_static_selectorELNS0_4arch9wavefront6targetE1EEEvSW_.num_vgpr, 12
	.set _ZN7rocprim17ROCPRIM_400000_NS6detail17trampoline_kernelINS0_14default_configENS1_27lower_bound_config_selectorIdlEEZNS1_14transform_implILb0ES3_S5_N6thrust23THRUST_200600_302600_NS6detail15normal_iteratorINS8_7pointerIdNS8_11hip_rocprim5par_tENS8_11use_defaultESE_EEEENSA_INSB_IlSD_SE_SE_EEEEZNS1_13binary_searchIS3_S5_PdSG_SI_NS1_21lower_bound_search_opENS9_16wrapped_functionINS8_6system6detail7generic6detail18binary_search_lessEbEEEE10hipError_tPvRmT1_T2_T3_mmT4_T5_P12ihipStream_tbEUlRKdE_EEST_SX_SY_mSZ_S12_bEUlT_E_NS1_11comp_targetILNS1_3genE2ELNS1_11target_archE906ELNS1_3gpuE6ELNS1_3repE0EEENS1_30default_config_static_selectorELNS0_4arch9wavefront6targetE1EEEvSW_.num_agpr, 0
	.set _ZN7rocprim17ROCPRIM_400000_NS6detail17trampoline_kernelINS0_14default_configENS1_27lower_bound_config_selectorIdlEEZNS1_14transform_implILb0ES3_S5_N6thrust23THRUST_200600_302600_NS6detail15normal_iteratorINS8_7pointerIdNS8_11hip_rocprim5par_tENS8_11use_defaultESE_EEEENSA_INSB_IlSD_SE_SE_EEEEZNS1_13binary_searchIS3_S5_PdSG_SI_NS1_21lower_bound_search_opENS9_16wrapped_functionINS8_6system6detail7generic6detail18binary_search_lessEbEEEE10hipError_tPvRmT1_T2_T3_mmT4_T5_P12ihipStream_tbEUlRKdE_EEST_SX_SY_mSZ_S12_bEUlT_E_NS1_11comp_targetILNS1_3genE2ELNS1_11target_archE906ELNS1_3gpuE6ELNS1_3repE0EEENS1_30default_config_static_selectorELNS0_4arch9wavefront6targetE1EEEvSW_.numbered_sgpr, 18
	.set _ZN7rocprim17ROCPRIM_400000_NS6detail17trampoline_kernelINS0_14default_configENS1_27lower_bound_config_selectorIdlEEZNS1_14transform_implILb0ES3_S5_N6thrust23THRUST_200600_302600_NS6detail15normal_iteratorINS8_7pointerIdNS8_11hip_rocprim5par_tENS8_11use_defaultESE_EEEENSA_INSB_IlSD_SE_SE_EEEEZNS1_13binary_searchIS3_S5_PdSG_SI_NS1_21lower_bound_search_opENS9_16wrapped_functionINS8_6system6detail7generic6detail18binary_search_lessEbEEEE10hipError_tPvRmT1_T2_T3_mmT4_T5_P12ihipStream_tbEUlRKdE_EEST_SX_SY_mSZ_S12_bEUlT_E_NS1_11comp_targetILNS1_3genE2ELNS1_11target_archE906ELNS1_3gpuE6ELNS1_3repE0EEENS1_30default_config_static_selectorELNS0_4arch9wavefront6targetE1EEEvSW_.num_named_barrier, 0
	.set _ZN7rocprim17ROCPRIM_400000_NS6detail17trampoline_kernelINS0_14default_configENS1_27lower_bound_config_selectorIdlEEZNS1_14transform_implILb0ES3_S5_N6thrust23THRUST_200600_302600_NS6detail15normal_iteratorINS8_7pointerIdNS8_11hip_rocprim5par_tENS8_11use_defaultESE_EEEENSA_INSB_IlSD_SE_SE_EEEEZNS1_13binary_searchIS3_S5_PdSG_SI_NS1_21lower_bound_search_opENS9_16wrapped_functionINS8_6system6detail7generic6detail18binary_search_lessEbEEEE10hipError_tPvRmT1_T2_T3_mmT4_T5_P12ihipStream_tbEUlRKdE_EEST_SX_SY_mSZ_S12_bEUlT_E_NS1_11comp_targetILNS1_3genE2ELNS1_11target_archE906ELNS1_3gpuE6ELNS1_3repE0EEENS1_30default_config_static_selectorELNS0_4arch9wavefront6targetE1EEEvSW_.private_seg_size, 0
	.set _ZN7rocprim17ROCPRIM_400000_NS6detail17trampoline_kernelINS0_14default_configENS1_27lower_bound_config_selectorIdlEEZNS1_14transform_implILb0ES3_S5_N6thrust23THRUST_200600_302600_NS6detail15normal_iteratorINS8_7pointerIdNS8_11hip_rocprim5par_tENS8_11use_defaultESE_EEEENSA_INSB_IlSD_SE_SE_EEEEZNS1_13binary_searchIS3_S5_PdSG_SI_NS1_21lower_bound_search_opENS9_16wrapped_functionINS8_6system6detail7generic6detail18binary_search_lessEbEEEE10hipError_tPvRmT1_T2_T3_mmT4_T5_P12ihipStream_tbEUlRKdE_EEST_SX_SY_mSZ_S12_bEUlT_E_NS1_11comp_targetILNS1_3genE2ELNS1_11target_archE906ELNS1_3gpuE6ELNS1_3repE0EEENS1_30default_config_static_selectorELNS0_4arch9wavefront6targetE1EEEvSW_.uses_vcc, 1
	.set _ZN7rocprim17ROCPRIM_400000_NS6detail17trampoline_kernelINS0_14default_configENS1_27lower_bound_config_selectorIdlEEZNS1_14transform_implILb0ES3_S5_N6thrust23THRUST_200600_302600_NS6detail15normal_iteratorINS8_7pointerIdNS8_11hip_rocprim5par_tENS8_11use_defaultESE_EEEENSA_INSB_IlSD_SE_SE_EEEEZNS1_13binary_searchIS3_S5_PdSG_SI_NS1_21lower_bound_search_opENS9_16wrapped_functionINS8_6system6detail7generic6detail18binary_search_lessEbEEEE10hipError_tPvRmT1_T2_T3_mmT4_T5_P12ihipStream_tbEUlRKdE_EEST_SX_SY_mSZ_S12_bEUlT_E_NS1_11comp_targetILNS1_3genE2ELNS1_11target_archE906ELNS1_3gpuE6ELNS1_3repE0EEENS1_30default_config_static_selectorELNS0_4arch9wavefront6targetE1EEEvSW_.uses_flat_scratch, 0
	.set _ZN7rocprim17ROCPRIM_400000_NS6detail17trampoline_kernelINS0_14default_configENS1_27lower_bound_config_selectorIdlEEZNS1_14transform_implILb0ES3_S5_N6thrust23THRUST_200600_302600_NS6detail15normal_iteratorINS8_7pointerIdNS8_11hip_rocprim5par_tENS8_11use_defaultESE_EEEENSA_INSB_IlSD_SE_SE_EEEEZNS1_13binary_searchIS3_S5_PdSG_SI_NS1_21lower_bound_search_opENS9_16wrapped_functionINS8_6system6detail7generic6detail18binary_search_lessEbEEEE10hipError_tPvRmT1_T2_T3_mmT4_T5_P12ihipStream_tbEUlRKdE_EEST_SX_SY_mSZ_S12_bEUlT_E_NS1_11comp_targetILNS1_3genE2ELNS1_11target_archE906ELNS1_3gpuE6ELNS1_3repE0EEENS1_30default_config_static_selectorELNS0_4arch9wavefront6targetE1EEEvSW_.has_dyn_sized_stack, 0
	.set _ZN7rocprim17ROCPRIM_400000_NS6detail17trampoline_kernelINS0_14default_configENS1_27lower_bound_config_selectorIdlEEZNS1_14transform_implILb0ES3_S5_N6thrust23THRUST_200600_302600_NS6detail15normal_iteratorINS8_7pointerIdNS8_11hip_rocprim5par_tENS8_11use_defaultESE_EEEENSA_INSB_IlSD_SE_SE_EEEEZNS1_13binary_searchIS3_S5_PdSG_SI_NS1_21lower_bound_search_opENS9_16wrapped_functionINS8_6system6detail7generic6detail18binary_search_lessEbEEEE10hipError_tPvRmT1_T2_T3_mmT4_T5_P12ihipStream_tbEUlRKdE_EEST_SX_SY_mSZ_S12_bEUlT_E_NS1_11comp_targetILNS1_3genE2ELNS1_11target_archE906ELNS1_3gpuE6ELNS1_3repE0EEENS1_30default_config_static_selectorELNS0_4arch9wavefront6targetE1EEEvSW_.has_recursion, 0
	.set _ZN7rocprim17ROCPRIM_400000_NS6detail17trampoline_kernelINS0_14default_configENS1_27lower_bound_config_selectorIdlEEZNS1_14transform_implILb0ES3_S5_N6thrust23THRUST_200600_302600_NS6detail15normal_iteratorINS8_7pointerIdNS8_11hip_rocprim5par_tENS8_11use_defaultESE_EEEENSA_INSB_IlSD_SE_SE_EEEEZNS1_13binary_searchIS3_S5_PdSG_SI_NS1_21lower_bound_search_opENS9_16wrapped_functionINS8_6system6detail7generic6detail18binary_search_lessEbEEEE10hipError_tPvRmT1_T2_T3_mmT4_T5_P12ihipStream_tbEUlRKdE_EEST_SX_SY_mSZ_S12_bEUlT_E_NS1_11comp_targetILNS1_3genE2ELNS1_11target_archE906ELNS1_3gpuE6ELNS1_3repE0EEENS1_30default_config_static_selectorELNS0_4arch9wavefront6targetE1EEEvSW_.has_indirect_call, 0
	.section	.AMDGPU.csdata,"",@progbits
; Kernel info:
; codeLenInByte = 708
; TotalNumSgprs: 22
; NumVgprs: 12
; ScratchSize: 0
; MemoryBound: 0
; FloatMode: 240
; IeeeMode: 1
; LDSByteSize: 0 bytes/workgroup (compile time only)
; SGPRBlocks: 2
; VGPRBlocks: 2
; NumSGPRsForWavesPerEU: 22
; NumVGPRsForWavesPerEU: 12
; Occupancy: 10
; WaveLimiterHint : 0
; COMPUTE_PGM_RSRC2:SCRATCH_EN: 0
; COMPUTE_PGM_RSRC2:USER_SGPR: 6
; COMPUTE_PGM_RSRC2:TRAP_HANDLER: 0
; COMPUTE_PGM_RSRC2:TGID_X_EN: 1
; COMPUTE_PGM_RSRC2:TGID_Y_EN: 0
; COMPUTE_PGM_RSRC2:TGID_Z_EN: 0
; COMPUTE_PGM_RSRC2:TIDIG_COMP_CNT: 0
	.section	.text._ZN7rocprim17ROCPRIM_400000_NS6detail17trampoline_kernelINS0_14default_configENS1_27lower_bound_config_selectorIdlEEZNS1_14transform_implILb0ES3_S5_N6thrust23THRUST_200600_302600_NS6detail15normal_iteratorINS8_7pointerIdNS8_11hip_rocprim5par_tENS8_11use_defaultESE_EEEENSA_INSB_IlSD_SE_SE_EEEEZNS1_13binary_searchIS3_S5_PdSG_SI_NS1_21lower_bound_search_opENS9_16wrapped_functionINS8_6system6detail7generic6detail18binary_search_lessEbEEEE10hipError_tPvRmT1_T2_T3_mmT4_T5_P12ihipStream_tbEUlRKdE_EEST_SX_SY_mSZ_S12_bEUlT_E_NS1_11comp_targetILNS1_3genE10ELNS1_11target_archE1201ELNS1_3gpuE5ELNS1_3repE0EEENS1_30default_config_static_selectorELNS0_4arch9wavefront6targetE1EEEvSW_,"axG",@progbits,_ZN7rocprim17ROCPRIM_400000_NS6detail17trampoline_kernelINS0_14default_configENS1_27lower_bound_config_selectorIdlEEZNS1_14transform_implILb0ES3_S5_N6thrust23THRUST_200600_302600_NS6detail15normal_iteratorINS8_7pointerIdNS8_11hip_rocprim5par_tENS8_11use_defaultESE_EEEENSA_INSB_IlSD_SE_SE_EEEEZNS1_13binary_searchIS3_S5_PdSG_SI_NS1_21lower_bound_search_opENS9_16wrapped_functionINS8_6system6detail7generic6detail18binary_search_lessEbEEEE10hipError_tPvRmT1_T2_T3_mmT4_T5_P12ihipStream_tbEUlRKdE_EEST_SX_SY_mSZ_S12_bEUlT_E_NS1_11comp_targetILNS1_3genE10ELNS1_11target_archE1201ELNS1_3gpuE5ELNS1_3repE0EEENS1_30default_config_static_selectorELNS0_4arch9wavefront6targetE1EEEvSW_,comdat
	.protected	_ZN7rocprim17ROCPRIM_400000_NS6detail17trampoline_kernelINS0_14default_configENS1_27lower_bound_config_selectorIdlEEZNS1_14transform_implILb0ES3_S5_N6thrust23THRUST_200600_302600_NS6detail15normal_iteratorINS8_7pointerIdNS8_11hip_rocprim5par_tENS8_11use_defaultESE_EEEENSA_INSB_IlSD_SE_SE_EEEEZNS1_13binary_searchIS3_S5_PdSG_SI_NS1_21lower_bound_search_opENS9_16wrapped_functionINS8_6system6detail7generic6detail18binary_search_lessEbEEEE10hipError_tPvRmT1_T2_T3_mmT4_T5_P12ihipStream_tbEUlRKdE_EEST_SX_SY_mSZ_S12_bEUlT_E_NS1_11comp_targetILNS1_3genE10ELNS1_11target_archE1201ELNS1_3gpuE5ELNS1_3repE0EEENS1_30default_config_static_selectorELNS0_4arch9wavefront6targetE1EEEvSW_ ; -- Begin function _ZN7rocprim17ROCPRIM_400000_NS6detail17trampoline_kernelINS0_14default_configENS1_27lower_bound_config_selectorIdlEEZNS1_14transform_implILb0ES3_S5_N6thrust23THRUST_200600_302600_NS6detail15normal_iteratorINS8_7pointerIdNS8_11hip_rocprim5par_tENS8_11use_defaultESE_EEEENSA_INSB_IlSD_SE_SE_EEEEZNS1_13binary_searchIS3_S5_PdSG_SI_NS1_21lower_bound_search_opENS9_16wrapped_functionINS8_6system6detail7generic6detail18binary_search_lessEbEEEE10hipError_tPvRmT1_T2_T3_mmT4_T5_P12ihipStream_tbEUlRKdE_EEST_SX_SY_mSZ_S12_bEUlT_E_NS1_11comp_targetILNS1_3genE10ELNS1_11target_archE1201ELNS1_3gpuE5ELNS1_3repE0EEENS1_30default_config_static_selectorELNS0_4arch9wavefront6targetE1EEEvSW_
	.globl	_ZN7rocprim17ROCPRIM_400000_NS6detail17trampoline_kernelINS0_14default_configENS1_27lower_bound_config_selectorIdlEEZNS1_14transform_implILb0ES3_S5_N6thrust23THRUST_200600_302600_NS6detail15normal_iteratorINS8_7pointerIdNS8_11hip_rocprim5par_tENS8_11use_defaultESE_EEEENSA_INSB_IlSD_SE_SE_EEEEZNS1_13binary_searchIS3_S5_PdSG_SI_NS1_21lower_bound_search_opENS9_16wrapped_functionINS8_6system6detail7generic6detail18binary_search_lessEbEEEE10hipError_tPvRmT1_T2_T3_mmT4_T5_P12ihipStream_tbEUlRKdE_EEST_SX_SY_mSZ_S12_bEUlT_E_NS1_11comp_targetILNS1_3genE10ELNS1_11target_archE1201ELNS1_3gpuE5ELNS1_3repE0EEENS1_30default_config_static_selectorELNS0_4arch9wavefront6targetE1EEEvSW_
	.p2align	8
	.type	_ZN7rocprim17ROCPRIM_400000_NS6detail17trampoline_kernelINS0_14default_configENS1_27lower_bound_config_selectorIdlEEZNS1_14transform_implILb0ES3_S5_N6thrust23THRUST_200600_302600_NS6detail15normal_iteratorINS8_7pointerIdNS8_11hip_rocprim5par_tENS8_11use_defaultESE_EEEENSA_INSB_IlSD_SE_SE_EEEEZNS1_13binary_searchIS3_S5_PdSG_SI_NS1_21lower_bound_search_opENS9_16wrapped_functionINS8_6system6detail7generic6detail18binary_search_lessEbEEEE10hipError_tPvRmT1_T2_T3_mmT4_T5_P12ihipStream_tbEUlRKdE_EEST_SX_SY_mSZ_S12_bEUlT_E_NS1_11comp_targetILNS1_3genE10ELNS1_11target_archE1201ELNS1_3gpuE5ELNS1_3repE0EEENS1_30default_config_static_selectorELNS0_4arch9wavefront6targetE1EEEvSW_,@function
_ZN7rocprim17ROCPRIM_400000_NS6detail17trampoline_kernelINS0_14default_configENS1_27lower_bound_config_selectorIdlEEZNS1_14transform_implILb0ES3_S5_N6thrust23THRUST_200600_302600_NS6detail15normal_iteratorINS8_7pointerIdNS8_11hip_rocprim5par_tENS8_11use_defaultESE_EEEENSA_INSB_IlSD_SE_SE_EEEEZNS1_13binary_searchIS3_S5_PdSG_SI_NS1_21lower_bound_search_opENS9_16wrapped_functionINS8_6system6detail7generic6detail18binary_search_lessEbEEEE10hipError_tPvRmT1_T2_T3_mmT4_T5_P12ihipStream_tbEUlRKdE_EEST_SX_SY_mSZ_S12_bEUlT_E_NS1_11comp_targetILNS1_3genE10ELNS1_11target_archE1201ELNS1_3gpuE5ELNS1_3repE0EEENS1_30default_config_static_selectorELNS0_4arch9wavefront6targetE1EEEvSW_: ; @_ZN7rocprim17ROCPRIM_400000_NS6detail17trampoline_kernelINS0_14default_configENS1_27lower_bound_config_selectorIdlEEZNS1_14transform_implILb0ES3_S5_N6thrust23THRUST_200600_302600_NS6detail15normal_iteratorINS8_7pointerIdNS8_11hip_rocprim5par_tENS8_11use_defaultESE_EEEENSA_INSB_IlSD_SE_SE_EEEEZNS1_13binary_searchIS3_S5_PdSG_SI_NS1_21lower_bound_search_opENS9_16wrapped_functionINS8_6system6detail7generic6detail18binary_search_lessEbEEEE10hipError_tPvRmT1_T2_T3_mmT4_T5_P12ihipStream_tbEUlRKdE_EEST_SX_SY_mSZ_S12_bEUlT_E_NS1_11comp_targetILNS1_3genE10ELNS1_11target_archE1201ELNS1_3gpuE5ELNS1_3repE0EEENS1_30default_config_static_selectorELNS0_4arch9wavefront6targetE1EEEvSW_
; %bb.0:
	.section	.rodata,"a",@progbits
	.p2align	6, 0x0
	.amdhsa_kernel _ZN7rocprim17ROCPRIM_400000_NS6detail17trampoline_kernelINS0_14default_configENS1_27lower_bound_config_selectorIdlEEZNS1_14transform_implILb0ES3_S5_N6thrust23THRUST_200600_302600_NS6detail15normal_iteratorINS8_7pointerIdNS8_11hip_rocprim5par_tENS8_11use_defaultESE_EEEENSA_INSB_IlSD_SE_SE_EEEEZNS1_13binary_searchIS3_S5_PdSG_SI_NS1_21lower_bound_search_opENS9_16wrapped_functionINS8_6system6detail7generic6detail18binary_search_lessEbEEEE10hipError_tPvRmT1_T2_T3_mmT4_T5_P12ihipStream_tbEUlRKdE_EEST_SX_SY_mSZ_S12_bEUlT_E_NS1_11comp_targetILNS1_3genE10ELNS1_11target_archE1201ELNS1_3gpuE5ELNS1_3repE0EEENS1_30default_config_static_selectorELNS0_4arch9wavefront6targetE1EEEvSW_
		.amdhsa_group_segment_fixed_size 0
		.amdhsa_private_segment_fixed_size 0
		.amdhsa_kernarg_size 56
		.amdhsa_user_sgpr_count 6
		.amdhsa_user_sgpr_private_segment_buffer 1
		.amdhsa_user_sgpr_dispatch_ptr 0
		.amdhsa_user_sgpr_queue_ptr 0
		.amdhsa_user_sgpr_kernarg_segment_ptr 1
		.amdhsa_user_sgpr_dispatch_id 0
		.amdhsa_user_sgpr_flat_scratch_init 0
		.amdhsa_user_sgpr_private_segment_size 0
		.amdhsa_uses_dynamic_stack 0
		.amdhsa_system_sgpr_private_segment_wavefront_offset 0
		.amdhsa_system_sgpr_workgroup_id_x 1
		.amdhsa_system_sgpr_workgroup_id_y 0
		.amdhsa_system_sgpr_workgroup_id_z 0
		.amdhsa_system_sgpr_workgroup_info 0
		.amdhsa_system_vgpr_workitem_id 0
		.amdhsa_next_free_vgpr 1
		.amdhsa_next_free_sgpr 0
		.amdhsa_reserve_vcc 0
		.amdhsa_reserve_flat_scratch 0
		.amdhsa_float_round_mode_32 0
		.amdhsa_float_round_mode_16_64 0
		.amdhsa_float_denorm_mode_32 3
		.amdhsa_float_denorm_mode_16_64 3
		.amdhsa_dx10_clamp 1
		.amdhsa_ieee_mode 1
		.amdhsa_fp16_overflow 0
		.amdhsa_exception_fp_ieee_invalid_op 0
		.amdhsa_exception_fp_denorm_src 0
		.amdhsa_exception_fp_ieee_div_zero 0
		.amdhsa_exception_fp_ieee_overflow 0
		.amdhsa_exception_fp_ieee_underflow 0
		.amdhsa_exception_fp_ieee_inexact 0
		.amdhsa_exception_int_div_zero 0
	.end_amdhsa_kernel
	.section	.text._ZN7rocprim17ROCPRIM_400000_NS6detail17trampoline_kernelINS0_14default_configENS1_27lower_bound_config_selectorIdlEEZNS1_14transform_implILb0ES3_S5_N6thrust23THRUST_200600_302600_NS6detail15normal_iteratorINS8_7pointerIdNS8_11hip_rocprim5par_tENS8_11use_defaultESE_EEEENSA_INSB_IlSD_SE_SE_EEEEZNS1_13binary_searchIS3_S5_PdSG_SI_NS1_21lower_bound_search_opENS9_16wrapped_functionINS8_6system6detail7generic6detail18binary_search_lessEbEEEE10hipError_tPvRmT1_T2_T3_mmT4_T5_P12ihipStream_tbEUlRKdE_EEST_SX_SY_mSZ_S12_bEUlT_E_NS1_11comp_targetILNS1_3genE10ELNS1_11target_archE1201ELNS1_3gpuE5ELNS1_3repE0EEENS1_30default_config_static_selectorELNS0_4arch9wavefront6targetE1EEEvSW_,"axG",@progbits,_ZN7rocprim17ROCPRIM_400000_NS6detail17trampoline_kernelINS0_14default_configENS1_27lower_bound_config_selectorIdlEEZNS1_14transform_implILb0ES3_S5_N6thrust23THRUST_200600_302600_NS6detail15normal_iteratorINS8_7pointerIdNS8_11hip_rocprim5par_tENS8_11use_defaultESE_EEEENSA_INSB_IlSD_SE_SE_EEEEZNS1_13binary_searchIS3_S5_PdSG_SI_NS1_21lower_bound_search_opENS9_16wrapped_functionINS8_6system6detail7generic6detail18binary_search_lessEbEEEE10hipError_tPvRmT1_T2_T3_mmT4_T5_P12ihipStream_tbEUlRKdE_EEST_SX_SY_mSZ_S12_bEUlT_E_NS1_11comp_targetILNS1_3genE10ELNS1_11target_archE1201ELNS1_3gpuE5ELNS1_3repE0EEENS1_30default_config_static_selectorELNS0_4arch9wavefront6targetE1EEEvSW_,comdat
.Lfunc_end18:
	.size	_ZN7rocprim17ROCPRIM_400000_NS6detail17trampoline_kernelINS0_14default_configENS1_27lower_bound_config_selectorIdlEEZNS1_14transform_implILb0ES3_S5_N6thrust23THRUST_200600_302600_NS6detail15normal_iteratorINS8_7pointerIdNS8_11hip_rocprim5par_tENS8_11use_defaultESE_EEEENSA_INSB_IlSD_SE_SE_EEEEZNS1_13binary_searchIS3_S5_PdSG_SI_NS1_21lower_bound_search_opENS9_16wrapped_functionINS8_6system6detail7generic6detail18binary_search_lessEbEEEE10hipError_tPvRmT1_T2_T3_mmT4_T5_P12ihipStream_tbEUlRKdE_EEST_SX_SY_mSZ_S12_bEUlT_E_NS1_11comp_targetILNS1_3genE10ELNS1_11target_archE1201ELNS1_3gpuE5ELNS1_3repE0EEENS1_30default_config_static_selectorELNS0_4arch9wavefront6targetE1EEEvSW_, .Lfunc_end18-_ZN7rocprim17ROCPRIM_400000_NS6detail17trampoline_kernelINS0_14default_configENS1_27lower_bound_config_selectorIdlEEZNS1_14transform_implILb0ES3_S5_N6thrust23THRUST_200600_302600_NS6detail15normal_iteratorINS8_7pointerIdNS8_11hip_rocprim5par_tENS8_11use_defaultESE_EEEENSA_INSB_IlSD_SE_SE_EEEEZNS1_13binary_searchIS3_S5_PdSG_SI_NS1_21lower_bound_search_opENS9_16wrapped_functionINS8_6system6detail7generic6detail18binary_search_lessEbEEEE10hipError_tPvRmT1_T2_T3_mmT4_T5_P12ihipStream_tbEUlRKdE_EEST_SX_SY_mSZ_S12_bEUlT_E_NS1_11comp_targetILNS1_3genE10ELNS1_11target_archE1201ELNS1_3gpuE5ELNS1_3repE0EEENS1_30default_config_static_selectorELNS0_4arch9wavefront6targetE1EEEvSW_
                                        ; -- End function
	.set _ZN7rocprim17ROCPRIM_400000_NS6detail17trampoline_kernelINS0_14default_configENS1_27lower_bound_config_selectorIdlEEZNS1_14transform_implILb0ES3_S5_N6thrust23THRUST_200600_302600_NS6detail15normal_iteratorINS8_7pointerIdNS8_11hip_rocprim5par_tENS8_11use_defaultESE_EEEENSA_INSB_IlSD_SE_SE_EEEEZNS1_13binary_searchIS3_S5_PdSG_SI_NS1_21lower_bound_search_opENS9_16wrapped_functionINS8_6system6detail7generic6detail18binary_search_lessEbEEEE10hipError_tPvRmT1_T2_T3_mmT4_T5_P12ihipStream_tbEUlRKdE_EEST_SX_SY_mSZ_S12_bEUlT_E_NS1_11comp_targetILNS1_3genE10ELNS1_11target_archE1201ELNS1_3gpuE5ELNS1_3repE0EEENS1_30default_config_static_selectorELNS0_4arch9wavefront6targetE1EEEvSW_.num_vgpr, 0
	.set _ZN7rocprim17ROCPRIM_400000_NS6detail17trampoline_kernelINS0_14default_configENS1_27lower_bound_config_selectorIdlEEZNS1_14transform_implILb0ES3_S5_N6thrust23THRUST_200600_302600_NS6detail15normal_iteratorINS8_7pointerIdNS8_11hip_rocprim5par_tENS8_11use_defaultESE_EEEENSA_INSB_IlSD_SE_SE_EEEEZNS1_13binary_searchIS3_S5_PdSG_SI_NS1_21lower_bound_search_opENS9_16wrapped_functionINS8_6system6detail7generic6detail18binary_search_lessEbEEEE10hipError_tPvRmT1_T2_T3_mmT4_T5_P12ihipStream_tbEUlRKdE_EEST_SX_SY_mSZ_S12_bEUlT_E_NS1_11comp_targetILNS1_3genE10ELNS1_11target_archE1201ELNS1_3gpuE5ELNS1_3repE0EEENS1_30default_config_static_selectorELNS0_4arch9wavefront6targetE1EEEvSW_.num_agpr, 0
	.set _ZN7rocprim17ROCPRIM_400000_NS6detail17trampoline_kernelINS0_14default_configENS1_27lower_bound_config_selectorIdlEEZNS1_14transform_implILb0ES3_S5_N6thrust23THRUST_200600_302600_NS6detail15normal_iteratorINS8_7pointerIdNS8_11hip_rocprim5par_tENS8_11use_defaultESE_EEEENSA_INSB_IlSD_SE_SE_EEEEZNS1_13binary_searchIS3_S5_PdSG_SI_NS1_21lower_bound_search_opENS9_16wrapped_functionINS8_6system6detail7generic6detail18binary_search_lessEbEEEE10hipError_tPvRmT1_T2_T3_mmT4_T5_P12ihipStream_tbEUlRKdE_EEST_SX_SY_mSZ_S12_bEUlT_E_NS1_11comp_targetILNS1_3genE10ELNS1_11target_archE1201ELNS1_3gpuE5ELNS1_3repE0EEENS1_30default_config_static_selectorELNS0_4arch9wavefront6targetE1EEEvSW_.numbered_sgpr, 0
	.set _ZN7rocprim17ROCPRIM_400000_NS6detail17trampoline_kernelINS0_14default_configENS1_27lower_bound_config_selectorIdlEEZNS1_14transform_implILb0ES3_S5_N6thrust23THRUST_200600_302600_NS6detail15normal_iteratorINS8_7pointerIdNS8_11hip_rocprim5par_tENS8_11use_defaultESE_EEEENSA_INSB_IlSD_SE_SE_EEEEZNS1_13binary_searchIS3_S5_PdSG_SI_NS1_21lower_bound_search_opENS9_16wrapped_functionINS8_6system6detail7generic6detail18binary_search_lessEbEEEE10hipError_tPvRmT1_T2_T3_mmT4_T5_P12ihipStream_tbEUlRKdE_EEST_SX_SY_mSZ_S12_bEUlT_E_NS1_11comp_targetILNS1_3genE10ELNS1_11target_archE1201ELNS1_3gpuE5ELNS1_3repE0EEENS1_30default_config_static_selectorELNS0_4arch9wavefront6targetE1EEEvSW_.num_named_barrier, 0
	.set _ZN7rocprim17ROCPRIM_400000_NS6detail17trampoline_kernelINS0_14default_configENS1_27lower_bound_config_selectorIdlEEZNS1_14transform_implILb0ES3_S5_N6thrust23THRUST_200600_302600_NS6detail15normal_iteratorINS8_7pointerIdNS8_11hip_rocprim5par_tENS8_11use_defaultESE_EEEENSA_INSB_IlSD_SE_SE_EEEEZNS1_13binary_searchIS3_S5_PdSG_SI_NS1_21lower_bound_search_opENS9_16wrapped_functionINS8_6system6detail7generic6detail18binary_search_lessEbEEEE10hipError_tPvRmT1_T2_T3_mmT4_T5_P12ihipStream_tbEUlRKdE_EEST_SX_SY_mSZ_S12_bEUlT_E_NS1_11comp_targetILNS1_3genE10ELNS1_11target_archE1201ELNS1_3gpuE5ELNS1_3repE0EEENS1_30default_config_static_selectorELNS0_4arch9wavefront6targetE1EEEvSW_.private_seg_size, 0
	.set _ZN7rocprim17ROCPRIM_400000_NS6detail17trampoline_kernelINS0_14default_configENS1_27lower_bound_config_selectorIdlEEZNS1_14transform_implILb0ES3_S5_N6thrust23THRUST_200600_302600_NS6detail15normal_iteratorINS8_7pointerIdNS8_11hip_rocprim5par_tENS8_11use_defaultESE_EEEENSA_INSB_IlSD_SE_SE_EEEEZNS1_13binary_searchIS3_S5_PdSG_SI_NS1_21lower_bound_search_opENS9_16wrapped_functionINS8_6system6detail7generic6detail18binary_search_lessEbEEEE10hipError_tPvRmT1_T2_T3_mmT4_T5_P12ihipStream_tbEUlRKdE_EEST_SX_SY_mSZ_S12_bEUlT_E_NS1_11comp_targetILNS1_3genE10ELNS1_11target_archE1201ELNS1_3gpuE5ELNS1_3repE0EEENS1_30default_config_static_selectorELNS0_4arch9wavefront6targetE1EEEvSW_.uses_vcc, 0
	.set _ZN7rocprim17ROCPRIM_400000_NS6detail17trampoline_kernelINS0_14default_configENS1_27lower_bound_config_selectorIdlEEZNS1_14transform_implILb0ES3_S5_N6thrust23THRUST_200600_302600_NS6detail15normal_iteratorINS8_7pointerIdNS8_11hip_rocprim5par_tENS8_11use_defaultESE_EEEENSA_INSB_IlSD_SE_SE_EEEEZNS1_13binary_searchIS3_S5_PdSG_SI_NS1_21lower_bound_search_opENS9_16wrapped_functionINS8_6system6detail7generic6detail18binary_search_lessEbEEEE10hipError_tPvRmT1_T2_T3_mmT4_T5_P12ihipStream_tbEUlRKdE_EEST_SX_SY_mSZ_S12_bEUlT_E_NS1_11comp_targetILNS1_3genE10ELNS1_11target_archE1201ELNS1_3gpuE5ELNS1_3repE0EEENS1_30default_config_static_selectorELNS0_4arch9wavefront6targetE1EEEvSW_.uses_flat_scratch, 0
	.set _ZN7rocprim17ROCPRIM_400000_NS6detail17trampoline_kernelINS0_14default_configENS1_27lower_bound_config_selectorIdlEEZNS1_14transform_implILb0ES3_S5_N6thrust23THRUST_200600_302600_NS6detail15normal_iteratorINS8_7pointerIdNS8_11hip_rocprim5par_tENS8_11use_defaultESE_EEEENSA_INSB_IlSD_SE_SE_EEEEZNS1_13binary_searchIS3_S5_PdSG_SI_NS1_21lower_bound_search_opENS9_16wrapped_functionINS8_6system6detail7generic6detail18binary_search_lessEbEEEE10hipError_tPvRmT1_T2_T3_mmT4_T5_P12ihipStream_tbEUlRKdE_EEST_SX_SY_mSZ_S12_bEUlT_E_NS1_11comp_targetILNS1_3genE10ELNS1_11target_archE1201ELNS1_3gpuE5ELNS1_3repE0EEENS1_30default_config_static_selectorELNS0_4arch9wavefront6targetE1EEEvSW_.has_dyn_sized_stack, 0
	.set _ZN7rocprim17ROCPRIM_400000_NS6detail17trampoline_kernelINS0_14default_configENS1_27lower_bound_config_selectorIdlEEZNS1_14transform_implILb0ES3_S5_N6thrust23THRUST_200600_302600_NS6detail15normal_iteratorINS8_7pointerIdNS8_11hip_rocprim5par_tENS8_11use_defaultESE_EEEENSA_INSB_IlSD_SE_SE_EEEEZNS1_13binary_searchIS3_S5_PdSG_SI_NS1_21lower_bound_search_opENS9_16wrapped_functionINS8_6system6detail7generic6detail18binary_search_lessEbEEEE10hipError_tPvRmT1_T2_T3_mmT4_T5_P12ihipStream_tbEUlRKdE_EEST_SX_SY_mSZ_S12_bEUlT_E_NS1_11comp_targetILNS1_3genE10ELNS1_11target_archE1201ELNS1_3gpuE5ELNS1_3repE0EEENS1_30default_config_static_selectorELNS0_4arch9wavefront6targetE1EEEvSW_.has_recursion, 0
	.set _ZN7rocprim17ROCPRIM_400000_NS6detail17trampoline_kernelINS0_14default_configENS1_27lower_bound_config_selectorIdlEEZNS1_14transform_implILb0ES3_S5_N6thrust23THRUST_200600_302600_NS6detail15normal_iteratorINS8_7pointerIdNS8_11hip_rocprim5par_tENS8_11use_defaultESE_EEEENSA_INSB_IlSD_SE_SE_EEEEZNS1_13binary_searchIS3_S5_PdSG_SI_NS1_21lower_bound_search_opENS9_16wrapped_functionINS8_6system6detail7generic6detail18binary_search_lessEbEEEE10hipError_tPvRmT1_T2_T3_mmT4_T5_P12ihipStream_tbEUlRKdE_EEST_SX_SY_mSZ_S12_bEUlT_E_NS1_11comp_targetILNS1_3genE10ELNS1_11target_archE1201ELNS1_3gpuE5ELNS1_3repE0EEENS1_30default_config_static_selectorELNS0_4arch9wavefront6targetE1EEEvSW_.has_indirect_call, 0
	.section	.AMDGPU.csdata,"",@progbits
; Kernel info:
; codeLenInByte = 0
; TotalNumSgprs: 4
; NumVgprs: 0
; ScratchSize: 0
; MemoryBound: 0
; FloatMode: 240
; IeeeMode: 1
; LDSByteSize: 0 bytes/workgroup (compile time only)
; SGPRBlocks: 0
; VGPRBlocks: 0
; NumSGPRsForWavesPerEU: 4
; NumVGPRsForWavesPerEU: 1
; Occupancy: 10
; WaveLimiterHint : 0
; COMPUTE_PGM_RSRC2:SCRATCH_EN: 0
; COMPUTE_PGM_RSRC2:USER_SGPR: 6
; COMPUTE_PGM_RSRC2:TRAP_HANDLER: 0
; COMPUTE_PGM_RSRC2:TGID_X_EN: 1
; COMPUTE_PGM_RSRC2:TGID_Y_EN: 0
; COMPUTE_PGM_RSRC2:TGID_Z_EN: 0
; COMPUTE_PGM_RSRC2:TIDIG_COMP_CNT: 0
	.section	.text._ZN7rocprim17ROCPRIM_400000_NS6detail17trampoline_kernelINS0_14default_configENS1_27lower_bound_config_selectorIdlEEZNS1_14transform_implILb0ES3_S5_N6thrust23THRUST_200600_302600_NS6detail15normal_iteratorINS8_7pointerIdNS8_11hip_rocprim5par_tENS8_11use_defaultESE_EEEENSA_INSB_IlSD_SE_SE_EEEEZNS1_13binary_searchIS3_S5_PdSG_SI_NS1_21lower_bound_search_opENS9_16wrapped_functionINS8_6system6detail7generic6detail18binary_search_lessEbEEEE10hipError_tPvRmT1_T2_T3_mmT4_T5_P12ihipStream_tbEUlRKdE_EEST_SX_SY_mSZ_S12_bEUlT_E_NS1_11comp_targetILNS1_3genE10ELNS1_11target_archE1200ELNS1_3gpuE4ELNS1_3repE0EEENS1_30default_config_static_selectorELNS0_4arch9wavefront6targetE1EEEvSW_,"axG",@progbits,_ZN7rocprim17ROCPRIM_400000_NS6detail17trampoline_kernelINS0_14default_configENS1_27lower_bound_config_selectorIdlEEZNS1_14transform_implILb0ES3_S5_N6thrust23THRUST_200600_302600_NS6detail15normal_iteratorINS8_7pointerIdNS8_11hip_rocprim5par_tENS8_11use_defaultESE_EEEENSA_INSB_IlSD_SE_SE_EEEEZNS1_13binary_searchIS3_S5_PdSG_SI_NS1_21lower_bound_search_opENS9_16wrapped_functionINS8_6system6detail7generic6detail18binary_search_lessEbEEEE10hipError_tPvRmT1_T2_T3_mmT4_T5_P12ihipStream_tbEUlRKdE_EEST_SX_SY_mSZ_S12_bEUlT_E_NS1_11comp_targetILNS1_3genE10ELNS1_11target_archE1200ELNS1_3gpuE4ELNS1_3repE0EEENS1_30default_config_static_selectorELNS0_4arch9wavefront6targetE1EEEvSW_,comdat
	.protected	_ZN7rocprim17ROCPRIM_400000_NS6detail17trampoline_kernelINS0_14default_configENS1_27lower_bound_config_selectorIdlEEZNS1_14transform_implILb0ES3_S5_N6thrust23THRUST_200600_302600_NS6detail15normal_iteratorINS8_7pointerIdNS8_11hip_rocprim5par_tENS8_11use_defaultESE_EEEENSA_INSB_IlSD_SE_SE_EEEEZNS1_13binary_searchIS3_S5_PdSG_SI_NS1_21lower_bound_search_opENS9_16wrapped_functionINS8_6system6detail7generic6detail18binary_search_lessEbEEEE10hipError_tPvRmT1_T2_T3_mmT4_T5_P12ihipStream_tbEUlRKdE_EEST_SX_SY_mSZ_S12_bEUlT_E_NS1_11comp_targetILNS1_3genE10ELNS1_11target_archE1200ELNS1_3gpuE4ELNS1_3repE0EEENS1_30default_config_static_selectorELNS0_4arch9wavefront6targetE1EEEvSW_ ; -- Begin function _ZN7rocprim17ROCPRIM_400000_NS6detail17trampoline_kernelINS0_14default_configENS1_27lower_bound_config_selectorIdlEEZNS1_14transform_implILb0ES3_S5_N6thrust23THRUST_200600_302600_NS6detail15normal_iteratorINS8_7pointerIdNS8_11hip_rocprim5par_tENS8_11use_defaultESE_EEEENSA_INSB_IlSD_SE_SE_EEEEZNS1_13binary_searchIS3_S5_PdSG_SI_NS1_21lower_bound_search_opENS9_16wrapped_functionINS8_6system6detail7generic6detail18binary_search_lessEbEEEE10hipError_tPvRmT1_T2_T3_mmT4_T5_P12ihipStream_tbEUlRKdE_EEST_SX_SY_mSZ_S12_bEUlT_E_NS1_11comp_targetILNS1_3genE10ELNS1_11target_archE1200ELNS1_3gpuE4ELNS1_3repE0EEENS1_30default_config_static_selectorELNS0_4arch9wavefront6targetE1EEEvSW_
	.globl	_ZN7rocprim17ROCPRIM_400000_NS6detail17trampoline_kernelINS0_14default_configENS1_27lower_bound_config_selectorIdlEEZNS1_14transform_implILb0ES3_S5_N6thrust23THRUST_200600_302600_NS6detail15normal_iteratorINS8_7pointerIdNS8_11hip_rocprim5par_tENS8_11use_defaultESE_EEEENSA_INSB_IlSD_SE_SE_EEEEZNS1_13binary_searchIS3_S5_PdSG_SI_NS1_21lower_bound_search_opENS9_16wrapped_functionINS8_6system6detail7generic6detail18binary_search_lessEbEEEE10hipError_tPvRmT1_T2_T3_mmT4_T5_P12ihipStream_tbEUlRKdE_EEST_SX_SY_mSZ_S12_bEUlT_E_NS1_11comp_targetILNS1_3genE10ELNS1_11target_archE1200ELNS1_3gpuE4ELNS1_3repE0EEENS1_30default_config_static_selectorELNS0_4arch9wavefront6targetE1EEEvSW_
	.p2align	8
	.type	_ZN7rocprim17ROCPRIM_400000_NS6detail17trampoline_kernelINS0_14default_configENS1_27lower_bound_config_selectorIdlEEZNS1_14transform_implILb0ES3_S5_N6thrust23THRUST_200600_302600_NS6detail15normal_iteratorINS8_7pointerIdNS8_11hip_rocprim5par_tENS8_11use_defaultESE_EEEENSA_INSB_IlSD_SE_SE_EEEEZNS1_13binary_searchIS3_S5_PdSG_SI_NS1_21lower_bound_search_opENS9_16wrapped_functionINS8_6system6detail7generic6detail18binary_search_lessEbEEEE10hipError_tPvRmT1_T2_T3_mmT4_T5_P12ihipStream_tbEUlRKdE_EEST_SX_SY_mSZ_S12_bEUlT_E_NS1_11comp_targetILNS1_3genE10ELNS1_11target_archE1200ELNS1_3gpuE4ELNS1_3repE0EEENS1_30default_config_static_selectorELNS0_4arch9wavefront6targetE1EEEvSW_,@function
_ZN7rocprim17ROCPRIM_400000_NS6detail17trampoline_kernelINS0_14default_configENS1_27lower_bound_config_selectorIdlEEZNS1_14transform_implILb0ES3_S5_N6thrust23THRUST_200600_302600_NS6detail15normal_iteratorINS8_7pointerIdNS8_11hip_rocprim5par_tENS8_11use_defaultESE_EEEENSA_INSB_IlSD_SE_SE_EEEEZNS1_13binary_searchIS3_S5_PdSG_SI_NS1_21lower_bound_search_opENS9_16wrapped_functionINS8_6system6detail7generic6detail18binary_search_lessEbEEEE10hipError_tPvRmT1_T2_T3_mmT4_T5_P12ihipStream_tbEUlRKdE_EEST_SX_SY_mSZ_S12_bEUlT_E_NS1_11comp_targetILNS1_3genE10ELNS1_11target_archE1200ELNS1_3gpuE4ELNS1_3repE0EEENS1_30default_config_static_selectorELNS0_4arch9wavefront6targetE1EEEvSW_: ; @_ZN7rocprim17ROCPRIM_400000_NS6detail17trampoline_kernelINS0_14default_configENS1_27lower_bound_config_selectorIdlEEZNS1_14transform_implILb0ES3_S5_N6thrust23THRUST_200600_302600_NS6detail15normal_iteratorINS8_7pointerIdNS8_11hip_rocprim5par_tENS8_11use_defaultESE_EEEENSA_INSB_IlSD_SE_SE_EEEEZNS1_13binary_searchIS3_S5_PdSG_SI_NS1_21lower_bound_search_opENS9_16wrapped_functionINS8_6system6detail7generic6detail18binary_search_lessEbEEEE10hipError_tPvRmT1_T2_T3_mmT4_T5_P12ihipStream_tbEUlRKdE_EEST_SX_SY_mSZ_S12_bEUlT_E_NS1_11comp_targetILNS1_3genE10ELNS1_11target_archE1200ELNS1_3gpuE4ELNS1_3repE0EEENS1_30default_config_static_selectorELNS0_4arch9wavefront6targetE1EEEvSW_
; %bb.0:
	.section	.rodata,"a",@progbits
	.p2align	6, 0x0
	.amdhsa_kernel _ZN7rocprim17ROCPRIM_400000_NS6detail17trampoline_kernelINS0_14default_configENS1_27lower_bound_config_selectorIdlEEZNS1_14transform_implILb0ES3_S5_N6thrust23THRUST_200600_302600_NS6detail15normal_iteratorINS8_7pointerIdNS8_11hip_rocprim5par_tENS8_11use_defaultESE_EEEENSA_INSB_IlSD_SE_SE_EEEEZNS1_13binary_searchIS3_S5_PdSG_SI_NS1_21lower_bound_search_opENS9_16wrapped_functionINS8_6system6detail7generic6detail18binary_search_lessEbEEEE10hipError_tPvRmT1_T2_T3_mmT4_T5_P12ihipStream_tbEUlRKdE_EEST_SX_SY_mSZ_S12_bEUlT_E_NS1_11comp_targetILNS1_3genE10ELNS1_11target_archE1200ELNS1_3gpuE4ELNS1_3repE0EEENS1_30default_config_static_selectorELNS0_4arch9wavefront6targetE1EEEvSW_
		.amdhsa_group_segment_fixed_size 0
		.amdhsa_private_segment_fixed_size 0
		.amdhsa_kernarg_size 56
		.amdhsa_user_sgpr_count 6
		.amdhsa_user_sgpr_private_segment_buffer 1
		.amdhsa_user_sgpr_dispatch_ptr 0
		.amdhsa_user_sgpr_queue_ptr 0
		.amdhsa_user_sgpr_kernarg_segment_ptr 1
		.amdhsa_user_sgpr_dispatch_id 0
		.amdhsa_user_sgpr_flat_scratch_init 0
		.amdhsa_user_sgpr_private_segment_size 0
		.amdhsa_uses_dynamic_stack 0
		.amdhsa_system_sgpr_private_segment_wavefront_offset 0
		.amdhsa_system_sgpr_workgroup_id_x 1
		.amdhsa_system_sgpr_workgroup_id_y 0
		.amdhsa_system_sgpr_workgroup_id_z 0
		.amdhsa_system_sgpr_workgroup_info 0
		.amdhsa_system_vgpr_workitem_id 0
		.amdhsa_next_free_vgpr 1
		.amdhsa_next_free_sgpr 0
		.amdhsa_reserve_vcc 0
		.amdhsa_reserve_flat_scratch 0
		.amdhsa_float_round_mode_32 0
		.amdhsa_float_round_mode_16_64 0
		.amdhsa_float_denorm_mode_32 3
		.amdhsa_float_denorm_mode_16_64 3
		.amdhsa_dx10_clamp 1
		.amdhsa_ieee_mode 1
		.amdhsa_fp16_overflow 0
		.amdhsa_exception_fp_ieee_invalid_op 0
		.amdhsa_exception_fp_denorm_src 0
		.amdhsa_exception_fp_ieee_div_zero 0
		.amdhsa_exception_fp_ieee_overflow 0
		.amdhsa_exception_fp_ieee_underflow 0
		.amdhsa_exception_fp_ieee_inexact 0
		.amdhsa_exception_int_div_zero 0
	.end_amdhsa_kernel
	.section	.text._ZN7rocprim17ROCPRIM_400000_NS6detail17trampoline_kernelINS0_14default_configENS1_27lower_bound_config_selectorIdlEEZNS1_14transform_implILb0ES3_S5_N6thrust23THRUST_200600_302600_NS6detail15normal_iteratorINS8_7pointerIdNS8_11hip_rocprim5par_tENS8_11use_defaultESE_EEEENSA_INSB_IlSD_SE_SE_EEEEZNS1_13binary_searchIS3_S5_PdSG_SI_NS1_21lower_bound_search_opENS9_16wrapped_functionINS8_6system6detail7generic6detail18binary_search_lessEbEEEE10hipError_tPvRmT1_T2_T3_mmT4_T5_P12ihipStream_tbEUlRKdE_EEST_SX_SY_mSZ_S12_bEUlT_E_NS1_11comp_targetILNS1_3genE10ELNS1_11target_archE1200ELNS1_3gpuE4ELNS1_3repE0EEENS1_30default_config_static_selectorELNS0_4arch9wavefront6targetE1EEEvSW_,"axG",@progbits,_ZN7rocprim17ROCPRIM_400000_NS6detail17trampoline_kernelINS0_14default_configENS1_27lower_bound_config_selectorIdlEEZNS1_14transform_implILb0ES3_S5_N6thrust23THRUST_200600_302600_NS6detail15normal_iteratorINS8_7pointerIdNS8_11hip_rocprim5par_tENS8_11use_defaultESE_EEEENSA_INSB_IlSD_SE_SE_EEEEZNS1_13binary_searchIS3_S5_PdSG_SI_NS1_21lower_bound_search_opENS9_16wrapped_functionINS8_6system6detail7generic6detail18binary_search_lessEbEEEE10hipError_tPvRmT1_T2_T3_mmT4_T5_P12ihipStream_tbEUlRKdE_EEST_SX_SY_mSZ_S12_bEUlT_E_NS1_11comp_targetILNS1_3genE10ELNS1_11target_archE1200ELNS1_3gpuE4ELNS1_3repE0EEENS1_30default_config_static_selectorELNS0_4arch9wavefront6targetE1EEEvSW_,comdat
.Lfunc_end19:
	.size	_ZN7rocprim17ROCPRIM_400000_NS6detail17trampoline_kernelINS0_14default_configENS1_27lower_bound_config_selectorIdlEEZNS1_14transform_implILb0ES3_S5_N6thrust23THRUST_200600_302600_NS6detail15normal_iteratorINS8_7pointerIdNS8_11hip_rocprim5par_tENS8_11use_defaultESE_EEEENSA_INSB_IlSD_SE_SE_EEEEZNS1_13binary_searchIS3_S5_PdSG_SI_NS1_21lower_bound_search_opENS9_16wrapped_functionINS8_6system6detail7generic6detail18binary_search_lessEbEEEE10hipError_tPvRmT1_T2_T3_mmT4_T5_P12ihipStream_tbEUlRKdE_EEST_SX_SY_mSZ_S12_bEUlT_E_NS1_11comp_targetILNS1_3genE10ELNS1_11target_archE1200ELNS1_3gpuE4ELNS1_3repE0EEENS1_30default_config_static_selectorELNS0_4arch9wavefront6targetE1EEEvSW_, .Lfunc_end19-_ZN7rocprim17ROCPRIM_400000_NS6detail17trampoline_kernelINS0_14default_configENS1_27lower_bound_config_selectorIdlEEZNS1_14transform_implILb0ES3_S5_N6thrust23THRUST_200600_302600_NS6detail15normal_iteratorINS8_7pointerIdNS8_11hip_rocprim5par_tENS8_11use_defaultESE_EEEENSA_INSB_IlSD_SE_SE_EEEEZNS1_13binary_searchIS3_S5_PdSG_SI_NS1_21lower_bound_search_opENS9_16wrapped_functionINS8_6system6detail7generic6detail18binary_search_lessEbEEEE10hipError_tPvRmT1_T2_T3_mmT4_T5_P12ihipStream_tbEUlRKdE_EEST_SX_SY_mSZ_S12_bEUlT_E_NS1_11comp_targetILNS1_3genE10ELNS1_11target_archE1200ELNS1_3gpuE4ELNS1_3repE0EEENS1_30default_config_static_selectorELNS0_4arch9wavefront6targetE1EEEvSW_
                                        ; -- End function
	.set _ZN7rocprim17ROCPRIM_400000_NS6detail17trampoline_kernelINS0_14default_configENS1_27lower_bound_config_selectorIdlEEZNS1_14transform_implILb0ES3_S5_N6thrust23THRUST_200600_302600_NS6detail15normal_iteratorINS8_7pointerIdNS8_11hip_rocprim5par_tENS8_11use_defaultESE_EEEENSA_INSB_IlSD_SE_SE_EEEEZNS1_13binary_searchIS3_S5_PdSG_SI_NS1_21lower_bound_search_opENS9_16wrapped_functionINS8_6system6detail7generic6detail18binary_search_lessEbEEEE10hipError_tPvRmT1_T2_T3_mmT4_T5_P12ihipStream_tbEUlRKdE_EEST_SX_SY_mSZ_S12_bEUlT_E_NS1_11comp_targetILNS1_3genE10ELNS1_11target_archE1200ELNS1_3gpuE4ELNS1_3repE0EEENS1_30default_config_static_selectorELNS0_4arch9wavefront6targetE1EEEvSW_.num_vgpr, 0
	.set _ZN7rocprim17ROCPRIM_400000_NS6detail17trampoline_kernelINS0_14default_configENS1_27lower_bound_config_selectorIdlEEZNS1_14transform_implILb0ES3_S5_N6thrust23THRUST_200600_302600_NS6detail15normal_iteratorINS8_7pointerIdNS8_11hip_rocprim5par_tENS8_11use_defaultESE_EEEENSA_INSB_IlSD_SE_SE_EEEEZNS1_13binary_searchIS3_S5_PdSG_SI_NS1_21lower_bound_search_opENS9_16wrapped_functionINS8_6system6detail7generic6detail18binary_search_lessEbEEEE10hipError_tPvRmT1_T2_T3_mmT4_T5_P12ihipStream_tbEUlRKdE_EEST_SX_SY_mSZ_S12_bEUlT_E_NS1_11comp_targetILNS1_3genE10ELNS1_11target_archE1200ELNS1_3gpuE4ELNS1_3repE0EEENS1_30default_config_static_selectorELNS0_4arch9wavefront6targetE1EEEvSW_.num_agpr, 0
	.set _ZN7rocprim17ROCPRIM_400000_NS6detail17trampoline_kernelINS0_14default_configENS1_27lower_bound_config_selectorIdlEEZNS1_14transform_implILb0ES3_S5_N6thrust23THRUST_200600_302600_NS6detail15normal_iteratorINS8_7pointerIdNS8_11hip_rocprim5par_tENS8_11use_defaultESE_EEEENSA_INSB_IlSD_SE_SE_EEEEZNS1_13binary_searchIS3_S5_PdSG_SI_NS1_21lower_bound_search_opENS9_16wrapped_functionINS8_6system6detail7generic6detail18binary_search_lessEbEEEE10hipError_tPvRmT1_T2_T3_mmT4_T5_P12ihipStream_tbEUlRKdE_EEST_SX_SY_mSZ_S12_bEUlT_E_NS1_11comp_targetILNS1_3genE10ELNS1_11target_archE1200ELNS1_3gpuE4ELNS1_3repE0EEENS1_30default_config_static_selectorELNS0_4arch9wavefront6targetE1EEEvSW_.numbered_sgpr, 0
	.set _ZN7rocprim17ROCPRIM_400000_NS6detail17trampoline_kernelINS0_14default_configENS1_27lower_bound_config_selectorIdlEEZNS1_14transform_implILb0ES3_S5_N6thrust23THRUST_200600_302600_NS6detail15normal_iteratorINS8_7pointerIdNS8_11hip_rocprim5par_tENS8_11use_defaultESE_EEEENSA_INSB_IlSD_SE_SE_EEEEZNS1_13binary_searchIS3_S5_PdSG_SI_NS1_21lower_bound_search_opENS9_16wrapped_functionINS8_6system6detail7generic6detail18binary_search_lessEbEEEE10hipError_tPvRmT1_T2_T3_mmT4_T5_P12ihipStream_tbEUlRKdE_EEST_SX_SY_mSZ_S12_bEUlT_E_NS1_11comp_targetILNS1_3genE10ELNS1_11target_archE1200ELNS1_3gpuE4ELNS1_3repE0EEENS1_30default_config_static_selectorELNS0_4arch9wavefront6targetE1EEEvSW_.num_named_barrier, 0
	.set _ZN7rocprim17ROCPRIM_400000_NS6detail17trampoline_kernelINS0_14default_configENS1_27lower_bound_config_selectorIdlEEZNS1_14transform_implILb0ES3_S5_N6thrust23THRUST_200600_302600_NS6detail15normal_iteratorINS8_7pointerIdNS8_11hip_rocprim5par_tENS8_11use_defaultESE_EEEENSA_INSB_IlSD_SE_SE_EEEEZNS1_13binary_searchIS3_S5_PdSG_SI_NS1_21lower_bound_search_opENS9_16wrapped_functionINS8_6system6detail7generic6detail18binary_search_lessEbEEEE10hipError_tPvRmT1_T2_T3_mmT4_T5_P12ihipStream_tbEUlRKdE_EEST_SX_SY_mSZ_S12_bEUlT_E_NS1_11comp_targetILNS1_3genE10ELNS1_11target_archE1200ELNS1_3gpuE4ELNS1_3repE0EEENS1_30default_config_static_selectorELNS0_4arch9wavefront6targetE1EEEvSW_.private_seg_size, 0
	.set _ZN7rocprim17ROCPRIM_400000_NS6detail17trampoline_kernelINS0_14default_configENS1_27lower_bound_config_selectorIdlEEZNS1_14transform_implILb0ES3_S5_N6thrust23THRUST_200600_302600_NS6detail15normal_iteratorINS8_7pointerIdNS8_11hip_rocprim5par_tENS8_11use_defaultESE_EEEENSA_INSB_IlSD_SE_SE_EEEEZNS1_13binary_searchIS3_S5_PdSG_SI_NS1_21lower_bound_search_opENS9_16wrapped_functionINS8_6system6detail7generic6detail18binary_search_lessEbEEEE10hipError_tPvRmT1_T2_T3_mmT4_T5_P12ihipStream_tbEUlRKdE_EEST_SX_SY_mSZ_S12_bEUlT_E_NS1_11comp_targetILNS1_3genE10ELNS1_11target_archE1200ELNS1_3gpuE4ELNS1_3repE0EEENS1_30default_config_static_selectorELNS0_4arch9wavefront6targetE1EEEvSW_.uses_vcc, 0
	.set _ZN7rocprim17ROCPRIM_400000_NS6detail17trampoline_kernelINS0_14default_configENS1_27lower_bound_config_selectorIdlEEZNS1_14transform_implILb0ES3_S5_N6thrust23THRUST_200600_302600_NS6detail15normal_iteratorINS8_7pointerIdNS8_11hip_rocprim5par_tENS8_11use_defaultESE_EEEENSA_INSB_IlSD_SE_SE_EEEEZNS1_13binary_searchIS3_S5_PdSG_SI_NS1_21lower_bound_search_opENS9_16wrapped_functionINS8_6system6detail7generic6detail18binary_search_lessEbEEEE10hipError_tPvRmT1_T2_T3_mmT4_T5_P12ihipStream_tbEUlRKdE_EEST_SX_SY_mSZ_S12_bEUlT_E_NS1_11comp_targetILNS1_3genE10ELNS1_11target_archE1200ELNS1_3gpuE4ELNS1_3repE0EEENS1_30default_config_static_selectorELNS0_4arch9wavefront6targetE1EEEvSW_.uses_flat_scratch, 0
	.set _ZN7rocprim17ROCPRIM_400000_NS6detail17trampoline_kernelINS0_14default_configENS1_27lower_bound_config_selectorIdlEEZNS1_14transform_implILb0ES3_S5_N6thrust23THRUST_200600_302600_NS6detail15normal_iteratorINS8_7pointerIdNS8_11hip_rocprim5par_tENS8_11use_defaultESE_EEEENSA_INSB_IlSD_SE_SE_EEEEZNS1_13binary_searchIS3_S5_PdSG_SI_NS1_21lower_bound_search_opENS9_16wrapped_functionINS8_6system6detail7generic6detail18binary_search_lessEbEEEE10hipError_tPvRmT1_T2_T3_mmT4_T5_P12ihipStream_tbEUlRKdE_EEST_SX_SY_mSZ_S12_bEUlT_E_NS1_11comp_targetILNS1_3genE10ELNS1_11target_archE1200ELNS1_3gpuE4ELNS1_3repE0EEENS1_30default_config_static_selectorELNS0_4arch9wavefront6targetE1EEEvSW_.has_dyn_sized_stack, 0
	.set _ZN7rocprim17ROCPRIM_400000_NS6detail17trampoline_kernelINS0_14default_configENS1_27lower_bound_config_selectorIdlEEZNS1_14transform_implILb0ES3_S5_N6thrust23THRUST_200600_302600_NS6detail15normal_iteratorINS8_7pointerIdNS8_11hip_rocprim5par_tENS8_11use_defaultESE_EEEENSA_INSB_IlSD_SE_SE_EEEEZNS1_13binary_searchIS3_S5_PdSG_SI_NS1_21lower_bound_search_opENS9_16wrapped_functionINS8_6system6detail7generic6detail18binary_search_lessEbEEEE10hipError_tPvRmT1_T2_T3_mmT4_T5_P12ihipStream_tbEUlRKdE_EEST_SX_SY_mSZ_S12_bEUlT_E_NS1_11comp_targetILNS1_3genE10ELNS1_11target_archE1200ELNS1_3gpuE4ELNS1_3repE0EEENS1_30default_config_static_selectorELNS0_4arch9wavefront6targetE1EEEvSW_.has_recursion, 0
	.set _ZN7rocprim17ROCPRIM_400000_NS6detail17trampoline_kernelINS0_14default_configENS1_27lower_bound_config_selectorIdlEEZNS1_14transform_implILb0ES3_S5_N6thrust23THRUST_200600_302600_NS6detail15normal_iteratorINS8_7pointerIdNS8_11hip_rocprim5par_tENS8_11use_defaultESE_EEEENSA_INSB_IlSD_SE_SE_EEEEZNS1_13binary_searchIS3_S5_PdSG_SI_NS1_21lower_bound_search_opENS9_16wrapped_functionINS8_6system6detail7generic6detail18binary_search_lessEbEEEE10hipError_tPvRmT1_T2_T3_mmT4_T5_P12ihipStream_tbEUlRKdE_EEST_SX_SY_mSZ_S12_bEUlT_E_NS1_11comp_targetILNS1_3genE10ELNS1_11target_archE1200ELNS1_3gpuE4ELNS1_3repE0EEENS1_30default_config_static_selectorELNS0_4arch9wavefront6targetE1EEEvSW_.has_indirect_call, 0
	.section	.AMDGPU.csdata,"",@progbits
; Kernel info:
; codeLenInByte = 0
; TotalNumSgprs: 4
; NumVgprs: 0
; ScratchSize: 0
; MemoryBound: 0
; FloatMode: 240
; IeeeMode: 1
; LDSByteSize: 0 bytes/workgroup (compile time only)
; SGPRBlocks: 0
; VGPRBlocks: 0
; NumSGPRsForWavesPerEU: 4
; NumVGPRsForWavesPerEU: 1
; Occupancy: 10
; WaveLimiterHint : 0
; COMPUTE_PGM_RSRC2:SCRATCH_EN: 0
; COMPUTE_PGM_RSRC2:USER_SGPR: 6
; COMPUTE_PGM_RSRC2:TRAP_HANDLER: 0
; COMPUTE_PGM_RSRC2:TGID_X_EN: 1
; COMPUTE_PGM_RSRC2:TGID_Y_EN: 0
; COMPUTE_PGM_RSRC2:TGID_Z_EN: 0
; COMPUTE_PGM_RSRC2:TIDIG_COMP_CNT: 0
	.section	.text._ZN7rocprim17ROCPRIM_400000_NS6detail17trampoline_kernelINS0_14default_configENS1_27lower_bound_config_selectorIdlEEZNS1_14transform_implILb0ES3_S5_N6thrust23THRUST_200600_302600_NS6detail15normal_iteratorINS8_7pointerIdNS8_11hip_rocprim5par_tENS8_11use_defaultESE_EEEENSA_INSB_IlSD_SE_SE_EEEEZNS1_13binary_searchIS3_S5_PdSG_SI_NS1_21lower_bound_search_opENS9_16wrapped_functionINS8_6system6detail7generic6detail18binary_search_lessEbEEEE10hipError_tPvRmT1_T2_T3_mmT4_T5_P12ihipStream_tbEUlRKdE_EEST_SX_SY_mSZ_S12_bEUlT_E_NS1_11comp_targetILNS1_3genE9ELNS1_11target_archE1100ELNS1_3gpuE3ELNS1_3repE0EEENS1_30default_config_static_selectorELNS0_4arch9wavefront6targetE1EEEvSW_,"axG",@progbits,_ZN7rocprim17ROCPRIM_400000_NS6detail17trampoline_kernelINS0_14default_configENS1_27lower_bound_config_selectorIdlEEZNS1_14transform_implILb0ES3_S5_N6thrust23THRUST_200600_302600_NS6detail15normal_iteratorINS8_7pointerIdNS8_11hip_rocprim5par_tENS8_11use_defaultESE_EEEENSA_INSB_IlSD_SE_SE_EEEEZNS1_13binary_searchIS3_S5_PdSG_SI_NS1_21lower_bound_search_opENS9_16wrapped_functionINS8_6system6detail7generic6detail18binary_search_lessEbEEEE10hipError_tPvRmT1_T2_T3_mmT4_T5_P12ihipStream_tbEUlRKdE_EEST_SX_SY_mSZ_S12_bEUlT_E_NS1_11comp_targetILNS1_3genE9ELNS1_11target_archE1100ELNS1_3gpuE3ELNS1_3repE0EEENS1_30default_config_static_selectorELNS0_4arch9wavefront6targetE1EEEvSW_,comdat
	.protected	_ZN7rocprim17ROCPRIM_400000_NS6detail17trampoline_kernelINS0_14default_configENS1_27lower_bound_config_selectorIdlEEZNS1_14transform_implILb0ES3_S5_N6thrust23THRUST_200600_302600_NS6detail15normal_iteratorINS8_7pointerIdNS8_11hip_rocprim5par_tENS8_11use_defaultESE_EEEENSA_INSB_IlSD_SE_SE_EEEEZNS1_13binary_searchIS3_S5_PdSG_SI_NS1_21lower_bound_search_opENS9_16wrapped_functionINS8_6system6detail7generic6detail18binary_search_lessEbEEEE10hipError_tPvRmT1_T2_T3_mmT4_T5_P12ihipStream_tbEUlRKdE_EEST_SX_SY_mSZ_S12_bEUlT_E_NS1_11comp_targetILNS1_3genE9ELNS1_11target_archE1100ELNS1_3gpuE3ELNS1_3repE0EEENS1_30default_config_static_selectorELNS0_4arch9wavefront6targetE1EEEvSW_ ; -- Begin function _ZN7rocprim17ROCPRIM_400000_NS6detail17trampoline_kernelINS0_14default_configENS1_27lower_bound_config_selectorIdlEEZNS1_14transform_implILb0ES3_S5_N6thrust23THRUST_200600_302600_NS6detail15normal_iteratorINS8_7pointerIdNS8_11hip_rocprim5par_tENS8_11use_defaultESE_EEEENSA_INSB_IlSD_SE_SE_EEEEZNS1_13binary_searchIS3_S5_PdSG_SI_NS1_21lower_bound_search_opENS9_16wrapped_functionINS8_6system6detail7generic6detail18binary_search_lessEbEEEE10hipError_tPvRmT1_T2_T3_mmT4_T5_P12ihipStream_tbEUlRKdE_EEST_SX_SY_mSZ_S12_bEUlT_E_NS1_11comp_targetILNS1_3genE9ELNS1_11target_archE1100ELNS1_3gpuE3ELNS1_3repE0EEENS1_30default_config_static_selectorELNS0_4arch9wavefront6targetE1EEEvSW_
	.globl	_ZN7rocprim17ROCPRIM_400000_NS6detail17trampoline_kernelINS0_14default_configENS1_27lower_bound_config_selectorIdlEEZNS1_14transform_implILb0ES3_S5_N6thrust23THRUST_200600_302600_NS6detail15normal_iteratorINS8_7pointerIdNS8_11hip_rocprim5par_tENS8_11use_defaultESE_EEEENSA_INSB_IlSD_SE_SE_EEEEZNS1_13binary_searchIS3_S5_PdSG_SI_NS1_21lower_bound_search_opENS9_16wrapped_functionINS8_6system6detail7generic6detail18binary_search_lessEbEEEE10hipError_tPvRmT1_T2_T3_mmT4_T5_P12ihipStream_tbEUlRKdE_EEST_SX_SY_mSZ_S12_bEUlT_E_NS1_11comp_targetILNS1_3genE9ELNS1_11target_archE1100ELNS1_3gpuE3ELNS1_3repE0EEENS1_30default_config_static_selectorELNS0_4arch9wavefront6targetE1EEEvSW_
	.p2align	8
	.type	_ZN7rocprim17ROCPRIM_400000_NS6detail17trampoline_kernelINS0_14default_configENS1_27lower_bound_config_selectorIdlEEZNS1_14transform_implILb0ES3_S5_N6thrust23THRUST_200600_302600_NS6detail15normal_iteratorINS8_7pointerIdNS8_11hip_rocprim5par_tENS8_11use_defaultESE_EEEENSA_INSB_IlSD_SE_SE_EEEEZNS1_13binary_searchIS3_S5_PdSG_SI_NS1_21lower_bound_search_opENS9_16wrapped_functionINS8_6system6detail7generic6detail18binary_search_lessEbEEEE10hipError_tPvRmT1_T2_T3_mmT4_T5_P12ihipStream_tbEUlRKdE_EEST_SX_SY_mSZ_S12_bEUlT_E_NS1_11comp_targetILNS1_3genE9ELNS1_11target_archE1100ELNS1_3gpuE3ELNS1_3repE0EEENS1_30default_config_static_selectorELNS0_4arch9wavefront6targetE1EEEvSW_,@function
_ZN7rocprim17ROCPRIM_400000_NS6detail17trampoline_kernelINS0_14default_configENS1_27lower_bound_config_selectorIdlEEZNS1_14transform_implILb0ES3_S5_N6thrust23THRUST_200600_302600_NS6detail15normal_iteratorINS8_7pointerIdNS8_11hip_rocprim5par_tENS8_11use_defaultESE_EEEENSA_INSB_IlSD_SE_SE_EEEEZNS1_13binary_searchIS3_S5_PdSG_SI_NS1_21lower_bound_search_opENS9_16wrapped_functionINS8_6system6detail7generic6detail18binary_search_lessEbEEEE10hipError_tPvRmT1_T2_T3_mmT4_T5_P12ihipStream_tbEUlRKdE_EEST_SX_SY_mSZ_S12_bEUlT_E_NS1_11comp_targetILNS1_3genE9ELNS1_11target_archE1100ELNS1_3gpuE3ELNS1_3repE0EEENS1_30default_config_static_selectorELNS0_4arch9wavefront6targetE1EEEvSW_: ; @_ZN7rocprim17ROCPRIM_400000_NS6detail17trampoline_kernelINS0_14default_configENS1_27lower_bound_config_selectorIdlEEZNS1_14transform_implILb0ES3_S5_N6thrust23THRUST_200600_302600_NS6detail15normal_iteratorINS8_7pointerIdNS8_11hip_rocprim5par_tENS8_11use_defaultESE_EEEENSA_INSB_IlSD_SE_SE_EEEEZNS1_13binary_searchIS3_S5_PdSG_SI_NS1_21lower_bound_search_opENS9_16wrapped_functionINS8_6system6detail7generic6detail18binary_search_lessEbEEEE10hipError_tPvRmT1_T2_T3_mmT4_T5_P12ihipStream_tbEUlRKdE_EEST_SX_SY_mSZ_S12_bEUlT_E_NS1_11comp_targetILNS1_3genE9ELNS1_11target_archE1100ELNS1_3gpuE3ELNS1_3repE0EEENS1_30default_config_static_selectorELNS0_4arch9wavefront6targetE1EEEvSW_
; %bb.0:
	.section	.rodata,"a",@progbits
	.p2align	6, 0x0
	.amdhsa_kernel _ZN7rocprim17ROCPRIM_400000_NS6detail17trampoline_kernelINS0_14default_configENS1_27lower_bound_config_selectorIdlEEZNS1_14transform_implILb0ES3_S5_N6thrust23THRUST_200600_302600_NS6detail15normal_iteratorINS8_7pointerIdNS8_11hip_rocprim5par_tENS8_11use_defaultESE_EEEENSA_INSB_IlSD_SE_SE_EEEEZNS1_13binary_searchIS3_S5_PdSG_SI_NS1_21lower_bound_search_opENS9_16wrapped_functionINS8_6system6detail7generic6detail18binary_search_lessEbEEEE10hipError_tPvRmT1_T2_T3_mmT4_T5_P12ihipStream_tbEUlRKdE_EEST_SX_SY_mSZ_S12_bEUlT_E_NS1_11comp_targetILNS1_3genE9ELNS1_11target_archE1100ELNS1_3gpuE3ELNS1_3repE0EEENS1_30default_config_static_selectorELNS0_4arch9wavefront6targetE1EEEvSW_
		.amdhsa_group_segment_fixed_size 0
		.amdhsa_private_segment_fixed_size 0
		.amdhsa_kernarg_size 56
		.amdhsa_user_sgpr_count 6
		.amdhsa_user_sgpr_private_segment_buffer 1
		.amdhsa_user_sgpr_dispatch_ptr 0
		.amdhsa_user_sgpr_queue_ptr 0
		.amdhsa_user_sgpr_kernarg_segment_ptr 1
		.amdhsa_user_sgpr_dispatch_id 0
		.amdhsa_user_sgpr_flat_scratch_init 0
		.amdhsa_user_sgpr_private_segment_size 0
		.amdhsa_uses_dynamic_stack 0
		.amdhsa_system_sgpr_private_segment_wavefront_offset 0
		.amdhsa_system_sgpr_workgroup_id_x 1
		.amdhsa_system_sgpr_workgroup_id_y 0
		.amdhsa_system_sgpr_workgroup_id_z 0
		.amdhsa_system_sgpr_workgroup_info 0
		.amdhsa_system_vgpr_workitem_id 0
		.amdhsa_next_free_vgpr 1
		.amdhsa_next_free_sgpr 0
		.amdhsa_reserve_vcc 0
		.amdhsa_reserve_flat_scratch 0
		.amdhsa_float_round_mode_32 0
		.amdhsa_float_round_mode_16_64 0
		.amdhsa_float_denorm_mode_32 3
		.amdhsa_float_denorm_mode_16_64 3
		.amdhsa_dx10_clamp 1
		.amdhsa_ieee_mode 1
		.amdhsa_fp16_overflow 0
		.amdhsa_exception_fp_ieee_invalid_op 0
		.amdhsa_exception_fp_denorm_src 0
		.amdhsa_exception_fp_ieee_div_zero 0
		.amdhsa_exception_fp_ieee_overflow 0
		.amdhsa_exception_fp_ieee_underflow 0
		.amdhsa_exception_fp_ieee_inexact 0
		.amdhsa_exception_int_div_zero 0
	.end_amdhsa_kernel
	.section	.text._ZN7rocprim17ROCPRIM_400000_NS6detail17trampoline_kernelINS0_14default_configENS1_27lower_bound_config_selectorIdlEEZNS1_14transform_implILb0ES3_S5_N6thrust23THRUST_200600_302600_NS6detail15normal_iteratorINS8_7pointerIdNS8_11hip_rocprim5par_tENS8_11use_defaultESE_EEEENSA_INSB_IlSD_SE_SE_EEEEZNS1_13binary_searchIS3_S5_PdSG_SI_NS1_21lower_bound_search_opENS9_16wrapped_functionINS8_6system6detail7generic6detail18binary_search_lessEbEEEE10hipError_tPvRmT1_T2_T3_mmT4_T5_P12ihipStream_tbEUlRKdE_EEST_SX_SY_mSZ_S12_bEUlT_E_NS1_11comp_targetILNS1_3genE9ELNS1_11target_archE1100ELNS1_3gpuE3ELNS1_3repE0EEENS1_30default_config_static_selectorELNS0_4arch9wavefront6targetE1EEEvSW_,"axG",@progbits,_ZN7rocprim17ROCPRIM_400000_NS6detail17trampoline_kernelINS0_14default_configENS1_27lower_bound_config_selectorIdlEEZNS1_14transform_implILb0ES3_S5_N6thrust23THRUST_200600_302600_NS6detail15normal_iteratorINS8_7pointerIdNS8_11hip_rocprim5par_tENS8_11use_defaultESE_EEEENSA_INSB_IlSD_SE_SE_EEEEZNS1_13binary_searchIS3_S5_PdSG_SI_NS1_21lower_bound_search_opENS9_16wrapped_functionINS8_6system6detail7generic6detail18binary_search_lessEbEEEE10hipError_tPvRmT1_T2_T3_mmT4_T5_P12ihipStream_tbEUlRKdE_EEST_SX_SY_mSZ_S12_bEUlT_E_NS1_11comp_targetILNS1_3genE9ELNS1_11target_archE1100ELNS1_3gpuE3ELNS1_3repE0EEENS1_30default_config_static_selectorELNS0_4arch9wavefront6targetE1EEEvSW_,comdat
.Lfunc_end20:
	.size	_ZN7rocprim17ROCPRIM_400000_NS6detail17trampoline_kernelINS0_14default_configENS1_27lower_bound_config_selectorIdlEEZNS1_14transform_implILb0ES3_S5_N6thrust23THRUST_200600_302600_NS6detail15normal_iteratorINS8_7pointerIdNS8_11hip_rocprim5par_tENS8_11use_defaultESE_EEEENSA_INSB_IlSD_SE_SE_EEEEZNS1_13binary_searchIS3_S5_PdSG_SI_NS1_21lower_bound_search_opENS9_16wrapped_functionINS8_6system6detail7generic6detail18binary_search_lessEbEEEE10hipError_tPvRmT1_T2_T3_mmT4_T5_P12ihipStream_tbEUlRKdE_EEST_SX_SY_mSZ_S12_bEUlT_E_NS1_11comp_targetILNS1_3genE9ELNS1_11target_archE1100ELNS1_3gpuE3ELNS1_3repE0EEENS1_30default_config_static_selectorELNS0_4arch9wavefront6targetE1EEEvSW_, .Lfunc_end20-_ZN7rocprim17ROCPRIM_400000_NS6detail17trampoline_kernelINS0_14default_configENS1_27lower_bound_config_selectorIdlEEZNS1_14transform_implILb0ES3_S5_N6thrust23THRUST_200600_302600_NS6detail15normal_iteratorINS8_7pointerIdNS8_11hip_rocprim5par_tENS8_11use_defaultESE_EEEENSA_INSB_IlSD_SE_SE_EEEEZNS1_13binary_searchIS3_S5_PdSG_SI_NS1_21lower_bound_search_opENS9_16wrapped_functionINS8_6system6detail7generic6detail18binary_search_lessEbEEEE10hipError_tPvRmT1_T2_T3_mmT4_T5_P12ihipStream_tbEUlRKdE_EEST_SX_SY_mSZ_S12_bEUlT_E_NS1_11comp_targetILNS1_3genE9ELNS1_11target_archE1100ELNS1_3gpuE3ELNS1_3repE0EEENS1_30default_config_static_selectorELNS0_4arch9wavefront6targetE1EEEvSW_
                                        ; -- End function
	.set _ZN7rocprim17ROCPRIM_400000_NS6detail17trampoline_kernelINS0_14default_configENS1_27lower_bound_config_selectorIdlEEZNS1_14transform_implILb0ES3_S5_N6thrust23THRUST_200600_302600_NS6detail15normal_iteratorINS8_7pointerIdNS8_11hip_rocprim5par_tENS8_11use_defaultESE_EEEENSA_INSB_IlSD_SE_SE_EEEEZNS1_13binary_searchIS3_S5_PdSG_SI_NS1_21lower_bound_search_opENS9_16wrapped_functionINS8_6system6detail7generic6detail18binary_search_lessEbEEEE10hipError_tPvRmT1_T2_T3_mmT4_T5_P12ihipStream_tbEUlRKdE_EEST_SX_SY_mSZ_S12_bEUlT_E_NS1_11comp_targetILNS1_3genE9ELNS1_11target_archE1100ELNS1_3gpuE3ELNS1_3repE0EEENS1_30default_config_static_selectorELNS0_4arch9wavefront6targetE1EEEvSW_.num_vgpr, 0
	.set _ZN7rocprim17ROCPRIM_400000_NS6detail17trampoline_kernelINS0_14default_configENS1_27lower_bound_config_selectorIdlEEZNS1_14transform_implILb0ES3_S5_N6thrust23THRUST_200600_302600_NS6detail15normal_iteratorINS8_7pointerIdNS8_11hip_rocprim5par_tENS8_11use_defaultESE_EEEENSA_INSB_IlSD_SE_SE_EEEEZNS1_13binary_searchIS3_S5_PdSG_SI_NS1_21lower_bound_search_opENS9_16wrapped_functionINS8_6system6detail7generic6detail18binary_search_lessEbEEEE10hipError_tPvRmT1_T2_T3_mmT4_T5_P12ihipStream_tbEUlRKdE_EEST_SX_SY_mSZ_S12_bEUlT_E_NS1_11comp_targetILNS1_3genE9ELNS1_11target_archE1100ELNS1_3gpuE3ELNS1_3repE0EEENS1_30default_config_static_selectorELNS0_4arch9wavefront6targetE1EEEvSW_.num_agpr, 0
	.set _ZN7rocprim17ROCPRIM_400000_NS6detail17trampoline_kernelINS0_14default_configENS1_27lower_bound_config_selectorIdlEEZNS1_14transform_implILb0ES3_S5_N6thrust23THRUST_200600_302600_NS6detail15normal_iteratorINS8_7pointerIdNS8_11hip_rocprim5par_tENS8_11use_defaultESE_EEEENSA_INSB_IlSD_SE_SE_EEEEZNS1_13binary_searchIS3_S5_PdSG_SI_NS1_21lower_bound_search_opENS9_16wrapped_functionINS8_6system6detail7generic6detail18binary_search_lessEbEEEE10hipError_tPvRmT1_T2_T3_mmT4_T5_P12ihipStream_tbEUlRKdE_EEST_SX_SY_mSZ_S12_bEUlT_E_NS1_11comp_targetILNS1_3genE9ELNS1_11target_archE1100ELNS1_3gpuE3ELNS1_3repE0EEENS1_30default_config_static_selectorELNS0_4arch9wavefront6targetE1EEEvSW_.numbered_sgpr, 0
	.set _ZN7rocprim17ROCPRIM_400000_NS6detail17trampoline_kernelINS0_14default_configENS1_27lower_bound_config_selectorIdlEEZNS1_14transform_implILb0ES3_S5_N6thrust23THRUST_200600_302600_NS6detail15normal_iteratorINS8_7pointerIdNS8_11hip_rocprim5par_tENS8_11use_defaultESE_EEEENSA_INSB_IlSD_SE_SE_EEEEZNS1_13binary_searchIS3_S5_PdSG_SI_NS1_21lower_bound_search_opENS9_16wrapped_functionINS8_6system6detail7generic6detail18binary_search_lessEbEEEE10hipError_tPvRmT1_T2_T3_mmT4_T5_P12ihipStream_tbEUlRKdE_EEST_SX_SY_mSZ_S12_bEUlT_E_NS1_11comp_targetILNS1_3genE9ELNS1_11target_archE1100ELNS1_3gpuE3ELNS1_3repE0EEENS1_30default_config_static_selectorELNS0_4arch9wavefront6targetE1EEEvSW_.num_named_barrier, 0
	.set _ZN7rocprim17ROCPRIM_400000_NS6detail17trampoline_kernelINS0_14default_configENS1_27lower_bound_config_selectorIdlEEZNS1_14transform_implILb0ES3_S5_N6thrust23THRUST_200600_302600_NS6detail15normal_iteratorINS8_7pointerIdNS8_11hip_rocprim5par_tENS8_11use_defaultESE_EEEENSA_INSB_IlSD_SE_SE_EEEEZNS1_13binary_searchIS3_S5_PdSG_SI_NS1_21lower_bound_search_opENS9_16wrapped_functionINS8_6system6detail7generic6detail18binary_search_lessEbEEEE10hipError_tPvRmT1_T2_T3_mmT4_T5_P12ihipStream_tbEUlRKdE_EEST_SX_SY_mSZ_S12_bEUlT_E_NS1_11comp_targetILNS1_3genE9ELNS1_11target_archE1100ELNS1_3gpuE3ELNS1_3repE0EEENS1_30default_config_static_selectorELNS0_4arch9wavefront6targetE1EEEvSW_.private_seg_size, 0
	.set _ZN7rocprim17ROCPRIM_400000_NS6detail17trampoline_kernelINS0_14default_configENS1_27lower_bound_config_selectorIdlEEZNS1_14transform_implILb0ES3_S5_N6thrust23THRUST_200600_302600_NS6detail15normal_iteratorINS8_7pointerIdNS8_11hip_rocprim5par_tENS8_11use_defaultESE_EEEENSA_INSB_IlSD_SE_SE_EEEEZNS1_13binary_searchIS3_S5_PdSG_SI_NS1_21lower_bound_search_opENS9_16wrapped_functionINS8_6system6detail7generic6detail18binary_search_lessEbEEEE10hipError_tPvRmT1_T2_T3_mmT4_T5_P12ihipStream_tbEUlRKdE_EEST_SX_SY_mSZ_S12_bEUlT_E_NS1_11comp_targetILNS1_3genE9ELNS1_11target_archE1100ELNS1_3gpuE3ELNS1_3repE0EEENS1_30default_config_static_selectorELNS0_4arch9wavefront6targetE1EEEvSW_.uses_vcc, 0
	.set _ZN7rocprim17ROCPRIM_400000_NS6detail17trampoline_kernelINS0_14default_configENS1_27lower_bound_config_selectorIdlEEZNS1_14transform_implILb0ES3_S5_N6thrust23THRUST_200600_302600_NS6detail15normal_iteratorINS8_7pointerIdNS8_11hip_rocprim5par_tENS8_11use_defaultESE_EEEENSA_INSB_IlSD_SE_SE_EEEEZNS1_13binary_searchIS3_S5_PdSG_SI_NS1_21lower_bound_search_opENS9_16wrapped_functionINS8_6system6detail7generic6detail18binary_search_lessEbEEEE10hipError_tPvRmT1_T2_T3_mmT4_T5_P12ihipStream_tbEUlRKdE_EEST_SX_SY_mSZ_S12_bEUlT_E_NS1_11comp_targetILNS1_3genE9ELNS1_11target_archE1100ELNS1_3gpuE3ELNS1_3repE0EEENS1_30default_config_static_selectorELNS0_4arch9wavefront6targetE1EEEvSW_.uses_flat_scratch, 0
	.set _ZN7rocprim17ROCPRIM_400000_NS6detail17trampoline_kernelINS0_14default_configENS1_27lower_bound_config_selectorIdlEEZNS1_14transform_implILb0ES3_S5_N6thrust23THRUST_200600_302600_NS6detail15normal_iteratorINS8_7pointerIdNS8_11hip_rocprim5par_tENS8_11use_defaultESE_EEEENSA_INSB_IlSD_SE_SE_EEEEZNS1_13binary_searchIS3_S5_PdSG_SI_NS1_21lower_bound_search_opENS9_16wrapped_functionINS8_6system6detail7generic6detail18binary_search_lessEbEEEE10hipError_tPvRmT1_T2_T3_mmT4_T5_P12ihipStream_tbEUlRKdE_EEST_SX_SY_mSZ_S12_bEUlT_E_NS1_11comp_targetILNS1_3genE9ELNS1_11target_archE1100ELNS1_3gpuE3ELNS1_3repE0EEENS1_30default_config_static_selectorELNS0_4arch9wavefront6targetE1EEEvSW_.has_dyn_sized_stack, 0
	.set _ZN7rocprim17ROCPRIM_400000_NS6detail17trampoline_kernelINS0_14default_configENS1_27lower_bound_config_selectorIdlEEZNS1_14transform_implILb0ES3_S5_N6thrust23THRUST_200600_302600_NS6detail15normal_iteratorINS8_7pointerIdNS8_11hip_rocprim5par_tENS8_11use_defaultESE_EEEENSA_INSB_IlSD_SE_SE_EEEEZNS1_13binary_searchIS3_S5_PdSG_SI_NS1_21lower_bound_search_opENS9_16wrapped_functionINS8_6system6detail7generic6detail18binary_search_lessEbEEEE10hipError_tPvRmT1_T2_T3_mmT4_T5_P12ihipStream_tbEUlRKdE_EEST_SX_SY_mSZ_S12_bEUlT_E_NS1_11comp_targetILNS1_3genE9ELNS1_11target_archE1100ELNS1_3gpuE3ELNS1_3repE0EEENS1_30default_config_static_selectorELNS0_4arch9wavefront6targetE1EEEvSW_.has_recursion, 0
	.set _ZN7rocprim17ROCPRIM_400000_NS6detail17trampoline_kernelINS0_14default_configENS1_27lower_bound_config_selectorIdlEEZNS1_14transform_implILb0ES3_S5_N6thrust23THRUST_200600_302600_NS6detail15normal_iteratorINS8_7pointerIdNS8_11hip_rocprim5par_tENS8_11use_defaultESE_EEEENSA_INSB_IlSD_SE_SE_EEEEZNS1_13binary_searchIS3_S5_PdSG_SI_NS1_21lower_bound_search_opENS9_16wrapped_functionINS8_6system6detail7generic6detail18binary_search_lessEbEEEE10hipError_tPvRmT1_T2_T3_mmT4_T5_P12ihipStream_tbEUlRKdE_EEST_SX_SY_mSZ_S12_bEUlT_E_NS1_11comp_targetILNS1_3genE9ELNS1_11target_archE1100ELNS1_3gpuE3ELNS1_3repE0EEENS1_30default_config_static_selectorELNS0_4arch9wavefront6targetE1EEEvSW_.has_indirect_call, 0
	.section	.AMDGPU.csdata,"",@progbits
; Kernel info:
; codeLenInByte = 0
; TotalNumSgprs: 4
; NumVgprs: 0
; ScratchSize: 0
; MemoryBound: 0
; FloatMode: 240
; IeeeMode: 1
; LDSByteSize: 0 bytes/workgroup (compile time only)
; SGPRBlocks: 0
; VGPRBlocks: 0
; NumSGPRsForWavesPerEU: 4
; NumVGPRsForWavesPerEU: 1
; Occupancy: 10
; WaveLimiterHint : 0
; COMPUTE_PGM_RSRC2:SCRATCH_EN: 0
; COMPUTE_PGM_RSRC2:USER_SGPR: 6
; COMPUTE_PGM_RSRC2:TRAP_HANDLER: 0
; COMPUTE_PGM_RSRC2:TGID_X_EN: 1
; COMPUTE_PGM_RSRC2:TGID_Y_EN: 0
; COMPUTE_PGM_RSRC2:TGID_Z_EN: 0
; COMPUTE_PGM_RSRC2:TIDIG_COMP_CNT: 0
	.section	.text._ZN7rocprim17ROCPRIM_400000_NS6detail17trampoline_kernelINS0_14default_configENS1_27lower_bound_config_selectorIdlEEZNS1_14transform_implILb0ES3_S5_N6thrust23THRUST_200600_302600_NS6detail15normal_iteratorINS8_7pointerIdNS8_11hip_rocprim5par_tENS8_11use_defaultESE_EEEENSA_INSB_IlSD_SE_SE_EEEEZNS1_13binary_searchIS3_S5_PdSG_SI_NS1_21lower_bound_search_opENS9_16wrapped_functionINS8_6system6detail7generic6detail18binary_search_lessEbEEEE10hipError_tPvRmT1_T2_T3_mmT4_T5_P12ihipStream_tbEUlRKdE_EEST_SX_SY_mSZ_S12_bEUlT_E_NS1_11comp_targetILNS1_3genE8ELNS1_11target_archE1030ELNS1_3gpuE2ELNS1_3repE0EEENS1_30default_config_static_selectorELNS0_4arch9wavefront6targetE1EEEvSW_,"axG",@progbits,_ZN7rocprim17ROCPRIM_400000_NS6detail17trampoline_kernelINS0_14default_configENS1_27lower_bound_config_selectorIdlEEZNS1_14transform_implILb0ES3_S5_N6thrust23THRUST_200600_302600_NS6detail15normal_iteratorINS8_7pointerIdNS8_11hip_rocprim5par_tENS8_11use_defaultESE_EEEENSA_INSB_IlSD_SE_SE_EEEEZNS1_13binary_searchIS3_S5_PdSG_SI_NS1_21lower_bound_search_opENS9_16wrapped_functionINS8_6system6detail7generic6detail18binary_search_lessEbEEEE10hipError_tPvRmT1_T2_T3_mmT4_T5_P12ihipStream_tbEUlRKdE_EEST_SX_SY_mSZ_S12_bEUlT_E_NS1_11comp_targetILNS1_3genE8ELNS1_11target_archE1030ELNS1_3gpuE2ELNS1_3repE0EEENS1_30default_config_static_selectorELNS0_4arch9wavefront6targetE1EEEvSW_,comdat
	.protected	_ZN7rocprim17ROCPRIM_400000_NS6detail17trampoline_kernelINS0_14default_configENS1_27lower_bound_config_selectorIdlEEZNS1_14transform_implILb0ES3_S5_N6thrust23THRUST_200600_302600_NS6detail15normal_iteratorINS8_7pointerIdNS8_11hip_rocprim5par_tENS8_11use_defaultESE_EEEENSA_INSB_IlSD_SE_SE_EEEEZNS1_13binary_searchIS3_S5_PdSG_SI_NS1_21lower_bound_search_opENS9_16wrapped_functionINS8_6system6detail7generic6detail18binary_search_lessEbEEEE10hipError_tPvRmT1_T2_T3_mmT4_T5_P12ihipStream_tbEUlRKdE_EEST_SX_SY_mSZ_S12_bEUlT_E_NS1_11comp_targetILNS1_3genE8ELNS1_11target_archE1030ELNS1_3gpuE2ELNS1_3repE0EEENS1_30default_config_static_selectorELNS0_4arch9wavefront6targetE1EEEvSW_ ; -- Begin function _ZN7rocprim17ROCPRIM_400000_NS6detail17trampoline_kernelINS0_14default_configENS1_27lower_bound_config_selectorIdlEEZNS1_14transform_implILb0ES3_S5_N6thrust23THRUST_200600_302600_NS6detail15normal_iteratorINS8_7pointerIdNS8_11hip_rocprim5par_tENS8_11use_defaultESE_EEEENSA_INSB_IlSD_SE_SE_EEEEZNS1_13binary_searchIS3_S5_PdSG_SI_NS1_21lower_bound_search_opENS9_16wrapped_functionINS8_6system6detail7generic6detail18binary_search_lessEbEEEE10hipError_tPvRmT1_T2_T3_mmT4_T5_P12ihipStream_tbEUlRKdE_EEST_SX_SY_mSZ_S12_bEUlT_E_NS1_11comp_targetILNS1_3genE8ELNS1_11target_archE1030ELNS1_3gpuE2ELNS1_3repE0EEENS1_30default_config_static_selectorELNS0_4arch9wavefront6targetE1EEEvSW_
	.globl	_ZN7rocprim17ROCPRIM_400000_NS6detail17trampoline_kernelINS0_14default_configENS1_27lower_bound_config_selectorIdlEEZNS1_14transform_implILb0ES3_S5_N6thrust23THRUST_200600_302600_NS6detail15normal_iteratorINS8_7pointerIdNS8_11hip_rocprim5par_tENS8_11use_defaultESE_EEEENSA_INSB_IlSD_SE_SE_EEEEZNS1_13binary_searchIS3_S5_PdSG_SI_NS1_21lower_bound_search_opENS9_16wrapped_functionINS8_6system6detail7generic6detail18binary_search_lessEbEEEE10hipError_tPvRmT1_T2_T3_mmT4_T5_P12ihipStream_tbEUlRKdE_EEST_SX_SY_mSZ_S12_bEUlT_E_NS1_11comp_targetILNS1_3genE8ELNS1_11target_archE1030ELNS1_3gpuE2ELNS1_3repE0EEENS1_30default_config_static_selectorELNS0_4arch9wavefront6targetE1EEEvSW_
	.p2align	8
	.type	_ZN7rocprim17ROCPRIM_400000_NS6detail17trampoline_kernelINS0_14default_configENS1_27lower_bound_config_selectorIdlEEZNS1_14transform_implILb0ES3_S5_N6thrust23THRUST_200600_302600_NS6detail15normal_iteratorINS8_7pointerIdNS8_11hip_rocprim5par_tENS8_11use_defaultESE_EEEENSA_INSB_IlSD_SE_SE_EEEEZNS1_13binary_searchIS3_S5_PdSG_SI_NS1_21lower_bound_search_opENS9_16wrapped_functionINS8_6system6detail7generic6detail18binary_search_lessEbEEEE10hipError_tPvRmT1_T2_T3_mmT4_T5_P12ihipStream_tbEUlRKdE_EEST_SX_SY_mSZ_S12_bEUlT_E_NS1_11comp_targetILNS1_3genE8ELNS1_11target_archE1030ELNS1_3gpuE2ELNS1_3repE0EEENS1_30default_config_static_selectorELNS0_4arch9wavefront6targetE1EEEvSW_,@function
_ZN7rocprim17ROCPRIM_400000_NS6detail17trampoline_kernelINS0_14default_configENS1_27lower_bound_config_selectorIdlEEZNS1_14transform_implILb0ES3_S5_N6thrust23THRUST_200600_302600_NS6detail15normal_iteratorINS8_7pointerIdNS8_11hip_rocprim5par_tENS8_11use_defaultESE_EEEENSA_INSB_IlSD_SE_SE_EEEEZNS1_13binary_searchIS3_S5_PdSG_SI_NS1_21lower_bound_search_opENS9_16wrapped_functionINS8_6system6detail7generic6detail18binary_search_lessEbEEEE10hipError_tPvRmT1_T2_T3_mmT4_T5_P12ihipStream_tbEUlRKdE_EEST_SX_SY_mSZ_S12_bEUlT_E_NS1_11comp_targetILNS1_3genE8ELNS1_11target_archE1030ELNS1_3gpuE2ELNS1_3repE0EEENS1_30default_config_static_selectorELNS0_4arch9wavefront6targetE1EEEvSW_: ; @_ZN7rocprim17ROCPRIM_400000_NS6detail17trampoline_kernelINS0_14default_configENS1_27lower_bound_config_selectorIdlEEZNS1_14transform_implILb0ES3_S5_N6thrust23THRUST_200600_302600_NS6detail15normal_iteratorINS8_7pointerIdNS8_11hip_rocprim5par_tENS8_11use_defaultESE_EEEENSA_INSB_IlSD_SE_SE_EEEEZNS1_13binary_searchIS3_S5_PdSG_SI_NS1_21lower_bound_search_opENS9_16wrapped_functionINS8_6system6detail7generic6detail18binary_search_lessEbEEEE10hipError_tPvRmT1_T2_T3_mmT4_T5_P12ihipStream_tbEUlRKdE_EEST_SX_SY_mSZ_S12_bEUlT_E_NS1_11comp_targetILNS1_3genE8ELNS1_11target_archE1030ELNS1_3gpuE2ELNS1_3repE0EEENS1_30default_config_static_selectorELNS0_4arch9wavefront6targetE1EEEvSW_
; %bb.0:
	.section	.rodata,"a",@progbits
	.p2align	6, 0x0
	.amdhsa_kernel _ZN7rocprim17ROCPRIM_400000_NS6detail17trampoline_kernelINS0_14default_configENS1_27lower_bound_config_selectorIdlEEZNS1_14transform_implILb0ES3_S5_N6thrust23THRUST_200600_302600_NS6detail15normal_iteratorINS8_7pointerIdNS8_11hip_rocprim5par_tENS8_11use_defaultESE_EEEENSA_INSB_IlSD_SE_SE_EEEEZNS1_13binary_searchIS3_S5_PdSG_SI_NS1_21lower_bound_search_opENS9_16wrapped_functionINS8_6system6detail7generic6detail18binary_search_lessEbEEEE10hipError_tPvRmT1_T2_T3_mmT4_T5_P12ihipStream_tbEUlRKdE_EEST_SX_SY_mSZ_S12_bEUlT_E_NS1_11comp_targetILNS1_3genE8ELNS1_11target_archE1030ELNS1_3gpuE2ELNS1_3repE0EEENS1_30default_config_static_selectorELNS0_4arch9wavefront6targetE1EEEvSW_
		.amdhsa_group_segment_fixed_size 0
		.amdhsa_private_segment_fixed_size 0
		.amdhsa_kernarg_size 56
		.amdhsa_user_sgpr_count 6
		.amdhsa_user_sgpr_private_segment_buffer 1
		.amdhsa_user_sgpr_dispatch_ptr 0
		.amdhsa_user_sgpr_queue_ptr 0
		.amdhsa_user_sgpr_kernarg_segment_ptr 1
		.amdhsa_user_sgpr_dispatch_id 0
		.amdhsa_user_sgpr_flat_scratch_init 0
		.amdhsa_user_sgpr_private_segment_size 0
		.amdhsa_uses_dynamic_stack 0
		.amdhsa_system_sgpr_private_segment_wavefront_offset 0
		.amdhsa_system_sgpr_workgroup_id_x 1
		.amdhsa_system_sgpr_workgroup_id_y 0
		.amdhsa_system_sgpr_workgroup_id_z 0
		.amdhsa_system_sgpr_workgroup_info 0
		.amdhsa_system_vgpr_workitem_id 0
		.amdhsa_next_free_vgpr 1
		.amdhsa_next_free_sgpr 0
		.amdhsa_reserve_vcc 0
		.amdhsa_reserve_flat_scratch 0
		.amdhsa_float_round_mode_32 0
		.amdhsa_float_round_mode_16_64 0
		.amdhsa_float_denorm_mode_32 3
		.amdhsa_float_denorm_mode_16_64 3
		.amdhsa_dx10_clamp 1
		.amdhsa_ieee_mode 1
		.amdhsa_fp16_overflow 0
		.amdhsa_exception_fp_ieee_invalid_op 0
		.amdhsa_exception_fp_denorm_src 0
		.amdhsa_exception_fp_ieee_div_zero 0
		.amdhsa_exception_fp_ieee_overflow 0
		.amdhsa_exception_fp_ieee_underflow 0
		.amdhsa_exception_fp_ieee_inexact 0
		.amdhsa_exception_int_div_zero 0
	.end_amdhsa_kernel
	.section	.text._ZN7rocprim17ROCPRIM_400000_NS6detail17trampoline_kernelINS0_14default_configENS1_27lower_bound_config_selectorIdlEEZNS1_14transform_implILb0ES3_S5_N6thrust23THRUST_200600_302600_NS6detail15normal_iteratorINS8_7pointerIdNS8_11hip_rocprim5par_tENS8_11use_defaultESE_EEEENSA_INSB_IlSD_SE_SE_EEEEZNS1_13binary_searchIS3_S5_PdSG_SI_NS1_21lower_bound_search_opENS9_16wrapped_functionINS8_6system6detail7generic6detail18binary_search_lessEbEEEE10hipError_tPvRmT1_T2_T3_mmT4_T5_P12ihipStream_tbEUlRKdE_EEST_SX_SY_mSZ_S12_bEUlT_E_NS1_11comp_targetILNS1_3genE8ELNS1_11target_archE1030ELNS1_3gpuE2ELNS1_3repE0EEENS1_30default_config_static_selectorELNS0_4arch9wavefront6targetE1EEEvSW_,"axG",@progbits,_ZN7rocprim17ROCPRIM_400000_NS6detail17trampoline_kernelINS0_14default_configENS1_27lower_bound_config_selectorIdlEEZNS1_14transform_implILb0ES3_S5_N6thrust23THRUST_200600_302600_NS6detail15normal_iteratorINS8_7pointerIdNS8_11hip_rocprim5par_tENS8_11use_defaultESE_EEEENSA_INSB_IlSD_SE_SE_EEEEZNS1_13binary_searchIS3_S5_PdSG_SI_NS1_21lower_bound_search_opENS9_16wrapped_functionINS8_6system6detail7generic6detail18binary_search_lessEbEEEE10hipError_tPvRmT1_T2_T3_mmT4_T5_P12ihipStream_tbEUlRKdE_EEST_SX_SY_mSZ_S12_bEUlT_E_NS1_11comp_targetILNS1_3genE8ELNS1_11target_archE1030ELNS1_3gpuE2ELNS1_3repE0EEENS1_30default_config_static_selectorELNS0_4arch9wavefront6targetE1EEEvSW_,comdat
.Lfunc_end21:
	.size	_ZN7rocprim17ROCPRIM_400000_NS6detail17trampoline_kernelINS0_14default_configENS1_27lower_bound_config_selectorIdlEEZNS1_14transform_implILb0ES3_S5_N6thrust23THRUST_200600_302600_NS6detail15normal_iteratorINS8_7pointerIdNS8_11hip_rocprim5par_tENS8_11use_defaultESE_EEEENSA_INSB_IlSD_SE_SE_EEEEZNS1_13binary_searchIS3_S5_PdSG_SI_NS1_21lower_bound_search_opENS9_16wrapped_functionINS8_6system6detail7generic6detail18binary_search_lessEbEEEE10hipError_tPvRmT1_T2_T3_mmT4_T5_P12ihipStream_tbEUlRKdE_EEST_SX_SY_mSZ_S12_bEUlT_E_NS1_11comp_targetILNS1_3genE8ELNS1_11target_archE1030ELNS1_3gpuE2ELNS1_3repE0EEENS1_30default_config_static_selectorELNS0_4arch9wavefront6targetE1EEEvSW_, .Lfunc_end21-_ZN7rocprim17ROCPRIM_400000_NS6detail17trampoline_kernelINS0_14default_configENS1_27lower_bound_config_selectorIdlEEZNS1_14transform_implILb0ES3_S5_N6thrust23THRUST_200600_302600_NS6detail15normal_iteratorINS8_7pointerIdNS8_11hip_rocprim5par_tENS8_11use_defaultESE_EEEENSA_INSB_IlSD_SE_SE_EEEEZNS1_13binary_searchIS3_S5_PdSG_SI_NS1_21lower_bound_search_opENS9_16wrapped_functionINS8_6system6detail7generic6detail18binary_search_lessEbEEEE10hipError_tPvRmT1_T2_T3_mmT4_T5_P12ihipStream_tbEUlRKdE_EEST_SX_SY_mSZ_S12_bEUlT_E_NS1_11comp_targetILNS1_3genE8ELNS1_11target_archE1030ELNS1_3gpuE2ELNS1_3repE0EEENS1_30default_config_static_selectorELNS0_4arch9wavefront6targetE1EEEvSW_
                                        ; -- End function
	.set _ZN7rocprim17ROCPRIM_400000_NS6detail17trampoline_kernelINS0_14default_configENS1_27lower_bound_config_selectorIdlEEZNS1_14transform_implILb0ES3_S5_N6thrust23THRUST_200600_302600_NS6detail15normal_iteratorINS8_7pointerIdNS8_11hip_rocprim5par_tENS8_11use_defaultESE_EEEENSA_INSB_IlSD_SE_SE_EEEEZNS1_13binary_searchIS3_S5_PdSG_SI_NS1_21lower_bound_search_opENS9_16wrapped_functionINS8_6system6detail7generic6detail18binary_search_lessEbEEEE10hipError_tPvRmT1_T2_T3_mmT4_T5_P12ihipStream_tbEUlRKdE_EEST_SX_SY_mSZ_S12_bEUlT_E_NS1_11comp_targetILNS1_3genE8ELNS1_11target_archE1030ELNS1_3gpuE2ELNS1_3repE0EEENS1_30default_config_static_selectorELNS0_4arch9wavefront6targetE1EEEvSW_.num_vgpr, 0
	.set _ZN7rocprim17ROCPRIM_400000_NS6detail17trampoline_kernelINS0_14default_configENS1_27lower_bound_config_selectorIdlEEZNS1_14transform_implILb0ES3_S5_N6thrust23THRUST_200600_302600_NS6detail15normal_iteratorINS8_7pointerIdNS8_11hip_rocprim5par_tENS8_11use_defaultESE_EEEENSA_INSB_IlSD_SE_SE_EEEEZNS1_13binary_searchIS3_S5_PdSG_SI_NS1_21lower_bound_search_opENS9_16wrapped_functionINS8_6system6detail7generic6detail18binary_search_lessEbEEEE10hipError_tPvRmT1_T2_T3_mmT4_T5_P12ihipStream_tbEUlRKdE_EEST_SX_SY_mSZ_S12_bEUlT_E_NS1_11comp_targetILNS1_3genE8ELNS1_11target_archE1030ELNS1_3gpuE2ELNS1_3repE0EEENS1_30default_config_static_selectorELNS0_4arch9wavefront6targetE1EEEvSW_.num_agpr, 0
	.set _ZN7rocprim17ROCPRIM_400000_NS6detail17trampoline_kernelINS0_14default_configENS1_27lower_bound_config_selectorIdlEEZNS1_14transform_implILb0ES3_S5_N6thrust23THRUST_200600_302600_NS6detail15normal_iteratorINS8_7pointerIdNS8_11hip_rocprim5par_tENS8_11use_defaultESE_EEEENSA_INSB_IlSD_SE_SE_EEEEZNS1_13binary_searchIS3_S5_PdSG_SI_NS1_21lower_bound_search_opENS9_16wrapped_functionINS8_6system6detail7generic6detail18binary_search_lessEbEEEE10hipError_tPvRmT1_T2_T3_mmT4_T5_P12ihipStream_tbEUlRKdE_EEST_SX_SY_mSZ_S12_bEUlT_E_NS1_11comp_targetILNS1_3genE8ELNS1_11target_archE1030ELNS1_3gpuE2ELNS1_3repE0EEENS1_30default_config_static_selectorELNS0_4arch9wavefront6targetE1EEEvSW_.numbered_sgpr, 0
	.set _ZN7rocprim17ROCPRIM_400000_NS6detail17trampoline_kernelINS0_14default_configENS1_27lower_bound_config_selectorIdlEEZNS1_14transform_implILb0ES3_S5_N6thrust23THRUST_200600_302600_NS6detail15normal_iteratorINS8_7pointerIdNS8_11hip_rocprim5par_tENS8_11use_defaultESE_EEEENSA_INSB_IlSD_SE_SE_EEEEZNS1_13binary_searchIS3_S5_PdSG_SI_NS1_21lower_bound_search_opENS9_16wrapped_functionINS8_6system6detail7generic6detail18binary_search_lessEbEEEE10hipError_tPvRmT1_T2_T3_mmT4_T5_P12ihipStream_tbEUlRKdE_EEST_SX_SY_mSZ_S12_bEUlT_E_NS1_11comp_targetILNS1_3genE8ELNS1_11target_archE1030ELNS1_3gpuE2ELNS1_3repE0EEENS1_30default_config_static_selectorELNS0_4arch9wavefront6targetE1EEEvSW_.num_named_barrier, 0
	.set _ZN7rocprim17ROCPRIM_400000_NS6detail17trampoline_kernelINS0_14default_configENS1_27lower_bound_config_selectorIdlEEZNS1_14transform_implILb0ES3_S5_N6thrust23THRUST_200600_302600_NS6detail15normal_iteratorINS8_7pointerIdNS8_11hip_rocprim5par_tENS8_11use_defaultESE_EEEENSA_INSB_IlSD_SE_SE_EEEEZNS1_13binary_searchIS3_S5_PdSG_SI_NS1_21lower_bound_search_opENS9_16wrapped_functionINS8_6system6detail7generic6detail18binary_search_lessEbEEEE10hipError_tPvRmT1_T2_T3_mmT4_T5_P12ihipStream_tbEUlRKdE_EEST_SX_SY_mSZ_S12_bEUlT_E_NS1_11comp_targetILNS1_3genE8ELNS1_11target_archE1030ELNS1_3gpuE2ELNS1_3repE0EEENS1_30default_config_static_selectorELNS0_4arch9wavefront6targetE1EEEvSW_.private_seg_size, 0
	.set _ZN7rocprim17ROCPRIM_400000_NS6detail17trampoline_kernelINS0_14default_configENS1_27lower_bound_config_selectorIdlEEZNS1_14transform_implILb0ES3_S5_N6thrust23THRUST_200600_302600_NS6detail15normal_iteratorINS8_7pointerIdNS8_11hip_rocprim5par_tENS8_11use_defaultESE_EEEENSA_INSB_IlSD_SE_SE_EEEEZNS1_13binary_searchIS3_S5_PdSG_SI_NS1_21lower_bound_search_opENS9_16wrapped_functionINS8_6system6detail7generic6detail18binary_search_lessEbEEEE10hipError_tPvRmT1_T2_T3_mmT4_T5_P12ihipStream_tbEUlRKdE_EEST_SX_SY_mSZ_S12_bEUlT_E_NS1_11comp_targetILNS1_3genE8ELNS1_11target_archE1030ELNS1_3gpuE2ELNS1_3repE0EEENS1_30default_config_static_selectorELNS0_4arch9wavefront6targetE1EEEvSW_.uses_vcc, 0
	.set _ZN7rocprim17ROCPRIM_400000_NS6detail17trampoline_kernelINS0_14default_configENS1_27lower_bound_config_selectorIdlEEZNS1_14transform_implILb0ES3_S5_N6thrust23THRUST_200600_302600_NS6detail15normal_iteratorINS8_7pointerIdNS8_11hip_rocprim5par_tENS8_11use_defaultESE_EEEENSA_INSB_IlSD_SE_SE_EEEEZNS1_13binary_searchIS3_S5_PdSG_SI_NS1_21lower_bound_search_opENS9_16wrapped_functionINS8_6system6detail7generic6detail18binary_search_lessEbEEEE10hipError_tPvRmT1_T2_T3_mmT4_T5_P12ihipStream_tbEUlRKdE_EEST_SX_SY_mSZ_S12_bEUlT_E_NS1_11comp_targetILNS1_3genE8ELNS1_11target_archE1030ELNS1_3gpuE2ELNS1_3repE0EEENS1_30default_config_static_selectorELNS0_4arch9wavefront6targetE1EEEvSW_.uses_flat_scratch, 0
	.set _ZN7rocprim17ROCPRIM_400000_NS6detail17trampoline_kernelINS0_14default_configENS1_27lower_bound_config_selectorIdlEEZNS1_14transform_implILb0ES3_S5_N6thrust23THRUST_200600_302600_NS6detail15normal_iteratorINS8_7pointerIdNS8_11hip_rocprim5par_tENS8_11use_defaultESE_EEEENSA_INSB_IlSD_SE_SE_EEEEZNS1_13binary_searchIS3_S5_PdSG_SI_NS1_21lower_bound_search_opENS9_16wrapped_functionINS8_6system6detail7generic6detail18binary_search_lessEbEEEE10hipError_tPvRmT1_T2_T3_mmT4_T5_P12ihipStream_tbEUlRKdE_EEST_SX_SY_mSZ_S12_bEUlT_E_NS1_11comp_targetILNS1_3genE8ELNS1_11target_archE1030ELNS1_3gpuE2ELNS1_3repE0EEENS1_30default_config_static_selectorELNS0_4arch9wavefront6targetE1EEEvSW_.has_dyn_sized_stack, 0
	.set _ZN7rocprim17ROCPRIM_400000_NS6detail17trampoline_kernelINS0_14default_configENS1_27lower_bound_config_selectorIdlEEZNS1_14transform_implILb0ES3_S5_N6thrust23THRUST_200600_302600_NS6detail15normal_iteratorINS8_7pointerIdNS8_11hip_rocprim5par_tENS8_11use_defaultESE_EEEENSA_INSB_IlSD_SE_SE_EEEEZNS1_13binary_searchIS3_S5_PdSG_SI_NS1_21lower_bound_search_opENS9_16wrapped_functionINS8_6system6detail7generic6detail18binary_search_lessEbEEEE10hipError_tPvRmT1_T2_T3_mmT4_T5_P12ihipStream_tbEUlRKdE_EEST_SX_SY_mSZ_S12_bEUlT_E_NS1_11comp_targetILNS1_3genE8ELNS1_11target_archE1030ELNS1_3gpuE2ELNS1_3repE0EEENS1_30default_config_static_selectorELNS0_4arch9wavefront6targetE1EEEvSW_.has_recursion, 0
	.set _ZN7rocprim17ROCPRIM_400000_NS6detail17trampoline_kernelINS0_14default_configENS1_27lower_bound_config_selectorIdlEEZNS1_14transform_implILb0ES3_S5_N6thrust23THRUST_200600_302600_NS6detail15normal_iteratorINS8_7pointerIdNS8_11hip_rocprim5par_tENS8_11use_defaultESE_EEEENSA_INSB_IlSD_SE_SE_EEEEZNS1_13binary_searchIS3_S5_PdSG_SI_NS1_21lower_bound_search_opENS9_16wrapped_functionINS8_6system6detail7generic6detail18binary_search_lessEbEEEE10hipError_tPvRmT1_T2_T3_mmT4_T5_P12ihipStream_tbEUlRKdE_EEST_SX_SY_mSZ_S12_bEUlT_E_NS1_11comp_targetILNS1_3genE8ELNS1_11target_archE1030ELNS1_3gpuE2ELNS1_3repE0EEENS1_30default_config_static_selectorELNS0_4arch9wavefront6targetE1EEEvSW_.has_indirect_call, 0
	.section	.AMDGPU.csdata,"",@progbits
; Kernel info:
; codeLenInByte = 0
; TotalNumSgprs: 4
; NumVgprs: 0
; ScratchSize: 0
; MemoryBound: 0
; FloatMode: 240
; IeeeMode: 1
; LDSByteSize: 0 bytes/workgroup (compile time only)
; SGPRBlocks: 0
; VGPRBlocks: 0
; NumSGPRsForWavesPerEU: 4
; NumVGPRsForWavesPerEU: 1
; Occupancy: 10
; WaveLimiterHint : 0
; COMPUTE_PGM_RSRC2:SCRATCH_EN: 0
; COMPUTE_PGM_RSRC2:USER_SGPR: 6
; COMPUTE_PGM_RSRC2:TRAP_HANDLER: 0
; COMPUTE_PGM_RSRC2:TGID_X_EN: 1
; COMPUTE_PGM_RSRC2:TGID_Y_EN: 0
; COMPUTE_PGM_RSRC2:TGID_Z_EN: 0
; COMPUTE_PGM_RSRC2:TIDIG_COMP_CNT: 0
	.section	.text._ZN6thrust23THRUST_200600_302600_NS11hip_rocprim14__parallel_for6kernelILj256ENS1_20__uninitialized_fill7functorINS0_10device_ptrIfEEfEEmLj1EEEvT0_T1_SA_,"axG",@progbits,_ZN6thrust23THRUST_200600_302600_NS11hip_rocprim14__parallel_for6kernelILj256ENS1_20__uninitialized_fill7functorINS0_10device_ptrIfEEfEEmLj1EEEvT0_T1_SA_,comdat
	.protected	_ZN6thrust23THRUST_200600_302600_NS11hip_rocprim14__parallel_for6kernelILj256ENS1_20__uninitialized_fill7functorINS0_10device_ptrIfEEfEEmLj1EEEvT0_T1_SA_ ; -- Begin function _ZN6thrust23THRUST_200600_302600_NS11hip_rocprim14__parallel_for6kernelILj256ENS1_20__uninitialized_fill7functorINS0_10device_ptrIfEEfEEmLj1EEEvT0_T1_SA_
	.globl	_ZN6thrust23THRUST_200600_302600_NS11hip_rocprim14__parallel_for6kernelILj256ENS1_20__uninitialized_fill7functorINS0_10device_ptrIfEEfEEmLj1EEEvT0_T1_SA_
	.p2align	8
	.type	_ZN6thrust23THRUST_200600_302600_NS11hip_rocprim14__parallel_for6kernelILj256ENS1_20__uninitialized_fill7functorINS0_10device_ptrIfEEfEEmLj1EEEvT0_T1_SA_,@function
_ZN6thrust23THRUST_200600_302600_NS11hip_rocprim14__parallel_for6kernelILj256ENS1_20__uninitialized_fill7functorINS0_10device_ptrIfEEfEEmLj1EEEvT0_T1_SA_: ; @_ZN6thrust23THRUST_200600_302600_NS11hip_rocprim14__parallel_for6kernelILj256ENS1_20__uninitialized_fill7functorINS0_10device_ptrIfEEfEEmLj1EEEvT0_T1_SA_
; %bb.0:
	s_load_dwordx4 s[12:15], s[4:5], 0x10
	s_load_dwordx2 s[0:1], s[4:5], 0x0
	s_load_dword s8, s[4:5], 0x8
	s_lshl_b32 s2, s6, 8
	v_mov_b32_e32 v1, 0xff
	s_waitcnt lgkmcnt(0)
	s_add_u32 s2, s14, s2
	s_addc_u32 s3, s15, 0
	s_sub_u32 s4, s12, s2
	v_mov_b32_e32 v2, 0
	s_subb_u32 s5, s13, s3
	v_cmp_gt_u64_e32 vcc, s[4:5], v[1:2]
	s_mov_b64 s[6:7], -1
	s_cbranch_vccz .LBB22_3
; %bb.1:
	s_andn2_b64 vcc, exec, s[6:7]
	s_cbranch_vccz .LBB22_6
.LBB22_2:
	s_endpgm
.LBB22_3:
	v_cmp_gt_u32_e32 vcc, s4, v0
	s_and_saveexec_b64 s[4:5], vcc
	s_cbranch_execz .LBB22_5
; %bb.4:
	s_lshl_b64 s[6:7], s[2:3], 2
	s_add_u32 s6, s0, s6
	s_addc_u32 s7, s1, s7
	v_lshlrev_b32_e32 v1, 2, v0
	v_mov_b32_e32 v2, s7
	v_add_co_u32_e32 v1, vcc, s6, v1
	v_addc_co_u32_e32 v2, vcc, 0, v2, vcc
	v_mov_b32_e32 v3, s8
	flat_store_dword v[1:2], v3
.LBB22_5:
	s_or_b64 exec, exec, s[4:5]
	s_cbranch_execnz .LBB22_2
.LBB22_6:
	s_lshl_b64 s[2:3], s[2:3], 2
	s_add_u32 s0, s0, s2
	s_addc_u32 s1, s1, s3
	v_lshlrev_b32_e32 v0, 2, v0
	v_mov_b32_e32 v1, s1
	v_add_co_u32_e32 v0, vcc, s0, v0
	v_addc_co_u32_e32 v1, vcc, 0, v1, vcc
	v_mov_b32_e32 v2, s8
	flat_store_dword v[0:1], v2
	s_endpgm
	.section	.rodata,"a",@progbits
	.p2align	6, 0x0
	.amdhsa_kernel _ZN6thrust23THRUST_200600_302600_NS11hip_rocprim14__parallel_for6kernelILj256ENS1_20__uninitialized_fill7functorINS0_10device_ptrIfEEfEEmLj1EEEvT0_T1_SA_
		.amdhsa_group_segment_fixed_size 0
		.amdhsa_private_segment_fixed_size 0
		.amdhsa_kernarg_size 32
		.amdhsa_user_sgpr_count 6
		.amdhsa_user_sgpr_private_segment_buffer 1
		.amdhsa_user_sgpr_dispatch_ptr 0
		.amdhsa_user_sgpr_queue_ptr 0
		.amdhsa_user_sgpr_kernarg_segment_ptr 1
		.amdhsa_user_sgpr_dispatch_id 0
		.amdhsa_user_sgpr_flat_scratch_init 0
		.amdhsa_user_sgpr_private_segment_size 0
		.amdhsa_uses_dynamic_stack 0
		.amdhsa_system_sgpr_private_segment_wavefront_offset 0
		.amdhsa_system_sgpr_workgroup_id_x 1
		.amdhsa_system_sgpr_workgroup_id_y 0
		.amdhsa_system_sgpr_workgroup_id_z 0
		.amdhsa_system_sgpr_workgroup_info 0
		.amdhsa_system_vgpr_workitem_id 0
		.amdhsa_next_free_vgpr 4
		.amdhsa_next_free_sgpr 16
		.amdhsa_reserve_vcc 1
		.amdhsa_reserve_flat_scratch 0
		.amdhsa_float_round_mode_32 0
		.amdhsa_float_round_mode_16_64 0
		.amdhsa_float_denorm_mode_32 3
		.amdhsa_float_denorm_mode_16_64 3
		.amdhsa_dx10_clamp 1
		.amdhsa_ieee_mode 1
		.amdhsa_fp16_overflow 0
		.amdhsa_exception_fp_ieee_invalid_op 0
		.amdhsa_exception_fp_denorm_src 0
		.amdhsa_exception_fp_ieee_div_zero 0
		.amdhsa_exception_fp_ieee_overflow 0
		.amdhsa_exception_fp_ieee_underflow 0
		.amdhsa_exception_fp_ieee_inexact 0
		.amdhsa_exception_int_div_zero 0
	.end_amdhsa_kernel
	.section	.text._ZN6thrust23THRUST_200600_302600_NS11hip_rocprim14__parallel_for6kernelILj256ENS1_20__uninitialized_fill7functorINS0_10device_ptrIfEEfEEmLj1EEEvT0_T1_SA_,"axG",@progbits,_ZN6thrust23THRUST_200600_302600_NS11hip_rocprim14__parallel_for6kernelILj256ENS1_20__uninitialized_fill7functorINS0_10device_ptrIfEEfEEmLj1EEEvT0_T1_SA_,comdat
.Lfunc_end22:
	.size	_ZN6thrust23THRUST_200600_302600_NS11hip_rocprim14__parallel_for6kernelILj256ENS1_20__uninitialized_fill7functorINS0_10device_ptrIfEEfEEmLj1EEEvT0_T1_SA_, .Lfunc_end22-_ZN6thrust23THRUST_200600_302600_NS11hip_rocprim14__parallel_for6kernelILj256ENS1_20__uninitialized_fill7functorINS0_10device_ptrIfEEfEEmLj1EEEvT0_T1_SA_
                                        ; -- End function
	.set _ZN6thrust23THRUST_200600_302600_NS11hip_rocprim14__parallel_for6kernelILj256ENS1_20__uninitialized_fill7functorINS0_10device_ptrIfEEfEEmLj1EEEvT0_T1_SA_.num_vgpr, 4
	.set _ZN6thrust23THRUST_200600_302600_NS11hip_rocprim14__parallel_for6kernelILj256ENS1_20__uninitialized_fill7functorINS0_10device_ptrIfEEfEEmLj1EEEvT0_T1_SA_.num_agpr, 0
	.set _ZN6thrust23THRUST_200600_302600_NS11hip_rocprim14__parallel_for6kernelILj256ENS1_20__uninitialized_fill7functorINS0_10device_ptrIfEEfEEmLj1EEEvT0_T1_SA_.numbered_sgpr, 16
	.set _ZN6thrust23THRUST_200600_302600_NS11hip_rocprim14__parallel_for6kernelILj256ENS1_20__uninitialized_fill7functorINS0_10device_ptrIfEEfEEmLj1EEEvT0_T1_SA_.num_named_barrier, 0
	.set _ZN6thrust23THRUST_200600_302600_NS11hip_rocprim14__parallel_for6kernelILj256ENS1_20__uninitialized_fill7functorINS0_10device_ptrIfEEfEEmLj1EEEvT0_T1_SA_.private_seg_size, 0
	.set _ZN6thrust23THRUST_200600_302600_NS11hip_rocprim14__parallel_for6kernelILj256ENS1_20__uninitialized_fill7functorINS0_10device_ptrIfEEfEEmLj1EEEvT0_T1_SA_.uses_vcc, 1
	.set _ZN6thrust23THRUST_200600_302600_NS11hip_rocprim14__parallel_for6kernelILj256ENS1_20__uninitialized_fill7functorINS0_10device_ptrIfEEfEEmLj1EEEvT0_T1_SA_.uses_flat_scratch, 0
	.set _ZN6thrust23THRUST_200600_302600_NS11hip_rocprim14__parallel_for6kernelILj256ENS1_20__uninitialized_fill7functorINS0_10device_ptrIfEEfEEmLj1EEEvT0_T1_SA_.has_dyn_sized_stack, 0
	.set _ZN6thrust23THRUST_200600_302600_NS11hip_rocprim14__parallel_for6kernelILj256ENS1_20__uninitialized_fill7functorINS0_10device_ptrIfEEfEEmLj1EEEvT0_T1_SA_.has_recursion, 0
	.set _ZN6thrust23THRUST_200600_302600_NS11hip_rocprim14__parallel_for6kernelILj256ENS1_20__uninitialized_fill7functorINS0_10device_ptrIfEEfEEmLj1EEEvT0_T1_SA_.has_indirect_call, 0
	.section	.AMDGPU.csdata,"",@progbits
; Kernel info:
; codeLenInByte = 188
; TotalNumSgprs: 20
; NumVgprs: 4
; ScratchSize: 0
; MemoryBound: 0
; FloatMode: 240
; IeeeMode: 1
; LDSByteSize: 0 bytes/workgroup (compile time only)
; SGPRBlocks: 2
; VGPRBlocks: 0
; NumSGPRsForWavesPerEU: 20
; NumVGPRsForWavesPerEU: 4
; Occupancy: 10
; WaveLimiterHint : 0
; COMPUTE_PGM_RSRC2:SCRATCH_EN: 0
; COMPUTE_PGM_RSRC2:USER_SGPR: 6
; COMPUTE_PGM_RSRC2:TRAP_HANDLER: 0
; COMPUTE_PGM_RSRC2:TGID_X_EN: 1
; COMPUTE_PGM_RSRC2:TGID_Y_EN: 0
; COMPUTE_PGM_RSRC2:TGID_Z_EN: 0
; COMPUTE_PGM_RSRC2:TIDIG_COMP_CNT: 0
	.section	.text._Z18lower_bound_kernelIfEvmPT_Pl,"axG",@progbits,_Z18lower_bound_kernelIfEvmPT_Pl,comdat
	.protected	_Z18lower_bound_kernelIfEvmPT_Pl ; -- Begin function _Z18lower_bound_kernelIfEvmPT_Pl
	.globl	_Z18lower_bound_kernelIfEvmPT_Pl
	.p2align	8
	.type	_Z18lower_bound_kernelIfEvmPT_Pl,@function
_Z18lower_bound_kernelIfEvmPT_Pl:       ; @_Z18lower_bound_kernelIfEvmPT_Pl
; %bb.0:
	s_load_dwordx4 s[0:3], s[4:5], 0x0
	s_load_dwordx2 s[6:7], s[4:5], 0x10
	s_mov_b64 s[8:9], -1
	s_waitcnt lgkmcnt(0)
	s_lshl_b64 s[0:1], s[0:1], 2
	s_add_u32 s0, s2, s0
	s_addc_u32 s1, s3, s1
	s_sub_u32 s0, s0, s2
	s_subb_u32 s1, s1, s3
	s_ashr_i64 s[4:5], s[0:1], 2
	v_cmp_lt_i64_e64 s[0:1], s[4:5], 1
	s_and_b64 s[0:1], exec, s[0:1]
	s_mov_b64 vcc, s[0:1]
	s_cbranch_vccz .LBB23_2
; %bb.1:
	v_mov_b32_e32 v0, 0
	v_mov_b32_e32 v1, v0
	global_store_dwordx2 v0, v[0:1], s[6:7]
	s_mov_b64 s[8:9], 0
.LBB23_2:
	s_andn2_b64 vcc, exec, s[8:9]
	s_mov_b64 s[8:9], 0
	s_cbranch_vccnz .LBB23_7
; %bb.3:
	s_mov_b64 s[10:11], s[4:5]
.LBB23_4:                               ; =>This Inner Loop Header: Depth=1
	s_sub_u32 s12, s10, s8
	s_subb_u32 s13, s11, s9
	s_lshr_b64 s[12:13], s[12:13], 1
	s_add_u32 s12, s12, s8
	s_addc_u32 s13, s13, s9
	s_lshl_b64 s[14:15], s[12:13], 2
	s_add_u32 s14, s2, s14
	s_addc_u32 s15, s3, s15
	s_load_dword s14, s[14:15], 0x0
	s_add_u32 s16, s12, 1
	s_addc_u32 s17, s13, 0
	s_waitcnt lgkmcnt(0)
	v_cmp_lt_f32_e64 s[14:15], s14, 0
	s_and_b64 s[14:15], s[14:15], exec
	s_cselect_b32 s10, s10, s12
	s_cselect_b32 s11, s11, s13
	v_mov_b32_e32 v0, s10
	s_cselect_b32 s9, s17, s9
	s_cselect_b32 s8, s16, s8
	v_mov_b32_e32 v1, s11
	v_cmp_lt_i64_e32 vcc, s[8:9], v[0:1]
	s_cbranch_vccnz .LBB23_4
; %bb.5:
	s_lshl_b64 s[8:9], s[8:9], 2
	s_add_u32 s8, s2, s8
	s_addc_u32 s9, s3, s9
	s_sub_u32 s8, s8, s2
	s_subb_u32 s9, s9, s3
	s_ashr_i64 s[8:9], s[8:9], 2
	v_mov_b32_e32 v0, s8
	v_mov_b32_e32 v2, 0
	v_mov_b32_e32 v1, s9
	s_mov_b64 s[8:9], 0
	s_mov_b64 s[10:11], s[4:5]
	global_store_dwordx2 v2, v[0:1], s[6:7]
.LBB23_6:                               ; =>This Inner Loop Header: Depth=1
	s_sub_u32 s12, s10, s8
	s_subb_u32 s13, s11, s9
	s_lshr_b64 s[12:13], s[12:13], 1
	s_add_u32 s12, s12, s8
	s_addc_u32 s13, s13, s9
	s_lshl_b64 s[14:15], s[12:13], 2
	s_add_u32 s14, s2, s14
	s_addc_u32 s15, s3, s15
	s_load_dword s14, s[14:15], 0x0
	s_add_u32 s16, s12, 1
	s_addc_u32 s17, s13, 0
	s_waitcnt lgkmcnt(0)
	v_cmp_lt_f32_e64 s[14:15], s14, 1.0
	s_and_b64 s[14:15], s[14:15], exec
	s_cselect_b32 s10, s10, s12
	s_cselect_b32 s11, s11, s13
	v_mov_b32_e32 v0, s10
	s_cselect_b32 s9, s17, s9
	s_cselect_b32 s8, s16, s8
	v_mov_b32_e32 v1, s11
	v_cmp_ge_i64_e32 vcc, s[8:9], v[0:1]
	s_cbranch_vccz .LBB23_6
.LBB23_7:
	s_lshl_b64 s[8:9], s[8:9], 2
	s_add_u32 s8, s2, s8
	s_addc_u32 s9, s3, s9
	s_sub_u32 s8, s8, s2
	s_subb_u32 s9, s9, s3
	s_ashr_i64 s[8:9], s[8:9], 2
	v_mov_b32_e32 v1, s8
	v_mov_b32_e32 v0, 0
	;; [unrolled: 1-line block ×3, first 2 shown]
	s_mov_b64 s[8:9], -1
	s_mov_b64 vcc, s[0:1]
	global_store_dwordx2 v0, v[1:2], s[6:7] offset:8
	s_cbranch_vccz .LBB23_9
; %bb.8:
	v_mov_b32_e32 v1, v0
	global_store_dwordx2 v0, v[0:1], s[6:7] offset:16
	s_mov_b64 s[8:9], 0
.LBB23_9:
	s_andn2_b64 vcc, exec, s[8:9]
	s_mov_b64 s[8:9], 0
	s_cbranch_vccnz .LBB23_14
; %bb.10:
	s_mov_b64 s[10:11], s[4:5]
.LBB23_11:                              ; =>This Inner Loop Header: Depth=1
	s_sub_u32 s12, s10, s8
	s_subb_u32 s13, s11, s9
	s_lshr_b64 s[12:13], s[12:13], 1
	s_add_u32 s12, s12, s8
	s_addc_u32 s13, s13, s9
	s_lshl_b64 s[14:15], s[12:13], 2
	s_add_u32 s14, s2, s14
	s_addc_u32 s15, s3, s15
	s_load_dword s14, s[14:15], 0x0
	s_add_u32 s16, s12, 1
	s_addc_u32 s17, s13, 0
	s_waitcnt lgkmcnt(0)
	v_cmp_lt_f32_e64 s[14:15], s14, 2.0
	s_and_b64 s[14:15], s[14:15], exec
	s_cselect_b32 s10, s10, s12
	s_cselect_b32 s11, s11, s13
	v_mov_b32_e32 v0, s10
	s_cselect_b32 s9, s17, s9
	s_cselect_b32 s8, s16, s8
	v_mov_b32_e32 v1, s11
	v_cmp_lt_i64_e32 vcc, s[8:9], v[0:1]
	s_cbranch_vccnz .LBB23_11
; %bb.12:
	s_lshl_b64 s[8:9], s[8:9], 2
	s_add_u32 s8, s2, s8
	s_addc_u32 s9, s3, s9
	s_sub_u32 s8, s8, s2
	s_subb_u32 s9, s9, s3
	s_ashr_i64 s[8:9], s[8:9], 2
	v_mov_b32_e32 v0, s8
	v_mov_b32_e32 v2, 0
	;; [unrolled: 1-line block ×3, first 2 shown]
	global_store_dwordx2 v2, v[0:1], s[6:7] offset:16
	s_mov_b64 s[8:9], 0
	v_mov_b32_e32 v0, 0x40400000
	s_mov_b64 s[10:11], s[4:5]
.LBB23_13:                              ; =>This Inner Loop Header: Depth=1
	s_sub_u32 s12, s10, s8
	s_subb_u32 s13, s11, s9
	s_lshr_b64 s[12:13], s[12:13], 1
	s_add_u32 s12, s12, s8
	s_addc_u32 s13, s13, s9
	s_lshl_b64 s[14:15], s[12:13], 2
	s_add_u32 s14, s2, s14
	s_addc_u32 s15, s3, s15
	s_load_dword s14, s[14:15], 0x0
	s_add_u32 s16, s12, 1
	s_addc_u32 s17, s13, 0
	s_waitcnt lgkmcnt(0)
	v_cmp_lt_f32_e32 vcc, s14, v0
	s_and_b64 s[14:15], vcc, exec
	s_cselect_b32 s10, s10, s12
	s_cselect_b32 s11, s11, s13
	v_mov_b32_e32 v1, s10
	s_cselect_b32 s9, s17, s9
	s_cselect_b32 s8, s16, s8
	v_mov_b32_e32 v2, s11
	v_cmp_ge_i64_e32 vcc, s[8:9], v[1:2]
	s_cbranch_vccz .LBB23_13
.LBB23_14:
	s_lshl_b64 s[8:9], s[8:9], 2
	s_add_u32 s8, s2, s8
	s_addc_u32 s9, s3, s9
	s_sub_u32 s8, s8, s2
	s_subb_u32 s9, s9, s3
	s_ashr_i64 s[8:9], s[8:9], 2
	v_mov_b32_e32 v1, s8
	v_mov_b32_e32 v0, 0
	;; [unrolled: 1-line block ×3, first 2 shown]
	s_mov_b64 s[8:9], -1
	s_mov_b64 vcc, s[0:1]
	global_store_dwordx2 v0, v[1:2], s[6:7] offset:24
	s_cbranch_vccz .LBB23_16
; %bb.15:
	v_mov_b32_e32 v1, v0
	global_store_dwordx2 v0, v[0:1], s[6:7] offset:32
	s_mov_b64 s[8:9], 0
.LBB23_16:
	s_andn2_b64 vcc, exec, s[8:9]
	s_mov_b64 s[8:9], 0
	s_cbranch_vccnz .LBB23_21
; %bb.17:
	s_mov_b64 s[10:11], s[4:5]
.LBB23_18:                              ; =>This Inner Loop Header: Depth=1
	s_sub_u32 s12, s10, s8
	s_subb_u32 s13, s11, s9
	s_lshr_b64 s[12:13], s[12:13], 1
	s_add_u32 s12, s12, s8
	s_addc_u32 s13, s13, s9
	s_lshl_b64 s[14:15], s[12:13], 2
	s_add_u32 s14, s2, s14
	s_addc_u32 s15, s3, s15
	s_load_dword s14, s[14:15], 0x0
	s_add_u32 s16, s12, 1
	s_addc_u32 s17, s13, 0
	s_waitcnt lgkmcnt(0)
	v_cmp_lt_f32_e64 s[14:15], s14, 4.0
	s_and_b64 s[14:15], s[14:15], exec
	s_cselect_b32 s10, s10, s12
	s_cselect_b32 s11, s11, s13
	v_mov_b32_e32 v0, s10
	s_cselect_b32 s9, s17, s9
	s_cselect_b32 s8, s16, s8
	v_mov_b32_e32 v1, s11
	v_cmp_lt_i64_e32 vcc, s[8:9], v[0:1]
	s_cbranch_vccnz .LBB23_18
; %bb.19:
	s_lshl_b64 s[8:9], s[8:9], 2
	s_add_u32 s8, s2, s8
	s_addc_u32 s9, s3, s9
	s_sub_u32 s8, s8, s2
	s_subb_u32 s9, s9, s3
	s_ashr_i64 s[8:9], s[8:9], 2
	v_mov_b32_e32 v0, s8
	v_mov_b32_e32 v2, 0
	;; [unrolled: 1-line block ×3, first 2 shown]
	global_store_dwordx2 v2, v[0:1], s[6:7] offset:32
	s_mov_b64 s[8:9], 0
	v_mov_b32_e32 v0, 0x40a00000
	s_mov_b64 s[10:11], s[4:5]
.LBB23_20:                              ; =>This Inner Loop Header: Depth=1
	s_sub_u32 s12, s10, s8
	s_subb_u32 s13, s11, s9
	s_lshr_b64 s[12:13], s[12:13], 1
	s_add_u32 s12, s12, s8
	s_addc_u32 s13, s13, s9
	s_lshl_b64 s[14:15], s[12:13], 2
	s_add_u32 s14, s2, s14
	s_addc_u32 s15, s3, s15
	s_load_dword s14, s[14:15], 0x0
	s_add_u32 s16, s12, 1
	s_addc_u32 s17, s13, 0
	s_waitcnt lgkmcnt(0)
	v_cmp_lt_f32_e32 vcc, s14, v0
	s_and_b64 s[14:15], vcc, exec
	s_cselect_b32 s10, s10, s12
	s_cselect_b32 s11, s11, s13
	v_mov_b32_e32 v1, s10
	s_cselect_b32 s9, s17, s9
	s_cselect_b32 s8, s16, s8
	v_mov_b32_e32 v2, s11
	v_cmp_ge_i64_e32 vcc, s[8:9], v[1:2]
	s_cbranch_vccz .LBB23_20
.LBB23_21:
	s_lshl_b64 s[8:9], s[8:9], 2
	s_add_u32 s8, s2, s8
	s_addc_u32 s9, s3, s9
	s_sub_u32 s8, s8, s2
	s_subb_u32 s9, s9, s3
	s_ashr_i64 s[8:9], s[8:9], 2
	v_mov_b32_e32 v1, s8
	v_mov_b32_e32 v0, 0
	;; [unrolled: 1-line block ×3, first 2 shown]
	s_mov_b64 s[8:9], -1
	s_mov_b64 vcc, s[0:1]
	global_store_dwordx2 v0, v[1:2], s[6:7] offset:40
	s_cbranch_vccz .LBB23_23
; %bb.22:
	v_mov_b32_e32 v1, v0
	global_store_dwordx2 v0, v[0:1], s[6:7] offset:48
	s_mov_b64 s[8:9], 0
.LBB23_23:
	s_andn2_b64 vcc, exec, s[8:9]
	s_mov_b64 s[8:9], 0
	s_cbranch_vccnz .LBB23_28
; %bb.24:
	v_mov_b32_e32 v0, 0x40c00000
	s_mov_b64 s[10:11], s[4:5]
.LBB23_25:                              ; =>This Inner Loop Header: Depth=1
	s_sub_u32 s12, s10, s8
	s_subb_u32 s13, s11, s9
	s_lshr_b64 s[12:13], s[12:13], 1
	s_add_u32 s12, s12, s8
	s_addc_u32 s13, s13, s9
	s_lshl_b64 s[14:15], s[12:13], 2
	s_add_u32 s14, s2, s14
	s_addc_u32 s15, s3, s15
	s_load_dword s14, s[14:15], 0x0
	s_add_u32 s16, s12, 1
	s_addc_u32 s17, s13, 0
	s_waitcnt lgkmcnt(0)
	v_cmp_lt_f32_e32 vcc, s14, v0
	s_and_b64 s[14:15], vcc, exec
	s_cselect_b32 s10, s10, s12
	s_cselect_b32 s11, s11, s13
	v_mov_b32_e32 v1, s10
	s_cselect_b32 s9, s17, s9
	s_cselect_b32 s8, s16, s8
	v_mov_b32_e32 v2, s11
	v_cmp_lt_i64_e32 vcc, s[8:9], v[1:2]
	s_cbranch_vccnz .LBB23_25
; %bb.26:
	s_lshl_b64 s[8:9], s[8:9], 2
	s_add_u32 s8, s2, s8
	s_addc_u32 s9, s3, s9
	s_sub_u32 s8, s8, s2
	s_subb_u32 s9, s9, s3
	s_ashr_i64 s[8:9], s[8:9], 2
	v_mov_b32_e32 v0, s8
	v_mov_b32_e32 v2, 0
	;; [unrolled: 1-line block ×3, first 2 shown]
	global_store_dwordx2 v2, v[0:1], s[6:7] offset:48
	s_mov_b64 s[8:9], 0
	v_mov_b32_e32 v0, 0x40e00000
	s_mov_b64 s[10:11], s[4:5]
.LBB23_27:                              ; =>This Inner Loop Header: Depth=1
	s_sub_u32 s12, s10, s8
	s_subb_u32 s13, s11, s9
	s_lshr_b64 s[12:13], s[12:13], 1
	s_add_u32 s12, s12, s8
	s_addc_u32 s13, s13, s9
	s_lshl_b64 s[14:15], s[12:13], 2
	s_add_u32 s14, s2, s14
	s_addc_u32 s15, s3, s15
	s_load_dword s14, s[14:15], 0x0
	s_add_u32 s16, s12, 1
	s_addc_u32 s17, s13, 0
	s_waitcnt lgkmcnt(0)
	v_cmp_lt_f32_e32 vcc, s14, v0
	s_and_b64 s[14:15], vcc, exec
	s_cselect_b32 s10, s10, s12
	s_cselect_b32 s11, s11, s13
	v_mov_b32_e32 v1, s10
	s_cselect_b32 s9, s17, s9
	s_cselect_b32 s8, s16, s8
	v_mov_b32_e32 v2, s11
	v_cmp_ge_i64_e32 vcc, s[8:9], v[1:2]
	s_cbranch_vccz .LBB23_27
.LBB23_28:
	s_lshl_b64 s[8:9], s[8:9], 2
	s_add_u32 s8, s2, s8
	s_addc_u32 s9, s3, s9
	s_sub_u32 s8, s8, s2
	s_subb_u32 s9, s9, s3
	s_ashr_i64 s[8:9], s[8:9], 2
	v_mov_b32_e32 v1, s8
	v_mov_b32_e32 v0, 0
	;; [unrolled: 1-line block ×3, first 2 shown]
	s_mov_b64 s[8:9], -1
	s_mov_b64 vcc, s[0:1]
	global_store_dwordx2 v0, v[1:2], s[6:7] offset:56
	s_cbranch_vccz .LBB23_30
; %bb.29:
	v_mov_b32_e32 v1, v0
	global_store_dwordx2 v0, v[0:1], s[6:7] offset:64
	s_mov_b64 s[8:9], 0
.LBB23_30:
	s_andn2_b64 vcc, exec, s[8:9]
	s_mov_b64 s[0:1], 0
	s_cbranch_vccnz .LBB23_35
; %bb.31:
	v_mov_b32_e32 v0, 0x41000000
	s_mov_b64 s[8:9], s[4:5]
.LBB23_32:                              ; =>This Inner Loop Header: Depth=1
	s_sub_u32 s10, s8, s0
	s_subb_u32 s11, s9, s1
	s_lshr_b64 s[10:11], s[10:11], 1
	s_add_u32 s10, s10, s0
	s_addc_u32 s11, s11, s1
	s_lshl_b64 s[12:13], s[10:11], 2
	s_add_u32 s12, s2, s12
	s_addc_u32 s13, s3, s13
	s_load_dword s12, s[12:13], 0x0
	s_add_u32 s14, s10, 1
	s_addc_u32 s15, s11, 0
	s_waitcnt lgkmcnt(0)
	v_cmp_lt_f32_e32 vcc, s12, v0
	s_and_b64 s[12:13], vcc, exec
	s_cselect_b32 s8, s8, s10
	s_cselect_b32 s9, s9, s11
	v_mov_b32_e32 v1, s8
	s_cselect_b32 s1, s15, s1
	s_cselect_b32 s0, s14, s0
	v_mov_b32_e32 v2, s9
	v_cmp_lt_i64_e32 vcc, s[0:1], v[1:2]
	s_cbranch_vccnz .LBB23_32
; %bb.33:
	s_lshl_b64 s[0:1], s[0:1], 2
	s_add_u32 s0, s2, s0
	s_addc_u32 s1, s3, s1
	s_sub_u32 s0, s0, s2
	s_subb_u32 s1, s1, s3
	s_ashr_i64 s[0:1], s[0:1], 2
	v_mov_b32_e32 v0, s0
	v_mov_b32_e32 v2, 0
	;; [unrolled: 1-line block ×3, first 2 shown]
	global_store_dwordx2 v2, v[0:1], s[6:7] offset:64
	s_mov_b64 s[0:1], 0
	v_mov_b32_e32 v0, 0x41100000
.LBB23_34:                              ; =>This Inner Loop Header: Depth=1
	s_sub_u32 s8, s4, s0
	s_subb_u32 s9, s5, s1
	s_lshr_b64 s[8:9], s[8:9], 1
	s_add_u32 s8, s8, s0
	s_addc_u32 s9, s9, s1
	s_lshl_b64 s[10:11], s[8:9], 2
	s_add_u32 s10, s2, s10
	s_addc_u32 s11, s3, s11
	s_load_dword s10, s[10:11], 0x0
	s_add_u32 s12, s8, 1
	s_addc_u32 s13, s9, 0
	s_waitcnt lgkmcnt(0)
	v_cmp_lt_f32_e32 vcc, s10, v0
	s_and_b64 s[10:11], vcc, exec
	s_cselect_b32 s4, s4, s8
	s_cselect_b32 s5, s5, s9
	v_mov_b32_e32 v1, s4
	s_cselect_b32 s1, s13, s1
	s_cselect_b32 s0, s12, s0
	v_mov_b32_e32 v2, s5
	v_cmp_ge_i64_e32 vcc, s[0:1], v[1:2]
	s_cbranch_vccz .LBB23_34
.LBB23_35:
	s_lshl_b64 s[0:1], s[0:1], 2
	s_add_u32 s0, s2, s0
	s_addc_u32 s1, s3, s1
	s_sub_u32 s0, s0, s2
	s_subb_u32 s1, s1, s3
	s_ashr_i64 s[0:1], s[0:1], 2
	v_mov_b32_e32 v0, s0
	v_mov_b32_e32 v2, 0
	;; [unrolled: 1-line block ×3, first 2 shown]
	global_store_dwordx2 v2, v[0:1], s[6:7] offset:72
	s_endpgm
	.section	.rodata,"a",@progbits
	.p2align	6, 0x0
	.amdhsa_kernel _Z18lower_bound_kernelIfEvmPT_Pl
		.amdhsa_group_segment_fixed_size 0
		.amdhsa_private_segment_fixed_size 0
		.amdhsa_kernarg_size 24
		.amdhsa_user_sgpr_count 6
		.amdhsa_user_sgpr_private_segment_buffer 1
		.amdhsa_user_sgpr_dispatch_ptr 0
		.amdhsa_user_sgpr_queue_ptr 0
		.amdhsa_user_sgpr_kernarg_segment_ptr 1
		.amdhsa_user_sgpr_dispatch_id 0
		.amdhsa_user_sgpr_flat_scratch_init 0
		.amdhsa_user_sgpr_private_segment_size 0
		.amdhsa_uses_dynamic_stack 0
		.amdhsa_system_sgpr_private_segment_wavefront_offset 0
		.amdhsa_system_sgpr_workgroup_id_x 1
		.amdhsa_system_sgpr_workgroup_id_y 0
		.amdhsa_system_sgpr_workgroup_id_z 0
		.amdhsa_system_sgpr_workgroup_info 0
		.amdhsa_system_vgpr_workitem_id 0
		.amdhsa_next_free_vgpr 3
		.amdhsa_next_free_sgpr 18
		.amdhsa_reserve_vcc 1
		.amdhsa_reserve_flat_scratch 0
		.amdhsa_float_round_mode_32 0
		.amdhsa_float_round_mode_16_64 0
		.amdhsa_float_denorm_mode_32 3
		.amdhsa_float_denorm_mode_16_64 3
		.amdhsa_dx10_clamp 1
		.amdhsa_ieee_mode 1
		.amdhsa_fp16_overflow 0
		.amdhsa_exception_fp_ieee_invalid_op 0
		.amdhsa_exception_fp_denorm_src 0
		.amdhsa_exception_fp_ieee_div_zero 0
		.amdhsa_exception_fp_ieee_overflow 0
		.amdhsa_exception_fp_ieee_underflow 0
		.amdhsa_exception_fp_ieee_inexact 0
		.amdhsa_exception_int_div_zero 0
	.end_amdhsa_kernel
	.section	.text._Z18lower_bound_kernelIfEvmPT_Pl,"axG",@progbits,_Z18lower_bound_kernelIfEvmPT_Pl,comdat
.Lfunc_end23:
	.size	_Z18lower_bound_kernelIfEvmPT_Pl, .Lfunc_end23-_Z18lower_bound_kernelIfEvmPT_Pl
                                        ; -- End function
	.set _Z18lower_bound_kernelIfEvmPT_Pl.num_vgpr, 3
	.set _Z18lower_bound_kernelIfEvmPT_Pl.num_agpr, 0
	.set _Z18lower_bound_kernelIfEvmPT_Pl.numbered_sgpr, 18
	.set _Z18lower_bound_kernelIfEvmPT_Pl.num_named_barrier, 0
	.set _Z18lower_bound_kernelIfEvmPT_Pl.private_seg_size, 0
	.set _Z18lower_bound_kernelIfEvmPT_Pl.uses_vcc, 1
	.set _Z18lower_bound_kernelIfEvmPT_Pl.uses_flat_scratch, 0
	.set _Z18lower_bound_kernelIfEvmPT_Pl.has_dyn_sized_stack, 0
	.set _Z18lower_bound_kernelIfEvmPT_Pl.has_recursion, 0
	.set _Z18lower_bound_kernelIfEvmPT_Pl.has_indirect_call, 0
	.section	.AMDGPU.csdata,"",@progbits
; Kernel info:
; codeLenInByte = 1744
; TotalNumSgprs: 22
; NumVgprs: 3
; ScratchSize: 0
; MemoryBound: 0
; FloatMode: 240
; IeeeMode: 1
; LDSByteSize: 0 bytes/workgroup (compile time only)
; SGPRBlocks: 2
; VGPRBlocks: 0
; NumSGPRsForWavesPerEU: 22
; NumVGPRsForWavesPerEU: 3
; Occupancy: 10
; WaveLimiterHint : 0
; COMPUTE_PGM_RSRC2:SCRATCH_EN: 0
; COMPUTE_PGM_RSRC2:USER_SGPR: 6
; COMPUTE_PGM_RSRC2:TRAP_HANDLER: 0
; COMPUTE_PGM_RSRC2:TGID_X_EN: 1
; COMPUTE_PGM_RSRC2:TGID_Y_EN: 0
; COMPUTE_PGM_RSRC2:TGID_Z_EN: 0
; COMPUTE_PGM_RSRC2:TIDIG_COMP_CNT: 0
	.section	.text._ZN7rocprim17ROCPRIM_400000_NS6detail17trampoline_kernelINS0_14default_configENS1_27lower_bound_config_selectorIflEEZNS1_14transform_implILb0ES3_S5_N6thrust23THRUST_200600_302600_NS6detail15normal_iteratorINS8_7pointerIfNS8_11hip_rocprim5par_tENS8_11use_defaultESE_EEEENSA_INSB_IlSD_SE_SE_EEEEZNS1_13binary_searchIS3_S5_PfSG_SI_NS1_21lower_bound_search_opENS9_16wrapped_functionI11custom_lessbEEEE10hipError_tPvRmT1_T2_T3_mmT4_T5_P12ihipStream_tbEUlRKfE_EESP_ST_SU_mSV_SY_bEUlT_E_NS1_11comp_targetILNS1_3genE0ELNS1_11target_archE4294967295ELNS1_3gpuE0ELNS1_3repE0EEENS1_30default_config_static_selectorELNS0_4arch9wavefront6targetE1EEEvSS_,"axG",@progbits,_ZN7rocprim17ROCPRIM_400000_NS6detail17trampoline_kernelINS0_14default_configENS1_27lower_bound_config_selectorIflEEZNS1_14transform_implILb0ES3_S5_N6thrust23THRUST_200600_302600_NS6detail15normal_iteratorINS8_7pointerIfNS8_11hip_rocprim5par_tENS8_11use_defaultESE_EEEENSA_INSB_IlSD_SE_SE_EEEEZNS1_13binary_searchIS3_S5_PfSG_SI_NS1_21lower_bound_search_opENS9_16wrapped_functionI11custom_lessbEEEE10hipError_tPvRmT1_T2_T3_mmT4_T5_P12ihipStream_tbEUlRKfE_EESP_ST_SU_mSV_SY_bEUlT_E_NS1_11comp_targetILNS1_3genE0ELNS1_11target_archE4294967295ELNS1_3gpuE0ELNS1_3repE0EEENS1_30default_config_static_selectorELNS0_4arch9wavefront6targetE1EEEvSS_,comdat
	.protected	_ZN7rocprim17ROCPRIM_400000_NS6detail17trampoline_kernelINS0_14default_configENS1_27lower_bound_config_selectorIflEEZNS1_14transform_implILb0ES3_S5_N6thrust23THRUST_200600_302600_NS6detail15normal_iteratorINS8_7pointerIfNS8_11hip_rocprim5par_tENS8_11use_defaultESE_EEEENSA_INSB_IlSD_SE_SE_EEEEZNS1_13binary_searchIS3_S5_PfSG_SI_NS1_21lower_bound_search_opENS9_16wrapped_functionI11custom_lessbEEEE10hipError_tPvRmT1_T2_T3_mmT4_T5_P12ihipStream_tbEUlRKfE_EESP_ST_SU_mSV_SY_bEUlT_E_NS1_11comp_targetILNS1_3genE0ELNS1_11target_archE4294967295ELNS1_3gpuE0ELNS1_3repE0EEENS1_30default_config_static_selectorELNS0_4arch9wavefront6targetE1EEEvSS_ ; -- Begin function _ZN7rocprim17ROCPRIM_400000_NS6detail17trampoline_kernelINS0_14default_configENS1_27lower_bound_config_selectorIflEEZNS1_14transform_implILb0ES3_S5_N6thrust23THRUST_200600_302600_NS6detail15normal_iteratorINS8_7pointerIfNS8_11hip_rocprim5par_tENS8_11use_defaultESE_EEEENSA_INSB_IlSD_SE_SE_EEEEZNS1_13binary_searchIS3_S5_PfSG_SI_NS1_21lower_bound_search_opENS9_16wrapped_functionI11custom_lessbEEEE10hipError_tPvRmT1_T2_T3_mmT4_T5_P12ihipStream_tbEUlRKfE_EESP_ST_SU_mSV_SY_bEUlT_E_NS1_11comp_targetILNS1_3genE0ELNS1_11target_archE4294967295ELNS1_3gpuE0ELNS1_3repE0EEENS1_30default_config_static_selectorELNS0_4arch9wavefront6targetE1EEEvSS_
	.globl	_ZN7rocprim17ROCPRIM_400000_NS6detail17trampoline_kernelINS0_14default_configENS1_27lower_bound_config_selectorIflEEZNS1_14transform_implILb0ES3_S5_N6thrust23THRUST_200600_302600_NS6detail15normal_iteratorINS8_7pointerIfNS8_11hip_rocprim5par_tENS8_11use_defaultESE_EEEENSA_INSB_IlSD_SE_SE_EEEEZNS1_13binary_searchIS3_S5_PfSG_SI_NS1_21lower_bound_search_opENS9_16wrapped_functionI11custom_lessbEEEE10hipError_tPvRmT1_T2_T3_mmT4_T5_P12ihipStream_tbEUlRKfE_EESP_ST_SU_mSV_SY_bEUlT_E_NS1_11comp_targetILNS1_3genE0ELNS1_11target_archE4294967295ELNS1_3gpuE0ELNS1_3repE0EEENS1_30default_config_static_selectorELNS0_4arch9wavefront6targetE1EEEvSS_
	.p2align	8
	.type	_ZN7rocprim17ROCPRIM_400000_NS6detail17trampoline_kernelINS0_14default_configENS1_27lower_bound_config_selectorIflEEZNS1_14transform_implILb0ES3_S5_N6thrust23THRUST_200600_302600_NS6detail15normal_iteratorINS8_7pointerIfNS8_11hip_rocprim5par_tENS8_11use_defaultESE_EEEENSA_INSB_IlSD_SE_SE_EEEEZNS1_13binary_searchIS3_S5_PfSG_SI_NS1_21lower_bound_search_opENS9_16wrapped_functionI11custom_lessbEEEE10hipError_tPvRmT1_T2_T3_mmT4_T5_P12ihipStream_tbEUlRKfE_EESP_ST_SU_mSV_SY_bEUlT_E_NS1_11comp_targetILNS1_3genE0ELNS1_11target_archE4294967295ELNS1_3gpuE0ELNS1_3repE0EEENS1_30default_config_static_selectorELNS0_4arch9wavefront6targetE1EEEvSS_,@function
_ZN7rocprim17ROCPRIM_400000_NS6detail17trampoline_kernelINS0_14default_configENS1_27lower_bound_config_selectorIflEEZNS1_14transform_implILb0ES3_S5_N6thrust23THRUST_200600_302600_NS6detail15normal_iteratorINS8_7pointerIfNS8_11hip_rocprim5par_tENS8_11use_defaultESE_EEEENSA_INSB_IlSD_SE_SE_EEEEZNS1_13binary_searchIS3_S5_PfSG_SI_NS1_21lower_bound_search_opENS9_16wrapped_functionI11custom_lessbEEEE10hipError_tPvRmT1_T2_T3_mmT4_T5_P12ihipStream_tbEUlRKfE_EESP_ST_SU_mSV_SY_bEUlT_E_NS1_11comp_targetILNS1_3genE0ELNS1_11target_archE4294967295ELNS1_3gpuE0ELNS1_3repE0EEENS1_30default_config_static_selectorELNS0_4arch9wavefront6targetE1EEEvSS_: ; @_ZN7rocprim17ROCPRIM_400000_NS6detail17trampoline_kernelINS0_14default_configENS1_27lower_bound_config_selectorIflEEZNS1_14transform_implILb0ES3_S5_N6thrust23THRUST_200600_302600_NS6detail15normal_iteratorINS8_7pointerIfNS8_11hip_rocprim5par_tENS8_11use_defaultESE_EEEENSA_INSB_IlSD_SE_SE_EEEEZNS1_13binary_searchIS3_S5_PfSG_SI_NS1_21lower_bound_search_opENS9_16wrapped_functionI11custom_lessbEEEE10hipError_tPvRmT1_T2_T3_mmT4_T5_P12ihipStream_tbEUlRKfE_EESP_ST_SU_mSV_SY_bEUlT_E_NS1_11comp_targetILNS1_3genE0ELNS1_11target_archE4294967295ELNS1_3gpuE0ELNS1_3repE0EEENS1_30default_config_static_selectorELNS0_4arch9wavefront6targetE1EEEvSS_
; %bb.0:
	.section	.rodata,"a",@progbits
	.p2align	6, 0x0
	.amdhsa_kernel _ZN7rocprim17ROCPRIM_400000_NS6detail17trampoline_kernelINS0_14default_configENS1_27lower_bound_config_selectorIflEEZNS1_14transform_implILb0ES3_S5_N6thrust23THRUST_200600_302600_NS6detail15normal_iteratorINS8_7pointerIfNS8_11hip_rocprim5par_tENS8_11use_defaultESE_EEEENSA_INSB_IlSD_SE_SE_EEEEZNS1_13binary_searchIS3_S5_PfSG_SI_NS1_21lower_bound_search_opENS9_16wrapped_functionI11custom_lessbEEEE10hipError_tPvRmT1_T2_T3_mmT4_T5_P12ihipStream_tbEUlRKfE_EESP_ST_SU_mSV_SY_bEUlT_E_NS1_11comp_targetILNS1_3genE0ELNS1_11target_archE4294967295ELNS1_3gpuE0ELNS1_3repE0EEENS1_30default_config_static_selectorELNS0_4arch9wavefront6targetE1EEEvSS_
		.amdhsa_group_segment_fixed_size 0
		.amdhsa_private_segment_fixed_size 0
		.amdhsa_kernarg_size 56
		.amdhsa_user_sgpr_count 6
		.amdhsa_user_sgpr_private_segment_buffer 1
		.amdhsa_user_sgpr_dispatch_ptr 0
		.amdhsa_user_sgpr_queue_ptr 0
		.amdhsa_user_sgpr_kernarg_segment_ptr 1
		.amdhsa_user_sgpr_dispatch_id 0
		.amdhsa_user_sgpr_flat_scratch_init 0
		.amdhsa_user_sgpr_private_segment_size 0
		.amdhsa_uses_dynamic_stack 0
		.amdhsa_system_sgpr_private_segment_wavefront_offset 0
		.amdhsa_system_sgpr_workgroup_id_x 1
		.amdhsa_system_sgpr_workgroup_id_y 0
		.amdhsa_system_sgpr_workgroup_id_z 0
		.amdhsa_system_sgpr_workgroup_info 0
		.amdhsa_system_vgpr_workitem_id 0
		.amdhsa_next_free_vgpr 1
		.amdhsa_next_free_sgpr 0
		.amdhsa_reserve_vcc 0
		.amdhsa_reserve_flat_scratch 0
		.amdhsa_float_round_mode_32 0
		.amdhsa_float_round_mode_16_64 0
		.amdhsa_float_denorm_mode_32 3
		.amdhsa_float_denorm_mode_16_64 3
		.amdhsa_dx10_clamp 1
		.amdhsa_ieee_mode 1
		.amdhsa_fp16_overflow 0
		.amdhsa_exception_fp_ieee_invalid_op 0
		.amdhsa_exception_fp_denorm_src 0
		.amdhsa_exception_fp_ieee_div_zero 0
		.amdhsa_exception_fp_ieee_overflow 0
		.amdhsa_exception_fp_ieee_underflow 0
		.amdhsa_exception_fp_ieee_inexact 0
		.amdhsa_exception_int_div_zero 0
	.end_amdhsa_kernel
	.section	.text._ZN7rocprim17ROCPRIM_400000_NS6detail17trampoline_kernelINS0_14default_configENS1_27lower_bound_config_selectorIflEEZNS1_14transform_implILb0ES3_S5_N6thrust23THRUST_200600_302600_NS6detail15normal_iteratorINS8_7pointerIfNS8_11hip_rocprim5par_tENS8_11use_defaultESE_EEEENSA_INSB_IlSD_SE_SE_EEEEZNS1_13binary_searchIS3_S5_PfSG_SI_NS1_21lower_bound_search_opENS9_16wrapped_functionI11custom_lessbEEEE10hipError_tPvRmT1_T2_T3_mmT4_T5_P12ihipStream_tbEUlRKfE_EESP_ST_SU_mSV_SY_bEUlT_E_NS1_11comp_targetILNS1_3genE0ELNS1_11target_archE4294967295ELNS1_3gpuE0ELNS1_3repE0EEENS1_30default_config_static_selectorELNS0_4arch9wavefront6targetE1EEEvSS_,"axG",@progbits,_ZN7rocprim17ROCPRIM_400000_NS6detail17trampoline_kernelINS0_14default_configENS1_27lower_bound_config_selectorIflEEZNS1_14transform_implILb0ES3_S5_N6thrust23THRUST_200600_302600_NS6detail15normal_iteratorINS8_7pointerIfNS8_11hip_rocprim5par_tENS8_11use_defaultESE_EEEENSA_INSB_IlSD_SE_SE_EEEEZNS1_13binary_searchIS3_S5_PfSG_SI_NS1_21lower_bound_search_opENS9_16wrapped_functionI11custom_lessbEEEE10hipError_tPvRmT1_T2_T3_mmT4_T5_P12ihipStream_tbEUlRKfE_EESP_ST_SU_mSV_SY_bEUlT_E_NS1_11comp_targetILNS1_3genE0ELNS1_11target_archE4294967295ELNS1_3gpuE0ELNS1_3repE0EEENS1_30default_config_static_selectorELNS0_4arch9wavefront6targetE1EEEvSS_,comdat
.Lfunc_end24:
	.size	_ZN7rocprim17ROCPRIM_400000_NS6detail17trampoline_kernelINS0_14default_configENS1_27lower_bound_config_selectorIflEEZNS1_14transform_implILb0ES3_S5_N6thrust23THRUST_200600_302600_NS6detail15normal_iteratorINS8_7pointerIfNS8_11hip_rocprim5par_tENS8_11use_defaultESE_EEEENSA_INSB_IlSD_SE_SE_EEEEZNS1_13binary_searchIS3_S5_PfSG_SI_NS1_21lower_bound_search_opENS9_16wrapped_functionI11custom_lessbEEEE10hipError_tPvRmT1_T2_T3_mmT4_T5_P12ihipStream_tbEUlRKfE_EESP_ST_SU_mSV_SY_bEUlT_E_NS1_11comp_targetILNS1_3genE0ELNS1_11target_archE4294967295ELNS1_3gpuE0ELNS1_3repE0EEENS1_30default_config_static_selectorELNS0_4arch9wavefront6targetE1EEEvSS_, .Lfunc_end24-_ZN7rocprim17ROCPRIM_400000_NS6detail17trampoline_kernelINS0_14default_configENS1_27lower_bound_config_selectorIflEEZNS1_14transform_implILb0ES3_S5_N6thrust23THRUST_200600_302600_NS6detail15normal_iteratorINS8_7pointerIfNS8_11hip_rocprim5par_tENS8_11use_defaultESE_EEEENSA_INSB_IlSD_SE_SE_EEEEZNS1_13binary_searchIS3_S5_PfSG_SI_NS1_21lower_bound_search_opENS9_16wrapped_functionI11custom_lessbEEEE10hipError_tPvRmT1_T2_T3_mmT4_T5_P12ihipStream_tbEUlRKfE_EESP_ST_SU_mSV_SY_bEUlT_E_NS1_11comp_targetILNS1_3genE0ELNS1_11target_archE4294967295ELNS1_3gpuE0ELNS1_3repE0EEENS1_30default_config_static_selectorELNS0_4arch9wavefront6targetE1EEEvSS_
                                        ; -- End function
	.set _ZN7rocprim17ROCPRIM_400000_NS6detail17trampoline_kernelINS0_14default_configENS1_27lower_bound_config_selectorIflEEZNS1_14transform_implILb0ES3_S5_N6thrust23THRUST_200600_302600_NS6detail15normal_iteratorINS8_7pointerIfNS8_11hip_rocprim5par_tENS8_11use_defaultESE_EEEENSA_INSB_IlSD_SE_SE_EEEEZNS1_13binary_searchIS3_S5_PfSG_SI_NS1_21lower_bound_search_opENS9_16wrapped_functionI11custom_lessbEEEE10hipError_tPvRmT1_T2_T3_mmT4_T5_P12ihipStream_tbEUlRKfE_EESP_ST_SU_mSV_SY_bEUlT_E_NS1_11comp_targetILNS1_3genE0ELNS1_11target_archE4294967295ELNS1_3gpuE0ELNS1_3repE0EEENS1_30default_config_static_selectorELNS0_4arch9wavefront6targetE1EEEvSS_.num_vgpr, 0
	.set _ZN7rocprim17ROCPRIM_400000_NS6detail17trampoline_kernelINS0_14default_configENS1_27lower_bound_config_selectorIflEEZNS1_14transform_implILb0ES3_S5_N6thrust23THRUST_200600_302600_NS6detail15normal_iteratorINS8_7pointerIfNS8_11hip_rocprim5par_tENS8_11use_defaultESE_EEEENSA_INSB_IlSD_SE_SE_EEEEZNS1_13binary_searchIS3_S5_PfSG_SI_NS1_21lower_bound_search_opENS9_16wrapped_functionI11custom_lessbEEEE10hipError_tPvRmT1_T2_T3_mmT4_T5_P12ihipStream_tbEUlRKfE_EESP_ST_SU_mSV_SY_bEUlT_E_NS1_11comp_targetILNS1_3genE0ELNS1_11target_archE4294967295ELNS1_3gpuE0ELNS1_3repE0EEENS1_30default_config_static_selectorELNS0_4arch9wavefront6targetE1EEEvSS_.num_agpr, 0
	.set _ZN7rocprim17ROCPRIM_400000_NS6detail17trampoline_kernelINS0_14default_configENS1_27lower_bound_config_selectorIflEEZNS1_14transform_implILb0ES3_S5_N6thrust23THRUST_200600_302600_NS6detail15normal_iteratorINS8_7pointerIfNS8_11hip_rocprim5par_tENS8_11use_defaultESE_EEEENSA_INSB_IlSD_SE_SE_EEEEZNS1_13binary_searchIS3_S5_PfSG_SI_NS1_21lower_bound_search_opENS9_16wrapped_functionI11custom_lessbEEEE10hipError_tPvRmT1_T2_T3_mmT4_T5_P12ihipStream_tbEUlRKfE_EESP_ST_SU_mSV_SY_bEUlT_E_NS1_11comp_targetILNS1_3genE0ELNS1_11target_archE4294967295ELNS1_3gpuE0ELNS1_3repE0EEENS1_30default_config_static_selectorELNS0_4arch9wavefront6targetE1EEEvSS_.numbered_sgpr, 0
	.set _ZN7rocprim17ROCPRIM_400000_NS6detail17trampoline_kernelINS0_14default_configENS1_27lower_bound_config_selectorIflEEZNS1_14transform_implILb0ES3_S5_N6thrust23THRUST_200600_302600_NS6detail15normal_iteratorINS8_7pointerIfNS8_11hip_rocprim5par_tENS8_11use_defaultESE_EEEENSA_INSB_IlSD_SE_SE_EEEEZNS1_13binary_searchIS3_S5_PfSG_SI_NS1_21lower_bound_search_opENS9_16wrapped_functionI11custom_lessbEEEE10hipError_tPvRmT1_T2_T3_mmT4_T5_P12ihipStream_tbEUlRKfE_EESP_ST_SU_mSV_SY_bEUlT_E_NS1_11comp_targetILNS1_3genE0ELNS1_11target_archE4294967295ELNS1_3gpuE0ELNS1_3repE0EEENS1_30default_config_static_selectorELNS0_4arch9wavefront6targetE1EEEvSS_.num_named_barrier, 0
	.set _ZN7rocprim17ROCPRIM_400000_NS6detail17trampoline_kernelINS0_14default_configENS1_27lower_bound_config_selectorIflEEZNS1_14transform_implILb0ES3_S5_N6thrust23THRUST_200600_302600_NS6detail15normal_iteratorINS8_7pointerIfNS8_11hip_rocprim5par_tENS8_11use_defaultESE_EEEENSA_INSB_IlSD_SE_SE_EEEEZNS1_13binary_searchIS3_S5_PfSG_SI_NS1_21lower_bound_search_opENS9_16wrapped_functionI11custom_lessbEEEE10hipError_tPvRmT1_T2_T3_mmT4_T5_P12ihipStream_tbEUlRKfE_EESP_ST_SU_mSV_SY_bEUlT_E_NS1_11comp_targetILNS1_3genE0ELNS1_11target_archE4294967295ELNS1_3gpuE0ELNS1_3repE0EEENS1_30default_config_static_selectorELNS0_4arch9wavefront6targetE1EEEvSS_.private_seg_size, 0
	.set _ZN7rocprim17ROCPRIM_400000_NS6detail17trampoline_kernelINS0_14default_configENS1_27lower_bound_config_selectorIflEEZNS1_14transform_implILb0ES3_S5_N6thrust23THRUST_200600_302600_NS6detail15normal_iteratorINS8_7pointerIfNS8_11hip_rocprim5par_tENS8_11use_defaultESE_EEEENSA_INSB_IlSD_SE_SE_EEEEZNS1_13binary_searchIS3_S5_PfSG_SI_NS1_21lower_bound_search_opENS9_16wrapped_functionI11custom_lessbEEEE10hipError_tPvRmT1_T2_T3_mmT4_T5_P12ihipStream_tbEUlRKfE_EESP_ST_SU_mSV_SY_bEUlT_E_NS1_11comp_targetILNS1_3genE0ELNS1_11target_archE4294967295ELNS1_3gpuE0ELNS1_3repE0EEENS1_30default_config_static_selectorELNS0_4arch9wavefront6targetE1EEEvSS_.uses_vcc, 0
	.set _ZN7rocprim17ROCPRIM_400000_NS6detail17trampoline_kernelINS0_14default_configENS1_27lower_bound_config_selectorIflEEZNS1_14transform_implILb0ES3_S5_N6thrust23THRUST_200600_302600_NS6detail15normal_iteratorINS8_7pointerIfNS8_11hip_rocprim5par_tENS8_11use_defaultESE_EEEENSA_INSB_IlSD_SE_SE_EEEEZNS1_13binary_searchIS3_S5_PfSG_SI_NS1_21lower_bound_search_opENS9_16wrapped_functionI11custom_lessbEEEE10hipError_tPvRmT1_T2_T3_mmT4_T5_P12ihipStream_tbEUlRKfE_EESP_ST_SU_mSV_SY_bEUlT_E_NS1_11comp_targetILNS1_3genE0ELNS1_11target_archE4294967295ELNS1_3gpuE0ELNS1_3repE0EEENS1_30default_config_static_selectorELNS0_4arch9wavefront6targetE1EEEvSS_.uses_flat_scratch, 0
	.set _ZN7rocprim17ROCPRIM_400000_NS6detail17trampoline_kernelINS0_14default_configENS1_27lower_bound_config_selectorIflEEZNS1_14transform_implILb0ES3_S5_N6thrust23THRUST_200600_302600_NS6detail15normal_iteratorINS8_7pointerIfNS8_11hip_rocprim5par_tENS8_11use_defaultESE_EEEENSA_INSB_IlSD_SE_SE_EEEEZNS1_13binary_searchIS3_S5_PfSG_SI_NS1_21lower_bound_search_opENS9_16wrapped_functionI11custom_lessbEEEE10hipError_tPvRmT1_T2_T3_mmT4_T5_P12ihipStream_tbEUlRKfE_EESP_ST_SU_mSV_SY_bEUlT_E_NS1_11comp_targetILNS1_3genE0ELNS1_11target_archE4294967295ELNS1_3gpuE0ELNS1_3repE0EEENS1_30default_config_static_selectorELNS0_4arch9wavefront6targetE1EEEvSS_.has_dyn_sized_stack, 0
	.set _ZN7rocprim17ROCPRIM_400000_NS6detail17trampoline_kernelINS0_14default_configENS1_27lower_bound_config_selectorIflEEZNS1_14transform_implILb0ES3_S5_N6thrust23THRUST_200600_302600_NS6detail15normal_iteratorINS8_7pointerIfNS8_11hip_rocprim5par_tENS8_11use_defaultESE_EEEENSA_INSB_IlSD_SE_SE_EEEEZNS1_13binary_searchIS3_S5_PfSG_SI_NS1_21lower_bound_search_opENS9_16wrapped_functionI11custom_lessbEEEE10hipError_tPvRmT1_T2_T3_mmT4_T5_P12ihipStream_tbEUlRKfE_EESP_ST_SU_mSV_SY_bEUlT_E_NS1_11comp_targetILNS1_3genE0ELNS1_11target_archE4294967295ELNS1_3gpuE0ELNS1_3repE0EEENS1_30default_config_static_selectorELNS0_4arch9wavefront6targetE1EEEvSS_.has_recursion, 0
	.set _ZN7rocprim17ROCPRIM_400000_NS6detail17trampoline_kernelINS0_14default_configENS1_27lower_bound_config_selectorIflEEZNS1_14transform_implILb0ES3_S5_N6thrust23THRUST_200600_302600_NS6detail15normal_iteratorINS8_7pointerIfNS8_11hip_rocprim5par_tENS8_11use_defaultESE_EEEENSA_INSB_IlSD_SE_SE_EEEEZNS1_13binary_searchIS3_S5_PfSG_SI_NS1_21lower_bound_search_opENS9_16wrapped_functionI11custom_lessbEEEE10hipError_tPvRmT1_T2_T3_mmT4_T5_P12ihipStream_tbEUlRKfE_EESP_ST_SU_mSV_SY_bEUlT_E_NS1_11comp_targetILNS1_3genE0ELNS1_11target_archE4294967295ELNS1_3gpuE0ELNS1_3repE0EEENS1_30default_config_static_selectorELNS0_4arch9wavefront6targetE1EEEvSS_.has_indirect_call, 0
	.section	.AMDGPU.csdata,"",@progbits
; Kernel info:
; codeLenInByte = 0
; TotalNumSgprs: 4
; NumVgprs: 0
; ScratchSize: 0
; MemoryBound: 0
; FloatMode: 240
; IeeeMode: 1
; LDSByteSize: 0 bytes/workgroup (compile time only)
; SGPRBlocks: 0
; VGPRBlocks: 0
; NumSGPRsForWavesPerEU: 4
; NumVGPRsForWavesPerEU: 1
; Occupancy: 10
; WaveLimiterHint : 0
; COMPUTE_PGM_RSRC2:SCRATCH_EN: 0
; COMPUTE_PGM_RSRC2:USER_SGPR: 6
; COMPUTE_PGM_RSRC2:TRAP_HANDLER: 0
; COMPUTE_PGM_RSRC2:TGID_X_EN: 1
; COMPUTE_PGM_RSRC2:TGID_Y_EN: 0
; COMPUTE_PGM_RSRC2:TGID_Z_EN: 0
; COMPUTE_PGM_RSRC2:TIDIG_COMP_CNT: 0
	.section	.text._ZN7rocprim17ROCPRIM_400000_NS6detail17trampoline_kernelINS0_14default_configENS1_27lower_bound_config_selectorIflEEZNS1_14transform_implILb0ES3_S5_N6thrust23THRUST_200600_302600_NS6detail15normal_iteratorINS8_7pointerIfNS8_11hip_rocprim5par_tENS8_11use_defaultESE_EEEENSA_INSB_IlSD_SE_SE_EEEEZNS1_13binary_searchIS3_S5_PfSG_SI_NS1_21lower_bound_search_opENS9_16wrapped_functionI11custom_lessbEEEE10hipError_tPvRmT1_T2_T3_mmT4_T5_P12ihipStream_tbEUlRKfE_EESP_ST_SU_mSV_SY_bEUlT_E_NS1_11comp_targetILNS1_3genE5ELNS1_11target_archE942ELNS1_3gpuE9ELNS1_3repE0EEENS1_30default_config_static_selectorELNS0_4arch9wavefront6targetE1EEEvSS_,"axG",@progbits,_ZN7rocprim17ROCPRIM_400000_NS6detail17trampoline_kernelINS0_14default_configENS1_27lower_bound_config_selectorIflEEZNS1_14transform_implILb0ES3_S5_N6thrust23THRUST_200600_302600_NS6detail15normal_iteratorINS8_7pointerIfNS8_11hip_rocprim5par_tENS8_11use_defaultESE_EEEENSA_INSB_IlSD_SE_SE_EEEEZNS1_13binary_searchIS3_S5_PfSG_SI_NS1_21lower_bound_search_opENS9_16wrapped_functionI11custom_lessbEEEE10hipError_tPvRmT1_T2_T3_mmT4_T5_P12ihipStream_tbEUlRKfE_EESP_ST_SU_mSV_SY_bEUlT_E_NS1_11comp_targetILNS1_3genE5ELNS1_11target_archE942ELNS1_3gpuE9ELNS1_3repE0EEENS1_30default_config_static_selectorELNS0_4arch9wavefront6targetE1EEEvSS_,comdat
	.protected	_ZN7rocprim17ROCPRIM_400000_NS6detail17trampoline_kernelINS0_14default_configENS1_27lower_bound_config_selectorIflEEZNS1_14transform_implILb0ES3_S5_N6thrust23THRUST_200600_302600_NS6detail15normal_iteratorINS8_7pointerIfNS8_11hip_rocprim5par_tENS8_11use_defaultESE_EEEENSA_INSB_IlSD_SE_SE_EEEEZNS1_13binary_searchIS3_S5_PfSG_SI_NS1_21lower_bound_search_opENS9_16wrapped_functionI11custom_lessbEEEE10hipError_tPvRmT1_T2_T3_mmT4_T5_P12ihipStream_tbEUlRKfE_EESP_ST_SU_mSV_SY_bEUlT_E_NS1_11comp_targetILNS1_3genE5ELNS1_11target_archE942ELNS1_3gpuE9ELNS1_3repE0EEENS1_30default_config_static_selectorELNS0_4arch9wavefront6targetE1EEEvSS_ ; -- Begin function _ZN7rocprim17ROCPRIM_400000_NS6detail17trampoline_kernelINS0_14default_configENS1_27lower_bound_config_selectorIflEEZNS1_14transform_implILb0ES3_S5_N6thrust23THRUST_200600_302600_NS6detail15normal_iteratorINS8_7pointerIfNS8_11hip_rocprim5par_tENS8_11use_defaultESE_EEEENSA_INSB_IlSD_SE_SE_EEEEZNS1_13binary_searchIS3_S5_PfSG_SI_NS1_21lower_bound_search_opENS9_16wrapped_functionI11custom_lessbEEEE10hipError_tPvRmT1_T2_T3_mmT4_T5_P12ihipStream_tbEUlRKfE_EESP_ST_SU_mSV_SY_bEUlT_E_NS1_11comp_targetILNS1_3genE5ELNS1_11target_archE942ELNS1_3gpuE9ELNS1_3repE0EEENS1_30default_config_static_selectorELNS0_4arch9wavefront6targetE1EEEvSS_
	.globl	_ZN7rocprim17ROCPRIM_400000_NS6detail17trampoline_kernelINS0_14default_configENS1_27lower_bound_config_selectorIflEEZNS1_14transform_implILb0ES3_S5_N6thrust23THRUST_200600_302600_NS6detail15normal_iteratorINS8_7pointerIfNS8_11hip_rocprim5par_tENS8_11use_defaultESE_EEEENSA_INSB_IlSD_SE_SE_EEEEZNS1_13binary_searchIS3_S5_PfSG_SI_NS1_21lower_bound_search_opENS9_16wrapped_functionI11custom_lessbEEEE10hipError_tPvRmT1_T2_T3_mmT4_T5_P12ihipStream_tbEUlRKfE_EESP_ST_SU_mSV_SY_bEUlT_E_NS1_11comp_targetILNS1_3genE5ELNS1_11target_archE942ELNS1_3gpuE9ELNS1_3repE0EEENS1_30default_config_static_selectorELNS0_4arch9wavefront6targetE1EEEvSS_
	.p2align	8
	.type	_ZN7rocprim17ROCPRIM_400000_NS6detail17trampoline_kernelINS0_14default_configENS1_27lower_bound_config_selectorIflEEZNS1_14transform_implILb0ES3_S5_N6thrust23THRUST_200600_302600_NS6detail15normal_iteratorINS8_7pointerIfNS8_11hip_rocprim5par_tENS8_11use_defaultESE_EEEENSA_INSB_IlSD_SE_SE_EEEEZNS1_13binary_searchIS3_S5_PfSG_SI_NS1_21lower_bound_search_opENS9_16wrapped_functionI11custom_lessbEEEE10hipError_tPvRmT1_T2_T3_mmT4_T5_P12ihipStream_tbEUlRKfE_EESP_ST_SU_mSV_SY_bEUlT_E_NS1_11comp_targetILNS1_3genE5ELNS1_11target_archE942ELNS1_3gpuE9ELNS1_3repE0EEENS1_30default_config_static_selectorELNS0_4arch9wavefront6targetE1EEEvSS_,@function
_ZN7rocprim17ROCPRIM_400000_NS6detail17trampoline_kernelINS0_14default_configENS1_27lower_bound_config_selectorIflEEZNS1_14transform_implILb0ES3_S5_N6thrust23THRUST_200600_302600_NS6detail15normal_iteratorINS8_7pointerIfNS8_11hip_rocprim5par_tENS8_11use_defaultESE_EEEENSA_INSB_IlSD_SE_SE_EEEEZNS1_13binary_searchIS3_S5_PfSG_SI_NS1_21lower_bound_search_opENS9_16wrapped_functionI11custom_lessbEEEE10hipError_tPvRmT1_T2_T3_mmT4_T5_P12ihipStream_tbEUlRKfE_EESP_ST_SU_mSV_SY_bEUlT_E_NS1_11comp_targetILNS1_3genE5ELNS1_11target_archE942ELNS1_3gpuE9ELNS1_3repE0EEENS1_30default_config_static_selectorELNS0_4arch9wavefront6targetE1EEEvSS_: ; @_ZN7rocprim17ROCPRIM_400000_NS6detail17trampoline_kernelINS0_14default_configENS1_27lower_bound_config_selectorIflEEZNS1_14transform_implILb0ES3_S5_N6thrust23THRUST_200600_302600_NS6detail15normal_iteratorINS8_7pointerIfNS8_11hip_rocprim5par_tENS8_11use_defaultESE_EEEENSA_INSB_IlSD_SE_SE_EEEEZNS1_13binary_searchIS3_S5_PfSG_SI_NS1_21lower_bound_search_opENS9_16wrapped_functionI11custom_lessbEEEE10hipError_tPvRmT1_T2_T3_mmT4_T5_P12ihipStream_tbEUlRKfE_EESP_ST_SU_mSV_SY_bEUlT_E_NS1_11comp_targetILNS1_3genE5ELNS1_11target_archE942ELNS1_3gpuE9ELNS1_3repE0EEENS1_30default_config_static_selectorELNS0_4arch9wavefront6targetE1EEEvSS_
; %bb.0:
	.section	.rodata,"a",@progbits
	.p2align	6, 0x0
	.amdhsa_kernel _ZN7rocprim17ROCPRIM_400000_NS6detail17trampoline_kernelINS0_14default_configENS1_27lower_bound_config_selectorIflEEZNS1_14transform_implILb0ES3_S5_N6thrust23THRUST_200600_302600_NS6detail15normal_iteratorINS8_7pointerIfNS8_11hip_rocprim5par_tENS8_11use_defaultESE_EEEENSA_INSB_IlSD_SE_SE_EEEEZNS1_13binary_searchIS3_S5_PfSG_SI_NS1_21lower_bound_search_opENS9_16wrapped_functionI11custom_lessbEEEE10hipError_tPvRmT1_T2_T3_mmT4_T5_P12ihipStream_tbEUlRKfE_EESP_ST_SU_mSV_SY_bEUlT_E_NS1_11comp_targetILNS1_3genE5ELNS1_11target_archE942ELNS1_3gpuE9ELNS1_3repE0EEENS1_30default_config_static_selectorELNS0_4arch9wavefront6targetE1EEEvSS_
		.amdhsa_group_segment_fixed_size 0
		.amdhsa_private_segment_fixed_size 0
		.amdhsa_kernarg_size 56
		.amdhsa_user_sgpr_count 6
		.amdhsa_user_sgpr_private_segment_buffer 1
		.amdhsa_user_sgpr_dispatch_ptr 0
		.amdhsa_user_sgpr_queue_ptr 0
		.amdhsa_user_sgpr_kernarg_segment_ptr 1
		.amdhsa_user_sgpr_dispatch_id 0
		.amdhsa_user_sgpr_flat_scratch_init 0
		.amdhsa_user_sgpr_private_segment_size 0
		.amdhsa_uses_dynamic_stack 0
		.amdhsa_system_sgpr_private_segment_wavefront_offset 0
		.amdhsa_system_sgpr_workgroup_id_x 1
		.amdhsa_system_sgpr_workgroup_id_y 0
		.amdhsa_system_sgpr_workgroup_id_z 0
		.amdhsa_system_sgpr_workgroup_info 0
		.amdhsa_system_vgpr_workitem_id 0
		.amdhsa_next_free_vgpr 1
		.amdhsa_next_free_sgpr 0
		.amdhsa_reserve_vcc 0
		.amdhsa_reserve_flat_scratch 0
		.amdhsa_float_round_mode_32 0
		.amdhsa_float_round_mode_16_64 0
		.amdhsa_float_denorm_mode_32 3
		.amdhsa_float_denorm_mode_16_64 3
		.amdhsa_dx10_clamp 1
		.amdhsa_ieee_mode 1
		.amdhsa_fp16_overflow 0
		.amdhsa_exception_fp_ieee_invalid_op 0
		.amdhsa_exception_fp_denorm_src 0
		.amdhsa_exception_fp_ieee_div_zero 0
		.amdhsa_exception_fp_ieee_overflow 0
		.amdhsa_exception_fp_ieee_underflow 0
		.amdhsa_exception_fp_ieee_inexact 0
		.amdhsa_exception_int_div_zero 0
	.end_amdhsa_kernel
	.section	.text._ZN7rocprim17ROCPRIM_400000_NS6detail17trampoline_kernelINS0_14default_configENS1_27lower_bound_config_selectorIflEEZNS1_14transform_implILb0ES3_S5_N6thrust23THRUST_200600_302600_NS6detail15normal_iteratorINS8_7pointerIfNS8_11hip_rocprim5par_tENS8_11use_defaultESE_EEEENSA_INSB_IlSD_SE_SE_EEEEZNS1_13binary_searchIS3_S5_PfSG_SI_NS1_21lower_bound_search_opENS9_16wrapped_functionI11custom_lessbEEEE10hipError_tPvRmT1_T2_T3_mmT4_T5_P12ihipStream_tbEUlRKfE_EESP_ST_SU_mSV_SY_bEUlT_E_NS1_11comp_targetILNS1_3genE5ELNS1_11target_archE942ELNS1_3gpuE9ELNS1_3repE0EEENS1_30default_config_static_selectorELNS0_4arch9wavefront6targetE1EEEvSS_,"axG",@progbits,_ZN7rocprim17ROCPRIM_400000_NS6detail17trampoline_kernelINS0_14default_configENS1_27lower_bound_config_selectorIflEEZNS1_14transform_implILb0ES3_S5_N6thrust23THRUST_200600_302600_NS6detail15normal_iteratorINS8_7pointerIfNS8_11hip_rocprim5par_tENS8_11use_defaultESE_EEEENSA_INSB_IlSD_SE_SE_EEEEZNS1_13binary_searchIS3_S5_PfSG_SI_NS1_21lower_bound_search_opENS9_16wrapped_functionI11custom_lessbEEEE10hipError_tPvRmT1_T2_T3_mmT4_T5_P12ihipStream_tbEUlRKfE_EESP_ST_SU_mSV_SY_bEUlT_E_NS1_11comp_targetILNS1_3genE5ELNS1_11target_archE942ELNS1_3gpuE9ELNS1_3repE0EEENS1_30default_config_static_selectorELNS0_4arch9wavefront6targetE1EEEvSS_,comdat
.Lfunc_end25:
	.size	_ZN7rocprim17ROCPRIM_400000_NS6detail17trampoline_kernelINS0_14default_configENS1_27lower_bound_config_selectorIflEEZNS1_14transform_implILb0ES3_S5_N6thrust23THRUST_200600_302600_NS6detail15normal_iteratorINS8_7pointerIfNS8_11hip_rocprim5par_tENS8_11use_defaultESE_EEEENSA_INSB_IlSD_SE_SE_EEEEZNS1_13binary_searchIS3_S5_PfSG_SI_NS1_21lower_bound_search_opENS9_16wrapped_functionI11custom_lessbEEEE10hipError_tPvRmT1_T2_T3_mmT4_T5_P12ihipStream_tbEUlRKfE_EESP_ST_SU_mSV_SY_bEUlT_E_NS1_11comp_targetILNS1_3genE5ELNS1_11target_archE942ELNS1_3gpuE9ELNS1_3repE0EEENS1_30default_config_static_selectorELNS0_4arch9wavefront6targetE1EEEvSS_, .Lfunc_end25-_ZN7rocprim17ROCPRIM_400000_NS6detail17trampoline_kernelINS0_14default_configENS1_27lower_bound_config_selectorIflEEZNS1_14transform_implILb0ES3_S5_N6thrust23THRUST_200600_302600_NS6detail15normal_iteratorINS8_7pointerIfNS8_11hip_rocprim5par_tENS8_11use_defaultESE_EEEENSA_INSB_IlSD_SE_SE_EEEEZNS1_13binary_searchIS3_S5_PfSG_SI_NS1_21lower_bound_search_opENS9_16wrapped_functionI11custom_lessbEEEE10hipError_tPvRmT1_T2_T3_mmT4_T5_P12ihipStream_tbEUlRKfE_EESP_ST_SU_mSV_SY_bEUlT_E_NS1_11comp_targetILNS1_3genE5ELNS1_11target_archE942ELNS1_3gpuE9ELNS1_3repE0EEENS1_30default_config_static_selectorELNS0_4arch9wavefront6targetE1EEEvSS_
                                        ; -- End function
	.set _ZN7rocprim17ROCPRIM_400000_NS6detail17trampoline_kernelINS0_14default_configENS1_27lower_bound_config_selectorIflEEZNS1_14transform_implILb0ES3_S5_N6thrust23THRUST_200600_302600_NS6detail15normal_iteratorINS8_7pointerIfNS8_11hip_rocprim5par_tENS8_11use_defaultESE_EEEENSA_INSB_IlSD_SE_SE_EEEEZNS1_13binary_searchIS3_S5_PfSG_SI_NS1_21lower_bound_search_opENS9_16wrapped_functionI11custom_lessbEEEE10hipError_tPvRmT1_T2_T3_mmT4_T5_P12ihipStream_tbEUlRKfE_EESP_ST_SU_mSV_SY_bEUlT_E_NS1_11comp_targetILNS1_3genE5ELNS1_11target_archE942ELNS1_3gpuE9ELNS1_3repE0EEENS1_30default_config_static_selectorELNS0_4arch9wavefront6targetE1EEEvSS_.num_vgpr, 0
	.set _ZN7rocprim17ROCPRIM_400000_NS6detail17trampoline_kernelINS0_14default_configENS1_27lower_bound_config_selectorIflEEZNS1_14transform_implILb0ES3_S5_N6thrust23THRUST_200600_302600_NS6detail15normal_iteratorINS8_7pointerIfNS8_11hip_rocprim5par_tENS8_11use_defaultESE_EEEENSA_INSB_IlSD_SE_SE_EEEEZNS1_13binary_searchIS3_S5_PfSG_SI_NS1_21lower_bound_search_opENS9_16wrapped_functionI11custom_lessbEEEE10hipError_tPvRmT1_T2_T3_mmT4_T5_P12ihipStream_tbEUlRKfE_EESP_ST_SU_mSV_SY_bEUlT_E_NS1_11comp_targetILNS1_3genE5ELNS1_11target_archE942ELNS1_3gpuE9ELNS1_3repE0EEENS1_30default_config_static_selectorELNS0_4arch9wavefront6targetE1EEEvSS_.num_agpr, 0
	.set _ZN7rocprim17ROCPRIM_400000_NS6detail17trampoline_kernelINS0_14default_configENS1_27lower_bound_config_selectorIflEEZNS1_14transform_implILb0ES3_S5_N6thrust23THRUST_200600_302600_NS6detail15normal_iteratorINS8_7pointerIfNS8_11hip_rocprim5par_tENS8_11use_defaultESE_EEEENSA_INSB_IlSD_SE_SE_EEEEZNS1_13binary_searchIS3_S5_PfSG_SI_NS1_21lower_bound_search_opENS9_16wrapped_functionI11custom_lessbEEEE10hipError_tPvRmT1_T2_T3_mmT4_T5_P12ihipStream_tbEUlRKfE_EESP_ST_SU_mSV_SY_bEUlT_E_NS1_11comp_targetILNS1_3genE5ELNS1_11target_archE942ELNS1_3gpuE9ELNS1_3repE0EEENS1_30default_config_static_selectorELNS0_4arch9wavefront6targetE1EEEvSS_.numbered_sgpr, 0
	.set _ZN7rocprim17ROCPRIM_400000_NS6detail17trampoline_kernelINS0_14default_configENS1_27lower_bound_config_selectorIflEEZNS1_14transform_implILb0ES3_S5_N6thrust23THRUST_200600_302600_NS6detail15normal_iteratorINS8_7pointerIfNS8_11hip_rocprim5par_tENS8_11use_defaultESE_EEEENSA_INSB_IlSD_SE_SE_EEEEZNS1_13binary_searchIS3_S5_PfSG_SI_NS1_21lower_bound_search_opENS9_16wrapped_functionI11custom_lessbEEEE10hipError_tPvRmT1_T2_T3_mmT4_T5_P12ihipStream_tbEUlRKfE_EESP_ST_SU_mSV_SY_bEUlT_E_NS1_11comp_targetILNS1_3genE5ELNS1_11target_archE942ELNS1_3gpuE9ELNS1_3repE0EEENS1_30default_config_static_selectorELNS0_4arch9wavefront6targetE1EEEvSS_.num_named_barrier, 0
	.set _ZN7rocprim17ROCPRIM_400000_NS6detail17trampoline_kernelINS0_14default_configENS1_27lower_bound_config_selectorIflEEZNS1_14transform_implILb0ES3_S5_N6thrust23THRUST_200600_302600_NS6detail15normal_iteratorINS8_7pointerIfNS8_11hip_rocprim5par_tENS8_11use_defaultESE_EEEENSA_INSB_IlSD_SE_SE_EEEEZNS1_13binary_searchIS3_S5_PfSG_SI_NS1_21lower_bound_search_opENS9_16wrapped_functionI11custom_lessbEEEE10hipError_tPvRmT1_T2_T3_mmT4_T5_P12ihipStream_tbEUlRKfE_EESP_ST_SU_mSV_SY_bEUlT_E_NS1_11comp_targetILNS1_3genE5ELNS1_11target_archE942ELNS1_3gpuE9ELNS1_3repE0EEENS1_30default_config_static_selectorELNS0_4arch9wavefront6targetE1EEEvSS_.private_seg_size, 0
	.set _ZN7rocprim17ROCPRIM_400000_NS6detail17trampoline_kernelINS0_14default_configENS1_27lower_bound_config_selectorIflEEZNS1_14transform_implILb0ES3_S5_N6thrust23THRUST_200600_302600_NS6detail15normal_iteratorINS8_7pointerIfNS8_11hip_rocprim5par_tENS8_11use_defaultESE_EEEENSA_INSB_IlSD_SE_SE_EEEEZNS1_13binary_searchIS3_S5_PfSG_SI_NS1_21lower_bound_search_opENS9_16wrapped_functionI11custom_lessbEEEE10hipError_tPvRmT1_T2_T3_mmT4_T5_P12ihipStream_tbEUlRKfE_EESP_ST_SU_mSV_SY_bEUlT_E_NS1_11comp_targetILNS1_3genE5ELNS1_11target_archE942ELNS1_3gpuE9ELNS1_3repE0EEENS1_30default_config_static_selectorELNS0_4arch9wavefront6targetE1EEEvSS_.uses_vcc, 0
	.set _ZN7rocprim17ROCPRIM_400000_NS6detail17trampoline_kernelINS0_14default_configENS1_27lower_bound_config_selectorIflEEZNS1_14transform_implILb0ES3_S5_N6thrust23THRUST_200600_302600_NS6detail15normal_iteratorINS8_7pointerIfNS8_11hip_rocprim5par_tENS8_11use_defaultESE_EEEENSA_INSB_IlSD_SE_SE_EEEEZNS1_13binary_searchIS3_S5_PfSG_SI_NS1_21lower_bound_search_opENS9_16wrapped_functionI11custom_lessbEEEE10hipError_tPvRmT1_T2_T3_mmT4_T5_P12ihipStream_tbEUlRKfE_EESP_ST_SU_mSV_SY_bEUlT_E_NS1_11comp_targetILNS1_3genE5ELNS1_11target_archE942ELNS1_3gpuE9ELNS1_3repE0EEENS1_30default_config_static_selectorELNS0_4arch9wavefront6targetE1EEEvSS_.uses_flat_scratch, 0
	.set _ZN7rocprim17ROCPRIM_400000_NS6detail17trampoline_kernelINS0_14default_configENS1_27lower_bound_config_selectorIflEEZNS1_14transform_implILb0ES3_S5_N6thrust23THRUST_200600_302600_NS6detail15normal_iteratorINS8_7pointerIfNS8_11hip_rocprim5par_tENS8_11use_defaultESE_EEEENSA_INSB_IlSD_SE_SE_EEEEZNS1_13binary_searchIS3_S5_PfSG_SI_NS1_21lower_bound_search_opENS9_16wrapped_functionI11custom_lessbEEEE10hipError_tPvRmT1_T2_T3_mmT4_T5_P12ihipStream_tbEUlRKfE_EESP_ST_SU_mSV_SY_bEUlT_E_NS1_11comp_targetILNS1_3genE5ELNS1_11target_archE942ELNS1_3gpuE9ELNS1_3repE0EEENS1_30default_config_static_selectorELNS0_4arch9wavefront6targetE1EEEvSS_.has_dyn_sized_stack, 0
	.set _ZN7rocprim17ROCPRIM_400000_NS6detail17trampoline_kernelINS0_14default_configENS1_27lower_bound_config_selectorIflEEZNS1_14transform_implILb0ES3_S5_N6thrust23THRUST_200600_302600_NS6detail15normal_iteratorINS8_7pointerIfNS8_11hip_rocprim5par_tENS8_11use_defaultESE_EEEENSA_INSB_IlSD_SE_SE_EEEEZNS1_13binary_searchIS3_S5_PfSG_SI_NS1_21lower_bound_search_opENS9_16wrapped_functionI11custom_lessbEEEE10hipError_tPvRmT1_T2_T3_mmT4_T5_P12ihipStream_tbEUlRKfE_EESP_ST_SU_mSV_SY_bEUlT_E_NS1_11comp_targetILNS1_3genE5ELNS1_11target_archE942ELNS1_3gpuE9ELNS1_3repE0EEENS1_30default_config_static_selectorELNS0_4arch9wavefront6targetE1EEEvSS_.has_recursion, 0
	.set _ZN7rocprim17ROCPRIM_400000_NS6detail17trampoline_kernelINS0_14default_configENS1_27lower_bound_config_selectorIflEEZNS1_14transform_implILb0ES3_S5_N6thrust23THRUST_200600_302600_NS6detail15normal_iteratorINS8_7pointerIfNS8_11hip_rocprim5par_tENS8_11use_defaultESE_EEEENSA_INSB_IlSD_SE_SE_EEEEZNS1_13binary_searchIS3_S5_PfSG_SI_NS1_21lower_bound_search_opENS9_16wrapped_functionI11custom_lessbEEEE10hipError_tPvRmT1_T2_T3_mmT4_T5_P12ihipStream_tbEUlRKfE_EESP_ST_SU_mSV_SY_bEUlT_E_NS1_11comp_targetILNS1_3genE5ELNS1_11target_archE942ELNS1_3gpuE9ELNS1_3repE0EEENS1_30default_config_static_selectorELNS0_4arch9wavefront6targetE1EEEvSS_.has_indirect_call, 0
	.section	.AMDGPU.csdata,"",@progbits
; Kernel info:
; codeLenInByte = 0
; TotalNumSgprs: 4
; NumVgprs: 0
; ScratchSize: 0
; MemoryBound: 0
; FloatMode: 240
; IeeeMode: 1
; LDSByteSize: 0 bytes/workgroup (compile time only)
; SGPRBlocks: 0
; VGPRBlocks: 0
; NumSGPRsForWavesPerEU: 4
; NumVGPRsForWavesPerEU: 1
; Occupancy: 10
; WaveLimiterHint : 0
; COMPUTE_PGM_RSRC2:SCRATCH_EN: 0
; COMPUTE_PGM_RSRC2:USER_SGPR: 6
; COMPUTE_PGM_RSRC2:TRAP_HANDLER: 0
; COMPUTE_PGM_RSRC2:TGID_X_EN: 1
; COMPUTE_PGM_RSRC2:TGID_Y_EN: 0
; COMPUTE_PGM_RSRC2:TGID_Z_EN: 0
; COMPUTE_PGM_RSRC2:TIDIG_COMP_CNT: 0
	.section	.text._ZN7rocprim17ROCPRIM_400000_NS6detail17trampoline_kernelINS0_14default_configENS1_27lower_bound_config_selectorIflEEZNS1_14transform_implILb0ES3_S5_N6thrust23THRUST_200600_302600_NS6detail15normal_iteratorINS8_7pointerIfNS8_11hip_rocprim5par_tENS8_11use_defaultESE_EEEENSA_INSB_IlSD_SE_SE_EEEEZNS1_13binary_searchIS3_S5_PfSG_SI_NS1_21lower_bound_search_opENS9_16wrapped_functionI11custom_lessbEEEE10hipError_tPvRmT1_T2_T3_mmT4_T5_P12ihipStream_tbEUlRKfE_EESP_ST_SU_mSV_SY_bEUlT_E_NS1_11comp_targetILNS1_3genE4ELNS1_11target_archE910ELNS1_3gpuE8ELNS1_3repE0EEENS1_30default_config_static_selectorELNS0_4arch9wavefront6targetE1EEEvSS_,"axG",@progbits,_ZN7rocprim17ROCPRIM_400000_NS6detail17trampoline_kernelINS0_14default_configENS1_27lower_bound_config_selectorIflEEZNS1_14transform_implILb0ES3_S5_N6thrust23THRUST_200600_302600_NS6detail15normal_iteratorINS8_7pointerIfNS8_11hip_rocprim5par_tENS8_11use_defaultESE_EEEENSA_INSB_IlSD_SE_SE_EEEEZNS1_13binary_searchIS3_S5_PfSG_SI_NS1_21lower_bound_search_opENS9_16wrapped_functionI11custom_lessbEEEE10hipError_tPvRmT1_T2_T3_mmT4_T5_P12ihipStream_tbEUlRKfE_EESP_ST_SU_mSV_SY_bEUlT_E_NS1_11comp_targetILNS1_3genE4ELNS1_11target_archE910ELNS1_3gpuE8ELNS1_3repE0EEENS1_30default_config_static_selectorELNS0_4arch9wavefront6targetE1EEEvSS_,comdat
	.protected	_ZN7rocprim17ROCPRIM_400000_NS6detail17trampoline_kernelINS0_14default_configENS1_27lower_bound_config_selectorIflEEZNS1_14transform_implILb0ES3_S5_N6thrust23THRUST_200600_302600_NS6detail15normal_iteratorINS8_7pointerIfNS8_11hip_rocprim5par_tENS8_11use_defaultESE_EEEENSA_INSB_IlSD_SE_SE_EEEEZNS1_13binary_searchIS3_S5_PfSG_SI_NS1_21lower_bound_search_opENS9_16wrapped_functionI11custom_lessbEEEE10hipError_tPvRmT1_T2_T3_mmT4_T5_P12ihipStream_tbEUlRKfE_EESP_ST_SU_mSV_SY_bEUlT_E_NS1_11comp_targetILNS1_3genE4ELNS1_11target_archE910ELNS1_3gpuE8ELNS1_3repE0EEENS1_30default_config_static_selectorELNS0_4arch9wavefront6targetE1EEEvSS_ ; -- Begin function _ZN7rocprim17ROCPRIM_400000_NS6detail17trampoline_kernelINS0_14default_configENS1_27lower_bound_config_selectorIflEEZNS1_14transform_implILb0ES3_S5_N6thrust23THRUST_200600_302600_NS6detail15normal_iteratorINS8_7pointerIfNS8_11hip_rocprim5par_tENS8_11use_defaultESE_EEEENSA_INSB_IlSD_SE_SE_EEEEZNS1_13binary_searchIS3_S5_PfSG_SI_NS1_21lower_bound_search_opENS9_16wrapped_functionI11custom_lessbEEEE10hipError_tPvRmT1_T2_T3_mmT4_T5_P12ihipStream_tbEUlRKfE_EESP_ST_SU_mSV_SY_bEUlT_E_NS1_11comp_targetILNS1_3genE4ELNS1_11target_archE910ELNS1_3gpuE8ELNS1_3repE0EEENS1_30default_config_static_selectorELNS0_4arch9wavefront6targetE1EEEvSS_
	.globl	_ZN7rocprim17ROCPRIM_400000_NS6detail17trampoline_kernelINS0_14default_configENS1_27lower_bound_config_selectorIflEEZNS1_14transform_implILb0ES3_S5_N6thrust23THRUST_200600_302600_NS6detail15normal_iteratorINS8_7pointerIfNS8_11hip_rocprim5par_tENS8_11use_defaultESE_EEEENSA_INSB_IlSD_SE_SE_EEEEZNS1_13binary_searchIS3_S5_PfSG_SI_NS1_21lower_bound_search_opENS9_16wrapped_functionI11custom_lessbEEEE10hipError_tPvRmT1_T2_T3_mmT4_T5_P12ihipStream_tbEUlRKfE_EESP_ST_SU_mSV_SY_bEUlT_E_NS1_11comp_targetILNS1_3genE4ELNS1_11target_archE910ELNS1_3gpuE8ELNS1_3repE0EEENS1_30default_config_static_selectorELNS0_4arch9wavefront6targetE1EEEvSS_
	.p2align	8
	.type	_ZN7rocprim17ROCPRIM_400000_NS6detail17trampoline_kernelINS0_14default_configENS1_27lower_bound_config_selectorIflEEZNS1_14transform_implILb0ES3_S5_N6thrust23THRUST_200600_302600_NS6detail15normal_iteratorINS8_7pointerIfNS8_11hip_rocprim5par_tENS8_11use_defaultESE_EEEENSA_INSB_IlSD_SE_SE_EEEEZNS1_13binary_searchIS3_S5_PfSG_SI_NS1_21lower_bound_search_opENS9_16wrapped_functionI11custom_lessbEEEE10hipError_tPvRmT1_T2_T3_mmT4_T5_P12ihipStream_tbEUlRKfE_EESP_ST_SU_mSV_SY_bEUlT_E_NS1_11comp_targetILNS1_3genE4ELNS1_11target_archE910ELNS1_3gpuE8ELNS1_3repE0EEENS1_30default_config_static_selectorELNS0_4arch9wavefront6targetE1EEEvSS_,@function
_ZN7rocprim17ROCPRIM_400000_NS6detail17trampoline_kernelINS0_14default_configENS1_27lower_bound_config_selectorIflEEZNS1_14transform_implILb0ES3_S5_N6thrust23THRUST_200600_302600_NS6detail15normal_iteratorINS8_7pointerIfNS8_11hip_rocprim5par_tENS8_11use_defaultESE_EEEENSA_INSB_IlSD_SE_SE_EEEEZNS1_13binary_searchIS3_S5_PfSG_SI_NS1_21lower_bound_search_opENS9_16wrapped_functionI11custom_lessbEEEE10hipError_tPvRmT1_T2_T3_mmT4_T5_P12ihipStream_tbEUlRKfE_EESP_ST_SU_mSV_SY_bEUlT_E_NS1_11comp_targetILNS1_3genE4ELNS1_11target_archE910ELNS1_3gpuE8ELNS1_3repE0EEENS1_30default_config_static_selectorELNS0_4arch9wavefront6targetE1EEEvSS_: ; @_ZN7rocprim17ROCPRIM_400000_NS6detail17trampoline_kernelINS0_14default_configENS1_27lower_bound_config_selectorIflEEZNS1_14transform_implILb0ES3_S5_N6thrust23THRUST_200600_302600_NS6detail15normal_iteratorINS8_7pointerIfNS8_11hip_rocprim5par_tENS8_11use_defaultESE_EEEENSA_INSB_IlSD_SE_SE_EEEEZNS1_13binary_searchIS3_S5_PfSG_SI_NS1_21lower_bound_search_opENS9_16wrapped_functionI11custom_lessbEEEE10hipError_tPvRmT1_T2_T3_mmT4_T5_P12ihipStream_tbEUlRKfE_EESP_ST_SU_mSV_SY_bEUlT_E_NS1_11comp_targetILNS1_3genE4ELNS1_11target_archE910ELNS1_3gpuE8ELNS1_3repE0EEENS1_30default_config_static_selectorELNS0_4arch9wavefront6targetE1EEEvSS_
; %bb.0:
	.section	.rodata,"a",@progbits
	.p2align	6, 0x0
	.amdhsa_kernel _ZN7rocprim17ROCPRIM_400000_NS6detail17trampoline_kernelINS0_14default_configENS1_27lower_bound_config_selectorIflEEZNS1_14transform_implILb0ES3_S5_N6thrust23THRUST_200600_302600_NS6detail15normal_iteratorINS8_7pointerIfNS8_11hip_rocprim5par_tENS8_11use_defaultESE_EEEENSA_INSB_IlSD_SE_SE_EEEEZNS1_13binary_searchIS3_S5_PfSG_SI_NS1_21lower_bound_search_opENS9_16wrapped_functionI11custom_lessbEEEE10hipError_tPvRmT1_T2_T3_mmT4_T5_P12ihipStream_tbEUlRKfE_EESP_ST_SU_mSV_SY_bEUlT_E_NS1_11comp_targetILNS1_3genE4ELNS1_11target_archE910ELNS1_3gpuE8ELNS1_3repE0EEENS1_30default_config_static_selectorELNS0_4arch9wavefront6targetE1EEEvSS_
		.amdhsa_group_segment_fixed_size 0
		.amdhsa_private_segment_fixed_size 0
		.amdhsa_kernarg_size 56
		.amdhsa_user_sgpr_count 6
		.amdhsa_user_sgpr_private_segment_buffer 1
		.amdhsa_user_sgpr_dispatch_ptr 0
		.amdhsa_user_sgpr_queue_ptr 0
		.amdhsa_user_sgpr_kernarg_segment_ptr 1
		.amdhsa_user_sgpr_dispatch_id 0
		.amdhsa_user_sgpr_flat_scratch_init 0
		.amdhsa_user_sgpr_private_segment_size 0
		.amdhsa_uses_dynamic_stack 0
		.amdhsa_system_sgpr_private_segment_wavefront_offset 0
		.amdhsa_system_sgpr_workgroup_id_x 1
		.amdhsa_system_sgpr_workgroup_id_y 0
		.amdhsa_system_sgpr_workgroup_id_z 0
		.amdhsa_system_sgpr_workgroup_info 0
		.amdhsa_system_vgpr_workitem_id 0
		.amdhsa_next_free_vgpr 1
		.amdhsa_next_free_sgpr 0
		.amdhsa_reserve_vcc 0
		.amdhsa_reserve_flat_scratch 0
		.amdhsa_float_round_mode_32 0
		.amdhsa_float_round_mode_16_64 0
		.amdhsa_float_denorm_mode_32 3
		.amdhsa_float_denorm_mode_16_64 3
		.amdhsa_dx10_clamp 1
		.amdhsa_ieee_mode 1
		.amdhsa_fp16_overflow 0
		.amdhsa_exception_fp_ieee_invalid_op 0
		.amdhsa_exception_fp_denorm_src 0
		.amdhsa_exception_fp_ieee_div_zero 0
		.amdhsa_exception_fp_ieee_overflow 0
		.amdhsa_exception_fp_ieee_underflow 0
		.amdhsa_exception_fp_ieee_inexact 0
		.amdhsa_exception_int_div_zero 0
	.end_amdhsa_kernel
	.section	.text._ZN7rocprim17ROCPRIM_400000_NS6detail17trampoline_kernelINS0_14default_configENS1_27lower_bound_config_selectorIflEEZNS1_14transform_implILb0ES3_S5_N6thrust23THRUST_200600_302600_NS6detail15normal_iteratorINS8_7pointerIfNS8_11hip_rocprim5par_tENS8_11use_defaultESE_EEEENSA_INSB_IlSD_SE_SE_EEEEZNS1_13binary_searchIS3_S5_PfSG_SI_NS1_21lower_bound_search_opENS9_16wrapped_functionI11custom_lessbEEEE10hipError_tPvRmT1_T2_T3_mmT4_T5_P12ihipStream_tbEUlRKfE_EESP_ST_SU_mSV_SY_bEUlT_E_NS1_11comp_targetILNS1_3genE4ELNS1_11target_archE910ELNS1_3gpuE8ELNS1_3repE0EEENS1_30default_config_static_selectorELNS0_4arch9wavefront6targetE1EEEvSS_,"axG",@progbits,_ZN7rocprim17ROCPRIM_400000_NS6detail17trampoline_kernelINS0_14default_configENS1_27lower_bound_config_selectorIflEEZNS1_14transform_implILb0ES3_S5_N6thrust23THRUST_200600_302600_NS6detail15normal_iteratorINS8_7pointerIfNS8_11hip_rocprim5par_tENS8_11use_defaultESE_EEEENSA_INSB_IlSD_SE_SE_EEEEZNS1_13binary_searchIS3_S5_PfSG_SI_NS1_21lower_bound_search_opENS9_16wrapped_functionI11custom_lessbEEEE10hipError_tPvRmT1_T2_T3_mmT4_T5_P12ihipStream_tbEUlRKfE_EESP_ST_SU_mSV_SY_bEUlT_E_NS1_11comp_targetILNS1_3genE4ELNS1_11target_archE910ELNS1_3gpuE8ELNS1_3repE0EEENS1_30default_config_static_selectorELNS0_4arch9wavefront6targetE1EEEvSS_,comdat
.Lfunc_end26:
	.size	_ZN7rocprim17ROCPRIM_400000_NS6detail17trampoline_kernelINS0_14default_configENS1_27lower_bound_config_selectorIflEEZNS1_14transform_implILb0ES3_S5_N6thrust23THRUST_200600_302600_NS6detail15normal_iteratorINS8_7pointerIfNS8_11hip_rocprim5par_tENS8_11use_defaultESE_EEEENSA_INSB_IlSD_SE_SE_EEEEZNS1_13binary_searchIS3_S5_PfSG_SI_NS1_21lower_bound_search_opENS9_16wrapped_functionI11custom_lessbEEEE10hipError_tPvRmT1_T2_T3_mmT4_T5_P12ihipStream_tbEUlRKfE_EESP_ST_SU_mSV_SY_bEUlT_E_NS1_11comp_targetILNS1_3genE4ELNS1_11target_archE910ELNS1_3gpuE8ELNS1_3repE0EEENS1_30default_config_static_selectorELNS0_4arch9wavefront6targetE1EEEvSS_, .Lfunc_end26-_ZN7rocprim17ROCPRIM_400000_NS6detail17trampoline_kernelINS0_14default_configENS1_27lower_bound_config_selectorIflEEZNS1_14transform_implILb0ES3_S5_N6thrust23THRUST_200600_302600_NS6detail15normal_iteratorINS8_7pointerIfNS8_11hip_rocprim5par_tENS8_11use_defaultESE_EEEENSA_INSB_IlSD_SE_SE_EEEEZNS1_13binary_searchIS3_S5_PfSG_SI_NS1_21lower_bound_search_opENS9_16wrapped_functionI11custom_lessbEEEE10hipError_tPvRmT1_T2_T3_mmT4_T5_P12ihipStream_tbEUlRKfE_EESP_ST_SU_mSV_SY_bEUlT_E_NS1_11comp_targetILNS1_3genE4ELNS1_11target_archE910ELNS1_3gpuE8ELNS1_3repE0EEENS1_30default_config_static_selectorELNS0_4arch9wavefront6targetE1EEEvSS_
                                        ; -- End function
	.set _ZN7rocprim17ROCPRIM_400000_NS6detail17trampoline_kernelINS0_14default_configENS1_27lower_bound_config_selectorIflEEZNS1_14transform_implILb0ES3_S5_N6thrust23THRUST_200600_302600_NS6detail15normal_iteratorINS8_7pointerIfNS8_11hip_rocprim5par_tENS8_11use_defaultESE_EEEENSA_INSB_IlSD_SE_SE_EEEEZNS1_13binary_searchIS3_S5_PfSG_SI_NS1_21lower_bound_search_opENS9_16wrapped_functionI11custom_lessbEEEE10hipError_tPvRmT1_T2_T3_mmT4_T5_P12ihipStream_tbEUlRKfE_EESP_ST_SU_mSV_SY_bEUlT_E_NS1_11comp_targetILNS1_3genE4ELNS1_11target_archE910ELNS1_3gpuE8ELNS1_3repE0EEENS1_30default_config_static_selectorELNS0_4arch9wavefront6targetE1EEEvSS_.num_vgpr, 0
	.set _ZN7rocprim17ROCPRIM_400000_NS6detail17trampoline_kernelINS0_14default_configENS1_27lower_bound_config_selectorIflEEZNS1_14transform_implILb0ES3_S5_N6thrust23THRUST_200600_302600_NS6detail15normal_iteratorINS8_7pointerIfNS8_11hip_rocprim5par_tENS8_11use_defaultESE_EEEENSA_INSB_IlSD_SE_SE_EEEEZNS1_13binary_searchIS3_S5_PfSG_SI_NS1_21lower_bound_search_opENS9_16wrapped_functionI11custom_lessbEEEE10hipError_tPvRmT1_T2_T3_mmT4_T5_P12ihipStream_tbEUlRKfE_EESP_ST_SU_mSV_SY_bEUlT_E_NS1_11comp_targetILNS1_3genE4ELNS1_11target_archE910ELNS1_3gpuE8ELNS1_3repE0EEENS1_30default_config_static_selectorELNS0_4arch9wavefront6targetE1EEEvSS_.num_agpr, 0
	.set _ZN7rocprim17ROCPRIM_400000_NS6detail17trampoline_kernelINS0_14default_configENS1_27lower_bound_config_selectorIflEEZNS1_14transform_implILb0ES3_S5_N6thrust23THRUST_200600_302600_NS6detail15normal_iteratorINS8_7pointerIfNS8_11hip_rocprim5par_tENS8_11use_defaultESE_EEEENSA_INSB_IlSD_SE_SE_EEEEZNS1_13binary_searchIS3_S5_PfSG_SI_NS1_21lower_bound_search_opENS9_16wrapped_functionI11custom_lessbEEEE10hipError_tPvRmT1_T2_T3_mmT4_T5_P12ihipStream_tbEUlRKfE_EESP_ST_SU_mSV_SY_bEUlT_E_NS1_11comp_targetILNS1_3genE4ELNS1_11target_archE910ELNS1_3gpuE8ELNS1_3repE0EEENS1_30default_config_static_selectorELNS0_4arch9wavefront6targetE1EEEvSS_.numbered_sgpr, 0
	.set _ZN7rocprim17ROCPRIM_400000_NS6detail17trampoline_kernelINS0_14default_configENS1_27lower_bound_config_selectorIflEEZNS1_14transform_implILb0ES3_S5_N6thrust23THRUST_200600_302600_NS6detail15normal_iteratorINS8_7pointerIfNS8_11hip_rocprim5par_tENS8_11use_defaultESE_EEEENSA_INSB_IlSD_SE_SE_EEEEZNS1_13binary_searchIS3_S5_PfSG_SI_NS1_21lower_bound_search_opENS9_16wrapped_functionI11custom_lessbEEEE10hipError_tPvRmT1_T2_T3_mmT4_T5_P12ihipStream_tbEUlRKfE_EESP_ST_SU_mSV_SY_bEUlT_E_NS1_11comp_targetILNS1_3genE4ELNS1_11target_archE910ELNS1_3gpuE8ELNS1_3repE0EEENS1_30default_config_static_selectorELNS0_4arch9wavefront6targetE1EEEvSS_.num_named_barrier, 0
	.set _ZN7rocprim17ROCPRIM_400000_NS6detail17trampoline_kernelINS0_14default_configENS1_27lower_bound_config_selectorIflEEZNS1_14transform_implILb0ES3_S5_N6thrust23THRUST_200600_302600_NS6detail15normal_iteratorINS8_7pointerIfNS8_11hip_rocprim5par_tENS8_11use_defaultESE_EEEENSA_INSB_IlSD_SE_SE_EEEEZNS1_13binary_searchIS3_S5_PfSG_SI_NS1_21lower_bound_search_opENS9_16wrapped_functionI11custom_lessbEEEE10hipError_tPvRmT1_T2_T3_mmT4_T5_P12ihipStream_tbEUlRKfE_EESP_ST_SU_mSV_SY_bEUlT_E_NS1_11comp_targetILNS1_3genE4ELNS1_11target_archE910ELNS1_3gpuE8ELNS1_3repE0EEENS1_30default_config_static_selectorELNS0_4arch9wavefront6targetE1EEEvSS_.private_seg_size, 0
	.set _ZN7rocprim17ROCPRIM_400000_NS6detail17trampoline_kernelINS0_14default_configENS1_27lower_bound_config_selectorIflEEZNS1_14transform_implILb0ES3_S5_N6thrust23THRUST_200600_302600_NS6detail15normal_iteratorINS8_7pointerIfNS8_11hip_rocprim5par_tENS8_11use_defaultESE_EEEENSA_INSB_IlSD_SE_SE_EEEEZNS1_13binary_searchIS3_S5_PfSG_SI_NS1_21lower_bound_search_opENS9_16wrapped_functionI11custom_lessbEEEE10hipError_tPvRmT1_T2_T3_mmT4_T5_P12ihipStream_tbEUlRKfE_EESP_ST_SU_mSV_SY_bEUlT_E_NS1_11comp_targetILNS1_3genE4ELNS1_11target_archE910ELNS1_3gpuE8ELNS1_3repE0EEENS1_30default_config_static_selectorELNS0_4arch9wavefront6targetE1EEEvSS_.uses_vcc, 0
	.set _ZN7rocprim17ROCPRIM_400000_NS6detail17trampoline_kernelINS0_14default_configENS1_27lower_bound_config_selectorIflEEZNS1_14transform_implILb0ES3_S5_N6thrust23THRUST_200600_302600_NS6detail15normal_iteratorINS8_7pointerIfNS8_11hip_rocprim5par_tENS8_11use_defaultESE_EEEENSA_INSB_IlSD_SE_SE_EEEEZNS1_13binary_searchIS3_S5_PfSG_SI_NS1_21lower_bound_search_opENS9_16wrapped_functionI11custom_lessbEEEE10hipError_tPvRmT1_T2_T3_mmT4_T5_P12ihipStream_tbEUlRKfE_EESP_ST_SU_mSV_SY_bEUlT_E_NS1_11comp_targetILNS1_3genE4ELNS1_11target_archE910ELNS1_3gpuE8ELNS1_3repE0EEENS1_30default_config_static_selectorELNS0_4arch9wavefront6targetE1EEEvSS_.uses_flat_scratch, 0
	.set _ZN7rocprim17ROCPRIM_400000_NS6detail17trampoline_kernelINS0_14default_configENS1_27lower_bound_config_selectorIflEEZNS1_14transform_implILb0ES3_S5_N6thrust23THRUST_200600_302600_NS6detail15normal_iteratorINS8_7pointerIfNS8_11hip_rocprim5par_tENS8_11use_defaultESE_EEEENSA_INSB_IlSD_SE_SE_EEEEZNS1_13binary_searchIS3_S5_PfSG_SI_NS1_21lower_bound_search_opENS9_16wrapped_functionI11custom_lessbEEEE10hipError_tPvRmT1_T2_T3_mmT4_T5_P12ihipStream_tbEUlRKfE_EESP_ST_SU_mSV_SY_bEUlT_E_NS1_11comp_targetILNS1_3genE4ELNS1_11target_archE910ELNS1_3gpuE8ELNS1_3repE0EEENS1_30default_config_static_selectorELNS0_4arch9wavefront6targetE1EEEvSS_.has_dyn_sized_stack, 0
	.set _ZN7rocprim17ROCPRIM_400000_NS6detail17trampoline_kernelINS0_14default_configENS1_27lower_bound_config_selectorIflEEZNS1_14transform_implILb0ES3_S5_N6thrust23THRUST_200600_302600_NS6detail15normal_iteratorINS8_7pointerIfNS8_11hip_rocprim5par_tENS8_11use_defaultESE_EEEENSA_INSB_IlSD_SE_SE_EEEEZNS1_13binary_searchIS3_S5_PfSG_SI_NS1_21lower_bound_search_opENS9_16wrapped_functionI11custom_lessbEEEE10hipError_tPvRmT1_T2_T3_mmT4_T5_P12ihipStream_tbEUlRKfE_EESP_ST_SU_mSV_SY_bEUlT_E_NS1_11comp_targetILNS1_3genE4ELNS1_11target_archE910ELNS1_3gpuE8ELNS1_3repE0EEENS1_30default_config_static_selectorELNS0_4arch9wavefront6targetE1EEEvSS_.has_recursion, 0
	.set _ZN7rocprim17ROCPRIM_400000_NS6detail17trampoline_kernelINS0_14default_configENS1_27lower_bound_config_selectorIflEEZNS1_14transform_implILb0ES3_S5_N6thrust23THRUST_200600_302600_NS6detail15normal_iteratorINS8_7pointerIfNS8_11hip_rocprim5par_tENS8_11use_defaultESE_EEEENSA_INSB_IlSD_SE_SE_EEEEZNS1_13binary_searchIS3_S5_PfSG_SI_NS1_21lower_bound_search_opENS9_16wrapped_functionI11custom_lessbEEEE10hipError_tPvRmT1_T2_T3_mmT4_T5_P12ihipStream_tbEUlRKfE_EESP_ST_SU_mSV_SY_bEUlT_E_NS1_11comp_targetILNS1_3genE4ELNS1_11target_archE910ELNS1_3gpuE8ELNS1_3repE0EEENS1_30default_config_static_selectorELNS0_4arch9wavefront6targetE1EEEvSS_.has_indirect_call, 0
	.section	.AMDGPU.csdata,"",@progbits
; Kernel info:
; codeLenInByte = 0
; TotalNumSgprs: 4
; NumVgprs: 0
; ScratchSize: 0
; MemoryBound: 0
; FloatMode: 240
; IeeeMode: 1
; LDSByteSize: 0 bytes/workgroup (compile time only)
; SGPRBlocks: 0
; VGPRBlocks: 0
; NumSGPRsForWavesPerEU: 4
; NumVGPRsForWavesPerEU: 1
; Occupancy: 10
; WaveLimiterHint : 0
; COMPUTE_PGM_RSRC2:SCRATCH_EN: 0
; COMPUTE_PGM_RSRC2:USER_SGPR: 6
; COMPUTE_PGM_RSRC2:TRAP_HANDLER: 0
; COMPUTE_PGM_RSRC2:TGID_X_EN: 1
; COMPUTE_PGM_RSRC2:TGID_Y_EN: 0
; COMPUTE_PGM_RSRC2:TGID_Z_EN: 0
; COMPUTE_PGM_RSRC2:TIDIG_COMP_CNT: 0
	.section	.text._ZN7rocprim17ROCPRIM_400000_NS6detail17trampoline_kernelINS0_14default_configENS1_27lower_bound_config_selectorIflEEZNS1_14transform_implILb0ES3_S5_N6thrust23THRUST_200600_302600_NS6detail15normal_iteratorINS8_7pointerIfNS8_11hip_rocprim5par_tENS8_11use_defaultESE_EEEENSA_INSB_IlSD_SE_SE_EEEEZNS1_13binary_searchIS3_S5_PfSG_SI_NS1_21lower_bound_search_opENS9_16wrapped_functionI11custom_lessbEEEE10hipError_tPvRmT1_T2_T3_mmT4_T5_P12ihipStream_tbEUlRKfE_EESP_ST_SU_mSV_SY_bEUlT_E_NS1_11comp_targetILNS1_3genE3ELNS1_11target_archE908ELNS1_3gpuE7ELNS1_3repE0EEENS1_30default_config_static_selectorELNS0_4arch9wavefront6targetE1EEEvSS_,"axG",@progbits,_ZN7rocprim17ROCPRIM_400000_NS6detail17trampoline_kernelINS0_14default_configENS1_27lower_bound_config_selectorIflEEZNS1_14transform_implILb0ES3_S5_N6thrust23THRUST_200600_302600_NS6detail15normal_iteratorINS8_7pointerIfNS8_11hip_rocprim5par_tENS8_11use_defaultESE_EEEENSA_INSB_IlSD_SE_SE_EEEEZNS1_13binary_searchIS3_S5_PfSG_SI_NS1_21lower_bound_search_opENS9_16wrapped_functionI11custom_lessbEEEE10hipError_tPvRmT1_T2_T3_mmT4_T5_P12ihipStream_tbEUlRKfE_EESP_ST_SU_mSV_SY_bEUlT_E_NS1_11comp_targetILNS1_3genE3ELNS1_11target_archE908ELNS1_3gpuE7ELNS1_3repE0EEENS1_30default_config_static_selectorELNS0_4arch9wavefront6targetE1EEEvSS_,comdat
	.protected	_ZN7rocprim17ROCPRIM_400000_NS6detail17trampoline_kernelINS0_14default_configENS1_27lower_bound_config_selectorIflEEZNS1_14transform_implILb0ES3_S5_N6thrust23THRUST_200600_302600_NS6detail15normal_iteratorINS8_7pointerIfNS8_11hip_rocprim5par_tENS8_11use_defaultESE_EEEENSA_INSB_IlSD_SE_SE_EEEEZNS1_13binary_searchIS3_S5_PfSG_SI_NS1_21lower_bound_search_opENS9_16wrapped_functionI11custom_lessbEEEE10hipError_tPvRmT1_T2_T3_mmT4_T5_P12ihipStream_tbEUlRKfE_EESP_ST_SU_mSV_SY_bEUlT_E_NS1_11comp_targetILNS1_3genE3ELNS1_11target_archE908ELNS1_3gpuE7ELNS1_3repE0EEENS1_30default_config_static_selectorELNS0_4arch9wavefront6targetE1EEEvSS_ ; -- Begin function _ZN7rocprim17ROCPRIM_400000_NS6detail17trampoline_kernelINS0_14default_configENS1_27lower_bound_config_selectorIflEEZNS1_14transform_implILb0ES3_S5_N6thrust23THRUST_200600_302600_NS6detail15normal_iteratorINS8_7pointerIfNS8_11hip_rocprim5par_tENS8_11use_defaultESE_EEEENSA_INSB_IlSD_SE_SE_EEEEZNS1_13binary_searchIS3_S5_PfSG_SI_NS1_21lower_bound_search_opENS9_16wrapped_functionI11custom_lessbEEEE10hipError_tPvRmT1_T2_T3_mmT4_T5_P12ihipStream_tbEUlRKfE_EESP_ST_SU_mSV_SY_bEUlT_E_NS1_11comp_targetILNS1_3genE3ELNS1_11target_archE908ELNS1_3gpuE7ELNS1_3repE0EEENS1_30default_config_static_selectorELNS0_4arch9wavefront6targetE1EEEvSS_
	.globl	_ZN7rocprim17ROCPRIM_400000_NS6detail17trampoline_kernelINS0_14default_configENS1_27lower_bound_config_selectorIflEEZNS1_14transform_implILb0ES3_S5_N6thrust23THRUST_200600_302600_NS6detail15normal_iteratorINS8_7pointerIfNS8_11hip_rocprim5par_tENS8_11use_defaultESE_EEEENSA_INSB_IlSD_SE_SE_EEEEZNS1_13binary_searchIS3_S5_PfSG_SI_NS1_21lower_bound_search_opENS9_16wrapped_functionI11custom_lessbEEEE10hipError_tPvRmT1_T2_T3_mmT4_T5_P12ihipStream_tbEUlRKfE_EESP_ST_SU_mSV_SY_bEUlT_E_NS1_11comp_targetILNS1_3genE3ELNS1_11target_archE908ELNS1_3gpuE7ELNS1_3repE0EEENS1_30default_config_static_selectorELNS0_4arch9wavefront6targetE1EEEvSS_
	.p2align	8
	.type	_ZN7rocprim17ROCPRIM_400000_NS6detail17trampoline_kernelINS0_14default_configENS1_27lower_bound_config_selectorIflEEZNS1_14transform_implILb0ES3_S5_N6thrust23THRUST_200600_302600_NS6detail15normal_iteratorINS8_7pointerIfNS8_11hip_rocprim5par_tENS8_11use_defaultESE_EEEENSA_INSB_IlSD_SE_SE_EEEEZNS1_13binary_searchIS3_S5_PfSG_SI_NS1_21lower_bound_search_opENS9_16wrapped_functionI11custom_lessbEEEE10hipError_tPvRmT1_T2_T3_mmT4_T5_P12ihipStream_tbEUlRKfE_EESP_ST_SU_mSV_SY_bEUlT_E_NS1_11comp_targetILNS1_3genE3ELNS1_11target_archE908ELNS1_3gpuE7ELNS1_3repE0EEENS1_30default_config_static_selectorELNS0_4arch9wavefront6targetE1EEEvSS_,@function
_ZN7rocprim17ROCPRIM_400000_NS6detail17trampoline_kernelINS0_14default_configENS1_27lower_bound_config_selectorIflEEZNS1_14transform_implILb0ES3_S5_N6thrust23THRUST_200600_302600_NS6detail15normal_iteratorINS8_7pointerIfNS8_11hip_rocprim5par_tENS8_11use_defaultESE_EEEENSA_INSB_IlSD_SE_SE_EEEEZNS1_13binary_searchIS3_S5_PfSG_SI_NS1_21lower_bound_search_opENS9_16wrapped_functionI11custom_lessbEEEE10hipError_tPvRmT1_T2_T3_mmT4_T5_P12ihipStream_tbEUlRKfE_EESP_ST_SU_mSV_SY_bEUlT_E_NS1_11comp_targetILNS1_3genE3ELNS1_11target_archE908ELNS1_3gpuE7ELNS1_3repE0EEENS1_30default_config_static_selectorELNS0_4arch9wavefront6targetE1EEEvSS_: ; @_ZN7rocprim17ROCPRIM_400000_NS6detail17trampoline_kernelINS0_14default_configENS1_27lower_bound_config_selectorIflEEZNS1_14transform_implILb0ES3_S5_N6thrust23THRUST_200600_302600_NS6detail15normal_iteratorINS8_7pointerIfNS8_11hip_rocprim5par_tENS8_11use_defaultESE_EEEENSA_INSB_IlSD_SE_SE_EEEEZNS1_13binary_searchIS3_S5_PfSG_SI_NS1_21lower_bound_search_opENS9_16wrapped_functionI11custom_lessbEEEE10hipError_tPvRmT1_T2_T3_mmT4_T5_P12ihipStream_tbEUlRKfE_EESP_ST_SU_mSV_SY_bEUlT_E_NS1_11comp_targetILNS1_3genE3ELNS1_11target_archE908ELNS1_3gpuE7ELNS1_3repE0EEENS1_30default_config_static_selectorELNS0_4arch9wavefront6targetE1EEEvSS_
; %bb.0:
	.section	.rodata,"a",@progbits
	.p2align	6, 0x0
	.amdhsa_kernel _ZN7rocprim17ROCPRIM_400000_NS6detail17trampoline_kernelINS0_14default_configENS1_27lower_bound_config_selectorIflEEZNS1_14transform_implILb0ES3_S5_N6thrust23THRUST_200600_302600_NS6detail15normal_iteratorINS8_7pointerIfNS8_11hip_rocprim5par_tENS8_11use_defaultESE_EEEENSA_INSB_IlSD_SE_SE_EEEEZNS1_13binary_searchIS3_S5_PfSG_SI_NS1_21lower_bound_search_opENS9_16wrapped_functionI11custom_lessbEEEE10hipError_tPvRmT1_T2_T3_mmT4_T5_P12ihipStream_tbEUlRKfE_EESP_ST_SU_mSV_SY_bEUlT_E_NS1_11comp_targetILNS1_3genE3ELNS1_11target_archE908ELNS1_3gpuE7ELNS1_3repE0EEENS1_30default_config_static_selectorELNS0_4arch9wavefront6targetE1EEEvSS_
		.amdhsa_group_segment_fixed_size 0
		.amdhsa_private_segment_fixed_size 0
		.amdhsa_kernarg_size 56
		.amdhsa_user_sgpr_count 6
		.amdhsa_user_sgpr_private_segment_buffer 1
		.amdhsa_user_sgpr_dispatch_ptr 0
		.amdhsa_user_sgpr_queue_ptr 0
		.amdhsa_user_sgpr_kernarg_segment_ptr 1
		.amdhsa_user_sgpr_dispatch_id 0
		.amdhsa_user_sgpr_flat_scratch_init 0
		.amdhsa_user_sgpr_private_segment_size 0
		.amdhsa_uses_dynamic_stack 0
		.amdhsa_system_sgpr_private_segment_wavefront_offset 0
		.amdhsa_system_sgpr_workgroup_id_x 1
		.amdhsa_system_sgpr_workgroup_id_y 0
		.amdhsa_system_sgpr_workgroup_id_z 0
		.amdhsa_system_sgpr_workgroup_info 0
		.amdhsa_system_vgpr_workitem_id 0
		.amdhsa_next_free_vgpr 1
		.amdhsa_next_free_sgpr 0
		.amdhsa_reserve_vcc 0
		.amdhsa_reserve_flat_scratch 0
		.amdhsa_float_round_mode_32 0
		.amdhsa_float_round_mode_16_64 0
		.amdhsa_float_denorm_mode_32 3
		.amdhsa_float_denorm_mode_16_64 3
		.amdhsa_dx10_clamp 1
		.amdhsa_ieee_mode 1
		.amdhsa_fp16_overflow 0
		.amdhsa_exception_fp_ieee_invalid_op 0
		.amdhsa_exception_fp_denorm_src 0
		.amdhsa_exception_fp_ieee_div_zero 0
		.amdhsa_exception_fp_ieee_overflow 0
		.amdhsa_exception_fp_ieee_underflow 0
		.amdhsa_exception_fp_ieee_inexact 0
		.amdhsa_exception_int_div_zero 0
	.end_amdhsa_kernel
	.section	.text._ZN7rocprim17ROCPRIM_400000_NS6detail17trampoline_kernelINS0_14default_configENS1_27lower_bound_config_selectorIflEEZNS1_14transform_implILb0ES3_S5_N6thrust23THRUST_200600_302600_NS6detail15normal_iteratorINS8_7pointerIfNS8_11hip_rocprim5par_tENS8_11use_defaultESE_EEEENSA_INSB_IlSD_SE_SE_EEEEZNS1_13binary_searchIS3_S5_PfSG_SI_NS1_21lower_bound_search_opENS9_16wrapped_functionI11custom_lessbEEEE10hipError_tPvRmT1_T2_T3_mmT4_T5_P12ihipStream_tbEUlRKfE_EESP_ST_SU_mSV_SY_bEUlT_E_NS1_11comp_targetILNS1_3genE3ELNS1_11target_archE908ELNS1_3gpuE7ELNS1_3repE0EEENS1_30default_config_static_selectorELNS0_4arch9wavefront6targetE1EEEvSS_,"axG",@progbits,_ZN7rocprim17ROCPRIM_400000_NS6detail17trampoline_kernelINS0_14default_configENS1_27lower_bound_config_selectorIflEEZNS1_14transform_implILb0ES3_S5_N6thrust23THRUST_200600_302600_NS6detail15normal_iteratorINS8_7pointerIfNS8_11hip_rocprim5par_tENS8_11use_defaultESE_EEEENSA_INSB_IlSD_SE_SE_EEEEZNS1_13binary_searchIS3_S5_PfSG_SI_NS1_21lower_bound_search_opENS9_16wrapped_functionI11custom_lessbEEEE10hipError_tPvRmT1_T2_T3_mmT4_T5_P12ihipStream_tbEUlRKfE_EESP_ST_SU_mSV_SY_bEUlT_E_NS1_11comp_targetILNS1_3genE3ELNS1_11target_archE908ELNS1_3gpuE7ELNS1_3repE0EEENS1_30default_config_static_selectorELNS0_4arch9wavefront6targetE1EEEvSS_,comdat
.Lfunc_end27:
	.size	_ZN7rocprim17ROCPRIM_400000_NS6detail17trampoline_kernelINS0_14default_configENS1_27lower_bound_config_selectorIflEEZNS1_14transform_implILb0ES3_S5_N6thrust23THRUST_200600_302600_NS6detail15normal_iteratorINS8_7pointerIfNS8_11hip_rocprim5par_tENS8_11use_defaultESE_EEEENSA_INSB_IlSD_SE_SE_EEEEZNS1_13binary_searchIS3_S5_PfSG_SI_NS1_21lower_bound_search_opENS9_16wrapped_functionI11custom_lessbEEEE10hipError_tPvRmT1_T2_T3_mmT4_T5_P12ihipStream_tbEUlRKfE_EESP_ST_SU_mSV_SY_bEUlT_E_NS1_11comp_targetILNS1_3genE3ELNS1_11target_archE908ELNS1_3gpuE7ELNS1_3repE0EEENS1_30default_config_static_selectorELNS0_4arch9wavefront6targetE1EEEvSS_, .Lfunc_end27-_ZN7rocprim17ROCPRIM_400000_NS6detail17trampoline_kernelINS0_14default_configENS1_27lower_bound_config_selectorIflEEZNS1_14transform_implILb0ES3_S5_N6thrust23THRUST_200600_302600_NS6detail15normal_iteratorINS8_7pointerIfNS8_11hip_rocprim5par_tENS8_11use_defaultESE_EEEENSA_INSB_IlSD_SE_SE_EEEEZNS1_13binary_searchIS3_S5_PfSG_SI_NS1_21lower_bound_search_opENS9_16wrapped_functionI11custom_lessbEEEE10hipError_tPvRmT1_T2_T3_mmT4_T5_P12ihipStream_tbEUlRKfE_EESP_ST_SU_mSV_SY_bEUlT_E_NS1_11comp_targetILNS1_3genE3ELNS1_11target_archE908ELNS1_3gpuE7ELNS1_3repE0EEENS1_30default_config_static_selectorELNS0_4arch9wavefront6targetE1EEEvSS_
                                        ; -- End function
	.set _ZN7rocprim17ROCPRIM_400000_NS6detail17trampoline_kernelINS0_14default_configENS1_27lower_bound_config_selectorIflEEZNS1_14transform_implILb0ES3_S5_N6thrust23THRUST_200600_302600_NS6detail15normal_iteratorINS8_7pointerIfNS8_11hip_rocprim5par_tENS8_11use_defaultESE_EEEENSA_INSB_IlSD_SE_SE_EEEEZNS1_13binary_searchIS3_S5_PfSG_SI_NS1_21lower_bound_search_opENS9_16wrapped_functionI11custom_lessbEEEE10hipError_tPvRmT1_T2_T3_mmT4_T5_P12ihipStream_tbEUlRKfE_EESP_ST_SU_mSV_SY_bEUlT_E_NS1_11comp_targetILNS1_3genE3ELNS1_11target_archE908ELNS1_3gpuE7ELNS1_3repE0EEENS1_30default_config_static_selectorELNS0_4arch9wavefront6targetE1EEEvSS_.num_vgpr, 0
	.set _ZN7rocprim17ROCPRIM_400000_NS6detail17trampoline_kernelINS0_14default_configENS1_27lower_bound_config_selectorIflEEZNS1_14transform_implILb0ES3_S5_N6thrust23THRUST_200600_302600_NS6detail15normal_iteratorINS8_7pointerIfNS8_11hip_rocprim5par_tENS8_11use_defaultESE_EEEENSA_INSB_IlSD_SE_SE_EEEEZNS1_13binary_searchIS3_S5_PfSG_SI_NS1_21lower_bound_search_opENS9_16wrapped_functionI11custom_lessbEEEE10hipError_tPvRmT1_T2_T3_mmT4_T5_P12ihipStream_tbEUlRKfE_EESP_ST_SU_mSV_SY_bEUlT_E_NS1_11comp_targetILNS1_3genE3ELNS1_11target_archE908ELNS1_3gpuE7ELNS1_3repE0EEENS1_30default_config_static_selectorELNS0_4arch9wavefront6targetE1EEEvSS_.num_agpr, 0
	.set _ZN7rocprim17ROCPRIM_400000_NS6detail17trampoline_kernelINS0_14default_configENS1_27lower_bound_config_selectorIflEEZNS1_14transform_implILb0ES3_S5_N6thrust23THRUST_200600_302600_NS6detail15normal_iteratorINS8_7pointerIfNS8_11hip_rocprim5par_tENS8_11use_defaultESE_EEEENSA_INSB_IlSD_SE_SE_EEEEZNS1_13binary_searchIS3_S5_PfSG_SI_NS1_21lower_bound_search_opENS9_16wrapped_functionI11custom_lessbEEEE10hipError_tPvRmT1_T2_T3_mmT4_T5_P12ihipStream_tbEUlRKfE_EESP_ST_SU_mSV_SY_bEUlT_E_NS1_11comp_targetILNS1_3genE3ELNS1_11target_archE908ELNS1_3gpuE7ELNS1_3repE0EEENS1_30default_config_static_selectorELNS0_4arch9wavefront6targetE1EEEvSS_.numbered_sgpr, 0
	.set _ZN7rocprim17ROCPRIM_400000_NS6detail17trampoline_kernelINS0_14default_configENS1_27lower_bound_config_selectorIflEEZNS1_14transform_implILb0ES3_S5_N6thrust23THRUST_200600_302600_NS6detail15normal_iteratorINS8_7pointerIfNS8_11hip_rocprim5par_tENS8_11use_defaultESE_EEEENSA_INSB_IlSD_SE_SE_EEEEZNS1_13binary_searchIS3_S5_PfSG_SI_NS1_21lower_bound_search_opENS9_16wrapped_functionI11custom_lessbEEEE10hipError_tPvRmT1_T2_T3_mmT4_T5_P12ihipStream_tbEUlRKfE_EESP_ST_SU_mSV_SY_bEUlT_E_NS1_11comp_targetILNS1_3genE3ELNS1_11target_archE908ELNS1_3gpuE7ELNS1_3repE0EEENS1_30default_config_static_selectorELNS0_4arch9wavefront6targetE1EEEvSS_.num_named_barrier, 0
	.set _ZN7rocprim17ROCPRIM_400000_NS6detail17trampoline_kernelINS0_14default_configENS1_27lower_bound_config_selectorIflEEZNS1_14transform_implILb0ES3_S5_N6thrust23THRUST_200600_302600_NS6detail15normal_iteratorINS8_7pointerIfNS8_11hip_rocprim5par_tENS8_11use_defaultESE_EEEENSA_INSB_IlSD_SE_SE_EEEEZNS1_13binary_searchIS3_S5_PfSG_SI_NS1_21lower_bound_search_opENS9_16wrapped_functionI11custom_lessbEEEE10hipError_tPvRmT1_T2_T3_mmT4_T5_P12ihipStream_tbEUlRKfE_EESP_ST_SU_mSV_SY_bEUlT_E_NS1_11comp_targetILNS1_3genE3ELNS1_11target_archE908ELNS1_3gpuE7ELNS1_3repE0EEENS1_30default_config_static_selectorELNS0_4arch9wavefront6targetE1EEEvSS_.private_seg_size, 0
	.set _ZN7rocprim17ROCPRIM_400000_NS6detail17trampoline_kernelINS0_14default_configENS1_27lower_bound_config_selectorIflEEZNS1_14transform_implILb0ES3_S5_N6thrust23THRUST_200600_302600_NS6detail15normal_iteratorINS8_7pointerIfNS8_11hip_rocprim5par_tENS8_11use_defaultESE_EEEENSA_INSB_IlSD_SE_SE_EEEEZNS1_13binary_searchIS3_S5_PfSG_SI_NS1_21lower_bound_search_opENS9_16wrapped_functionI11custom_lessbEEEE10hipError_tPvRmT1_T2_T3_mmT4_T5_P12ihipStream_tbEUlRKfE_EESP_ST_SU_mSV_SY_bEUlT_E_NS1_11comp_targetILNS1_3genE3ELNS1_11target_archE908ELNS1_3gpuE7ELNS1_3repE0EEENS1_30default_config_static_selectorELNS0_4arch9wavefront6targetE1EEEvSS_.uses_vcc, 0
	.set _ZN7rocprim17ROCPRIM_400000_NS6detail17trampoline_kernelINS0_14default_configENS1_27lower_bound_config_selectorIflEEZNS1_14transform_implILb0ES3_S5_N6thrust23THRUST_200600_302600_NS6detail15normal_iteratorINS8_7pointerIfNS8_11hip_rocprim5par_tENS8_11use_defaultESE_EEEENSA_INSB_IlSD_SE_SE_EEEEZNS1_13binary_searchIS3_S5_PfSG_SI_NS1_21lower_bound_search_opENS9_16wrapped_functionI11custom_lessbEEEE10hipError_tPvRmT1_T2_T3_mmT4_T5_P12ihipStream_tbEUlRKfE_EESP_ST_SU_mSV_SY_bEUlT_E_NS1_11comp_targetILNS1_3genE3ELNS1_11target_archE908ELNS1_3gpuE7ELNS1_3repE0EEENS1_30default_config_static_selectorELNS0_4arch9wavefront6targetE1EEEvSS_.uses_flat_scratch, 0
	.set _ZN7rocprim17ROCPRIM_400000_NS6detail17trampoline_kernelINS0_14default_configENS1_27lower_bound_config_selectorIflEEZNS1_14transform_implILb0ES3_S5_N6thrust23THRUST_200600_302600_NS6detail15normal_iteratorINS8_7pointerIfNS8_11hip_rocprim5par_tENS8_11use_defaultESE_EEEENSA_INSB_IlSD_SE_SE_EEEEZNS1_13binary_searchIS3_S5_PfSG_SI_NS1_21lower_bound_search_opENS9_16wrapped_functionI11custom_lessbEEEE10hipError_tPvRmT1_T2_T3_mmT4_T5_P12ihipStream_tbEUlRKfE_EESP_ST_SU_mSV_SY_bEUlT_E_NS1_11comp_targetILNS1_3genE3ELNS1_11target_archE908ELNS1_3gpuE7ELNS1_3repE0EEENS1_30default_config_static_selectorELNS0_4arch9wavefront6targetE1EEEvSS_.has_dyn_sized_stack, 0
	.set _ZN7rocprim17ROCPRIM_400000_NS6detail17trampoline_kernelINS0_14default_configENS1_27lower_bound_config_selectorIflEEZNS1_14transform_implILb0ES3_S5_N6thrust23THRUST_200600_302600_NS6detail15normal_iteratorINS8_7pointerIfNS8_11hip_rocprim5par_tENS8_11use_defaultESE_EEEENSA_INSB_IlSD_SE_SE_EEEEZNS1_13binary_searchIS3_S5_PfSG_SI_NS1_21lower_bound_search_opENS9_16wrapped_functionI11custom_lessbEEEE10hipError_tPvRmT1_T2_T3_mmT4_T5_P12ihipStream_tbEUlRKfE_EESP_ST_SU_mSV_SY_bEUlT_E_NS1_11comp_targetILNS1_3genE3ELNS1_11target_archE908ELNS1_3gpuE7ELNS1_3repE0EEENS1_30default_config_static_selectorELNS0_4arch9wavefront6targetE1EEEvSS_.has_recursion, 0
	.set _ZN7rocprim17ROCPRIM_400000_NS6detail17trampoline_kernelINS0_14default_configENS1_27lower_bound_config_selectorIflEEZNS1_14transform_implILb0ES3_S5_N6thrust23THRUST_200600_302600_NS6detail15normal_iteratorINS8_7pointerIfNS8_11hip_rocprim5par_tENS8_11use_defaultESE_EEEENSA_INSB_IlSD_SE_SE_EEEEZNS1_13binary_searchIS3_S5_PfSG_SI_NS1_21lower_bound_search_opENS9_16wrapped_functionI11custom_lessbEEEE10hipError_tPvRmT1_T2_T3_mmT4_T5_P12ihipStream_tbEUlRKfE_EESP_ST_SU_mSV_SY_bEUlT_E_NS1_11comp_targetILNS1_3genE3ELNS1_11target_archE908ELNS1_3gpuE7ELNS1_3repE0EEENS1_30default_config_static_selectorELNS0_4arch9wavefront6targetE1EEEvSS_.has_indirect_call, 0
	.section	.AMDGPU.csdata,"",@progbits
; Kernel info:
; codeLenInByte = 0
; TotalNumSgprs: 4
; NumVgprs: 0
; ScratchSize: 0
; MemoryBound: 0
; FloatMode: 240
; IeeeMode: 1
; LDSByteSize: 0 bytes/workgroup (compile time only)
; SGPRBlocks: 0
; VGPRBlocks: 0
; NumSGPRsForWavesPerEU: 4
; NumVGPRsForWavesPerEU: 1
; Occupancy: 10
; WaveLimiterHint : 0
; COMPUTE_PGM_RSRC2:SCRATCH_EN: 0
; COMPUTE_PGM_RSRC2:USER_SGPR: 6
; COMPUTE_PGM_RSRC2:TRAP_HANDLER: 0
; COMPUTE_PGM_RSRC2:TGID_X_EN: 1
; COMPUTE_PGM_RSRC2:TGID_Y_EN: 0
; COMPUTE_PGM_RSRC2:TGID_Z_EN: 0
; COMPUTE_PGM_RSRC2:TIDIG_COMP_CNT: 0
	.section	.text._ZN7rocprim17ROCPRIM_400000_NS6detail17trampoline_kernelINS0_14default_configENS1_27lower_bound_config_selectorIflEEZNS1_14transform_implILb0ES3_S5_N6thrust23THRUST_200600_302600_NS6detail15normal_iteratorINS8_7pointerIfNS8_11hip_rocprim5par_tENS8_11use_defaultESE_EEEENSA_INSB_IlSD_SE_SE_EEEEZNS1_13binary_searchIS3_S5_PfSG_SI_NS1_21lower_bound_search_opENS9_16wrapped_functionI11custom_lessbEEEE10hipError_tPvRmT1_T2_T3_mmT4_T5_P12ihipStream_tbEUlRKfE_EESP_ST_SU_mSV_SY_bEUlT_E_NS1_11comp_targetILNS1_3genE2ELNS1_11target_archE906ELNS1_3gpuE6ELNS1_3repE0EEENS1_30default_config_static_selectorELNS0_4arch9wavefront6targetE1EEEvSS_,"axG",@progbits,_ZN7rocprim17ROCPRIM_400000_NS6detail17trampoline_kernelINS0_14default_configENS1_27lower_bound_config_selectorIflEEZNS1_14transform_implILb0ES3_S5_N6thrust23THRUST_200600_302600_NS6detail15normal_iteratorINS8_7pointerIfNS8_11hip_rocprim5par_tENS8_11use_defaultESE_EEEENSA_INSB_IlSD_SE_SE_EEEEZNS1_13binary_searchIS3_S5_PfSG_SI_NS1_21lower_bound_search_opENS9_16wrapped_functionI11custom_lessbEEEE10hipError_tPvRmT1_T2_T3_mmT4_T5_P12ihipStream_tbEUlRKfE_EESP_ST_SU_mSV_SY_bEUlT_E_NS1_11comp_targetILNS1_3genE2ELNS1_11target_archE906ELNS1_3gpuE6ELNS1_3repE0EEENS1_30default_config_static_selectorELNS0_4arch9wavefront6targetE1EEEvSS_,comdat
	.protected	_ZN7rocprim17ROCPRIM_400000_NS6detail17trampoline_kernelINS0_14default_configENS1_27lower_bound_config_selectorIflEEZNS1_14transform_implILb0ES3_S5_N6thrust23THRUST_200600_302600_NS6detail15normal_iteratorINS8_7pointerIfNS8_11hip_rocprim5par_tENS8_11use_defaultESE_EEEENSA_INSB_IlSD_SE_SE_EEEEZNS1_13binary_searchIS3_S5_PfSG_SI_NS1_21lower_bound_search_opENS9_16wrapped_functionI11custom_lessbEEEE10hipError_tPvRmT1_T2_T3_mmT4_T5_P12ihipStream_tbEUlRKfE_EESP_ST_SU_mSV_SY_bEUlT_E_NS1_11comp_targetILNS1_3genE2ELNS1_11target_archE906ELNS1_3gpuE6ELNS1_3repE0EEENS1_30default_config_static_selectorELNS0_4arch9wavefront6targetE1EEEvSS_ ; -- Begin function _ZN7rocprim17ROCPRIM_400000_NS6detail17trampoline_kernelINS0_14default_configENS1_27lower_bound_config_selectorIflEEZNS1_14transform_implILb0ES3_S5_N6thrust23THRUST_200600_302600_NS6detail15normal_iteratorINS8_7pointerIfNS8_11hip_rocprim5par_tENS8_11use_defaultESE_EEEENSA_INSB_IlSD_SE_SE_EEEEZNS1_13binary_searchIS3_S5_PfSG_SI_NS1_21lower_bound_search_opENS9_16wrapped_functionI11custom_lessbEEEE10hipError_tPvRmT1_T2_T3_mmT4_T5_P12ihipStream_tbEUlRKfE_EESP_ST_SU_mSV_SY_bEUlT_E_NS1_11comp_targetILNS1_3genE2ELNS1_11target_archE906ELNS1_3gpuE6ELNS1_3repE0EEENS1_30default_config_static_selectorELNS0_4arch9wavefront6targetE1EEEvSS_
	.globl	_ZN7rocprim17ROCPRIM_400000_NS6detail17trampoline_kernelINS0_14default_configENS1_27lower_bound_config_selectorIflEEZNS1_14transform_implILb0ES3_S5_N6thrust23THRUST_200600_302600_NS6detail15normal_iteratorINS8_7pointerIfNS8_11hip_rocprim5par_tENS8_11use_defaultESE_EEEENSA_INSB_IlSD_SE_SE_EEEEZNS1_13binary_searchIS3_S5_PfSG_SI_NS1_21lower_bound_search_opENS9_16wrapped_functionI11custom_lessbEEEE10hipError_tPvRmT1_T2_T3_mmT4_T5_P12ihipStream_tbEUlRKfE_EESP_ST_SU_mSV_SY_bEUlT_E_NS1_11comp_targetILNS1_3genE2ELNS1_11target_archE906ELNS1_3gpuE6ELNS1_3repE0EEENS1_30default_config_static_selectorELNS0_4arch9wavefront6targetE1EEEvSS_
	.p2align	8
	.type	_ZN7rocprim17ROCPRIM_400000_NS6detail17trampoline_kernelINS0_14default_configENS1_27lower_bound_config_selectorIflEEZNS1_14transform_implILb0ES3_S5_N6thrust23THRUST_200600_302600_NS6detail15normal_iteratorINS8_7pointerIfNS8_11hip_rocprim5par_tENS8_11use_defaultESE_EEEENSA_INSB_IlSD_SE_SE_EEEEZNS1_13binary_searchIS3_S5_PfSG_SI_NS1_21lower_bound_search_opENS9_16wrapped_functionI11custom_lessbEEEE10hipError_tPvRmT1_T2_T3_mmT4_T5_P12ihipStream_tbEUlRKfE_EESP_ST_SU_mSV_SY_bEUlT_E_NS1_11comp_targetILNS1_3genE2ELNS1_11target_archE906ELNS1_3gpuE6ELNS1_3repE0EEENS1_30default_config_static_selectorELNS0_4arch9wavefront6targetE1EEEvSS_,@function
_ZN7rocprim17ROCPRIM_400000_NS6detail17trampoline_kernelINS0_14default_configENS1_27lower_bound_config_selectorIflEEZNS1_14transform_implILb0ES3_S5_N6thrust23THRUST_200600_302600_NS6detail15normal_iteratorINS8_7pointerIfNS8_11hip_rocprim5par_tENS8_11use_defaultESE_EEEENSA_INSB_IlSD_SE_SE_EEEEZNS1_13binary_searchIS3_S5_PfSG_SI_NS1_21lower_bound_search_opENS9_16wrapped_functionI11custom_lessbEEEE10hipError_tPvRmT1_T2_T3_mmT4_T5_P12ihipStream_tbEUlRKfE_EESP_ST_SU_mSV_SY_bEUlT_E_NS1_11comp_targetILNS1_3genE2ELNS1_11target_archE906ELNS1_3gpuE6ELNS1_3repE0EEENS1_30default_config_static_selectorELNS0_4arch9wavefront6targetE1EEEvSS_: ; @_ZN7rocprim17ROCPRIM_400000_NS6detail17trampoline_kernelINS0_14default_configENS1_27lower_bound_config_selectorIflEEZNS1_14transform_implILb0ES3_S5_N6thrust23THRUST_200600_302600_NS6detail15normal_iteratorINS8_7pointerIfNS8_11hip_rocprim5par_tENS8_11use_defaultESE_EEEENSA_INSB_IlSD_SE_SE_EEEEZNS1_13binary_searchIS3_S5_PfSG_SI_NS1_21lower_bound_search_opENS9_16wrapped_functionI11custom_lessbEEEE10hipError_tPvRmT1_T2_T3_mmT4_T5_P12ihipStream_tbEUlRKfE_EESP_ST_SU_mSV_SY_bEUlT_E_NS1_11comp_targetILNS1_3genE2ELNS1_11target_archE906ELNS1_3gpuE6ELNS1_3repE0EEENS1_30default_config_static_selectorELNS0_4arch9wavefront6targetE1EEEvSS_
; %bb.0:
	s_load_dwordx4 s[16:19], s[4:5], 0x0
	s_load_dwordx4 s[8:11], s[4:5], 0x18
	s_load_dwordx2 s[12:13], s[4:5], 0x28
	s_load_dword s15, s[4:5], 0x38
	s_waitcnt lgkmcnt(0)
	s_lshl_b64 s[0:1], s[18:19], 2
	s_add_u32 s2, s16, s0
	s_addc_u32 s3, s17, s1
	s_lshl_b64 s[0:1], s[18:19], 3
	s_add_u32 s7, s8, s0
	s_addc_u32 s14, s9, s1
	s_lshl_b32 s8, s6, 8
	s_add_i32 s15, s15, -1
	s_mov_b32 s9, 0
	s_cmp_lg_u32 s6, s15
	s_mov_b64 s[0:1], -1
	s_cbranch_scc0 .LBB28_7
; %bb.1:
	s_cmp_eq_u64 s[12:13], 0
	s_mov_b64 s[0:1], 0
	s_cbranch_scc1 .LBB28_5
; %bb.2:
	s_lshl_b64 s[16:17], s[8:9], 2
	s_add_u32 s6, s2, s16
	s_addc_u32 s15, s3, s17
	v_lshlrev_b32_e32 v1, 2, v0
	v_mov_b32_e32 v2, s15
	v_add_co_u32_e32 v1, vcc, s6, v1
	v_addc_co_u32_e32 v2, vcc, 0, v2, vcc
	flat_load_dword v5, v[1:2]
	v_mov_b32_e32 v1, 0
	v_mov_b32_e32 v3, s12
	;; [unrolled: 1-line block ×5, first 2 shown]
.LBB28_3:                               ; =>This Inner Loop Header: Depth=1
	v_sub_co_u32_e32 v7, vcc, v3, v1
	v_subb_co_u32_e32 v8, vcc, v4, v2, vcc
	v_lshrrev_b64 v[9:10], 1, v[7:8]
	v_lshrrev_b64 v[7:8], 6, v[7:8]
	v_add_co_u32_e32 v9, vcc, v9, v1
	v_addc_co_u32_e32 v10, vcc, v10, v2, vcc
	v_add_co_u32_e32 v7, vcc, v9, v7
	v_addc_co_u32_e32 v8, vcc, v10, v8, vcc
	v_lshlrev_b64 v[9:10], 2, v[7:8]
	v_add_co_u32_e32 v9, vcc, s10, v9
	v_addc_co_u32_e32 v10, vcc, v6, v10, vcc
	global_load_dword v9, v[9:10], off
	v_add_co_u32_e32 v10, vcc, 1, v7
	v_addc_co_u32_e32 v11, vcc, 0, v8, vcc
	s_waitcnt vmcnt(0) lgkmcnt(0)
	v_cmp_lt_f32_e32 vcc, v9, v5
	v_cndmask_b32_e32 v4, v8, v4, vcc
	v_cndmask_b32_e32 v3, v7, v3, vcc
	;; [unrolled: 1-line block ×4, first 2 shown]
	v_cmp_ge_u64_e32 vcc, v[1:2], v[3:4]
	s_or_b64 s[0:1], vcc, s[0:1]
	s_andn2_b64 exec, exec, s[0:1]
	s_cbranch_execnz .LBB28_3
; %bb.4:
	s_or_b64 exec, exec, s[0:1]
	s_branch .LBB28_6
.LBB28_5:
	v_mov_b32_e32 v1, 0
	v_mov_b32_e32 v2, 0
.LBB28_6:
	s_lshl_b64 s[0:1], s[8:9], 3
	s_add_u32 s0, s7, s0
	s_addc_u32 s1, s14, s1
	v_lshlrev_b32_e32 v3, 3, v0
	v_mov_b32_e32 v4, s1
	v_add_co_u32_e32 v3, vcc, s0, v3
	v_addc_co_u32_e32 v4, vcc, 0, v4, vcc
	s_mov_b64 s[0:1], 0
	flat_store_dwordx2 v[3:4], v[1:2]
.LBB28_7:
	s_and_b64 vcc, exec, s[0:1]
	s_cbranch_vccz .LBB28_16
; %bb.8:
	s_load_dword s0, s[4:5], 0x10
                                        ; implicit-def: $vgpr5
	s_waitcnt lgkmcnt(0)
	s_sub_i32 s4, s0, s8
	v_cmp_le_u32_e64 s[0:1], s4, v0
	v_cmp_gt_u32_e32 vcc, s4, v0
	s_and_saveexec_b64 s[4:5], vcc
	s_cbranch_execz .LBB28_10
; %bb.9:
	s_lshl_b64 s[16:17], s[8:9], 2
	s_add_u32 s2, s2, s16
	s_addc_u32 s3, s3, s17
	v_lshlrev_b32_e32 v1, 2, v0
	v_mov_b32_e32 v2, s3
	v_add_co_u32_e64 v1, s[2:3], s2, v1
	v_addc_co_u32_e64 v2, s[2:3], 0, v2, s[2:3]
	flat_load_dword v5, v[1:2]
.LBB28_10:
	s_or_b64 exec, exec, s[4:5]
	s_cmp_lg_u64 s[12:13], 0
	s_cselect_b64 s[4:5], -1, 0
	s_xor_b64 s[0:1], s[0:1], -1
	v_mov_b32_e32 v1, 0
	s_mov_b64 s[2:3], 0
	v_mov_b32_e32 v2, 0
	s_and_b64 s[0:1], s[0:1], s[4:5]
	s_and_saveexec_b64 s[4:5], s[0:1]
	s_cbranch_execz .LBB28_14
; %bb.11:
	v_mov_b32_e32 v1, 0
	v_mov_b32_e32 v3, s12
	;; [unrolled: 1-line block ×5, first 2 shown]
.LBB28_12:                              ; =>This Inner Loop Header: Depth=1
	v_sub_co_u32_e64 v7, s[0:1], v3, v1
	v_subb_co_u32_e64 v8, s[0:1], v4, v2, s[0:1]
	v_lshrrev_b64 v[9:10], 1, v[7:8]
	v_lshrrev_b64 v[7:8], 6, v[7:8]
	v_add_co_u32_e64 v9, s[0:1], v9, v1
	v_addc_co_u32_e64 v10, s[0:1], v10, v2, s[0:1]
	v_add_co_u32_e64 v7, s[0:1], v9, v7
	v_addc_co_u32_e64 v8, s[0:1], v10, v8, s[0:1]
	v_lshlrev_b64 v[9:10], 2, v[7:8]
	v_add_co_u32_e64 v9, s[0:1], s10, v9
	v_addc_co_u32_e64 v10, s[0:1], v6, v10, s[0:1]
	global_load_dword v9, v[9:10], off
	v_add_co_u32_e64 v10, s[0:1], 1, v7
	v_addc_co_u32_e64 v11, s[0:1], 0, v8, s[0:1]
	s_waitcnt vmcnt(0) lgkmcnt(0)
	v_cmp_lt_f32_e64 s[0:1], v9, v5
	v_cndmask_b32_e64 v4, v8, v4, s[0:1]
	v_cndmask_b32_e64 v3, v7, v3, s[0:1]
	;; [unrolled: 1-line block ×4, first 2 shown]
	v_cmp_ge_u64_e64 s[0:1], v[1:2], v[3:4]
	s_or_b64 s[2:3], s[0:1], s[2:3]
	s_andn2_b64 exec, exec, s[2:3]
	s_cbranch_execnz .LBB28_12
; %bb.13:
	s_or_b64 exec, exec, s[2:3]
.LBB28_14:
	s_or_b64 exec, exec, s[4:5]
	s_and_saveexec_b64 s[0:1], vcc
	s_cbranch_execz .LBB28_16
; %bb.15:
	s_lshl_b64 s[0:1], s[8:9], 3
	s_add_u32 s0, s7, s0
	s_addc_u32 s1, s14, s1
	v_lshlrev_b32_e32 v0, 3, v0
	v_mov_b32_e32 v4, s1
	v_add_co_u32_e32 v3, vcc, s0, v0
	v_addc_co_u32_e32 v4, vcc, 0, v4, vcc
	flat_store_dwordx2 v[3:4], v[1:2]
.LBB28_16:
	s_endpgm
	.section	.rodata,"a",@progbits
	.p2align	6, 0x0
	.amdhsa_kernel _ZN7rocprim17ROCPRIM_400000_NS6detail17trampoline_kernelINS0_14default_configENS1_27lower_bound_config_selectorIflEEZNS1_14transform_implILb0ES3_S5_N6thrust23THRUST_200600_302600_NS6detail15normal_iteratorINS8_7pointerIfNS8_11hip_rocprim5par_tENS8_11use_defaultESE_EEEENSA_INSB_IlSD_SE_SE_EEEEZNS1_13binary_searchIS3_S5_PfSG_SI_NS1_21lower_bound_search_opENS9_16wrapped_functionI11custom_lessbEEEE10hipError_tPvRmT1_T2_T3_mmT4_T5_P12ihipStream_tbEUlRKfE_EESP_ST_SU_mSV_SY_bEUlT_E_NS1_11comp_targetILNS1_3genE2ELNS1_11target_archE906ELNS1_3gpuE6ELNS1_3repE0EEENS1_30default_config_static_selectorELNS0_4arch9wavefront6targetE1EEEvSS_
		.amdhsa_group_segment_fixed_size 0
		.amdhsa_private_segment_fixed_size 0
		.amdhsa_kernarg_size 312
		.amdhsa_user_sgpr_count 6
		.amdhsa_user_sgpr_private_segment_buffer 1
		.amdhsa_user_sgpr_dispatch_ptr 0
		.amdhsa_user_sgpr_queue_ptr 0
		.amdhsa_user_sgpr_kernarg_segment_ptr 1
		.amdhsa_user_sgpr_dispatch_id 0
		.amdhsa_user_sgpr_flat_scratch_init 0
		.amdhsa_user_sgpr_private_segment_size 0
		.amdhsa_uses_dynamic_stack 0
		.amdhsa_system_sgpr_private_segment_wavefront_offset 0
		.amdhsa_system_sgpr_workgroup_id_x 1
		.amdhsa_system_sgpr_workgroup_id_y 0
		.amdhsa_system_sgpr_workgroup_id_z 0
		.amdhsa_system_sgpr_workgroup_info 0
		.amdhsa_system_vgpr_workitem_id 0
		.amdhsa_next_free_vgpr 12
		.amdhsa_next_free_sgpr 20
		.amdhsa_reserve_vcc 1
		.amdhsa_reserve_flat_scratch 0
		.amdhsa_float_round_mode_32 0
		.amdhsa_float_round_mode_16_64 0
		.amdhsa_float_denorm_mode_32 3
		.amdhsa_float_denorm_mode_16_64 3
		.amdhsa_dx10_clamp 1
		.amdhsa_ieee_mode 1
		.amdhsa_fp16_overflow 0
		.amdhsa_exception_fp_ieee_invalid_op 0
		.amdhsa_exception_fp_denorm_src 0
		.amdhsa_exception_fp_ieee_div_zero 0
		.amdhsa_exception_fp_ieee_overflow 0
		.amdhsa_exception_fp_ieee_underflow 0
		.amdhsa_exception_fp_ieee_inexact 0
		.amdhsa_exception_int_div_zero 0
	.end_amdhsa_kernel
	.section	.text._ZN7rocprim17ROCPRIM_400000_NS6detail17trampoline_kernelINS0_14default_configENS1_27lower_bound_config_selectorIflEEZNS1_14transform_implILb0ES3_S5_N6thrust23THRUST_200600_302600_NS6detail15normal_iteratorINS8_7pointerIfNS8_11hip_rocprim5par_tENS8_11use_defaultESE_EEEENSA_INSB_IlSD_SE_SE_EEEEZNS1_13binary_searchIS3_S5_PfSG_SI_NS1_21lower_bound_search_opENS9_16wrapped_functionI11custom_lessbEEEE10hipError_tPvRmT1_T2_T3_mmT4_T5_P12ihipStream_tbEUlRKfE_EESP_ST_SU_mSV_SY_bEUlT_E_NS1_11comp_targetILNS1_3genE2ELNS1_11target_archE906ELNS1_3gpuE6ELNS1_3repE0EEENS1_30default_config_static_selectorELNS0_4arch9wavefront6targetE1EEEvSS_,"axG",@progbits,_ZN7rocprim17ROCPRIM_400000_NS6detail17trampoline_kernelINS0_14default_configENS1_27lower_bound_config_selectorIflEEZNS1_14transform_implILb0ES3_S5_N6thrust23THRUST_200600_302600_NS6detail15normal_iteratorINS8_7pointerIfNS8_11hip_rocprim5par_tENS8_11use_defaultESE_EEEENSA_INSB_IlSD_SE_SE_EEEEZNS1_13binary_searchIS3_S5_PfSG_SI_NS1_21lower_bound_search_opENS9_16wrapped_functionI11custom_lessbEEEE10hipError_tPvRmT1_T2_T3_mmT4_T5_P12ihipStream_tbEUlRKfE_EESP_ST_SU_mSV_SY_bEUlT_E_NS1_11comp_targetILNS1_3genE2ELNS1_11target_archE906ELNS1_3gpuE6ELNS1_3repE0EEENS1_30default_config_static_selectorELNS0_4arch9wavefront6targetE1EEEvSS_,comdat
.Lfunc_end28:
	.size	_ZN7rocprim17ROCPRIM_400000_NS6detail17trampoline_kernelINS0_14default_configENS1_27lower_bound_config_selectorIflEEZNS1_14transform_implILb0ES3_S5_N6thrust23THRUST_200600_302600_NS6detail15normal_iteratorINS8_7pointerIfNS8_11hip_rocprim5par_tENS8_11use_defaultESE_EEEENSA_INSB_IlSD_SE_SE_EEEEZNS1_13binary_searchIS3_S5_PfSG_SI_NS1_21lower_bound_search_opENS9_16wrapped_functionI11custom_lessbEEEE10hipError_tPvRmT1_T2_T3_mmT4_T5_P12ihipStream_tbEUlRKfE_EESP_ST_SU_mSV_SY_bEUlT_E_NS1_11comp_targetILNS1_3genE2ELNS1_11target_archE906ELNS1_3gpuE6ELNS1_3repE0EEENS1_30default_config_static_selectorELNS0_4arch9wavefront6targetE1EEEvSS_, .Lfunc_end28-_ZN7rocprim17ROCPRIM_400000_NS6detail17trampoline_kernelINS0_14default_configENS1_27lower_bound_config_selectorIflEEZNS1_14transform_implILb0ES3_S5_N6thrust23THRUST_200600_302600_NS6detail15normal_iteratorINS8_7pointerIfNS8_11hip_rocprim5par_tENS8_11use_defaultESE_EEEENSA_INSB_IlSD_SE_SE_EEEEZNS1_13binary_searchIS3_S5_PfSG_SI_NS1_21lower_bound_search_opENS9_16wrapped_functionI11custom_lessbEEEE10hipError_tPvRmT1_T2_T3_mmT4_T5_P12ihipStream_tbEUlRKfE_EESP_ST_SU_mSV_SY_bEUlT_E_NS1_11comp_targetILNS1_3genE2ELNS1_11target_archE906ELNS1_3gpuE6ELNS1_3repE0EEENS1_30default_config_static_selectorELNS0_4arch9wavefront6targetE1EEEvSS_
                                        ; -- End function
	.set _ZN7rocprim17ROCPRIM_400000_NS6detail17trampoline_kernelINS0_14default_configENS1_27lower_bound_config_selectorIflEEZNS1_14transform_implILb0ES3_S5_N6thrust23THRUST_200600_302600_NS6detail15normal_iteratorINS8_7pointerIfNS8_11hip_rocprim5par_tENS8_11use_defaultESE_EEEENSA_INSB_IlSD_SE_SE_EEEEZNS1_13binary_searchIS3_S5_PfSG_SI_NS1_21lower_bound_search_opENS9_16wrapped_functionI11custom_lessbEEEE10hipError_tPvRmT1_T2_T3_mmT4_T5_P12ihipStream_tbEUlRKfE_EESP_ST_SU_mSV_SY_bEUlT_E_NS1_11comp_targetILNS1_3genE2ELNS1_11target_archE906ELNS1_3gpuE6ELNS1_3repE0EEENS1_30default_config_static_selectorELNS0_4arch9wavefront6targetE1EEEvSS_.num_vgpr, 12
	.set _ZN7rocprim17ROCPRIM_400000_NS6detail17trampoline_kernelINS0_14default_configENS1_27lower_bound_config_selectorIflEEZNS1_14transform_implILb0ES3_S5_N6thrust23THRUST_200600_302600_NS6detail15normal_iteratorINS8_7pointerIfNS8_11hip_rocprim5par_tENS8_11use_defaultESE_EEEENSA_INSB_IlSD_SE_SE_EEEEZNS1_13binary_searchIS3_S5_PfSG_SI_NS1_21lower_bound_search_opENS9_16wrapped_functionI11custom_lessbEEEE10hipError_tPvRmT1_T2_T3_mmT4_T5_P12ihipStream_tbEUlRKfE_EESP_ST_SU_mSV_SY_bEUlT_E_NS1_11comp_targetILNS1_3genE2ELNS1_11target_archE906ELNS1_3gpuE6ELNS1_3repE0EEENS1_30default_config_static_selectorELNS0_4arch9wavefront6targetE1EEEvSS_.num_agpr, 0
	.set _ZN7rocprim17ROCPRIM_400000_NS6detail17trampoline_kernelINS0_14default_configENS1_27lower_bound_config_selectorIflEEZNS1_14transform_implILb0ES3_S5_N6thrust23THRUST_200600_302600_NS6detail15normal_iteratorINS8_7pointerIfNS8_11hip_rocprim5par_tENS8_11use_defaultESE_EEEENSA_INSB_IlSD_SE_SE_EEEEZNS1_13binary_searchIS3_S5_PfSG_SI_NS1_21lower_bound_search_opENS9_16wrapped_functionI11custom_lessbEEEE10hipError_tPvRmT1_T2_T3_mmT4_T5_P12ihipStream_tbEUlRKfE_EESP_ST_SU_mSV_SY_bEUlT_E_NS1_11comp_targetILNS1_3genE2ELNS1_11target_archE906ELNS1_3gpuE6ELNS1_3repE0EEENS1_30default_config_static_selectorELNS0_4arch9wavefront6targetE1EEEvSS_.numbered_sgpr, 20
	.set _ZN7rocprim17ROCPRIM_400000_NS6detail17trampoline_kernelINS0_14default_configENS1_27lower_bound_config_selectorIflEEZNS1_14transform_implILb0ES3_S5_N6thrust23THRUST_200600_302600_NS6detail15normal_iteratorINS8_7pointerIfNS8_11hip_rocprim5par_tENS8_11use_defaultESE_EEEENSA_INSB_IlSD_SE_SE_EEEEZNS1_13binary_searchIS3_S5_PfSG_SI_NS1_21lower_bound_search_opENS9_16wrapped_functionI11custom_lessbEEEE10hipError_tPvRmT1_T2_T3_mmT4_T5_P12ihipStream_tbEUlRKfE_EESP_ST_SU_mSV_SY_bEUlT_E_NS1_11comp_targetILNS1_3genE2ELNS1_11target_archE906ELNS1_3gpuE6ELNS1_3repE0EEENS1_30default_config_static_selectorELNS0_4arch9wavefront6targetE1EEEvSS_.num_named_barrier, 0
	.set _ZN7rocprim17ROCPRIM_400000_NS6detail17trampoline_kernelINS0_14default_configENS1_27lower_bound_config_selectorIflEEZNS1_14transform_implILb0ES3_S5_N6thrust23THRUST_200600_302600_NS6detail15normal_iteratorINS8_7pointerIfNS8_11hip_rocprim5par_tENS8_11use_defaultESE_EEEENSA_INSB_IlSD_SE_SE_EEEEZNS1_13binary_searchIS3_S5_PfSG_SI_NS1_21lower_bound_search_opENS9_16wrapped_functionI11custom_lessbEEEE10hipError_tPvRmT1_T2_T3_mmT4_T5_P12ihipStream_tbEUlRKfE_EESP_ST_SU_mSV_SY_bEUlT_E_NS1_11comp_targetILNS1_3genE2ELNS1_11target_archE906ELNS1_3gpuE6ELNS1_3repE0EEENS1_30default_config_static_selectorELNS0_4arch9wavefront6targetE1EEEvSS_.private_seg_size, 0
	.set _ZN7rocprim17ROCPRIM_400000_NS6detail17trampoline_kernelINS0_14default_configENS1_27lower_bound_config_selectorIflEEZNS1_14transform_implILb0ES3_S5_N6thrust23THRUST_200600_302600_NS6detail15normal_iteratorINS8_7pointerIfNS8_11hip_rocprim5par_tENS8_11use_defaultESE_EEEENSA_INSB_IlSD_SE_SE_EEEEZNS1_13binary_searchIS3_S5_PfSG_SI_NS1_21lower_bound_search_opENS9_16wrapped_functionI11custom_lessbEEEE10hipError_tPvRmT1_T2_T3_mmT4_T5_P12ihipStream_tbEUlRKfE_EESP_ST_SU_mSV_SY_bEUlT_E_NS1_11comp_targetILNS1_3genE2ELNS1_11target_archE906ELNS1_3gpuE6ELNS1_3repE0EEENS1_30default_config_static_selectorELNS0_4arch9wavefront6targetE1EEEvSS_.uses_vcc, 1
	.set _ZN7rocprim17ROCPRIM_400000_NS6detail17trampoline_kernelINS0_14default_configENS1_27lower_bound_config_selectorIflEEZNS1_14transform_implILb0ES3_S5_N6thrust23THRUST_200600_302600_NS6detail15normal_iteratorINS8_7pointerIfNS8_11hip_rocprim5par_tENS8_11use_defaultESE_EEEENSA_INSB_IlSD_SE_SE_EEEEZNS1_13binary_searchIS3_S5_PfSG_SI_NS1_21lower_bound_search_opENS9_16wrapped_functionI11custom_lessbEEEE10hipError_tPvRmT1_T2_T3_mmT4_T5_P12ihipStream_tbEUlRKfE_EESP_ST_SU_mSV_SY_bEUlT_E_NS1_11comp_targetILNS1_3genE2ELNS1_11target_archE906ELNS1_3gpuE6ELNS1_3repE0EEENS1_30default_config_static_selectorELNS0_4arch9wavefront6targetE1EEEvSS_.uses_flat_scratch, 0
	.set _ZN7rocprim17ROCPRIM_400000_NS6detail17trampoline_kernelINS0_14default_configENS1_27lower_bound_config_selectorIflEEZNS1_14transform_implILb0ES3_S5_N6thrust23THRUST_200600_302600_NS6detail15normal_iteratorINS8_7pointerIfNS8_11hip_rocprim5par_tENS8_11use_defaultESE_EEEENSA_INSB_IlSD_SE_SE_EEEEZNS1_13binary_searchIS3_S5_PfSG_SI_NS1_21lower_bound_search_opENS9_16wrapped_functionI11custom_lessbEEEE10hipError_tPvRmT1_T2_T3_mmT4_T5_P12ihipStream_tbEUlRKfE_EESP_ST_SU_mSV_SY_bEUlT_E_NS1_11comp_targetILNS1_3genE2ELNS1_11target_archE906ELNS1_3gpuE6ELNS1_3repE0EEENS1_30default_config_static_selectorELNS0_4arch9wavefront6targetE1EEEvSS_.has_dyn_sized_stack, 0
	.set _ZN7rocprim17ROCPRIM_400000_NS6detail17trampoline_kernelINS0_14default_configENS1_27lower_bound_config_selectorIflEEZNS1_14transform_implILb0ES3_S5_N6thrust23THRUST_200600_302600_NS6detail15normal_iteratorINS8_7pointerIfNS8_11hip_rocprim5par_tENS8_11use_defaultESE_EEEENSA_INSB_IlSD_SE_SE_EEEEZNS1_13binary_searchIS3_S5_PfSG_SI_NS1_21lower_bound_search_opENS9_16wrapped_functionI11custom_lessbEEEE10hipError_tPvRmT1_T2_T3_mmT4_T5_P12ihipStream_tbEUlRKfE_EESP_ST_SU_mSV_SY_bEUlT_E_NS1_11comp_targetILNS1_3genE2ELNS1_11target_archE906ELNS1_3gpuE6ELNS1_3repE0EEENS1_30default_config_static_selectorELNS0_4arch9wavefront6targetE1EEEvSS_.has_recursion, 0
	.set _ZN7rocprim17ROCPRIM_400000_NS6detail17trampoline_kernelINS0_14default_configENS1_27lower_bound_config_selectorIflEEZNS1_14transform_implILb0ES3_S5_N6thrust23THRUST_200600_302600_NS6detail15normal_iteratorINS8_7pointerIfNS8_11hip_rocprim5par_tENS8_11use_defaultESE_EEEENSA_INSB_IlSD_SE_SE_EEEEZNS1_13binary_searchIS3_S5_PfSG_SI_NS1_21lower_bound_search_opENS9_16wrapped_functionI11custom_lessbEEEE10hipError_tPvRmT1_T2_T3_mmT4_T5_P12ihipStream_tbEUlRKfE_EESP_ST_SU_mSV_SY_bEUlT_E_NS1_11comp_targetILNS1_3genE2ELNS1_11target_archE906ELNS1_3gpuE6ELNS1_3repE0EEENS1_30default_config_static_selectorELNS0_4arch9wavefront6targetE1EEEvSS_.has_indirect_call, 0
	.section	.AMDGPU.csdata,"",@progbits
; Kernel info:
; codeLenInByte = 700
; TotalNumSgprs: 24
; NumVgprs: 12
; ScratchSize: 0
; MemoryBound: 0
; FloatMode: 240
; IeeeMode: 1
; LDSByteSize: 0 bytes/workgroup (compile time only)
; SGPRBlocks: 2
; VGPRBlocks: 2
; NumSGPRsForWavesPerEU: 24
; NumVGPRsForWavesPerEU: 12
; Occupancy: 10
; WaveLimiterHint : 0
; COMPUTE_PGM_RSRC2:SCRATCH_EN: 0
; COMPUTE_PGM_RSRC2:USER_SGPR: 6
; COMPUTE_PGM_RSRC2:TRAP_HANDLER: 0
; COMPUTE_PGM_RSRC2:TGID_X_EN: 1
; COMPUTE_PGM_RSRC2:TGID_Y_EN: 0
; COMPUTE_PGM_RSRC2:TGID_Z_EN: 0
; COMPUTE_PGM_RSRC2:TIDIG_COMP_CNT: 0
	.section	.text._ZN7rocprim17ROCPRIM_400000_NS6detail17trampoline_kernelINS0_14default_configENS1_27lower_bound_config_selectorIflEEZNS1_14transform_implILb0ES3_S5_N6thrust23THRUST_200600_302600_NS6detail15normal_iteratorINS8_7pointerIfNS8_11hip_rocprim5par_tENS8_11use_defaultESE_EEEENSA_INSB_IlSD_SE_SE_EEEEZNS1_13binary_searchIS3_S5_PfSG_SI_NS1_21lower_bound_search_opENS9_16wrapped_functionI11custom_lessbEEEE10hipError_tPvRmT1_T2_T3_mmT4_T5_P12ihipStream_tbEUlRKfE_EESP_ST_SU_mSV_SY_bEUlT_E_NS1_11comp_targetILNS1_3genE10ELNS1_11target_archE1201ELNS1_3gpuE5ELNS1_3repE0EEENS1_30default_config_static_selectorELNS0_4arch9wavefront6targetE1EEEvSS_,"axG",@progbits,_ZN7rocprim17ROCPRIM_400000_NS6detail17trampoline_kernelINS0_14default_configENS1_27lower_bound_config_selectorIflEEZNS1_14transform_implILb0ES3_S5_N6thrust23THRUST_200600_302600_NS6detail15normal_iteratorINS8_7pointerIfNS8_11hip_rocprim5par_tENS8_11use_defaultESE_EEEENSA_INSB_IlSD_SE_SE_EEEEZNS1_13binary_searchIS3_S5_PfSG_SI_NS1_21lower_bound_search_opENS9_16wrapped_functionI11custom_lessbEEEE10hipError_tPvRmT1_T2_T3_mmT4_T5_P12ihipStream_tbEUlRKfE_EESP_ST_SU_mSV_SY_bEUlT_E_NS1_11comp_targetILNS1_3genE10ELNS1_11target_archE1201ELNS1_3gpuE5ELNS1_3repE0EEENS1_30default_config_static_selectorELNS0_4arch9wavefront6targetE1EEEvSS_,comdat
	.protected	_ZN7rocprim17ROCPRIM_400000_NS6detail17trampoline_kernelINS0_14default_configENS1_27lower_bound_config_selectorIflEEZNS1_14transform_implILb0ES3_S5_N6thrust23THRUST_200600_302600_NS6detail15normal_iteratorINS8_7pointerIfNS8_11hip_rocprim5par_tENS8_11use_defaultESE_EEEENSA_INSB_IlSD_SE_SE_EEEEZNS1_13binary_searchIS3_S5_PfSG_SI_NS1_21lower_bound_search_opENS9_16wrapped_functionI11custom_lessbEEEE10hipError_tPvRmT1_T2_T3_mmT4_T5_P12ihipStream_tbEUlRKfE_EESP_ST_SU_mSV_SY_bEUlT_E_NS1_11comp_targetILNS1_3genE10ELNS1_11target_archE1201ELNS1_3gpuE5ELNS1_3repE0EEENS1_30default_config_static_selectorELNS0_4arch9wavefront6targetE1EEEvSS_ ; -- Begin function _ZN7rocprim17ROCPRIM_400000_NS6detail17trampoline_kernelINS0_14default_configENS1_27lower_bound_config_selectorIflEEZNS1_14transform_implILb0ES3_S5_N6thrust23THRUST_200600_302600_NS6detail15normal_iteratorINS8_7pointerIfNS8_11hip_rocprim5par_tENS8_11use_defaultESE_EEEENSA_INSB_IlSD_SE_SE_EEEEZNS1_13binary_searchIS3_S5_PfSG_SI_NS1_21lower_bound_search_opENS9_16wrapped_functionI11custom_lessbEEEE10hipError_tPvRmT1_T2_T3_mmT4_T5_P12ihipStream_tbEUlRKfE_EESP_ST_SU_mSV_SY_bEUlT_E_NS1_11comp_targetILNS1_3genE10ELNS1_11target_archE1201ELNS1_3gpuE5ELNS1_3repE0EEENS1_30default_config_static_selectorELNS0_4arch9wavefront6targetE1EEEvSS_
	.globl	_ZN7rocprim17ROCPRIM_400000_NS6detail17trampoline_kernelINS0_14default_configENS1_27lower_bound_config_selectorIflEEZNS1_14transform_implILb0ES3_S5_N6thrust23THRUST_200600_302600_NS6detail15normal_iteratorINS8_7pointerIfNS8_11hip_rocprim5par_tENS8_11use_defaultESE_EEEENSA_INSB_IlSD_SE_SE_EEEEZNS1_13binary_searchIS3_S5_PfSG_SI_NS1_21lower_bound_search_opENS9_16wrapped_functionI11custom_lessbEEEE10hipError_tPvRmT1_T2_T3_mmT4_T5_P12ihipStream_tbEUlRKfE_EESP_ST_SU_mSV_SY_bEUlT_E_NS1_11comp_targetILNS1_3genE10ELNS1_11target_archE1201ELNS1_3gpuE5ELNS1_3repE0EEENS1_30default_config_static_selectorELNS0_4arch9wavefront6targetE1EEEvSS_
	.p2align	8
	.type	_ZN7rocprim17ROCPRIM_400000_NS6detail17trampoline_kernelINS0_14default_configENS1_27lower_bound_config_selectorIflEEZNS1_14transform_implILb0ES3_S5_N6thrust23THRUST_200600_302600_NS6detail15normal_iteratorINS8_7pointerIfNS8_11hip_rocprim5par_tENS8_11use_defaultESE_EEEENSA_INSB_IlSD_SE_SE_EEEEZNS1_13binary_searchIS3_S5_PfSG_SI_NS1_21lower_bound_search_opENS9_16wrapped_functionI11custom_lessbEEEE10hipError_tPvRmT1_T2_T3_mmT4_T5_P12ihipStream_tbEUlRKfE_EESP_ST_SU_mSV_SY_bEUlT_E_NS1_11comp_targetILNS1_3genE10ELNS1_11target_archE1201ELNS1_3gpuE5ELNS1_3repE0EEENS1_30default_config_static_selectorELNS0_4arch9wavefront6targetE1EEEvSS_,@function
_ZN7rocprim17ROCPRIM_400000_NS6detail17trampoline_kernelINS0_14default_configENS1_27lower_bound_config_selectorIflEEZNS1_14transform_implILb0ES3_S5_N6thrust23THRUST_200600_302600_NS6detail15normal_iteratorINS8_7pointerIfNS8_11hip_rocprim5par_tENS8_11use_defaultESE_EEEENSA_INSB_IlSD_SE_SE_EEEEZNS1_13binary_searchIS3_S5_PfSG_SI_NS1_21lower_bound_search_opENS9_16wrapped_functionI11custom_lessbEEEE10hipError_tPvRmT1_T2_T3_mmT4_T5_P12ihipStream_tbEUlRKfE_EESP_ST_SU_mSV_SY_bEUlT_E_NS1_11comp_targetILNS1_3genE10ELNS1_11target_archE1201ELNS1_3gpuE5ELNS1_3repE0EEENS1_30default_config_static_selectorELNS0_4arch9wavefront6targetE1EEEvSS_: ; @_ZN7rocprim17ROCPRIM_400000_NS6detail17trampoline_kernelINS0_14default_configENS1_27lower_bound_config_selectorIflEEZNS1_14transform_implILb0ES3_S5_N6thrust23THRUST_200600_302600_NS6detail15normal_iteratorINS8_7pointerIfNS8_11hip_rocprim5par_tENS8_11use_defaultESE_EEEENSA_INSB_IlSD_SE_SE_EEEEZNS1_13binary_searchIS3_S5_PfSG_SI_NS1_21lower_bound_search_opENS9_16wrapped_functionI11custom_lessbEEEE10hipError_tPvRmT1_T2_T3_mmT4_T5_P12ihipStream_tbEUlRKfE_EESP_ST_SU_mSV_SY_bEUlT_E_NS1_11comp_targetILNS1_3genE10ELNS1_11target_archE1201ELNS1_3gpuE5ELNS1_3repE0EEENS1_30default_config_static_selectorELNS0_4arch9wavefront6targetE1EEEvSS_
; %bb.0:
	.section	.rodata,"a",@progbits
	.p2align	6, 0x0
	.amdhsa_kernel _ZN7rocprim17ROCPRIM_400000_NS6detail17trampoline_kernelINS0_14default_configENS1_27lower_bound_config_selectorIflEEZNS1_14transform_implILb0ES3_S5_N6thrust23THRUST_200600_302600_NS6detail15normal_iteratorINS8_7pointerIfNS8_11hip_rocprim5par_tENS8_11use_defaultESE_EEEENSA_INSB_IlSD_SE_SE_EEEEZNS1_13binary_searchIS3_S5_PfSG_SI_NS1_21lower_bound_search_opENS9_16wrapped_functionI11custom_lessbEEEE10hipError_tPvRmT1_T2_T3_mmT4_T5_P12ihipStream_tbEUlRKfE_EESP_ST_SU_mSV_SY_bEUlT_E_NS1_11comp_targetILNS1_3genE10ELNS1_11target_archE1201ELNS1_3gpuE5ELNS1_3repE0EEENS1_30default_config_static_selectorELNS0_4arch9wavefront6targetE1EEEvSS_
		.amdhsa_group_segment_fixed_size 0
		.amdhsa_private_segment_fixed_size 0
		.amdhsa_kernarg_size 56
		.amdhsa_user_sgpr_count 6
		.amdhsa_user_sgpr_private_segment_buffer 1
		.amdhsa_user_sgpr_dispatch_ptr 0
		.amdhsa_user_sgpr_queue_ptr 0
		.amdhsa_user_sgpr_kernarg_segment_ptr 1
		.amdhsa_user_sgpr_dispatch_id 0
		.amdhsa_user_sgpr_flat_scratch_init 0
		.amdhsa_user_sgpr_private_segment_size 0
		.amdhsa_uses_dynamic_stack 0
		.amdhsa_system_sgpr_private_segment_wavefront_offset 0
		.amdhsa_system_sgpr_workgroup_id_x 1
		.amdhsa_system_sgpr_workgroup_id_y 0
		.amdhsa_system_sgpr_workgroup_id_z 0
		.amdhsa_system_sgpr_workgroup_info 0
		.amdhsa_system_vgpr_workitem_id 0
		.amdhsa_next_free_vgpr 1
		.amdhsa_next_free_sgpr 0
		.amdhsa_reserve_vcc 0
		.amdhsa_reserve_flat_scratch 0
		.amdhsa_float_round_mode_32 0
		.amdhsa_float_round_mode_16_64 0
		.amdhsa_float_denorm_mode_32 3
		.amdhsa_float_denorm_mode_16_64 3
		.amdhsa_dx10_clamp 1
		.amdhsa_ieee_mode 1
		.amdhsa_fp16_overflow 0
		.amdhsa_exception_fp_ieee_invalid_op 0
		.amdhsa_exception_fp_denorm_src 0
		.amdhsa_exception_fp_ieee_div_zero 0
		.amdhsa_exception_fp_ieee_overflow 0
		.amdhsa_exception_fp_ieee_underflow 0
		.amdhsa_exception_fp_ieee_inexact 0
		.amdhsa_exception_int_div_zero 0
	.end_amdhsa_kernel
	.section	.text._ZN7rocprim17ROCPRIM_400000_NS6detail17trampoline_kernelINS0_14default_configENS1_27lower_bound_config_selectorIflEEZNS1_14transform_implILb0ES3_S5_N6thrust23THRUST_200600_302600_NS6detail15normal_iteratorINS8_7pointerIfNS8_11hip_rocprim5par_tENS8_11use_defaultESE_EEEENSA_INSB_IlSD_SE_SE_EEEEZNS1_13binary_searchIS3_S5_PfSG_SI_NS1_21lower_bound_search_opENS9_16wrapped_functionI11custom_lessbEEEE10hipError_tPvRmT1_T2_T3_mmT4_T5_P12ihipStream_tbEUlRKfE_EESP_ST_SU_mSV_SY_bEUlT_E_NS1_11comp_targetILNS1_3genE10ELNS1_11target_archE1201ELNS1_3gpuE5ELNS1_3repE0EEENS1_30default_config_static_selectorELNS0_4arch9wavefront6targetE1EEEvSS_,"axG",@progbits,_ZN7rocprim17ROCPRIM_400000_NS6detail17trampoline_kernelINS0_14default_configENS1_27lower_bound_config_selectorIflEEZNS1_14transform_implILb0ES3_S5_N6thrust23THRUST_200600_302600_NS6detail15normal_iteratorINS8_7pointerIfNS8_11hip_rocprim5par_tENS8_11use_defaultESE_EEEENSA_INSB_IlSD_SE_SE_EEEEZNS1_13binary_searchIS3_S5_PfSG_SI_NS1_21lower_bound_search_opENS9_16wrapped_functionI11custom_lessbEEEE10hipError_tPvRmT1_T2_T3_mmT4_T5_P12ihipStream_tbEUlRKfE_EESP_ST_SU_mSV_SY_bEUlT_E_NS1_11comp_targetILNS1_3genE10ELNS1_11target_archE1201ELNS1_3gpuE5ELNS1_3repE0EEENS1_30default_config_static_selectorELNS0_4arch9wavefront6targetE1EEEvSS_,comdat
.Lfunc_end29:
	.size	_ZN7rocprim17ROCPRIM_400000_NS6detail17trampoline_kernelINS0_14default_configENS1_27lower_bound_config_selectorIflEEZNS1_14transform_implILb0ES3_S5_N6thrust23THRUST_200600_302600_NS6detail15normal_iteratorINS8_7pointerIfNS8_11hip_rocprim5par_tENS8_11use_defaultESE_EEEENSA_INSB_IlSD_SE_SE_EEEEZNS1_13binary_searchIS3_S5_PfSG_SI_NS1_21lower_bound_search_opENS9_16wrapped_functionI11custom_lessbEEEE10hipError_tPvRmT1_T2_T3_mmT4_T5_P12ihipStream_tbEUlRKfE_EESP_ST_SU_mSV_SY_bEUlT_E_NS1_11comp_targetILNS1_3genE10ELNS1_11target_archE1201ELNS1_3gpuE5ELNS1_3repE0EEENS1_30default_config_static_selectorELNS0_4arch9wavefront6targetE1EEEvSS_, .Lfunc_end29-_ZN7rocprim17ROCPRIM_400000_NS6detail17trampoline_kernelINS0_14default_configENS1_27lower_bound_config_selectorIflEEZNS1_14transform_implILb0ES3_S5_N6thrust23THRUST_200600_302600_NS6detail15normal_iteratorINS8_7pointerIfNS8_11hip_rocprim5par_tENS8_11use_defaultESE_EEEENSA_INSB_IlSD_SE_SE_EEEEZNS1_13binary_searchIS3_S5_PfSG_SI_NS1_21lower_bound_search_opENS9_16wrapped_functionI11custom_lessbEEEE10hipError_tPvRmT1_T2_T3_mmT4_T5_P12ihipStream_tbEUlRKfE_EESP_ST_SU_mSV_SY_bEUlT_E_NS1_11comp_targetILNS1_3genE10ELNS1_11target_archE1201ELNS1_3gpuE5ELNS1_3repE0EEENS1_30default_config_static_selectorELNS0_4arch9wavefront6targetE1EEEvSS_
                                        ; -- End function
	.set _ZN7rocprim17ROCPRIM_400000_NS6detail17trampoline_kernelINS0_14default_configENS1_27lower_bound_config_selectorIflEEZNS1_14transform_implILb0ES3_S5_N6thrust23THRUST_200600_302600_NS6detail15normal_iteratorINS8_7pointerIfNS8_11hip_rocprim5par_tENS8_11use_defaultESE_EEEENSA_INSB_IlSD_SE_SE_EEEEZNS1_13binary_searchIS3_S5_PfSG_SI_NS1_21lower_bound_search_opENS9_16wrapped_functionI11custom_lessbEEEE10hipError_tPvRmT1_T2_T3_mmT4_T5_P12ihipStream_tbEUlRKfE_EESP_ST_SU_mSV_SY_bEUlT_E_NS1_11comp_targetILNS1_3genE10ELNS1_11target_archE1201ELNS1_3gpuE5ELNS1_3repE0EEENS1_30default_config_static_selectorELNS0_4arch9wavefront6targetE1EEEvSS_.num_vgpr, 0
	.set _ZN7rocprim17ROCPRIM_400000_NS6detail17trampoline_kernelINS0_14default_configENS1_27lower_bound_config_selectorIflEEZNS1_14transform_implILb0ES3_S5_N6thrust23THRUST_200600_302600_NS6detail15normal_iteratorINS8_7pointerIfNS8_11hip_rocprim5par_tENS8_11use_defaultESE_EEEENSA_INSB_IlSD_SE_SE_EEEEZNS1_13binary_searchIS3_S5_PfSG_SI_NS1_21lower_bound_search_opENS9_16wrapped_functionI11custom_lessbEEEE10hipError_tPvRmT1_T2_T3_mmT4_T5_P12ihipStream_tbEUlRKfE_EESP_ST_SU_mSV_SY_bEUlT_E_NS1_11comp_targetILNS1_3genE10ELNS1_11target_archE1201ELNS1_3gpuE5ELNS1_3repE0EEENS1_30default_config_static_selectorELNS0_4arch9wavefront6targetE1EEEvSS_.num_agpr, 0
	.set _ZN7rocprim17ROCPRIM_400000_NS6detail17trampoline_kernelINS0_14default_configENS1_27lower_bound_config_selectorIflEEZNS1_14transform_implILb0ES3_S5_N6thrust23THRUST_200600_302600_NS6detail15normal_iteratorINS8_7pointerIfNS8_11hip_rocprim5par_tENS8_11use_defaultESE_EEEENSA_INSB_IlSD_SE_SE_EEEEZNS1_13binary_searchIS3_S5_PfSG_SI_NS1_21lower_bound_search_opENS9_16wrapped_functionI11custom_lessbEEEE10hipError_tPvRmT1_T2_T3_mmT4_T5_P12ihipStream_tbEUlRKfE_EESP_ST_SU_mSV_SY_bEUlT_E_NS1_11comp_targetILNS1_3genE10ELNS1_11target_archE1201ELNS1_3gpuE5ELNS1_3repE0EEENS1_30default_config_static_selectorELNS0_4arch9wavefront6targetE1EEEvSS_.numbered_sgpr, 0
	.set _ZN7rocprim17ROCPRIM_400000_NS6detail17trampoline_kernelINS0_14default_configENS1_27lower_bound_config_selectorIflEEZNS1_14transform_implILb0ES3_S5_N6thrust23THRUST_200600_302600_NS6detail15normal_iteratorINS8_7pointerIfNS8_11hip_rocprim5par_tENS8_11use_defaultESE_EEEENSA_INSB_IlSD_SE_SE_EEEEZNS1_13binary_searchIS3_S5_PfSG_SI_NS1_21lower_bound_search_opENS9_16wrapped_functionI11custom_lessbEEEE10hipError_tPvRmT1_T2_T3_mmT4_T5_P12ihipStream_tbEUlRKfE_EESP_ST_SU_mSV_SY_bEUlT_E_NS1_11comp_targetILNS1_3genE10ELNS1_11target_archE1201ELNS1_3gpuE5ELNS1_3repE0EEENS1_30default_config_static_selectorELNS0_4arch9wavefront6targetE1EEEvSS_.num_named_barrier, 0
	.set _ZN7rocprim17ROCPRIM_400000_NS6detail17trampoline_kernelINS0_14default_configENS1_27lower_bound_config_selectorIflEEZNS1_14transform_implILb0ES3_S5_N6thrust23THRUST_200600_302600_NS6detail15normal_iteratorINS8_7pointerIfNS8_11hip_rocprim5par_tENS8_11use_defaultESE_EEEENSA_INSB_IlSD_SE_SE_EEEEZNS1_13binary_searchIS3_S5_PfSG_SI_NS1_21lower_bound_search_opENS9_16wrapped_functionI11custom_lessbEEEE10hipError_tPvRmT1_T2_T3_mmT4_T5_P12ihipStream_tbEUlRKfE_EESP_ST_SU_mSV_SY_bEUlT_E_NS1_11comp_targetILNS1_3genE10ELNS1_11target_archE1201ELNS1_3gpuE5ELNS1_3repE0EEENS1_30default_config_static_selectorELNS0_4arch9wavefront6targetE1EEEvSS_.private_seg_size, 0
	.set _ZN7rocprim17ROCPRIM_400000_NS6detail17trampoline_kernelINS0_14default_configENS1_27lower_bound_config_selectorIflEEZNS1_14transform_implILb0ES3_S5_N6thrust23THRUST_200600_302600_NS6detail15normal_iteratorINS8_7pointerIfNS8_11hip_rocprim5par_tENS8_11use_defaultESE_EEEENSA_INSB_IlSD_SE_SE_EEEEZNS1_13binary_searchIS3_S5_PfSG_SI_NS1_21lower_bound_search_opENS9_16wrapped_functionI11custom_lessbEEEE10hipError_tPvRmT1_T2_T3_mmT4_T5_P12ihipStream_tbEUlRKfE_EESP_ST_SU_mSV_SY_bEUlT_E_NS1_11comp_targetILNS1_3genE10ELNS1_11target_archE1201ELNS1_3gpuE5ELNS1_3repE0EEENS1_30default_config_static_selectorELNS0_4arch9wavefront6targetE1EEEvSS_.uses_vcc, 0
	.set _ZN7rocprim17ROCPRIM_400000_NS6detail17trampoline_kernelINS0_14default_configENS1_27lower_bound_config_selectorIflEEZNS1_14transform_implILb0ES3_S5_N6thrust23THRUST_200600_302600_NS6detail15normal_iteratorINS8_7pointerIfNS8_11hip_rocprim5par_tENS8_11use_defaultESE_EEEENSA_INSB_IlSD_SE_SE_EEEEZNS1_13binary_searchIS3_S5_PfSG_SI_NS1_21lower_bound_search_opENS9_16wrapped_functionI11custom_lessbEEEE10hipError_tPvRmT1_T2_T3_mmT4_T5_P12ihipStream_tbEUlRKfE_EESP_ST_SU_mSV_SY_bEUlT_E_NS1_11comp_targetILNS1_3genE10ELNS1_11target_archE1201ELNS1_3gpuE5ELNS1_3repE0EEENS1_30default_config_static_selectorELNS0_4arch9wavefront6targetE1EEEvSS_.uses_flat_scratch, 0
	.set _ZN7rocprim17ROCPRIM_400000_NS6detail17trampoline_kernelINS0_14default_configENS1_27lower_bound_config_selectorIflEEZNS1_14transform_implILb0ES3_S5_N6thrust23THRUST_200600_302600_NS6detail15normal_iteratorINS8_7pointerIfNS8_11hip_rocprim5par_tENS8_11use_defaultESE_EEEENSA_INSB_IlSD_SE_SE_EEEEZNS1_13binary_searchIS3_S5_PfSG_SI_NS1_21lower_bound_search_opENS9_16wrapped_functionI11custom_lessbEEEE10hipError_tPvRmT1_T2_T3_mmT4_T5_P12ihipStream_tbEUlRKfE_EESP_ST_SU_mSV_SY_bEUlT_E_NS1_11comp_targetILNS1_3genE10ELNS1_11target_archE1201ELNS1_3gpuE5ELNS1_3repE0EEENS1_30default_config_static_selectorELNS0_4arch9wavefront6targetE1EEEvSS_.has_dyn_sized_stack, 0
	.set _ZN7rocprim17ROCPRIM_400000_NS6detail17trampoline_kernelINS0_14default_configENS1_27lower_bound_config_selectorIflEEZNS1_14transform_implILb0ES3_S5_N6thrust23THRUST_200600_302600_NS6detail15normal_iteratorINS8_7pointerIfNS8_11hip_rocprim5par_tENS8_11use_defaultESE_EEEENSA_INSB_IlSD_SE_SE_EEEEZNS1_13binary_searchIS3_S5_PfSG_SI_NS1_21lower_bound_search_opENS9_16wrapped_functionI11custom_lessbEEEE10hipError_tPvRmT1_T2_T3_mmT4_T5_P12ihipStream_tbEUlRKfE_EESP_ST_SU_mSV_SY_bEUlT_E_NS1_11comp_targetILNS1_3genE10ELNS1_11target_archE1201ELNS1_3gpuE5ELNS1_3repE0EEENS1_30default_config_static_selectorELNS0_4arch9wavefront6targetE1EEEvSS_.has_recursion, 0
	.set _ZN7rocprim17ROCPRIM_400000_NS6detail17trampoline_kernelINS0_14default_configENS1_27lower_bound_config_selectorIflEEZNS1_14transform_implILb0ES3_S5_N6thrust23THRUST_200600_302600_NS6detail15normal_iteratorINS8_7pointerIfNS8_11hip_rocprim5par_tENS8_11use_defaultESE_EEEENSA_INSB_IlSD_SE_SE_EEEEZNS1_13binary_searchIS3_S5_PfSG_SI_NS1_21lower_bound_search_opENS9_16wrapped_functionI11custom_lessbEEEE10hipError_tPvRmT1_T2_T3_mmT4_T5_P12ihipStream_tbEUlRKfE_EESP_ST_SU_mSV_SY_bEUlT_E_NS1_11comp_targetILNS1_3genE10ELNS1_11target_archE1201ELNS1_3gpuE5ELNS1_3repE0EEENS1_30default_config_static_selectorELNS0_4arch9wavefront6targetE1EEEvSS_.has_indirect_call, 0
	.section	.AMDGPU.csdata,"",@progbits
; Kernel info:
; codeLenInByte = 0
; TotalNumSgprs: 4
; NumVgprs: 0
; ScratchSize: 0
; MemoryBound: 0
; FloatMode: 240
; IeeeMode: 1
; LDSByteSize: 0 bytes/workgroup (compile time only)
; SGPRBlocks: 0
; VGPRBlocks: 0
; NumSGPRsForWavesPerEU: 4
; NumVGPRsForWavesPerEU: 1
; Occupancy: 10
; WaveLimiterHint : 0
; COMPUTE_PGM_RSRC2:SCRATCH_EN: 0
; COMPUTE_PGM_RSRC2:USER_SGPR: 6
; COMPUTE_PGM_RSRC2:TRAP_HANDLER: 0
; COMPUTE_PGM_RSRC2:TGID_X_EN: 1
; COMPUTE_PGM_RSRC2:TGID_Y_EN: 0
; COMPUTE_PGM_RSRC2:TGID_Z_EN: 0
; COMPUTE_PGM_RSRC2:TIDIG_COMP_CNT: 0
	.section	.text._ZN7rocprim17ROCPRIM_400000_NS6detail17trampoline_kernelINS0_14default_configENS1_27lower_bound_config_selectorIflEEZNS1_14transform_implILb0ES3_S5_N6thrust23THRUST_200600_302600_NS6detail15normal_iteratorINS8_7pointerIfNS8_11hip_rocprim5par_tENS8_11use_defaultESE_EEEENSA_INSB_IlSD_SE_SE_EEEEZNS1_13binary_searchIS3_S5_PfSG_SI_NS1_21lower_bound_search_opENS9_16wrapped_functionI11custom_lessbEEEE10hipError_tPvRmT1_T2_T3_mmT4_T5_P12ihipStream_tbEUlRKfE_EESP_ST_SU_mSV_SY_bEUlT_E_NS1_11comp_targetILNS1_3genE10ELNS1_11target_archE1200ELNS1_3gpuE4ELNS1_3repE0EEENS1_30default_config_static_selectorELNS0_4arch9wavefront6targetE1EEEvSS_,"axG",@progbits,_ZN7rocprim17ROCPRIM_400000_NS6detail17trampoline_kernelINS0_14default_configENS1_27lower_bound_config_selectorIflEEZNS1_14transform_implILb0ES3_S5_N6thrust23THRUST_200600_302600_NS6detail15normal_iteratorINS8_7pointerIfNS8_11hip_rocprim5par_tENS8_11use_defaultESE_EEEENSA_INSB_IlSD_SE_SE_EEEEZNS1_13binary_searchIS3_S5_PfSG_SI_NS1_21lower_bound_search_opENS9_16wrapped_functionI11custom_lessbEEEE10hipError_tPvRmT1_T2_T3_mmT4_T5_P12ihipStream_tbEUlRKfE_EESP_ST_SU_mSV_SY_bEUlT_E_NS1_11comp_targetILNS1_3genE10ELNS1_11target_archE1200ELNS1_3gpuE4ELNS1_3repE0EEENS1_30default_config_static_selectorELNS0_4arch9wavefront6targetE1EEEvSS_,comdat
	.protected	_ZN7rocprim17ROCPRIM_400000_NS6detail17trampoline_kernelINS0_14default_configENS1_27lower_bound_config_selectorIflEEZNS1_14transform_implILb0ES3_S5_N6thrust23THRUST_200600_302600_NS6detail15normal_iteratorINS8_7pointerIfNS8_11hip_rocprim5par_tENS8_11use_defaultESE_EEEENSA_INSB_IlSD_SE_SE_EEEEZNS1_13binary_searchIS3_S5_PfSG_SI_NS1_21lower_bound_search_opENS9_16wrapped_functionI11custom_lessbEEEE10hipError_tPvRmT1_T2_T3_mmT4_T5_P12ihipStream_tbEUlRKfE_EESP_ST_SU_mSV_SY_bEUlT_E_NS1_11comp_targetILNS1_3genE10ELNS1_11target_archE1200ELNS1_3gpuE4ELNS1_3repE0EEENS1_30default_config_static_selectorELNS0_4arch9wavefront6targetE1EEEvSS_ ; -- Begin function _ZN7rocprim17ROCPRIM_400000_NS6detail17trampoline_kernelINS0_14default_configENS1_27lower_bound_config_selectorIflEEZNS1_14transform_implILb0ES3_S5_N6thrust23THRUST_200600_302600_NS6detail15normal_iteratorINS8_7pointerIfNS8_11hip_rocprim5par_tENS8_11use_defaultESE_EEEENSA_INSB_IlSD_SE_SE_EEEEZNS1_13binary_searchIS3_S5_PfSG_SI_NS1_21lower_bound_search_opENS9_16wrapped_functionI11custom_lessbEEEE10hipError_tPvRmT1_T2_T3_mmT4_T5_P12ihipStream_tbEUlRKfE_EESP_ST_SU_mSV_SY_bEUlT_E_NS1_11comp_targetILNS1_3genE10ELNS1_11target_archE1200ELNS1_3gpuE4ELNS1_3repE0EEENS1_30default_config_static_selectorELNS0_4arch9wavefront6targetE1EEEvSS_
	.globl	_ZN7rocprim17ROCPRIM_400000_NS6detail17trampoline_kernelINS0_14default_configENS1_27lower_bound_config_selectorIflEEZNS1_14transform_implILb0ES3_S5_N6thrust23THRUST_200600_302600_NS6detail15normal_iteratorINS8_7pointerIfNS8_11hip_rocprim5par_tENS8_11use_defaultESE_EEEENSA_INSB_IlSD_SE_SE_EEEEZNS1_13binary_searchIS3_S5_PfSG_SI_NS1_21lower_bound_search_opENS9_16wrapped_functionI11custom_lessbEEEE10hipError_tPvRmT1_T2_T3_mmT4_T5_P12ihipStream_tbEUlRKfE_EESP_ST_SU_mSV_SY_bEUlT_E_NS1_11comp_targetILNS1_3genE10ELNS1_11target_archE1200ELNS1_3gpuE4ELNS1_3repE0EEENS1_30default_config_static_selectorELNS0_4arch9wavefront6targetE1EEEvSS_
	.p2align	8
	.type	_ZN7rocprim17ROCPRIM_400000_NS6detail17trampoline_kernelINS0_14default_configENS1_27lower_bound_config_selectorIflEEZNS1_14transform_implILb0ES3_S5_N6thrust23THRUST_200600_302600_NS6detail15normal_iteratorINS8_7pointerIfNS8_11hip_rocprim5par_tENS8_11use_defaultESE_EEEENSA_INSB_IlSD_SE_SE_EEEEZNS1_13binary_searchIS3_S5_PfSG_SI_NS1_21lower_bound_search_opENS9_16wrapped_functionI11custom_lessbEEEE10hipError_tPvRmT1_T2_T3_mmT4_T5_P12ihipStream_tbEUlRKfE_EESP_ST_SU_mSV_SY_bEUlT_E_NS1_11comp_targetILNS1_3genE10ELNS1_11target_archE1200ELNS1_3gpuE4ELNS1_3repE0EEENS1_30default_config_static_selectorELNS0_4arch9wavefront6targetE1EEEvSS_,@function
_ZN7rocprim17ROCPRIM_400000_NS6detail17trampoline_kernelINS0_14default_configENS1_27lower_bound_config_selectorIflEEZNS1_14transform_implILb0ES3_S5_N6thrust23THRUST_200600_302600_NS6detail15normal_iteratorINS8_7pointerIfNS8_11hip_rocprim5par_tENS8_11use_defaultESE_EEEENSA_INSB_IlSD_SE_SE_EEEEZNS1_13binary_searchIS3_S5_PfSG_SI_NS1_21lower_bound_search_opENS9_16wrapped_functionI11custom_lessbEEEE10hipError_tPvRmT1_T2_T3_mmT4_T5_P12ihipStream_tbEUlRKfE_EESP_ST_SU_mSV_SY_bEUlT_E_NS1_11comp_targetILNS1_3genE10ELNS1_11target_archE1200ELNS1_3gpuE4ELNS1_3repE0EEENS1_30default_config_static_selectorELNS0_4arch9wavefront6targetE1EEEvSS_: ; @_ZN7rocprim17ROCPRIM_400000_NS6detail17trampoline_kernelINS0_14default_configENS1_27lower_bound_config_selectorIflEEZNS1_14transform_implILb0ES3_S5_N6thrust23THRUST_200600_302600_NS6detail15normal_iteratorINS8_7pointerIfNS8_11hip_rocprim5par_tENS8_11use_defaultESE_EEEENSA_INSB_IlSD_SE_SE_EEEEZNS1_13binary_searchIS3_S5_PfSG_SI_NS1_21lower_bound_search_opENS9_16wrapped_functionI11custom_lessbEEEE10hipError_tPvRmT1_T2_T3_mmT4_T5_P12ihipStream_tbEUlRKfE_EESP_ST_SU_mSV_SY_bEUlT_E_NS1_11comp_targetILNS1_3genE10ELNS1_11target_archE1200ELNS1_3gpuE4ELNS1_3repE0EEENS1_30default_config_static_selectorELNS0_4arch9wavefront6targetE1EEEvSS_
; %bb.0:
	.section	.rodata,"a",@progbits
	.p2align	6, 0x0
	.amdhsa_kernel _ZN7rocprim17ROCPRIM_400000_NS6detail17trampoline_kernelINS0_14default_configENS1_27lower_bound_config_selectorIflEEZNS1_14transform_implILb0ES3_S5_N6thrust23THRUST_200600_302600_NS6detail15normal_iteratorINS8_7pointerIfNS8_11hip_rocprim5par_tENS8_11use_defaultESE_EEEENSA_INSB_IlSD_SE_SE_EEEEZNS1_13binary_searchIS3_S5_PfSG_SI_NS1_21lower_bound_search_opENS9_16wrapped_functionI11custom_lessbEEEE10hipError_tPvRmT1_T2_T3_mmT4_T5_P12ihipStream_tbEUlRKfE_EESP_ST_SU_mSV_SY_bEUlT_E_NS1_11comp_targetILNS1_3genE10ELNS1_11target_archE1200ELNS1_3gpuE4ELNS1_3repE0EEENS1_30default_config_static_selectorELNS0_4arch9wavefront6targetE1EEEvSS_
		.amdhsa_group_segment_fixed_size 0
		.amdhsa_private_segment_fixed_size 0
		.amdhsa_kernarg_size 56
		.amdhsa_user_sgpr_count 6
		.amdhsa_user_sgpr_private_segment_buffer 1
		.amdhsa_user_sgpr_dispatch_ptr 0
		.amdhsa_user_sgpr_queue_ptr 0
		.amdhsa_user_sgpr_kernarg_segment_ptr 1
		.amdhsa_user_sgpr_dispatch_id 0
		.amdhsa_user_sgpr_flat_scratch_init 0
		.amdhsa_user_sgpr_private_segment_size 0
		.amdhsa_uses_dynamic_stack 0
		.amdhsa_system_sgpr_private_segment_wavefront_offset 0
		.amdhsa_system_sgpr_workgroup_id_x 1
		.amdhsa_system_sgpr_workgroup_id_y 0
		.amdhsa_system_sgpr_workgroup_id_z 0
		.amdhsa_system_sgpr_workgroup_info 0
		.amdhsa_system_vgpr_workitem_id 0
		.amdhsa_next_free_vgpr 1
		.amdhsa_next_free_sgpr 0
		.amdhsa_reserve_vcc 0
		.amdhsa_reserve_flat_scratch 0
		.amdhsa_float_round_mode_32 0
		.amdhsa_float_round_mode_16_64 0
		.amdhsa_float_denorm_mode_32 3
		.amdhsa_float_denorm_mode_16_64 3
		.amdhsa_dx10_clamp 1
		.amdhsa_ieee_mode 1
		.amdhsa_fp16_overflow 0
		.amdhsa_exception_fp_ieee_invalid_op 0
		.amdhsa_exception_fp_denorm_src 0
		.amdhsa_exception_fp_ieee_div_zero 0
		.amdhsa_exception_fp_ieee_overflow 0
		.amdhsa_exception_fp_ieee_underflow 0
		.amdhsa_exception_fp_ieee_inexact 0
		.amdhsa_exception_int_div_zero 0
	.end_amdhsa_kernel
	.section	.text._ZN7rocprim17ROCPRIM_400000_NS6detail17trampoline_kernelINS0_14default_configENS1_27lower_bound_config_selectorIflEEZNS1_14transform_implILb0ES3_S5_N6thrust23THRUST_200600_302600_NS6detail15normal_iteratorINS8_7pointerIfNS8_11hip_rocprim5par_tENS8_11use_defaultESE_EEEENSA_INSB_IlSD_SE_SE_EEEEZNS1_13binary_searchIS3_S5_PfSG_SI_NS1_21lower_bound_search_opENS9_16wrapped_functionI11custom_lessbEEEE10hipError_tPvRmT1_T2_T3_mmT4_T5_P12ihipStream_tbEUlRKfE_EESP_ST_SU_mSV_SY_bEUlT_E_NS1_11comp_targetILNS1_3genE10ELNS1_11target_archE1200ELNS1_3gpuE4ELNS1_3repE0EEENS1_30default_config_static_selectorELNS0_4arch9wavefront6targetE1EEEvSS_,"axG",@progbits,_ZN7rocprim17ROCPRIM_400000_NS6detail17trampoline_kernelINS0_14default_configENS1_27lower_bound_config_selectorIflEEZNS1_14transform_implILb0ES3_S5_N6thrust23THRUST_200600_302600_NS6detail15normal_iteratorINS8_7pointerIfNS8_11hip_rocprim5par_tENS8_11use_defaultESE_EEEENSA_INSB_IlSD_SE_SE_EEEEZNS1_13binary_searchIS3_S5_PfSG_SI_NS1_21lower_bound_search_opENS9_16wrapped_functionI11custom_lessbEEEE10hipError_tPvRmT1_T2_T3_mmT4_T5_P12ihipStream_tbEUlRKfE_EESP_ST_SU_mSV_SY_bEUlT_E_NS1_11comp_targetILNS1_3genE10ELNS1_11target_archE1200ELNS1_3gpuE4ELNS1_3repE0EEENS1_30default_config_static_selectorELNS0_4arch9wavefront6targetE1EEEvSS_,comdat
.Lfunc_end30:
	.size	_ZN7rocprim17ROCPRIM_400000_NS6detail17trampoline_kernelINS0_14default_configENS1_27lower_bound_config_selectorIflEEZNS1_14transform_implILb0ES3_S5_N6thrust23THRUST_200600_302600_NS6detail15normal_iteratorINS8_7pointerIfNS8_11hip_rocprim5par_tENS8_11use_defaultESE_EEEENSA_INSB_IlSD_SE_SE_EEEEZNS1_13binary_searchIS3_S5_PfSG_SI_NS1_21lower_bound_search_opENS9_16wrapped_functionI11custom_lessbEEEE10hipError_tPvRmT1_T2_T3_mmT4_T5_P12ihipStream_tbEUlRKfE_EESP_ST_SU_mSV_SY_bEUlT_E_NS1_11comp_targetILNS1_3genE10ELNS1_11target_archE1200ELNS1_3gpuE4ELNS1_3repE0EEENS1_30default_config_static_selectorELNS0_4arch9wavefront6targetE1EEEvSS_, .Lfunc_end30-_ZN7rocprim17ROCPRIM_400000_NS6detail17trampoline_kernelINS0_14default_configENS1_27lower_bound_config_selectorIflEEZNS1_14transform_implILb0ES3_S5_N6thrust23THRUST_200600_302600_NS6detail15normal_iteratorINS8_7pointerIfNS8_11hip_rocprim5par_tENS8_11use_defaultESE_EEEENSA_INSB_IlSD_SE_SE_EEEEZNS1_13binary_searchIS3_S5_PfSG_SI_NS1_21lower_bound_search_opENS9_16wrapped_functionI11custom_lessbEEEE10hipError_tPvRmT1_T2_T3_mmT4_T5_P12ihipStream_tbEUlRKfE_EESP_ST_SU_mSV_SY_bEUlT_E_NS1_11comp_targetILNS1_3genE10ELNS1_11target_archE1200ELNS1_3gpuE4ELNS1_3repE0EEENS1_30default_config_static_selectorELNS0_4arch9wavefront6targetE1EEEvSS_
                                        ; -- End function
	.set _ZN7rocprim17ROCPRIM_400000_NS6detail17trampoline_kernelINS0_14default_configENS1_27lower_bound_config_selectorIflEEZNS1_14transform_implILb0ES3_S5_N6thrust23THRUST_200600_302600_NS6detail15normal_iteratorINS8_7pointerIfNS8_11hip_rocprim5par_tENS8_11use_defaultESE_EEEENSA_INSB_IlSD_SE_SE_EEEEZNS1_13binary_searchIS3_S5_PfSG_SI_NS1_21lower_bound_search_opENS9_16wrapped_functionI11custom_lessbEEEE10hipError_tPvRmT1_T2_T3_mmT4_T5_P12ihipStream_tbEUlRKfE_EESP_ST_SU_mSV_SY_bEUlT_E_NS1_11comp_targetILNS1_3genE10ELNS1_11target_archE1200ELNS1_3gpuE4ELNS1_3repE0EEENS1_30default_config_static_selectorELNS0_4arch9wavefront6targetE1EEEvSS_.num_vgpr, 0
	.set _ZN7rocprim17ROCPRIM_400000_NS6detail17trampoline_kernelINS0_14default_configENS1_27lower_bound_config_selectorIflEEZNS1_14transform_implILb0ES3_S5_N6thrust23THRUST_200600_302600_NS6detail15normal_iteratorINS8_7pointerIfNS8_11hip_rocprim5par_tENS8_11use_defaultESE_EEEENSA_INSB_IlSD_SE_SE_EEEEZNS1_13binary_searchIS3_S5_PfSG_SI_NS1_21lower_bound_search_opENS9_16wrapped_functionI11custom_lessbEEEE10hipError_tPvRmT1_T2_T3_mmT4_T5_P12ihipStream_tbEUlRKfE_EESP_ST_SU_mSV_SY_bEUlT_E_NS1_11comp_targetILNS1_3genE10ELNS1_11target_archE1200ELNS1_3gpuE4ELNS1_3repE0EEENS1_30default_config_static_selectorELNS0_4arch9wavefront6targetE1EEEvSS_.num_agpr, 0
	.set _ZN7rocprim17ROCPRIM_400000_NS6detail17trampoline_kernelINS0_14default_configENS1_27lower_bound_config_selectorIflEEZNS1_14transform_implILb0ES3_S5_N6thrust23THRUST_200600_302600_NS6detail15normal_iteratorINS8_7pointerIfNS8_11hip_rocprim5par_tENS8_11use_defaultESE_EEEENSA_INSB_IlSD_SE_SE_EEEEZNS1_13binary_searchIS3_S5_PfSG_SI_NS1_21lower_bound_search_opENS9_16wrapped_functionI11custom_lessbEEEE10hipError_tPvRmT1_T2_T3_mmT4_T5_P12ihipStream_tbEUlRKfE_EESP_ST_SU_mSV_SY_bEUlT_E_NS1_11comp_targetILNS1_3genE10ELNS1_11target_archE1200ELNS1_3gpuE4ELNS1_3repE0EEENS1_30default_config_static_selectorELNS0_4arch9wavefront6targetE1EEEvSS_.numbered_sgpr, 0
	.set _ZN7rocprim17ROCPRIM_400000_NS6detail17trampoline_kernelINS0_14default_configENS1_27lower_bound_config_selectorIflEEZNS1_14transform_implILb0ES3_S5_N6thrust23THRUST_200600_302600_NS6detail15normal_iteratorINS8_7pointerIfNS8_11hip_rocprim5par_tENS8_11use_defaultESE_EEEENSA_INSB_IlSD_SE_SE_EEEEZNS1_13binary_searchIS3_S5_PfSG_SI_NS1_21lower_bound_search_opENS9_16wrapped_functionI11custom_lessbEEEE10hipError_tPvRmT1_T2_T3_mmT4_T5_P12ihipStream_tbEUlRKfE_EESP_ST_SU_mSV_SY_bEUlT_E_NS1_11comp_targetILNS1_3genE10ELNS1_11target_archE1200ELNS1_3gpuE4ELNS1_3repE0EEENS1_30default_config_static_selectorELNS0_4arch9wavefront6targetE1EEEvSS_.num_named_barrier, 0
	.set _ZN7rocprim17ROCPRIM_400000_NS6detail17trampoline_kernelINS0_14default_configENS1_27lower_bound_config_selectorIflEEZNS1_14transform_implILb0ES3_S5_N6thrust23THRUST_200600_302600_NS6detail15normal_iteratorINS8_7pointerIfNS8_11hip_rocprim5par_tENS8_11use_defaultESE_EEEENSA_INSB_IlSD_SE_SE_EEEEZNS1_13binary_searchIS3_S5_PfSG_SI_NS1_21lower_bound_search_opENS9_16wrapped_functionI11custom_lessbEEEE10hipError_tPvRmT1_T2_T3_mmT4_T5_P12ihipStream_tbEUlRKfE_EESP_ST_SU_mSV_SY_bEUlT_E_NS1_11comp_targetILNS1_3genE10ELNS1_11target_archE1200ELNS1_3gpuE4ELNS1_3repE0EEENS1_30default_config_static_selectorELNS0_4arch9wavefront6targetE1EEEvSS_.private_seg_size, 0
	.set _ZN7rocprim17ROCPRIM_400000_NS6detail17trampoline_kernelINS0_14default_configENS1_27lower_bound_config_selectorIflEEZNS1_14transform_implILb0ES3_S5_N6thrust23THRUST_200600_302600_NS6detail15normal_iteratorINS8_7pointerIfNS8_11hip_rocprim5par_tENS8_11use_defaultESE_EEEENSA_INSB_IlSD_SE_SE_EEEEZNS1_13binary_searchIS3_S5_PfSG_SI_NS1_21lower_bound_search_opENS9_16wrapped_functionI11custom_lessbEEEE10hipError_tPvRmT1_T2_T3_mmT4_T5_P12ihipStream_tbEUlRKfE_EESP_ST_SU_mSV_SY_bEUlT_E_NS1_11comp_targetILNS1_3genE10ELNS1_11target_archE1200ELNS1_3gpuE4ELNS1_3repE0EEENS1_30default_config_static_selectorELNS0_4arch9wavefront6targetE1EEEvSS_.uses_vcc, 0
	.set _ZN7rocprim17ROCPRIM_400000_NS6detail17trampoline_kernelINS0_14default_configENS1_27lower_bound_config_selectorIflEEZNS1_14transform_implILb0ES3_S5_N6thrust23THRUST_200600_302600_NS6detail15normal_iteratorINS8_7pointerIfNS8_11hip_rocprim5par_tENS8_11use_defaultESE_EEEENSA_INSB_IlSD_SE_SE_EEEEZNS1_13binary_searchIS3_S5_PfSG_SI_NS1_21lower_bound_search_opENS9_16wrapped_functionI11custom_lessbEEEE10hipError_tPvRmT1_T2_T3_mmT4_T5_P12ihipStream_tbEUlRKfE_EESP_ST_SU_mSV_SY_bEUlT_E_NS1_11comp_targetILNS1_3genE10ELNS1_11target_archE1200ELNS1_3gpuE4ELNS1_3repE0EEENS1_30default_config_static_selectorELNS0_4arch9wavefront6targetE1EEEvSS_.uses_flat_scratch, 0
	.set _ZN7rocprim17ROCPRIM_400000_NS6detail17trampoline_kernelINS0_14default_configENS1_27lower_bound_config_selectorIflEEZNS1_14transform_implILb0ES3_S5_N6thrust23THRUST_200600_302600_NS6detail15normal_iteratorINS8_7pointerIfNS8_11hip_rocprim5par_tENS8_11use_defaultESE_EEEENSA_INSB_IlSD_SE_SE_EEEEZNS1_13binary_searchIS3_S5_PfSG_SI_NS1_21lower_bound_search_opENS9_16wrapped_functionI11custom_lessbEEEE10hipError_tPvRmT1_T2_T3_mmT4_T5_P12ihipStream_tbEUlRKfE_EESP_ST_SU_mSV_SY_bEUlT_E_NS1_11comp_targetILNS1_3genE10ELNS1_11target_archE1200ELNS1_3gpuE4ELNS1_3repE0EEENS1_30default_config_static_selectorELNS0_4arch9wavefront6targetE1EEEvSS_.has_dyn_sized_stack, 0
	.set _ZN7rocprim17ROCPRIM_400000_NS6detail17trampoline_kernelINS0_14default_configENS1_27lower_bound_config_selectorIflEEZNS1_14transform_implILb0ES3_S5_N6thrust23THRUST_200600_302600_NS6detail15normal_iteratorINS8_7pointerIfNS8_11hip_rocprim5par_tENS8_11use_defaultESE_EEEENSA_INSB_IlSD_SE_SE_EEEEZNS1_13binary_searchIS3_S5_PfSG_SI_NS1_21lower_bound_search_opENS9_16wrapped_functionI11custom_lessbEEEE10hipError_tPvRmT1_T2_T3_mmT4_T5_P12ihipStream_tbEUlRKfE_EESP_ST_SU_mSV_SY_bEUlT_E_NS1_11comp_targetILNS1_3genE10ELNS1_11target_archE1200ELNS1_3gpuE4ELNS1_3repE0EEENS1_30default_config_static_selectorELNS0_4arch9wavefront6targetE1EEEvSS_.has_recursion, 0
	.set _ZN7rocprim17ROCPRIM_400000_NS6detail17trampoline_kernelINS0_14default_configENS1_27lower_bound_config_selectorIflEEZNS1_14transform_implILb0ES3_S5_N6thrust23THRUST_200600_302600_NS6detail15normal_iteratorINS8_7pointerIfNS8_11hip_rocprim5par_tENS8_11use_defaultESE_EEEENSA_INSB_IlSD_SE_SE_EEEEZNS1_13binary_searchIS3_S5_PfSG_SI_NS1_21lower_bound_search_opENS9_16wrapped_functionI11custom_lessbEEEE10hipError_tPvRmT1_T2_T3_mmT4_T5_P12ihipStream_tbEUlRKfE_EESP_ST_SU_mSV_SY_bEUlT_E_NS1_11comp_targetILNS1_3genE10ELNS1_11target_archE1200ELNS1_3gpuE4ELNS1_3repE0EEENS1_30default_config_static_selectorELNS0_4arch9wavefront6targetE1EEEvSS_.has_indirect_call, 0
	.section	.AMDGPU.csdata,"",@progbits
; Kernel info:
; codeLenInByte = 0
; TotalNumSgprs: 4
; NumVgprs: 0
; ScratchSize: 0
; MemoryBound: 0
; FloatMode: 240
; IeeeMode: 1
; LDSByteSize: 0 bytes/workgroup (compile time only)
; SGPRBlocks: 0
; VGPRBlocks: 0
; NumSGPRsForWavesPerEU: 4
; NumVGPRsForWavesPerEU: 1
; Occupancy: 10
; WaveLimiterHint : 0
; COMPUTE_PGM_RSRC2:SCRATCH_EN: 0
; COMPUTE_PGM_RSRC2:USER_SGPR: 6
; COMPUTE_PGM_RSRC2:TRAP_HANDLER: 0
; COMPUTE_PGM_RSRC2:TGID_X_EN: 1
; COMPUTE_PGM_RSRC2:TGID_Y_EN: 0
; COMPUTE_PGM_RSRC2:TGID_Z_EN: 0
; COMPUTE_PGM_RSRC2:TIDIG_COMP_CNT: 0
	.section	.text._ZN7rocprim17ROCPRIM_400000_NS6detail17trampoline_kernelINS0_14default_configENS1_27lower_bound_config_selectorIflEEZNS1_14transform_implILb0ES3_S5_N6thrust23THRUST_200600_302600_NS6detail15normal_iteratorINS8_7pointerIfNS8_11hip_rocprim5par_tENS8_11use_defaultESE_EEEENSA_INSB_IlSD_SE_SE_EEEEZNS1_13binary_searchIS3_S5_PfSG_SI_NS1_21lower_bound_search_opENS9_16wrapped_functionI11custom_lessbEEEE10hipError_tPvRmT1_T2_T3_mmT4_T5_P12ihipStream_tbEUlRKfE_EESP_ST_SU_mSV_SY_bEUlT_E_NS1_11comp_targetILNS1_3genE9ELNS1_11target_archE1100ELNS1_3gpuE3ELNS1_3repE0EEENS1_30default_config_static_selectorELNS0_4arch9wavefront6targetE1EEEvSS_,"axG",@progbits,_ZN7rocprim17ROCPRIM_400000_NS6detail17trampoline_kernelINS0_14default_configENS1_27lower_bound_config_selectorIflEEZNS1_14transform_implILb0ES3_S5_N6thrust23THRUST_200600_302600_NS6detail15normal_iteratorINS8_7pointerIfNS8_11hip_rocprim5par_tENS8_11use_defaultESE_EEEENSA_INSB_IlSD_SE_SE_EEEEZNS1_13binary_searchIS3_S5_PfSG_SI_NS1_21lower_bound_search_opENS9_16wrapped_functionI11custom_lessbEEEE10hipError_tPvRmT1_T2_T3_mmT4_T5_P12ihipStream_tbEUlRKfE_EESP_ST_SU_mSV_SY_bEUlT_E_NS1_11comp_targetILNS1_3genE9ELNS1_11target_archE1100ELNS1_3gpuE3ELNS1_3repE0EEENS1_30default_config_static_selectorELNS0_4arch9wavefront6targetE1EEEvSS_,comdat
	.protected	_ZN7rocprim17ROCPRIM_400000_NS6detail17trampoline_kernelINS0_14default_configENS1_27lower_bound_config_selectorIflEEZNS1_14transform_implILb0ES3_S5_N6thrust23THRUST_200600_302600_NS6detail15normal_iteratorINS8_7pointerIfNS8_11hip_rocprim5par_tENS8_11use_defaultESE_EEEENSA_INSB_IlSD_SE_SE_EEEEZNS1_13binary_searchIS3_S5_PfSG_SI_NS1_21lower_bound_search_opENS9_16wrapped_functionI11custom_lessbEEEE10hipError_tPvRmT1_T2_T3_mmT4_T5_P12ihipStream_tbEUlRKfE_EESP_ST_SU_mSV_SY_bEUlT_E_NS1_11comp_targetILNS1_3genE9ELNS1_11target_archE1100ELNS1_3gpuE3ELNS1_3repE0EEENS1_30default_config_static_selectorELNS0_4arch9wavefront6targetE1EEEvSS_ ; -- Begin function _ZN7rocprim17ROCPRIM_400000_NS6detail17trampoline_kernelINS0_14default_configENS1_27lower_bound_config_selectorIflEEZNS1_14transform_implILb0ES3_S5_N6thrust23THRUST_200600_302600_NS6detail15normal_iteratorINS8_7pointerIfNS8_11hip_rocprim5par_tENS8_11use_defaultESE_EEEENSA_INSB_IlSD_SE_SE_EEEEZNS1_13binary_searchIS3_S5_PfSG_SI_NS1_21lower_bound_search_opENS9_16wrapped_functionI11custom_lessbEEEE10hipError_tPvRmT1_T2_T3_mmT4_T5_P12ihipStream_tbEUlRKfE_EESP_ST_SU_mSV_SY_bEUlT_E_NS1_11comp_targetILNS1_3genE9ELNS1_11target_archE1100ELNS1_3gpuE3ELNS1_3repE0EEENS1_30default_config_static_selectorELNS0_4arch9wavefront6targetE1EEEvSS_
	.globl	_ZN7rocprim17ROCPRIM_400000_NS6detail17trampoline_kernelINS0_14default_configENS1_27lower_bound_config_selectorIflEEZNS1_14transform_implILb0ES3_S5_N6thrust23THRUST_200600_302600_NS6detail15normal_iteratorINS8_7pointerIfNS8_11hip_rocprim5par_tENS8_11use_defaultESE_EEEENSA_INSB_IlSD_SE_SE_EEEEZNS1_13binary_searchIS3_S5_PfSG_SI_NS1_21lower_bound_search_opENS9_16wrapped_functionI11custom_lessbEEEE10hipError_tPvRmT1_T2_T3_mmT4_T5_P12ihipStream_tbEUlRKfE_EESP_ST_SU_mSV_SY_bEUlT_E_NS1_11comp_targetILNS1_3genE9ELNS1_11target_archE1100ELNS1_3gpuE3ELNS1_3repE0EEENS1_30default_config_static_selectorELNS0_4arch9wavefront6targetE1EEEvSS_
	.p2align	8
	.type	_ZN7rocprim17ROCPRIM_400000_NS6detail17trampoline_kernelINS0_14default_configENS1_27lower_bound_config_selectorIflEEZNS1_14transform_implILb0ES3_S5_N6thrust23THRUST_200600_302600_NS6detail15normal_iteratorINS8_7pointerIfNS8_11hip_rocprim5par_tENS8_11use_defaultESE_EEEENSA_INSB_IlSD_SE_SE_EEEEZNS1_13binary_searchIS3_S5_PfSG_SI_NS1_21lower_bound_search_opENS9_16wrapped_functionI11custom_lessbEEEE10hipError_tPvRmT1_T2_T3_mmT4_T5_P12ihipStream_tbEUlRKfE_EESP_ST_SU_mSV_SY_bEUlT_E_NS1_11comp_targetILNS1_3genE9ELNS1_11target_archE1100ELNS1_3gpuE3ELNS1_3repE0EEENS1_30default_config_static_selectorELNS0_4arch9wavefront6targetE1EEEvSS_,@function
_ZN7rocprim17ROCPRIM_400000_NS6detail17trampoline_kernelINS0_14default_configENS1_27lower_bound_config_selectorIflEEZNS1_14transform_implILb0ES3_S5_N6thrust23THRUST_200600_302600_NS6detail15normal_iteratorINS8_7pointerIfNS8_11hip_rocprim5par_tENS8_11use_defaultESE_EEEENSA_INSB_IlSD_SE_SE_EEEEZNS1_13binary_searchIS3_S5_PfSG_SI_NS1_21lower_bound_search_opENS9_16wrapped_functionI11custom_lessbEEEE10hipError_tPvRmT1_T2_T3_mmT4_T5_P12ihipStream_tbEUlRKfE_EESP_ST_SU_mSV_SY_bEUlT_E_NS1_11comp_targetILNS1_3genE9ELNS1_11target_archE1100ELNS1_3gpuE3ELNS1_3repE0EEENS1_30default_config_static_selectorELNS0_4arch9wavefront6targetE1EEEvSS_: ; @_ZN7rocprim17ROCPRIM_400000_NS6detail17trampoline_kernelINS0_14default_configENS1_27lower_bound_config_selectorIflEEZNS1_14transform_implILb0ES3_S5_N6thrust23THRUST_200600_302600_NS6detail15normal_iteratorINS8_7pointerIfNS8_11hip_rocprim5par_tENS8_11use_defaultESE_EEEENSA_INSB_IlSD_SE_SE_EEEEZNS1_13binary_searchIS3_S5_PfSG_SI_NS1_21lower_bound_search_opENS9_16wrapped_functionI11custom_lessbEEEE10hipError_tPvRmT1_T2_T3_mmT4_T5_P12ihipStream_tbEUlRKfE_EESP_ST_SU_mSV_SY_bEUlT_E_NS1_11comp_targetILNS1_3genE9ELNS1_11target_archE1100ELNS1_3gpuE3ELNS1_3repE0EEENS1_30default_config_static_selectorELNS0_4arch9wavefront6targetE1EEEvSS_
; %bb.0:
	.section	.rodata,"a",@progbits
	.p2align	6, 0x0
	.amdhsa_kernel _ZN7rocprim17ROCPRIM_400000_NS6detail17trampoline_kernelINS0_14default_configENS1_27lower_bound_config_selectorIflEEZNS1_14transform_implILb0ES3_S5_N6thrust23THRUST_200600_302600_NS6detail15normal_iteratorINS8_7pointerIfNS8_11hip_rocprim5par_tENS8_11use_defaultESE_EEEENSA_INSB_IlSD_SE_SE_EEEEZNS1_13binary_searchIS3_S5_PfSG_SI_NS1_21lower_bound_search_opENS9_16wrapped_functionI11custom_lessbEEEE10hipError_tPvRmT1_T2_T3_mmT4_T5_P12ihipStream_tbEUlRKfE_EESP_ST_SU_mSV_SY_bEUlT_E_NS1_11comp_targetILNS1_3genE9ELNS1_11target_archE1100ELNS1_3gpuE3ELNS1_3repE0EEENS1_30default_config_static_selectorELNS0_4arch9wavefront6targetE1EEEvSS_
		.amdhsa_group_segment_fixed_size 0
		.amdhsa_private_segment_fixed_size 0
		.amdhsa_kernarg_size 56
		.amdhsa_user_sgpr_count 6
		.amdhsa_user_sgpr_private_segment_buffer 1
		.amdhsa_user_sgpr_dispatch_ptr 0
		.amdhsa_user_sgpr_queue_ptr 0
		.amdhsa_user_sgpr_kernarg_segment_ptr 1
		.amdhsa_user_sgpr_dispatch_id 0
		.amdhsa_user_sgpr_flat_scratch_init 0
		.amdhsa_user_sgpr_private_segment_size 0
		.amdhsa_uses_dynamic_stack 0
		.amdhsa_system_sgpr_private_segment_wavefront_offset 0
		.amdhsa_system_sgpr_workgroup_id_x 1
		.amdhsa_system_sgpr_workgroup_id_y 0
		.amdhsa_system_sgpr_workgroup_id_z 0
		.amdhsa_system_sgpr_workgroup_info 0
		.amdhsa_system_vgpr_workitem_id 0
		.amdhsa_next_free_vgpr 1
		.amdhsa_next_free_sgpr 0
		.amdhsa_reserve_vcc 0
		.amdhsa_reserve_flat_scratch 0
		.amdhsa_float_round_mode_32 0
		.amdhsa_float_round_mode_16_64 0
		.amdhsa_float_denorm_mode_32 3
		.amdhsa_float_denorm_mode_16_64 3
		.amdhsa_dx10_clamp 1
		.amdhsa_ieee_mode 1
		.amdhsa_fp16_overflow 0
		.amdhsa_exception_fp_ieee_invalid_op 0
		.amdhsa_exception_fp_denorm_src 0
		.amdhsa_exception_fp_ieee_div_zero 0
		.amdhsa_exception_fp_ieee_overflow 0
		.amdhsa_exception_fp_ieee_underflow 0
		.amdhsa_exception_fp_ieee_inexact 0
		.amdhsa_exception_int_div_zero 0
	.end_amdhsa_kernel
	.section	.text._ZN7rocprim17ROCPRIM_400000_NS6detail17trampoline_kernelINS0_14default_configENS1_27lower_bound_config_selectorIflEEZNS1_14transform_implILb0ES3_S5_N6thrust23THRUST_200600_302600_NS6detail15normal_iteratorINS8_7pointerIfNS8_11hip_rocprim5par_tENS8_11use_defaultESE_EEEENSA_INSB_IlSD_SE_SE_EEEEZNS1_13binary_searchIS3_S5_PfSG_SI_NS1_21lower_bound_search_opENS9_16wrapped_functionI11custom_lessbEEEE10hipError_tPvRmT1_T2_T3_mmT4_T5_P12ihipStream_tbEUlRKfE_EESP_ST_SU_mSV_SY_bEUlT_E_NS1_11comp_targetILNS1_3genE9ELNS1_11target_archE1100ELNS1_3gpuE3ELNS1_3repE0EEENS1_30default_config_static_selectorELNS0_4arch9wavefront6targetE1EEEvSS_,"axG",@progbits,_ZN7rocprim17ROCPRIM_400000_NS6detail17trampoline_kernelINS0_14default_configENS1_27lower_bound_config_selectorIflEEZNS1_14transform_implILb0ES3_S5_N6thrust23THRUST_200600_302600_NS6detail15normal_iteratorINS8_7pointerIfNS8_11hip_rocprim5par_tENS8_11use_defaultESE_EEEENSA_INSB_IlSD_SE_SE_EEEEZNS1_13binary_searchIS3_S5_PfSG_SI_NS1_21lower_bound_search_opENS9_16wrapped_functionI11custom_lessbEEEE10hipError_tPvRmT1_T2_T3_mmT4_T5_P12ihipStream_tbEUlRKfE_EESP_ST_SU_mSV_SY_bEUlT_E_NS1_11comp_targetILNS1_3genE9ELNS1_11target_archE1100ELNS1_3gpuE3ELNS1_3repE0EEENS1_30default_config_static_selectorELNS0_4arch9wavefront6targetE1EEEvSS_,comdat
.Lfunc_end31:
	.size	_ZN7rocprim17ROCPRIM_400000_NS6detail17trampoline_kernelINS0_14default_configENS1_27lower_bound_config_selectorIflEEZNS1_14transform_implILb0ES3_S5_N6thrust23THRUST_200600_302600_NS6detail15normal_iteratorINS8_7pointerIfNS8_11hip_rocprim5par_tENS8_11use_defaultESE_EEEENSA_INSB_IlSD_SE_SE_EEEEZNS1_13binary_searchIS3_S5_PfSG_SI_NS1_21lower_bound_search_opENS9_16wrapped_functionI11custom_lessbEEEE10hipError_tPvRmT1_T2_T3_mmT4_T5_P12ihipStream_tbEUlRKfE_EESP_ST_SU_mSV_SY_bEUlT_E_NS1_11comp_targetILNS1_3genE9ELNS1_11target_archE1100ELNS1_3gpuE3ELNS1_3repE0EEENS1_30default_config_static_selectorELNS0_4arch9wavefront6targetE1EEEvSS_, .Lfunc_end31-_ZN7rocprim17ROCPRIM_400000_NS6detail17trampoline_kernelINS0_14default_configENS1_27lower_bound_config_selectorIflEEZNS1_14transform_implILb0ES3_S5_N6thrust23THRUST_200600_302600_NS6detail15normal_iteratorINS8_7pointerIfNS8_11hip_rocprim5par_tENS8_11use_defaultESE_EEEENSA_INSB_IlSD_SE_SE_EEEEZNS1_13binary_searchIS3_S5_PfSG_SI_NS1_21lower_bound_search_opENS9_16wrapped_functionI11custom_lessbEEEE10hipError_tPvRmT1_T2_T3_mmT4_T5_P12ihipStream_tbEUlRKfE_EESP_ST_SU_mSV_SY_bEUlT_E_NS1_11comp_targetILNS1_3genE9ELNS1_11target_archE1100ELNS1_3gpuE3ELNS1_3repE0EEENS1_30default_config_static_selectorELNS0_4arch9wavefront6targetE1EEEvSS_
                                        ; -- End function
	.set _ZN7rocprim17ROCPRIM_400000_NS6detail17trampoline_kernelINS0_14default_configENS1_27lower_bound_config_selectorIflEEZNS1_14transform_implILb0ES3_S5_N6thrust23THRUST_200600_302600_NS6detail15normal_iteratorINS8_7pointerIfNS8_11hip_rocprim5par_tENS8_11use_defaultESE_EEEENSA_INSB_IlSD_SE_SE_EEEEZNS1_13binary_searchIS3_S5_PfSG_SI_NS1_21lower_bound_search_opENS9_16wrapped_functionI11custom_lessbEEEE10hipError_tPvRmT1_T2_T3_mmT4_T5_P12ihipStream_tbEUlRKfE_EESP_ST_SU_mSV_SY_bEUlT_E_NS1_11comp_targetILNS1_3genE9ELNS1_11target_archE1100ELNS1_3gpuE3ELNS1_3repE0EEENS1_30default_config_static_selectorELNS0_4arch9wavefront6targetE1EEEvSS_.num_vgpr, 0
	.set _ZN7rocprim17ROCPRIM_400000_NS6detail17trampoline_kernelINS0_14default_configENS1_27lower_bound_config_selectorIflEEZNS1_14transform_implILb0ES3_S5_N6thrust23THRUST_200600_302600_NS6detail15normal_iteratorINS8_7pointerIfNS8_11hip_rocprim5par_tENS8_11use_defaultESE_EEEENSA_INSB_IlSD_SE_SE_EEEEZNS1_13binary_searchIS3_S5_PfSG_SI_NS1_21lower_bound_search_opENS9_16wrapped_functionI11custom_lessbEEEE10hipError_tPvRmT1_T2_T3_mmT4_T5_P12ihipStream_tbEUlRKfE_EESP_ST_SU_mSV_SY_bEUlT_E_NS1_11comp_targetILNS1_3genE9ELNS1_11target_archE1100ELNS1_3gpuE3ELNS1_3repE0EEENS1_30default_config_static_selectorELNS0_4arch9wavefront6targetE1EEEvSS_.num_agpr, 0
	.set _ZN7rocprim17ROCPRIM_400000_NS6detail17trampoline_kernelINS0_14default_configENS1_27lower_bound_config_selectorIflEEZNS1_14transform_implILb0ES3_S5_N6thrust23THRUST_200600_302600_NS6detail15normal_iteratorINS8_7pointerIfNS8_11hip_rocprim5par_tENS8_11use_defaultESE_EEEENSA_INSB_IlSD_SE_SE_EEEEZNS1_13binary_searchIS3_S5_PfSG_SI_NS1_21lower_bound_search_opENS9_16wrapped_functionI11custom_lessbEEEE10hipError_tPvRmT1_T2_T3_mmT4_T5_P12ihipStream_tbEUlRKfE_EESP_ST_SU_mSV_SY_bEUlT_E_NS1_11comp_targetILNS1_3genE9ELNS1_11target_archE1100ELNS1_3gpuE3ELNS1_3repE0EEENS1_30default_config_static_selectorELNS0_4arch9wavefront6targetE1EEEvSS_.numbered_sgpr, 0
	.set _ZN7rocprim17ROCPRIM_400000_NS6detail17trampoline_kernelINS0_14default_configENS1_27lower_bound_config_selectorIflEEZNS1_14transform_implILb0ES3_S5_N6thrust23THRUST_200600_302600_NS6detail15normal_iteratorINS8_7pointerIfNS8_11hip_rocprim5par_tENS8_11use_defaultESE_EEEENSA_INSB_IlSD_SE_SE_EEEEZNS1_13binary_searchIS3_S5_PfSG_SI_NS1_21lower_bound_search_opENS9_16wrapped_functionI11custom_lessbEEEE10hipError_tPvRmT1_T2_T3_mmT4_T5_P12ihipStream_tbEUlRKfE_EESP_ST_SU_mSV_SY_bEUlT_E_NS1_11comp_targetILNS1_3genE9ELNS1_11target_archE1100ELNS1_3gpuE3ELNS1_3repE0EEENS1_30default_config_static_selectorELNS0_4arch9wavefront6targetE1EEEvSS_.num_named_barrier, 0
	.set _ZN7rocprim17ROCPRIM_400000_NS6detail17trampoline_kernelINS0_14default_configENS1_27lower_bound_config_selectorIflEEZNS1_14transform_implILb0ES3_S5_N6thrust23THRUST_200600_302600_NS6detail15normal_iteratorINS8_7pointerIfNS8_11hip_rocprim5par_tENS8_11use_defaultESE_EEEENSA_INSB_IlSD_SE_SE_EEEEZNS1_13binary_searchIS3_S5_PfSG_SI_NS1_21lower_bound_search_opENS9_16wrapped_functionI11custom_lessbEEEE10hipError_tPvRmT1_T2_T3_mmT4_T5_P12ihipStream_tbEUlRKfE_EESP_ST_SU_mSV_SY_bEUlT_E_NS1_11comp_targetILNS1_3genE9ELNS1_11target_archE1100ELNS1_3gpuE3ELNS1_3repE0EEENS1_30default_config_static_selectorELNS0_4arch9wavefront6targetE1EEEvSS_.private_seg_size, 0
	.set _ZN7rocprim17ROCPRIM_400000_NS6detail17trampoline_kernelINS0_14default_configENS1_27lower_bound_config_selectorIflEEZNS1_14transform_implILb0ES3_S5_N6thrust23THRUST_200600_302600_NS6detail15normal_iteratorINS8_7pointerIfNS8_11hip_rocprim5par_tENS8_11use_defaultESE_EEEENSA_INSB_IlSD_SE_SE_EEEEZNS1_13binary_searchIS3_S5_PfSG_SI_NS1_21lower_bound_search_opENS9_16wrapped_functionI11custom_lessbEEEE10hipError_tPvRmT1_T2_T3_mmT4_T5_P12ihipStream_tbEUlRKfE_EESP_ST_SU_mSV_SY_bEUlT_E_NS1_11comp_targetILNS1_3genE9ELNS1_11target_archE1100ELNS1_3gpuE3ELNS1_3repE0EEENS1_30default_config_static_selectorELNS0_4arch9wavefront6targetE1EEEvSS_.uses_vcc, 0
	.set _ZN7rocprim17ROCPRIM_400000_NS6detail17trampoline_kernelINS0_14default_configENS1_27lower_bound_config_selectorIflEEZNS1_14transform_implILb0ES3_S5_N6thrust23THRUST_200600_302600_NS6detail15normal_iteratorINS8_7pointerIfNS8_11hip_rocprim5par_tENS8_11use_defaultESE_EEEENSA_INSB_IlSD_SE_SE_EEEEZNS1_13binary_searchIS3_S5_PfSG_SI_NS1_21lower_bound_search_opENS9_16wrapped_functionI11custom_lessbEEEE10hipError_tPvRmT1_T2_T3_mmT4_T5_P12ihipStream_tbEUlRKfE_EESP_ST_SU_mSV_SY_bEUlT_E_NS1_11comp_targetILNS1_3genE9ELNS1_11target_archE1100ELNS1_3gpuE3ELNS1_3repE0EEENS1_30default_config_static_selectorELNS0_4arch9wavefront6targetE1EEEvSS_.uses_flat_scratch, 0
	.set _ZN7rocprim17ROCPRIM_400000_NS6detail17trampoline_kernelINS0_14default_configENS1_27lower_bound_config_selectorIflEEZNS1_14transform_implILb0ES3_S5_N6thrust23THRUST_200600_302600_NS6detail15normal_iteratorINS8_7pointerIfNS8_11hip_rocprim5par_tENS8_11use_defaultESE_EEEENSA_INSB_IlSD_SE_SE_EEEEZNS1_13binary_searchIS3_S5_PfSG_SI_NS1_21lower_bound_search_opENS9_16wrapped_functionI11custom_lessbEEEE10hipError_tPvRmT1_T2_T3_mmT4_T5_P12ihipStream_tbEUlRKfE_EESP_ST_SU_mSV_SY_bEUlT_E_NS1_11comp_targetILNS1_3genE9ELNS1_11target_archE1100ELNS1_3gpuE3ELNS1_3repE0EEENS1_30default_config_static_selectorELNS0_4arch9wavefront6targetE1EEEvSS_.has_dyn_sized_stack, 0
	.set _ZN7rocprim17ROCPRIM_400000_NS6detail17trampoline_kernelINS0_14default_configENS1_27lower_bound_config_selectorIflEEZNS1_14transform_implILb0ES3_S5_N6thrust23THRUST_200600_302600_NS6detail15normal_iteratorINS8_7pointerIfNS8_11hip_rocprim5par_tENS8_11use_defaultESE_EEEENSA_INSB_IlSD_SE_SE_EEEEZNS1_13binary_searchIS3_S5_PfSG_SI_NS1_21lower_bound_search_opENS9_16wrapped_functionI11custom_lessbEEEE10hipError_tPvRmT1_T2_T3_mmT4_T5_P12ihipStream_tbEUlRKfE_EESP_ST_SU_mSV_SY_bEUlT_E_NS1_11comp_targetILNS1_3genE9ELNS1_11target_archE1100ELNS1_3gpuE3ELNS1_3repE0EEENS1_30default_config_static_selectorELNS0_4arch9wavefront6targetE1EEEvSS_.has_recursion, 0
	.set _ZN7rocprim17ROCPRIM_400000_NS6detail17trampoline_kernelINS0_14default_configENS1_27lower_bound_config_selectorIflEEZNS1_14transform_implILb0ES3_S5_N6thrust23THRUST_200600_302600_NS6detail15normal_iteratorINS8_7pointerIfNS8_11hip_rocprim5par_tENS8_11use_defaultESE_EEEENSA_INSB_IlSD_SE_SE_EEEEZNS1_13binary_searchIS3_S5_PfSG_SI_NS1_21lower_bound_search_opENS9_16wrapped_functionI11custom_lessbEEEE10hipError_tPvRmT1_T2_T3_mmT4_T5_P12ihipStream_tbEUlRKfE_EESP_ST_SU_mSV_SY_bEUlT_E_NS1_11comp_targetILNS1_3genE9ELNS1_11target_archE1100ELNS1_3gpuE3ELNS1_3repE0EEENS1_30default_config_static_selectorELNS0_4arch9wavefront6targetE1EEEvSS_.has_indirect_call, 0
	.section	.AMDGPU.csdata,"",@progbits
; Kernel info:
; codeLenInByte = 0
; TotalNumSgprs: 4
; NumVgprs: 0
; ScratchSize: 0
; MemoryBound: 0
; FloatMode: 240
; IeeeMode: 1
; LDSByteSize: 0 bytes/workgroup (compile time only)
; SGPRBlocks: 0
; VGPRBlocks: 0
; NumSGPRsForWavesPerEU: 4
; NumVGPRsForWavesPerEU: 1
; Occupancy: 10
; WaveLimiterHint : 0
; COMPUTE_PGM_RSRC2:SCRATCH_EN: 0
; COMPUTE_PGM_RSRC2:USER_SGPR: 6
; COMPUTE_PGM_RSRC2:TRAP_HANDLER: 0
; COMPUTE_PGM_RSRC2:TGID_X_EN: 1
; COMPUTE_PGM_RSRC2:TGID_Y_EN: 0
; COMPUTE_PGM_RSRC2:TGID_Z_EN: 0
; COMPUTE_PGM_RSRC2:TIDIG_COMP_CNT: 0
	.section	.text._ZN7rocprim17ROCPRIM_400000_NS6detail17trampoline_kernelINS0_14default_configENS1_27lower_bound_config_selectorIflEEZNS1_14transform_implILb0ES3_S5_N6thrust23THRUST_200600_302600_NS6detail15normal_iteratorINS8_7pointerIfNS8_11hip_rocprim5par_tENS8_11use_defaultESE_EEEENSA_INSB_IlSD_SE_SE_EEEEZNS1_13binary_searchIS3_S5_PfSG_SI_NS1_21lower_bound_search_opENS9_16wrapped_functionI11custom_lessbEEEE10hipError_tPvRmT1_T2_T3_mmT4_T5_P12ihipStream_tbEUlRKfE_EESP_ST_SU_mSV_SY_bEUlT_E_NS1_11comp_targetILNS1_3genE8ELNS1_11target_archE1030ELNS1_3gpuE2ELNS1_3repE0EEENS1_30default_config_static_selectorELNS0_4arch9wavefront6targetE1EEEvSS_,"axG",@progbits,_ZN7rocprim17ROCPRIM_400000_NS6detail17trampoline_kernelINS0_14default_configENS1_27lower_bound_config_selectorIflEEZNS1_14transform_implILb0ES3_S5_N6thrust23THRUST_200600_302600_NS6detail15normal_iteratorINS8_7pointerIfNS8_11hip_rocprim5par_tENS8_11use_defaultESE_EEEENSA_INSB_IlSD_SE_SE_EEEEZNS1_13binary_searchIS3_S5_PfSG_SI_NS1_21lower_bound_search_opENS9_16wrapped_functionI11custom_lessbEEEE10hipError_tPvRmT1_T2_T3_mmT4_T5_P12ihipStream_tbEUlRKfE_EESP_ST_SU_mSV_SY_bEUlT_E_NS1_11comp_targetILNS1_3genE8ELNS1_11target_archE1030ELNS1_3gpuE2ELNS1_3repE0EEENS1_30default_config_static_selectorELNS0_4arch9wavefront6targetE1EEEvSS_,comdat
	.protected	_ZN7rocprim17ROCPRIM_400000_NS6detail17trampoline_kernelINS0_14default_configENS1_27lower_bound_config_selectorIflEEZNS1_14transform_implILb0ES3_S5_N6thrust23THRUST_200600_302600_NS6detail15normal_iteratorINS8_7pointerIfNS8_11hip_rocprim5par_tENS8_11use_defaultESE_EEEENSA_INSB_IlSD_SE_SE_EEEEZNS1_13binary_searchIS3_S5_PfSG_SI_NS1_21lower_bound_search_opENS9_16wrapped_functionI11custom_lessbEEEE10hipError_tPvRmT1_T2_T3_mmT4_T5_P12ihipStream_tbEUlRKfE_EESP_ST_SU_mSV_SY_bEUlT_E_NS1_11comp_targetILNS1_3genE8ELNS1_11target_archE1030ELNS1_3gpuE2ELNS1_3repE0EEENS1_30default_config_static_selectorELNS0_4arch9wavefront6targetE1EEEvSS_ ; -- Begin function _ZN7rocprim17ROCPRIM_400000_NS6detail17trampoline_kernelINS0_14default_configENS1_27lower_bound_config_selectorIflEEZNS1_14transform_implILb0ES3_S5_N6thrust23THRUST_200600_302600_NS6detail15normal_iteratorINS8_7pointerIfNS8_11hip_rocprim5par_tENS8_11use_defaultESE_EEEENSA_INSB_IlSD_SE_SE_EEEEZNS1_13binary_searchIS3_S5_PfSG_SI_NS1_21lower_bound_search_opENS9_16wrapped_functionI11custom_lessbEEEE10hipError_tPvRmT1_T2_T3_mmT4_T5_P12ihipStream_tbEUlRKfE_EESP_ST_SU_mSV_SY_bEUlT_E_NS1_11comp_targetILNS1_3genE8ELNS1_11target_archE1030ELNS1_3gpuE2ELNS1_3repE0EEENS1_30default_config_static_selectorELNS0_4arch9wavefront6targetE1EEEvSS_
	.globl	_ZN7rocprim17ROCPRIM_400000_NS6detail17trampoline_kernelINS0_14default_configENS1_27lower_bound_config_selectorIflEEZNS1_14transform_implILb0ES3_S5_N6thrust23THRUST_200600_302600_NS6detail15normal_iteratorINS8_7pointerIfNS8_11hip_rocprim5par_tENS8_11use_defaultESE_EEEENSA_INSB_IlSD_SE_SE_EEEEZNS1_13binary_searchIS3_S5_PfSG_SI_NS1_21lower_bound_search_opENS9_16wrapped_functionI11custom_lessbEEEE10hipError_tPvRmT1_T2_T3_mmT4_T5_P12ihipStream_tbEUlRKfE_EESP_ST_SU_mSV_SY_bEUlT_E_NS1_11comp_targetILNS1_3genE8ELNS1_11target_archE1030ELNS1_3gpuE2ELNS1_3repE0EEENS1_30default_config_static_selectorELNS0_4arch9wavefront6targetE1EEEvSS_
	.p2align	8
	.type	_ZN7rocprim17ROCPRIM_400000_NS6detail17trampoline_kernelINS0_14default_configENS1_27lower_bound_config_selectorIflEEZNS1_14transform_implILb0ES3_S5_N6thrust23THRUST_200600_302600_NS6detail15normal_iteratorINS8_7pointerIfNS8_11hip_rocprim5par_tENS8_11use_defaultESE_EEEENSA_INSB_IlSD_SE_SE_EEEEZNS1_13binary_searchIS3_S5_PfSG_SI_NS1_21lower_bound_search_opENS9_16wrapped_functionI11custom_lessbEEEE10hipError_tPvRmT1_T2_T3_mmT4_T5_P12ihipStream_tbEUlRKfE_EESP_ST_SU_mSV_SY_bEUlT_E_NS1_11comp_targetILNS1_3genE8ELNS1_11target_archE1030ELNS1_3gpuE2ELNS1_3repE0EEENS1_30default_config_static_selectorELNS0_4arch9wavefront6targetE1EEEvSS_,@function
_ZN7rocprim17ROCPRIM_400000_NS6detail17trampoline_kernelINS0_14default_configENS1_27lower_bound_config_selectorIflEEZNS1_14transform_implILb0ES3_S5_N6thrust23THRUST_200600_302600_NS6detail15normal_iteratorINS8_7pointerIfNS8_11hip_rocprim5par_tENS8_11use_defaultESE_EEEENSA_INSB_IlSD_SE_SE_EEEEZNS1_13binary_searchIS3_S5_PfSG_SI_NS1_21lower_bound_search_opENS9_16wrapped_functionI11custom_lessbEEEE10hipError_tPvRmT1_T2_T3_mmT4_T5_P12ihipStream_tbEUlRKfE_EESP_ST_SU_mSV_SY_bEUlT_E_NS1_11comp_targetILNS1_3genE8ELNS1_11target_archE1030ELNS1_3gpuE2ELNS1_3repE0EEENS1_30default_config_static_selectorELNS0_4arch9wavefront6targetE1EEEvSS_: ; @_ZN7rocprim17ROCPRIM_400000_NS6detail17trampoline_kernelINS0_14default_configENS1_27lower_bound_config_selectorIflEEZNS1_14transform_implILb0ES3_S5_N6thrust23THRUST_200600_302600_NS6detail15normal_iteratorINS8_7pointerIfNS8_11hip_rocprim5par_tENS8_11use_defaultESE_EEEENSA_INSB_IlSD_SE_SE_EEEEZNS1_13binary_searchIS3_S5_PfSG_SI_NS1_21lower_bound_search_opENS9_16wrapped_functionI11custom_lessbEEEE10hipError_tPvRmT1_T2_T3_mmT4_T5_P12ihipStream_tbEUlRKfE_EESP_ST_SU_mSV_SY_bEUlT_E_NS1_11comp_targetILNS1_3genE8ELNS1_11target_archE1030ELNS1_3gpuE2ELNS1_3repE0EEENS1_30default_config_static_selectorELNS0_4arch9wavefront6targetE1EEEvSS_
; %bb.0:
	.section	.rodata,"a",@progbits
	.p2align	6, 0x0
	.amdhsa_kernel _ZN7rocprim17ROCPRIM_400000_NS6detail17trampoline_kernelINS0_14default_configENS1_27lower_bound_config_selectorIflEEZNS1_14transform_implILb0ES3_S5_N6thrust23THRUST_200600_302600_NS6detail15normal_iteratorINS8_7pointerIfNS8_11hip_rocprim5par_tENS8_11use_defaultESE_EEEENSA_INSB_IlSD_SE_SE_EEEEZNS1_13binary_searchIS3_S5_PfSG_SI_NS1_21lower_bound_search_opENS9_16wrapped_functionI11custom_lessbEEEE10hipError_tPvRmT1_T2_T3_mmT4_T5_P12ihipStream_tbEUlRKfE_EESP_ST_SU_mSV_SY_bEUlT_E_NS1_11comp_targetILNS1_3genE8ELNS1_11target_archE1030ELNS1_3gpuE2ELNS1_3repE0EEENS1_30default_config_static_selectorELNS0_4arch9wavefront6targetE1EEEvSS_
		.amdhsa_group_segment_fixed_size 0
		.amdhsa_private_segment_fixed_size 0
		.amdhsa_kernarg_size 56
		.amdhsa_user_sgpr_count 6
		.amdhsa_user_sgpr_private_segment_buffer 1
		.amdhsa_user_sgpr_dispatch_ptr 0
		.amdhsa_user_sgpr_queue_ptr 0
		.amdhsa_user_sgpr_kernarg_segment_ptr 1
		.amdhsa_user_sgpr_dispatch_id 0
		.amdhsa_user_sgpr_flat_scratch_init 0
		.amdhsa_user_sgpr_private_segment_size 0
		.amdhsa_uses_dynamic_stack 0
		.amdhsa_system_sgpr_private_segment_wavefront_offset 0
		.amdhsa_system_sgpr_workgroup_id_x 1
		.amdhsa_system_sgpr_workgroup_id_y 0
		.amdhsa_system_sgpr_workgroup_id_z 0
		.amdhsa_system_sgpr_workgroup_info 0
		.amdhsa_system_vgpr_workitem_id 0
		.amdhsa_next_free_vgpr 1
		.amdhsa_next_free_sgpr 0
		.amdhsa_reserve_vcc 0
		.amdhsa_reserve_flat_scratch 0
		.amdhsa_float_round_mode_32 0
		.amdhsa_float_round_mode_16_64 0
		.amdhsa_float_denorm_mode_32 3
		.amdhsa_float_denorm_mode_16_64 3
		.amdhsa_dx10_clamp 1
		.amdhsa_ieee_mode 1
		.amdhsa_fp16_overflow 0
		.amdhsa_exception_fp_ieee_invalid_op 0
		.amdhsa_exception_fp_denorm_src 0
		.amdhsa_exception_fp_ieee_div_zero 0
		.amdhsa_exception_fp_ieee_overflow 0
		.amdhsa_exception_fp_ieee_underflow 0
		.amdhsa_exception_fp_ieee_inexact 0
		.amdhsa_exception_int_div_zero 0
	.end_amdhsa_kernel
	.section	.text._ZN7rocprim17ROCPRIM_400000_NS6detail17trampoline_kernelINS0_14default_configENS1_27lower_bound_config_selectorIflEEZNS1_14transform_implILb0ES3_S5_N6thrust23THRUST_200600_302600_NS6detail15normal_iteratorINS8_7pointerIfNS8_11hip_rocprim5par_tENS8_11use_defaultESE_EEEENSA_INSB_IlSD_SE_SE_EEEEZNS1_13binary_searchIS3_S5_PfSG_SI_NS1_21lower_bound_search_opENS9_16wrapped_functionI11custom_lessbEEEE10hipError_tPvRmT1_T2_T3_mmT4_T5_P12ihipStream_tbEUlRKfE_EESP_ST_SU_mSV_SY_bEUlT_E_NS1_11comp_targetILNS1_3genE8ELNS1_11target_archE1030ELNS1_3gpuE2ELNS1_3repE0EEENS1_30default_config_static_selectorELNS0_4arch9wavefront6targetE1EEEvSS_,"axG",@progbits,_ZN7rocprim17ROCPRIM_400000_NS6detail17trampoline_kernelINS0_14default_configENS1_27lower_bound_config_selectorIflEEZNS1_14transform_implILb0ES3_S5_N6thrust23THRUST_200600_302600_NS6detail15normal_iteratorINS8_7pointerIfNS8_11hip_rocprim5par_tENS8_11use_defaultESE_EEEENSA_INSB_IlSD_SE_SE_EEEEZNS1_13binary_searchIS3_S5_PfSG_SI_NS1_21lower_bound_search_opENS9_16wrapped_functionI11custom_lessbEEEE10hipError_tPvRmT1_T2_T3_mmT4_T5_P12ihipStream_tbEUlRKfE_EESP_ST_SU_mSV_SY_bEUlT_E_NS1_11comp_targetILNS1_3genE8ELNS1_11target_archE1030ELNS1_3gpuE2ELNS1_3repE0EEENS1_30default_config_static_selectorELNS0_4arch9wavefront6targetE1EEEvSS_,comdat
.Lfunc_end32:
	.size	_ZN7rocprim17ROCPRIM_400000_NS6detail17trampoline_kernelINS0_14default_configENS1_27lower_bound_config_selectorIflEEZNS1_14transform_implILb0ES3_S5_N6thrust23THRUST_200600_302600_NS6detail15normal_iteratorINS8_7pointerIfNS8_11hip_rocprim5par_tENS8_11use_defaultESE_EEEENSA_INSB_IlSD_SE_SE_EEEEZNS1_13binary_searchIS3_S5_PfSG_SI_NS1_21lower_bound_search_opENS9_16wrapped_functionI11custom_lessbEEEE10hipError_tPvRmT1_T2_T3_mmT4_T5_P12ihipStream_tbEUlRKfE_EESP_ST_SU_mSV_SY_bEUlT_E_NS1_11comp_targetILNS1_3genE8ELNS1_11target_archE1030ELNS1_3gpuE2ELNS1_3repE0EEENS1_30default_config_static_selectorELNS0_4arch9wavefront6targetE1EEEvSS_, .Lfunc_end32-_ZN7rocprim17ROCPRIM_400000_NS6detail17trampoline_kernelINS0_14default_configENS1_27lower_bound_config_selectorIflEEZNS1_14transform_implILb0ES3_S5_N6thrust23THRUST_200600_302600_NS6detail15normal_iteratorINS8_7pointerIfNS8_11hip_rocprim5par_tENS8_11use_defaultESE_EEEENSA_INSB_IlSD_SE_SE_EEEEZNS1_13binary_searchIS3_S5_PfSG_SI_NS1_21lower_bound_search_opENS9_16wrapped_functionI11custom_lessbEEEE10hipError_tPvRmT1_T2_T3_mmT4_T5_P12ihipStream_tbEUlRKfE_EESP_ST_SU_mSV_SY_bEUlT_E_NS1_11comp_targetILNS1_3genE8ELNS1_11target_archE1030ELNS1_3gpuE2ELNS1_3repE0EEENS1_30default_config_static_selectorELNS0_4arch9wavefront6targetE1EEEvSS_
                                        ; -- End function
	.set _ZN7rocprim17ROCPRIM_400000_NS6detail17trampoline_kernelINS0_14default_configENS1_27lower_bound_config_selectorIflEEZNS1_14transform_implILb0ES3_S5_N6thrust23THRUST_200600_302600_NS6detail15normal_iteratorINS8_7pointerIfNS8_11hip_rocprim5par_tENS8_11use_defaultESE_EEEENSA_INSB_IlSD_SE_SE_EEEEZNS1_13binary_searchIS3_S5_PfSG_SI_NS1_21lower_bound_search_opENS9_16wrapped_functionI11custom_lessbEEEE10hipError_tPvRmT1_T2_T3_mmT4_T5_P12ihipStream_tbEUlRKfE_EESP_ST_SU_mSV_SY_bEUlT_E_NS1_11comp_targetILNS1_3genE8ELNS1_11target_archE1030ELNS1_3gpuE2ELNS1_3repE0EEENS1_30default_config_static_selectorELNS0_4arch9wavefront6targetE1EEEvSS_.num_vgpr, 0
	.set _ZN7rocprim17ROCPRIM_400000_NS6detail17trampoline_kernelINS0_14default_configENS1_27lower_bound_config_selectorIflEEZNS1_14transform_implILb0ES3_S5_N6thrust23THRUST_200600_302600_NS6detail15normal_iteratorINS8_7pointerIfNS8_11hip_rocprim5par_tENS8_11use_defaultESE_EEEENSA_INSB_IlSD_SE_SE_EEEEZNS1_13binary_searchIS3_S5_PfSG_SI_NS1_21lower_bound_search_opENS9_16wrapped_functionI11custom_lessbEEEE10hipError_tPvRmT1_T2_T3_mmT4_T5_P12ihipStream_tbEUlRKfE_EESP_ST_SU_mSV_SY_bEUlT_E_NS1_11comp_targetILNS1_3genE8ELNS1_11target_archE1030ELNS1_3gpuE2ELNS1_3repE0EEENS1_30default_config_static_selectorELNS0_4arch9wavefront6targetE1EEEvSS_.num_agpr, 0
	.set _ZN7rocprim17ROCPRIM_400000_NS6detail17trampoline_kernelINS0_14default_configENS1_27lower_bound_config_selectorIflEEZNS1_14transform_implILb0ES3_S5_N6thrust23THRUST_200600_302600_NS6detail15normal_iteratorINS8_7pointerIfNS8_11hip_rocprim5par_tENS8_11use_defaultESE_EEEENSA_INSB_IlSD_SE_SE_EEEEZNS1_13binary_searchIS3_S5_PfSG_SI_NS1_21lower_bound_search_opENS9_16wrapped_functionI11custom_lessbEEEE10hipError_tPvRmT1_T2_T3_mmT4_T5_P12ihipStream_tbEUlRKfE_EESP_ST_SU_mSV_SY_bEUlT_E_NS1_11comp_targetILNS1_3genE8ELNS1_11target_archE1030ELNS1_3gpuE2ELNS1_3repE0EEENS1_30default_config_static_selectorELNS0_4arch9wavefront6targetE1EEEvSS_.numbered_sgpr, 0
	.set _ZN7rocprim17ROCPRIM_400000_NS6detail17trampoline_kernelINS0_14default_configENS1_27lower_bound_config_selectorIflEEZNS1_14transform_implILb0ES3_S5_N6thrust23THRUST_200600_302600_NS6detail15normal_iteratorINS8_7pointerIfNS8_11hip_rocprim5par_tENS8_11use_defaultESE_EEEENSA_INSB_IlSD_SE_SE_EEEEZNS1_13binary_searchIS3_S5_PfSG_SI_NS1_21lower_bound_search_opENS9_16wrapped_functionI11custom_lessbEEEE10hipError_tPvRmT1_T2_T3_mmT4_T5_P12ihipStream_tbEUlRKfE_EESP_ST_SU_mSV_SY_bEUlT_E_NS1_11comp_targetILNS1_3genE8ELNS1_11target_archE1030ELNS1_3gpuE2ELNS1_3repE0EEENS1_30default_config_static_selectorELNS0_4arch9wavefront6targetE1EEEvSS_.num_named_barrier, 0
	.set _ZN7rocprim17ROCPRIM_400000_NS6detail17trampoline_kernelINS0_14default_configENS1_27lower_bound_config_selectorIflEEZNS1_14transform_implILb0ES3_S5_N6thrust23THRUST_200600_302600_NS6detail15normal_iteratorINS8_7pointerIfNS8_11hip_rocprim5par_tENS8_11use_defaultESE_EEEENSA_INSB_IlSD_SE_SE_EEEEZNS1_13binary_searchIS3_S5_PfSG_SI_NS1_21lower_bound_search_opENS9_16wrapped_functionI11custom_lessbEEEE10hipError_tPvRmT1_T2_T3_mmT4_T5_P12ihipStream_tbEUlRKfE_EESP_ST_SU_mSV_SY_bEUlT_E_NS1_11comp_targetILNS1_3genE8ELNS1_11target_archE1030ELNS1_3gpuE2ELNS1_3repE0EEENS1_30default_config_static_selectorELNS0_4arch9wavefront6targetE1EEEvSS_.private_seg_size, 0
	.set _ZN7rocprim17ROCPRIM_400000_NS6detail17trampoline_kernelINS0_14default_configENS1_27lower_bound_config_selectorIflEEZNS1_14transform_implILb0ES3_S5_N6thrust23THRUST_200600_302600_NS6detail15normal_iteratorINS8_7pointerIfNS8_11hip_rocprim5par_tENS8_11use_defaultESE_EEEENSA_INSB_IlSD_SE_SE_EEEEZNS1_13binary_searchIS3_S5_PfSG_SI_NS1_21lower_bound_search_opENS9_16wrapped_functionI11custom_lessbEEEE10hipError_tPvRmT1_T2_T3_mmT4_T5_P12ihipStream_tbEUlRKfE_EESP_ST_SU_mSV_SY_bEUlT_E_NS1_11comp_targetILNS1_3genE8ELNS1_11target_archE1030ELNS1_3gpuE2ELNS1_3repE0EEENS1_30default_config_static_selectorELNS0_4arch9wavefront6targetE1EEEvSS_.uses_vcc, 0
	.set _ZN7rocprim17ROCPRIM_400000_NS6detail17trampoline_kernelINS0_14default_configENS1_27lower_bound_config_selectorIflEEZNS1_14transform_implILb0ES3_S5_N6thrust23THRUST_200600_302600_NS6detail15normal_iteratorINS8_7pointerIfNS8_11hip_rocprim5par_tENS8_11use_defaultESE_EEEENSA_INSB_IlSD_SE_SE_EEEEZNS1_13binary_searchIS3_S5_PfSG_SI_NS1_21lower_bound_search_opENS9_16wrapped_functionI11custom_lessbEEEE10hipError_tPvRmT1_T2_T3_mmT4_T5_P12ihipStream_tbEUlRKfE_EESP_ST_SU_mSV_SY_bEUlT_E_NS1_11comp_targetILNS1_3genE8ELNS1_11target_archE1030ELNS1_3gpuE2ELNS1_3repE0EEENS1_30default_config_static_selectorELNS0_4arch9wavefront6targetE1EEEvSS_.uses_flat_scratch, 0
	.set _ZN7rocprim17ROCPRIM_400000_NS6detail17trampoline_kernelINS0_14default_configENS1_27lower_bound_config_selectorIflEEZNS1_14transform_implILb0ES3_S5_N6thrust23THRUST_200600_302600_NS6detail15normal_iteratorINS8_7pointerIfNS8_11hip_rocprim5par_tENS8_11use_defaultESE_EEEENSA_INSB_IlSD_SE_SE_EEEEZNS1_13binary_searchIS3_S5_PfSG_SI_NS1_21lower_bound_search_opENS9_16wrapped_functionI11custom_lessbEEEE10hipError_tPvRmT1_T2_T3_mmT4_T5_P12ihipStream_tbEUlRKfE_EESP_ST_SU_mSV_SY_bEUlT_E_NS1_11comp_targetILNS1_3genE8ELNS1_11target_archE1030ELNS1_3gpuE2ELNS1_3repE0EEENS1_30default_config_static_selectorELNS0_4arch9wavefront6targetE1EEEvSS_.has_dyn_sized_stack, 0
	.set _ZN7rocprim17ROCPRIM_400000_NS6detail17trampoline_kernelINS0_14default_configENS1_27lower_bound_config_selectorIflEEZNS1_14transform_implILb0ES3_S5_N6thrust23THRUST_200600_302600_NS6detail15normal_iteratorINS8_7pointerIfNS8_11hip_rocprim5par_tENS8_11use_defaultESE_EEEENSA_INSB_IlSD_SE_SE_EEEEZNS1_13binary_searchIS3_S5_PfSG_SI_NS1_21lower_bound_search_opENS9_16wrapped_functionI11custom_lessbEEEE10hipError_tPvRmT1_T2_T3_mmT4_T5_P12ihipStream_tbEUlRKfE_EESP_ST_SU_mSV_SY_bEUlT_E_NS1_11comp_targetILNS1_3genE8ELNS1_11target_archE1030ELNS1_3gpuE2ELNS1_3repE0EEENS1_30default_config_static_selectorELNS0_4arch9wavefront6targetE1EEEvSS_.has_recursion, 0
	.set _ZN7rocprim17ROCPRIM_400000_NS6detail17trampoline_kernelINS0_14default_configENS1_27lower_bound_config_selectorIflEEZNS1_14transform_implILb0ES3_S5_N6thrust23THRUST_200600_302600_NS6detail15normal_iteratorINS8_7pointerIfNS8_11hip_rocprim5par_tENS8_11use_defaultESE_EEEENSA_INSB_IlSD_SE_SE_EEEEZNS1_13binary_searchIS3_S5_PfSG_SI_NS1_21lower_bound_search_opENS9_16wrapped_functionI11custom_lessbEEEE10hipError_tPvRmT1_T2_T3_mmT4_T5_P12ihipStream_tbEUlRKfE_EESP_ST_SU_mSV_SY_bEUlT_E_NS1_11comp_targetILNS1_3genE8ELNS1_11target_archE1030ELNS1_3gpuE2ELNS1_3repE0EEENS1_30default_config_static_selectorELNS0_4arch9wavefront6targetE1EEEvSS_.has_indirect_call, 0
	.section	.AMDGPU.csdata,"",@progbits
; Kernel info:
; codeLenInByte = 0
; TotalNumSgprs: 4
; NumVgprs: 0
; ScratchSize: 0
; MemoryBound: 0
; FloatMode: 240
; IeeeMode: 1
; LDSByteSize: 0 bytes/workgroup (compile time only)
; SGPRBlocks: 0
; VGPRBlocks: 0
; NumSGPRsForWavesPerEU: 4
; NumVGPRsForWavesPerEU: 1
; Occupancy: 10
; WaveLimiterHint : 0
; COMPUTE_PGM_RSRC2:SCRATCH_EN: 0
; COMPUTE_PGM_RSRC2:USER_SGPR: 6
; COMPUTE_PGM_RSRC2:TRAP_HANDLER: 0
; COMPUTE_PGM_RSRC2:TGID_X_EN: 1
; COMPUTE_PGM_RSRC2:TGID_Y_EN: 0
; COMPUTE_PGM_RSRC2:TGID_Z_EN: 0
; COMPUTE_PGM_RSRC2:TIDIG_COMP_CNT: 0
	.section	.text._ZN7rocprim17ROCPRIM_400000_NS6detail17trampoline_kernelINS0_14default_configENS1_27lower_bound_config_selectorIflEEZNS1_14transform_implILb0ES3_S5_N6thrust23THRUST_200600_302600_NS6detail15normal_iteratorINS8_7pointerIfNS8_11hip_rocprim5par_tENS8_11use_defaultESE_EEEENSA_INSB_IlSD_SE_SE_EEEEZNS1_13binary_searchIS3_S5_PfSG_SI_NS1_21lower_bound_search_opENS9_16wrapped_functionINS8_6system6detail7generic6detail18binary_search_lessEbEEEE10hipError_tPvRmT1_T2_T3_mmT4_T5_P12ihipStream_tbEUlRKfE_EEST_SX_SY_mSZ_S12_bEUlT_E_NS1_11comp_targetILNS1_3genE0ELNS1_11target_archE4294967295ELNS1_3gpuE0ELNS1_3repE0EEENS1_30default_config_static_selectorELNS0_4arch9wavefront6targetE1EEEvSW_,"axG",@progbits,_ZN7rocprim17ROCPRIM_400000_NS6detail17trampoline_kernelINS0_14default_configENS1_27lower_bound_config_selectorIflEEZNS1_14transform_implILb0ES3_S5_N6thrust23THRUST_200600_302600_NS6detail15normal_iteratorINS8_7pointerIfNS8_11hip_rocprim5par_tENS8_11use_defaultESE_EEEENSA_INSB_IlSD_SE_SE_EEEEZNS1_13binary_searchIS3_S5_PfSG_SI_NS1_21lower_bound_search_opENS9_16wrapped_functionINS8_6system6detail7generic6detail18binary_search_lessEbEEEE10hipError_tPvRmT1_T2_T3_mmT4_T5_P12ihipStream_tbEUlRKfE_EEST_SX_SY_mSZ_S12_bEUlT_E_NS1_11comp_targetILNS1_3genE0ELNS1_11target_archE4294967295ELNS1_3gpuE0ELNS1_3repE0EEENS1_30default_config_static_selectorELNS0_4arch9wavefront6targetE1EEEvSW_,comdat
	.protected	_ZN7rocprim17ROCPRIM_400000_NS6detail17trampoline_kernelINS0_14default_configENS1_27lower_bound_config_selectorIflEEZNS1_14transform_implILb0ES3_S5_N6thrust23THRUST_200600_302600_NS6detail15normal_iteratorINS8_7pointerIfNS8_11hip_rocprim5par_tENS8_11use_defaultESE_EEEENSA_INSB_IlSD_SE_SE_EEEEZNS1_13binary_searchIS3_S5_PfSG_SI_NS1_21lower_bound_search_opENS9_16wrapped_functionINS8_6system6detail7generic6detail18binary_search_lessEbEEEE10hipError_tPvRmT1_T2_T3_mmT4_T5_P12ihipStream_tbEUlRKfE_EEST_SX_SY_mSZ_S12_bEUlT_E_NS1_11comp_targetILNS1_3genE0ELNS1_11target_archE4294967295ELNS1_3gpuE0ELNS1_3repE0EEENS1_30default_config_static_selectorELNS0_4arch9wavefront6targetE1EEEvSW_ ; -- Begin function _ZN7rocprim17ROCPRIM_400000_NS6detail17trampoline_kernelINS0_14default_configENS1_27lower_bound_config_selectorIflEEZNS1_14transform_implILb0ES3_S5_N6thrust23THRUST_200600_302600_NS6detail15normal_iteratorINS8_7pointerIfNS8_11hip_rocprim5par_tENS8_11use_defaultESE_EEEENSA_INSB_IlSD_SE_SE_EEEEZNS1_13binary_searchIS3_S5_PfSG_SI_NS1_21lower_bound_search_opENS9_16wrapped_functionINS8_6system6detail7generic6detail18binary_search_lessEbEEEE10hipError_tPvRmT1_T2_T3_mmT4_T5_P12ihipStream_tbEUlRKfE_EEST_SX_SY_mSZ_S12_bEUlT_E_NS1_11comp_targetILNS1_3genE0ELNS1_11target_archE4294967295ELNS1_3gpuE0ELNS1_3repE0EEENS1_30default_config_static_selectorELNS0_4arch9wavefront6targetE1EEEvSW_
	.globl	_ZN7rocprim17ROCPRIM_400000_NS6detail17trampoline_kernelINS0_14default_configENS1_27lower_bound_config_selectorIflEEZNS1_14transform_implILb0ES3_S5_N6thrust23THRUST_200600_302600_NS6detail15normal_iteratorINS8_7pointerIfNS8_11hip_rocprim5par_tENS8_11use_defaultESE_EEEENSA_INSB_IlSD_SE_SE_EEEEZNS1_13binary_searchIS3_S5_PfSG_SI_NS1_21lower_bound_search_opENS9_16wrapped_functionINS8_6system6detail7generic6detail18binary_search_lessEbEEEE10hipError_tPvRmT1_T2_T3_mmT4_T5_P12ihipStream_tbEUlRKfE_EEST_SX_SY_mSZ_S12_bEUlT_E_NS1_11comp_targetILNS1_3genE0ELNS1_11target_archE4294967295ELNS1_3gpuE0ELNS1_3repE0EEENS1_30default_config_static_selectorELNS0_4arch9wavefront6targetE1EEEvSW_
	.p2align	8
	.type	_ZN7rocprim17ROCPRIM_400000_NS6detail17trampoline_kernelINS0_14default_configENS1_27lower_bound_config_selectorIflEEZNS1_14transform_implILb0ES3_S5_N6thrust23THRUST_200600_302600_NS6detail15normal_iteratorINS8_7pointerIfNS8_11hip_rocprim5par_tENS8_11use_defaultESE_EEEENSA_INSB_IlSD_SE_SE_EEEEZNS1_13binary_searchIS3_S5_PfSG_SI_NS1_21lower_bound_search_opENS9_16wrapped_functionINS8_6system6detail7generic6detail18binary_search_lessEbEEEE10hipError_tPvRmT1_T2_T3_mmT4_T5_P12ihipStream_tbEUlRKfE_EEST_SX_SY_mSZ_S12_bEUlT_E_NS1_11comp_targetILNS1_3genE0ELNS1_11target_archE4294967295ELNS1_3gpuE0ELNS1_3repE0EEENS1_30default_config_static_selectorELNS0_4arch9wavefront6targetE1EEEvSW_,@function
_ZN7rocprim17ROCPRIM_400000_NS6detail17trampoline_kernelINS0_14default_configENS1_27lower_bound_config_selectorIflEEZNS1_14transform_implILb0ES3_S5_N6thrust23THRUST_200600_302600_NS6detail15normal_iteratorINS8_7pointerIfNS8_11hip_rocprim5par_tENS8_11use_defaultESE_EEEENSA_INSB_IlSD_SE_SE_EEEEZNS1_13binary_searchIS3_S5_PfSG_SI_NS1_21lower_bound_search_opENS9_16wrapped_functionINS8_6system6detail7generic6detail18binary_search_lessEbEEEE10hipError_tPvRmT1_T2_T3_mmT4_T5_P12ihipStream_tbEUlRKfE_EEST_SX_SY_mSZ_S12_bEUlT_E_NS1_11comp_targetILNS1_3genE0ELNS1_11target_archE4294967295ELNS1_3gpuE0ELNS1_3repE0EEENS1_30default_config_static_selectorELNS0_4arch9wavefront6targetE1EEEvSW_: ; @_ZN7rocprim17ROCPRIM_400000_NS6detail17trampoline_kernelINS0_14default_configENS1_27lower_bound_config_selectorIflEEZNS1_14transform_implILb0ES3_S5_N6thrust23THRUST_200600_302600_NS6detail15normal_iteratorINS8_7pointerIfNS8_11hip_rocprim5par_tENS8_11use_defaultESE_EEEENSA_INSB_IlSD_SE_SE_EEEEZNS1_13binary_searchIS3_S5_PfSG_SI_NS1_21lower_bound_search_opENS9_16wrapped_functionINS8_6system6detail7generic6detail18binary_search_lessEbEEEE10hipError_tPvRmT1_T2_T3_mmT4_T5_P12ihipStream_tbEUlRKfE_EEST_SX_SY_mSZ_S12_bEUlT_E_NS1_11comp_targetILNS1_3genE0ELNS1_11target_archE4294967295ELNS1_3gpuE0ELNS1_3repE0EEENS1_30default_config_static_selectorELNS0_4arch9wavefront6targetE1EEEvSW_
; %bb.0:
	.section	.rodata,"a",@progbits
	.p2align	6, 0x0
	.amdhsa_kernel _ZN7rocprim17ROCPRIM_400000_NS6detail17trampoline_kernelINS0_14default_configENS1_27lower_bound_config_selectorIflEEZNS1_14transform_implILb0ES3_S5_N6thrust23THRUST_200600_302600_NS6detail15normal_iteratorINS8_7pointerIfNS8_11hip_rocprim5par_tENS8_11use_defaultESE_EEEENSA_INSB_IlSD_SE_SE_EEEEZNS1_13binary_searchIS3_S5_PfSG_SI_NS1_21lower_bound_search_opENS9_16wrapped_functionINS8_6system6detail7generic6detail18binary_search_lessEbEEEE10hipError_tPvRmT1_T2_T3_mmT4_T5_P12ihipStream_tbEUlRKfE_EEST_SX_SY_mSZ_S12_bEUlT_E_NS1_11comp_targetILNS1_3genE0ELNS1_11target_archE4294967295ELNS1_3gpuE0ELNS1_3repE0EEENS1_30default_config_static_selectorELNS0_4arch9wavefront6targetE1EEEvSW_
		.amdhsa_group_segment_fixed_size 0
		.amdhsa_private_segment_fixed_size 0
		.amdhsa_kernarg_size 56
		.amdhsa_user_sgpr_count 6
		.amdhsa_user_sgpr_private_segment_buffer 1
		.amdhsa_user_sgpr_dispatch_ptr 0
		.amdhsa_user_sgpr_queue_ptr 0
		.amdhsa_user_sgpr_kernarg_segment_ptr 1
		.amdhsa_user_sgpr_dispatch_id 0
		.amdhsa_user_sgpr_flat_scratch_init 0
		.amdhsa_user_sgpr_private_segment_size 0
		.amdhsa_uses_dynamic_stack 0
		.amdhsa_system_sgpr_private_segment_wavefront_offset 0
		.amdhsa_system_sgpr_workgroup_id_x 1
		.amdhsa_system_sgpr_workgroup_id_y 0
		.amdhsa_system_sgpr_workgroup_id_z 0
		.amdhsa_system_sgpr_workgroup_info 0
		.amdhsa_system_vgpr_workitem_id 0
		.amdhsa_next_free_vgpr 1
		.amdhsa_next_free_sgpr 0
		.amdhsa_reserve_vcc 0
		.amdhsa_reserve_flat_scratch 0
		.amdhsa_float_round_mode_32 0
		.amdhsa_float_round_mode_16_64 0
		.amdhsa_float_denorm_mode_32 3
		.amdhsa_float_denorm_mode_16_64 3
		.amdhsa_dx10_clamp 1
		.amdhsa_ieee_mode 1
		.amdhsa_fp16_overflow 0
		.amdhsa_exception_fp_ieee_invalid_op 0
		.amdhsa_exception_fp_denorm_src 0
		.amdhsa_exception_fp_ieee_div_zero 0
		.amdhsa_exception_fp_ieee_overflow 0
		.amdhsa_exception_fp_ieee_underflow 0
		.amdhsa_exception_fp_ieee_inexact 0
		.amdhsa_exception_int_div_zero 0
	.end_amdhsa_kernel
	.section	.text._ZN7rocprim17ROCPRIM_400000_NS6detail17trampoline_kernelINS0_14default_configENS1_27lower_bound_config_selectorIflEEZNS1_14transform_implILb0ES3_S5_N6thrust23THRUST_200600_302600_NS6detail15normal_iteratorINS8_7pointerIfNS8_11hip_rocprim5par_tENS8_11use_defaultESE_EEEENSA_INSB_IlSD_SE_SE_EEEEZNS1_13binary_searchIS3_S5_PfSG_SI_NS1_21lower_bound_search_opENS9_16wrapped_functionINS8_6system6detail7generic6detail18binary_search_lessEbEEEE10hipError_tPvRmT1_T2_T3_mmT4_T5_P12ihipStream_tbEUlRKfE_EEST_SX_SY_mSZ_S12_bEUlT_E_NS1_11comp_targetILNS1_3genE0ELNS1_11target_archE4294967295ELNS1_3gpuE0ELNS1_3repE0EEENS1_30default_config_static_selectorELNS0_4arch9wavefront6targetE1EEEvSW_,"axG",@progbits,_ZN7rocprim17ROCPRIM_400000_NS6detail17trampoline_kernelINS0_14default_configENS1_27lower_bound_config_selectorIflEEZNS1_14transform_implILb0ES3_S5_N6thrust23THRUST_200600_302600_NS6detail15normal_iteratorINS8_7pointerIfNS8_11hip_rocprim5par_tENS8_11use_defaultESE_EEEENSA_INSB_IlSD_SE_SE_EEEEZNS1_13binary_searchIS3_S5_PfSG_SI_NS1_21lower_bound_search_opENS9_16wrapped_functionINS8_6system6detail7generic6detail18binary_search_lessEbEEEE10hipError_tPvRmT1_T2_T3_mmT4_T5_P12ihipStream_tbEUlRKfE_EEST_SX_SY_mSZ_S12_bEUlT_E_NS1_11comp_targetILNS1_3genE0ELNS1_11target_archE4294967295ELNS1_3gpuE0ELNS1_3repE0EEENS1_30default_config_static_selectorELNS0_4arch9wavefront6targetE1EEEvSW_,comdat
.Lfunc_end33:
	.size	_ZN7rocprim17ROCPRIM_400000_NS6detail17trampoline_kernelINS0_14default_configENS1_27lower_bound_config_selectorIflEEZNS1_14transform_implILb0ES3_S5_N6thrust23THRUST_200600_302600_NS6detail15normal_iteratorINS8_7pointerIfNS8_11hip_rocprim5par_tENS8_11use_defaultESE_EEEENSA_INSB_IlSD_SE_SE_EEEEZNS1_13binary_searchIS3_S5_PfSG_SI_NS1_21lower_bound_search_opENS9_16wrapped_functionINS8_6system6detail7generic6detail18binary_search_lessEbEEEE10hipError_tPvRmT1_T2_T3_mmT4_T5_P12ihipStream_tbEUlRKfE_EEST_SX_SY_mSZ_S12_bEUlT_E_NS1_11comp_targetILNS1_3genE0ELNS1_11target_archE4294967295ELNS1_3gpuE0ELNS1_3repE0EEENS1_30default_config_static_selectorELNS0_4arch9wavefront6targetE1EEEvSW_, .Lfunc_end33-_ZN7rocprim17ROCPRIM_400000_NS6detail17trampoline_kernelINS0_14default_configENS1_27lower_bound_config_selectorIflEEZNS1_14transform_implILb0ES3_S5_N6thrust23THRUST_200600_302600_NS6detail15normal_iteratorINS8_7pointerIfNS8_11hip_rocprim5par_tENS8_11use_defaultESE_EEEENSA_INSB_IlSD_SE_SE_EEEEZNS1_13binary_searchIS3_S5_PfSG_SI_NS1_21lower_bound_search_opENS9_16wrapped_functionINS8_6system6detail7generic6detail18binary_search_lessEbEEEE10hipError_tPvRmT1_T2_T3_mmT4_T5_P12ihipStream_tbEUlRKfE_EEST_SX_SY_mSZ_S12_bEUlT_E_NS1_11comp_targetILNS1_3genE0ELNS1_11target_archE4294967295ELNS1_3gpuE0ELNS1_3repE0EEENS1_30default_config_static_selectorELNS0_4arch9wavefront6targetE1EEEvSW_
                                        ; -- End function
	.set _ZN7rocprim17ROCPRIM_400000_NS6detail17trampoline_kernelINS0_14default_configENS1_27lower_bound_config_selectorIflEEZNS1_14transform_implILb0ES3_S5_N6thrust23THRUST_200600_302600_NS6detail15normal_iteratorINS8_7pointerIfNS8_11hip_rocprim5par_tENS8_11use_defaultESE_EEEENSA_INSB_IlSD_SE_SE_EEEEZNS1_13binary_searchIS3_S5_PfSG_SI_NS1_21lower_bound_search_opENS9_16wrapped_functionINS8_6system6detail7generic6detail18binary_search_lessEbEEEE10hipError_tPvRmT1_T2_T3_mmT4_T5_P12ihipStream_tbEUlRKfE_EEST_SX_SY_mSZ_S12_bEUlT_E_NS1_11comp_targetILNS1_3genE0ELNS1_11target_archE4294967295ELNS1_3gpuE0ELNS1_3repE0EEENS1_30default_config_static_selectorELNS0_4arch9wavefront6targetE1EEEvSW_.num_vgpr, 0
	.set _ZN7rocprim17ROCPRIM_400000_NS6detail17trampoline_kernelINS0_14default_configENS1_27lower_bound_config_selectorIflEEZNS1_14transform_implILb0ES3_S5_N6thrust23THRUST_200600_302600_NS6detail15normal_iteratorINS8_7pointerIfNS8_11hip_rocprim5par_tENS8_11use_defaultESE_EEEENSA_INSB_IlSD_SE_SE_EEEEZNS1_13binary_searchIS3_S5_PfSG_SI_NS1_21lower_bound_search_opENS9_16wrapped_functionINS8_6system6detail7generic6detail18binary_search_lessEbEEEE10hipError_tPvRmT1_T2_T3_mmT4_T5_P12ihipStream_tbEUlRKfE_EEST_SX_SY_mSZ_S12_bEUlT_E_NS1_11comp_targetILNS1_3genE0ELNS1_11target_archE4294967295ELNS1_3gpuE0ELNS1_3repE0EEENS1_30default_config_static_selectorELNS0_4arch9wavefront6targetE1EEEvSW_.num_agpr, 0
	.set _ZN7rocprim17ROCPRIM_400000_NS6detail17trampoline_kernelINS0_14default_configENS1_27lower_bound_config_selectorIflEEZNS1_14transform_implILb0ES3_S5_N6thrust23THRUST_200600_302600_NS6detail15normal_iteratorINS8_7pointerIfNS8_11hip_rocprim5par_tENS8_11use_defaultESE_EEEENSA_INSB_IlSD_SE_SE_EEEEZNS1_13binary_searchIS3_S5_PfSG_SI_NS1_21lower_bound_search_opENS9_16wrapped_functionINS8_6system6detail7generic6detail18binary_search_lessEbEEEE10hipError_tPvRmT1_T2_T3_mmT4_T5_P12ihipStream_tbEUlRKfE_EEST_SX_SY_mSZ_S12_bEUlT_E_NS1_11comp_targetILNS1_3genE0ELNS1_11target_archE4294967295ELNS1_3gpuE0ELNS1_3repE0EEENS1_30default_config_static_selectorELNS0_4arch9wavefront6targetE1EEEvSW_.numbered_sgpr, 0
	.set _ZN7rocprim17ROCPRIM_400000_NS6detail17trampoline_kernelINS0_14default_configENS1_27lower_bound_config_selectorIflEEZNS1_14transform_implILb0ES3_S5_N6thrust23THRUST_200600_302600_NS6detail15normal_iteratorINS8_7pointerIfNS8_11hip_rocprim5par_tENS8_11use_defaultESE_EEEENSA_INSB_IlSD_SE_SE_EEEEZNS1_13binary_searchIS3_S5_PfSG_SI_NS1_21lower_bound_search_opENS9_16wrapped_functionINS8_6system6detail7generic6detail18binary_search_lessEbEEEE10hipError_tPvRmT1_T2_T3_mmT4_T5_P12ihipStream_tbEUlRKfE_EEST_SX_SY_mSZ_S12_bEUlT_E_NS1_11comp_targetILNS1_3genE0ELNS1_11target_archE4294967295ELNS1_3gpuE0ELNS1_3repE0EEENS1_30default_config_static_selectorELNS0_4arch9wavefront6targetE1EEEvSW_.num_named_barrier, 0
	.set _ZN7rocprim17ROCPRIM_400000_NS6detail17trampoline_kernelINS0_14default_configENS1_27lower_bound_config_selectorIflEEZNS1_14transform_implILb0ES3_S5_N6thrust23THRUST_200600_302600_NS6detail15normal_iteratorINS8_7pointerIfNS8_11hip_rocprim5par_tENS8_11use_defaultESE_EEEENSA_INSB_IlSD_SE_SE_EEEEZNS1_13binary_searchIS3_S5_PfSG_SI_NS1_21lower_bound_search_opENS9_16wrapped_functionINS8_6system6detail7generic6detail18binary_search_lessEbEEEE10hipError_tPvRmT1_T2_T3_mmT4_T5_P12ihipStream_tbEUlRKfE_EEST_SX_SY_mSZ_S12_bEUlT_E_NS1_11comp_targetILNS1_3genE0ELNS1_11target_archE4294967295ELNS1_3gpuE0ELNS1_3repE0EEENS1_30default_config_static_selectorELNS0_4arch9wavefront6targetE1EEEvSW_.private_seg_size, 0
	.set _ZN7rocprim17ROCPRIM_400000_NS6detail17trampoline_kernelINS0_14default_configENS1_27lower_bound_config_selectorIflEEZNS1_14transform_implILb0ES3_S5_N6thrust23THRUST_200600_302600_NS6detail15normal_iteratorINS8_7pointerIfNS8_11hip_rocprim5par_tENS8_11use_defaultESE_EEEENSA_INSB_IlSD_SE_SE_EEEEZNS1_13binary_searchIS3_S5_PfSG_SI_NS1_21lower_bound_search_opENS9_16wrapped_functionINS8_6system6detail7generic6detail18binary_search_lessEbEEEE10hipError_tPvRmT1_T2_T3_mmT4_T5_P12ihipStream_tbEUlRKfE_EEST_SX_SY_mSZ_S12_bEUlT_E_NS1_11comp_targetILNS1_3genE0ELNS1_11target_archE4294967295ELNS1_3gpuE0ELNS1_3repE0EEENS1_30default_config_static_selectorELNS0_4arch9wavefront6targetE1EEEvSW_.uses_vcc, 0
	.set _ZN7rocprim17ROCPRIM_400000_NS6detail17trampoline_kernelINS0_14default_configENS1_27lower_bound_config_selectorIflEEZNS1_14transform_implILb0ES3_S5_N6thrust23THRUST_200600_302600_NS6detail15normal_iteratorINS8_7pointerIfNS8_11hip_rocprim5par_tENS8_11use_defaultESE_EEEENSA_INSB_IlSD_SE_SE_EEEEZNS1_13binary_searchIS3_S5_PfSG_SI_NS1_21lower_bound_search_opENS9_16wrapped_functionINS8_6system6detail7generic6detail18binary_search_lessEbEEEE10hipError_tPvRmT1_T2_T3_mmT4_T5_P12ihipStream_tbEUlRKfE_EEST_SX_SY_mSZ_S12_bEUlT_E_NS1_11comp_targetILNS1_3genE0ELNS1_11target_archE4294967295ELNS1_3gpuE0ELNS1_3repE0EEENS1_30default_config_static_selectorELNS0_4arch9wavefront6targetE1EEEvSW_.uses_flat_scratch, 0
	.set _ZN7rocprim17ROCPRIM_400000_NS6detail17trampoline_kernelINS0_14default_configENS1_27lower_bound_config_selectorIflEEZNS1_14transform_implILb0ES3_S5_N6thrust23THRUST_200600_302600_NS6detail15normal_iteratorINS8_7pointerIfNS8_11hip_rocprim5par_tENS8_11use_defaultESE_EEEENSA_INSB_IlSD_SE_SE_EEEEZNS1_13binary_searchIS3_S5_PfSG_SI_NS1_21lower_bound_search_opENS9_16wrapped_functionINS8_6system6detail7generic6detail18binary_search_lessEbEEEE10hipError_tPvRmT1_T2_T3_mmT4_T5_P12ihipStream_tbEUlRKfE_EEST_SX_SY_mSZ_S12_bEUlT_E_NS1_11comp_targetILNS1_3genE0ELNS1_11target_archE4294967295ELNS1_3gpuE0ELNS1_3repE0EEENS1_30default_config_static_selectorELNS0_4arch9wavefront6targetE1EEEvSW_.has_dyn_sized_stack, 0
	.set _ZN7rocprim17ROCPRIM_400000_NS6detail17trampoline_kernelINS0_14default_configENS1_27lower_bound_config_selectorIflEEZNS1_14transform_implILb0ES3_S5_N6thrust23THRUST_200600_302600_NS6detail15normal_iteratorINS8_7pointerIfNS8_11hip_rocprim5par_tENS8_11use_defaultESE_EEEENSA_INSB_IlSD_SE_SE_EEEEZNS1_13binary_searchIS3_S5_PfSG_SI_NS1_21lower_bound_search_opENS9_16wrapped_functionINS8_6system6detail7generic6detail18binary_search_lessEbEEEE10hipError_tPvRmT1_T2_T3_mmT4_T5_P12ihipStream_tbEUlRKfE_EEST_SX_SY_mSZ_S12_bEUlT_E_NS1_11comp_targetILNS1_3genE0ELNS1_11target_archE4294967295ELNS1_3gpuE0ELNS1_3repE0EEENS1_30default_config_static_selectorELNS0_4arch9wavefront6targetE1EEEvSW_.has_recursion, 0
	.set _ZN7rocprim17ROCPRIM_400000_NS6detail17trampoline_kernelINS0_14default_configENS1_27lower_bound_config_selectorIflEEZNS1_14transform_implILb0ES3_S5_N6thrust23THRUST_200600_302600_NS6detail15normal_iteratorINS8_7pointerIfNS8_11hip_rocprim5par_tENS8_11use_defaultESE_EEEENSA_INSB_IlSD_SE_SE_EEEEZNS1_13binary_searchIS3_S5_PfSG_SI_NS1_21lower_bound_search_opENS9_16wrapped_functionINS8_6system6detail7generic6detail18binary_search_lessEbEEEE10hipError_tPvRmT1_T2_T3_mmT4_T5_P12ihipStream_tbEUlRKfE_EEST_SX_SY_mSZ_S12_bEUlT_E_NS1_11comp_targetILNS1_3genE0ELNS1_11target_archE4294967295ELNS1_3gpuE0ELNS1_3repE0EEENS1_30default_config_static_selectorELNS0_4arch9wavefront6targetE1EEEvSW_.has_indirect_call, 0
	.section	.AMDGPU.csdata,"",@progbits
; Kernel info:
; codeLenInByte = 0
; TotalNumSgprs: 4
; NumVgprs: 0
; ScratchSize: 0
; MemoryBound: 0
; FloatMode: 240
; IeeeMode: 1
; LDSByteSize: 0 bytes/workgroup (compile time only)
; SGPRBlocks: 0
; VGPRBlocks: 0
; NumSGPRsForWavesPerEU: 4
; NumVGPRsForWavesPerEU: 1
; Occupancy: 10
; WaveLimiterHint : 0
; COMPUTE_PGM_RSRC2:SCRATCH_EN: 0
; COMPUTE_PGM_RSRC2:USER_SGPR: 6
; COMPUTE_PGM_RSRC2:TRAP_HANDLER: 0
; COMPUTE_PGM_RSRC2:TGID_X_EN: 1
; COMPUTE_PGM_RSRC2:TGID_Y_EN: 0
; COMPUTE_PGM_RSRC2:TGID_Z_EN: 0
; COMPUTE_PGM_RSRC2:TIDIG_COMP_CNT: 0
	.section	.text._ZN7rocprim17ROCPRIM_400000_NS6detail17trampoline_kernelINS0_14default_configENS1_27lower_bound_config_selectorIflEEZNS1_14transform_implILb0ES3_S5_N6thrust23THRUST_200600_302600_NS6detail15normal_iteratorINS8_7pointerIfNS8_11hip_rocprim5par_tENS8_11use_defaultESE_EEEENSA_INSB_IlSD_SE_SE_EEEEZNS1_13binary_searchIS3_S5_PfSG_SI_NS1_21lower_bound_search_opENS9_16wrapped_functionINS8_6system6detail7generic6detail18binary_search_lessEbEEEE10hipError_tPvRmT1_T2_T3_mmT4_T5_P12ihipStream_tbEUlRKfE_EEST_SX_SY_mSZ_S12_bEUlT_E_NS1_11comp_targetILNS1_3genE5ELNS1_11target_archE942ELNS1_3gpuE9ELNS1_3repE0EEENS1_30default_config_static_selectorELNS0_4arch9wavefront6targetE1EEEvSW_,"axG",@progbits,_ZN7rocprim17ROCPRIM_400000_NS6detail17trampoline_kernelINS0_14default_configENS1_27lower_bound_config_selectorIflEEZNS1_14transform_implILb0ES3_S5_N6thrust23THRUST_200600_302600_NS6detail15normal_iteratorINS8_7pointerIfNS8_11hip_rocprim5par_tENS8_11use_defaultESE_EEEENSA_INSB_IlSD_SE_SE_EEEEZNS1_13binary_searchIS3_S5_PfSG_SI_NS1_21lower_bound_search_opENS9_16wrapped_functionINS8_6system6detail7generic6detail18binary_search_lessEbEEEE10hipError_tPvRmT1_T2_T3_mmT4_T5_P12ihipStream_tbEUlRKfE_EEST_SX_SY_mSZ_S12_bEUlT_E_NS1_11comp_targetILNS1_3genE5ELNS1_11target_archE942ELNS1_3gpuE9ELNS1_3repE0EEENS1_30default_config_static_selectorELNS0_4arch9wavefront6targetE1EEEvSW_,comdat
	.protected	_ZN7rocprim17ROCPRIM_400000_NS6detail17trampoline_kernelINS0_14default_configENS1_27lower_bound_config_selectorIflEEZNS1_14transform_implILb0ES3_S5_N6thrust23THRUST_200600_302600_NS6detail15normal_iteratorINS8_7pointerIfNS8_11hip_rocprim5par_tENS8_11use_defaultESE_EEEENSA_INSB_IlSD_SE_SE_EEEEZNS1_13binary_searchIS3_S5_PfSG_SI_NS1_21lower_bound_search_opENS9_16wrapped_functionINS8_6system6detail7generic6detail18binary_search_lessEbEEEE10hipError_tPvRmT1_T2_T3_mmT4_T5_P12ihipStream_tbEUlRKfE_EEST_SX_SY_mSZ_S12_bEUlT_E_NS1_11comp_targetILNS1_3genE5ELNS1_11target_archE942ELNS1_3gpuE9ELNS1_3repE0EEENS1_30default_config_static_selectorELNS0_4arch9wavefront6targetE1EEEvSW_ ; -- Begin function _ZN7rocprim17ROCPRIM_400000_NS6detail17trampoline_kernelINS0_14default_configENS1_27lower_bound_config_selectorIflEEZNS1_14transform_implILb0ES3_S5_N6thrust23THRUST_200600_302600_NS6detail15normal_iteratorINS8_7pointerIfNS8_11hip_rocprim5par_tENS8_11use_defaultESE_EEEENSA_INSB_IlSD_SE_SE_EEEEZNS1_13binary_searchIS3_S5_PfSG_SI_NS1_21lower_bound_search_opENS9_16wrapped_functionINS8_6system6detail7generic6detail18binary_search_lessEbEEEE10hipError_tPvRmT1_T2_T3_mmT4_T5_P12ihipStream_tbEUlRKfE_EEST_SX_SY_mSZ_S12_bEUlT_E_NS1_11comp_targetILNS1_3genE5ELNS1_11target_archE942ELNS1_3gpuE9ELNS1_3repE0EEENS1_30default_config_static_selectorELNS0_4arch9wavefront6targetE1EEEvSW_
	.globl	_ZN7rocprim17ROCPRIM_400000_NS6detail17trampoline_kernelINS0_14default_configENS1_27lower_bound_config_selectorIflEEZNS1_14transform_implILb0ES3_S5_N6thrust23THRUST_200600_302600_NS6detail15normal_iteratorINS8_7pointerIfNS8_11hip_rocprim5par_tENS8_11use_defaultESE_EEEENSA_INSB_IlSD_SE_SE_EEEEZNS1_13binary_searchIS3_S5_PfSG_SI_NS1_21lower_bound_search_opENS9_16wrapped_functionINS8_6system6detail7generic6detail18binary_search_lessEbEEEE10hipError_tPvRmT1_T2_T3_mmT4_T5_P12ihipStream_tbEUlRKfE_EEST_SX_SY_mSZ_S12_bEUlT_E_NS1_11comp_targetILNS1_3genE5ELNS1_11target_archE942ELNS1_3gpuE9ELNS1_3repE0EEENS1_30default_config_static_selectorELNS0_4arch9wavefront6targetE1EEEvSW_
	.p2align	8
	.type	_ZN7rocprim17ROCPRIM_400000_NS6detail17trampoline_kernelINS0_14default_configENS1_27lower_bound_config_selectorIflEEZNS1_14transform_implILb0ES3_S5_N6thrust23THRUST_200600_302600_NS6detail15normal_iteratorINS8_7pointerIfNS8_11hip_rocprim5par_tENS8_11use_defaultESE_EEEENSA_INSB_IlSD_SE_SE_EEEEZNS1_13binary_searchIS3_S5_PfSG_SI_NS1_21lower_bound_search_opENS9_16wrapped_functionINS8_6system6detail7generic6detail18binary_search_lessEbEEEE10hipError_tPvRmT1_T2_T3_mmT4_T5_P12ihipStream_tbEUlRKfE_EEST_SX_SY_mSZ_S12_bEUlT_E_NS1_11comp_targetILNS1_3genE5ELNS1_11target_archE942ELNS1_3gpuE9ELNS1_3repE0EEENS1_30default_config_static_selectorELNS0_4arch9wavefront6targetE1EEEvSW_,@function
_ZN7rocprim17ROCPRIM_400000_NS6detail17trampoline_kernelINS0_14default_configENS1_27lower_bound_config_selectorIflEEZNS1_14transform_implILb0ES3_S5_N6thrust23THRUST_200600_302600_NS6detail15normal_iteratorINS8_7pointerIfNS8_11hip_rocprim5par_tENS8_11use_defaultESE_EEEENSA_INSB_IlSD_SE_SE_EEEEZNS1_13binary_searchIS3_S5_PfSG_SI_NS1_21lower_bound_search_opENS9_16wrapped_functionINS8_6system6detail7generic6detail18binary_search_lessEbEEEE10hipError_tPvRmT1_T2_T3_mmT4_T5_P12ihipStream_tbEUlRKfE_EEST_SX_SY_mSZ_S12_bEUlT_E_NS1_11comp_targetILNS1_3genE5ELNS1_11target_archE942ELNS1_3gpuE9ELNS1_3repE0EEENS1_30default_config_static_selectorELNS0_4arch9wavefront6targetE1EEEvSW_: ; @_ZN7rocprim17ROCPRIM_400000_NS6detail17trampoline_kernelINS0_14default_configENS1_27lower_bound_config_selectorIflEEZNS1_14transform_implILb0ES3_S5_N6thrust23THRUST_200600_302600_NS6detail15normal_iteratorINS8_7pointerIfNS8_11hip_rocprim5par_tENS8_11use_defaultESE_EEEENSA_INSB_IlSD_SE_SE_EEEEZNS1_13binary_searchIS3_S5_PfSG_SI_NS1_21lower_bound_search_opENS9_16wrapped_functionINS8_6system6detail7generic6detail18binary_search_lessEbEEEE10hipError_tPvRmT1_T2_T3_mmT4_T5_P12ihipStream_tbEUlRKfE_EEST_SX_SY_mSZ_S12_bEUlT_E_NS1_11comp_targetILNS1_3genE5ELNS1_11target_archE942ELNS1_3gpuE9ELNS1_3repE0EEENS1_30default_config_static_selectorELNS0_4arch9wavefront6targetE1EEEvSW_
; %bb.0:
	.section	.rodata,"a",@progbits
	.p2align	6, 0x0
	.amdhsa_kernel _ZN7rocprim17ROCPRIM_400000_NS6detail17trampoline_kernelINS0_14default_configENS1_27lower_bound_config_selectorIflEEZNS1_14transform_implILb0ES3_S5_N6thrust23THRUST_200600_302600_NS6detail15normal_iteratorINS8_7pointerIfNS8_11hip_rocprim5par_tENS8_11use_defaultESE_EEEENSA_INSB_IlSD_SE_SE_EEEEZNS1_13binary_searchIS3_S5_PfSG_SI_NS1_21lower_bound_search_opENS9_16wrapped_functionINS8_6system6detail7generic6detail18binary_search_lessEbEEEE10hipError_tPvRmT1_T2_T3_mmT4_T5_P12ihipStream_tbEUlRKfE_EEST_SX_SY_mSZ_S12_bEUlT_E_NS1_11comp_targetILNS1_3genE5ELNS1_11target_archE942ELNS1_3gpuE9ELNS1_3repE0EEENS1_30default_config_static_selectorELNS0_4arch9wavefront6targetE1EEEvSW_
		.amdhsa_group_segment_fixed_size 0
		.amdhsa_private_segment_fixed_size 0
		.amdhsa_kernarg_size 56
		.amdhsa_user_sgpr_count 6
		.amdhsa_user_sgpr_private_segment_buffer 1
		.amdhsa_user_sgpr_dispatch_ptr 0
		.amdhsa_user_sgpr_queue_ptr 0
		.amdhsa_user_sgpr_kernarg_segment_ptr 1
		.amdhsa_user_sgpr_dispatch_id 0
		.amdhsa_user_sgpr_flat_scratch_init 0
		.amdhsa_user_sgpr_private_segment_size 0
		.amdhsa_uses_dynamic_stack 0
		.amdhsa_system_sgpr_private_segment_wavefront_offset 0
		.amdhsa_system_sgpr_workgroup_id_x 1
		.amdhsa_system_sgpr_workgroup_id_y 0
		.amdhsa_system_sgpr_workgroup_id_z 0
		.amdhsa_system_sgpr_workgroup_info 0
		.amdhsa_system_vgpr_workitem_id 0
		.amdhsa_next_free_vgpr 1
		.amdhsa_next_free_sgpr 0
		.amdhsa_reserve_vcc 0
		.amdhsa_reserve_flat_scratch 0
		.amdhsa_float_round_mode_32 0
		.amdhsa_float_round_mode_16_64 0
		.amdhsa_float_denorm_mode_32 3
		.amdhsa_float_denorm_mode_16_64 3
		.amdhsa_dx10_clamp 1
		.amdhsa_ieee_mode 1
		.amdhsa_fp16_overflow 0
		.amdhsa_exception_fp_ieee_invalid_op 0
		.amdhsa_exception_fp_denorm_src 0
		.amdhsa_exception_fp_ieee_div_zero 0
		.amdhsa_exception_fp_ieee_overflow 0
		.amdhsa_exception_fp_ieee_underflow 0
		.amdhsa_exception_fp_ieee_inexact 0
		.amdhsa_exception_int_div_zero 0
	.end_amdhsa_kernel
	.section	.text._ZN7rocprim17ROCPRIM_400000_NS6detail17trampoline_kernelINS0_14default_configENS1_27lower_bound_config_selectorIflEEZNS1_14transform_implILb0ES3_S5_N6thrust23THRUST_200600_302600_NS6detail15normal_iteratorINS8_7pointerIfNS8_11hip_rocprim5par_tENS8_11use_defaultESE_EEEENSA_INSB_IlSD_SE_SE_EEEEZNS1_13binary_searchIS3_S5_PfSG_SI_NS1_21lower_bound_search_opENS9_16wrapped_functionINS8_6system6detail7generic6detail18binary_search_lessEbEEEE10hipError_tPvRmT1_T2_T3_mmT4_T5_P12ihipStream_tbEUlRKfE_EEST_SX_SY_mSZ_S12_bEUlT_E_NS1_11comp_targetILNS1_3genE5ELNS1_11target_archE942ELNS1_3gpuE9ELNS1_3repE0EEENS1_30default_config_static_selectorELNS0_4arch9wavefront6targetE1EEEvSW_,"axG",@progbits,_ZN7rocprim17ROCPRIM_400000_NS6detail17trampoline_kernelINS0_14default_configENS1_27lower_bound_config_selectorIflEEZNS1_14transform_implILb0ES3_S5_N6thrust23THRUST_200600_302600_NS6detail15normal_iteratorINS8_7pointerIfNS8_11hip_rocprim5par_tENS8_11use_defaultESE_EEEENSA_INSB_IlSD_SE_SE_EEEEZNS1_13binary_searchIS3_S5_PfSG_SI_NS1_21lower_bound_search_opENS9_16wrapped_functionINS8_6system6detail7generic6detail18binary_search_lessEbEEEE10hipError_tPvRmT1_T2_T3_mmT4_T5_P12ihipStream_tbEUlRKfE_EEST_SX_SY_mSZ_S12_bEUlT_E_NS1_11comp_targetILNS1_3genE5ELNS1_11target_archE942ELNS1_3gpuE9ELNS1_3repE0EEENS1_30default_config_static_selectorELNS0_4arch9wavefront6targetE1EEEvSW_,comdat
.Lfunc_end34:
	.size	_ZN7rocprim17ROCPRIM_400000_NS6detail17trampoline_kernelINS0_14default_configENS1_27lower_bound_config_selectorIflEEZNS1_14transform_implILb0ES3_S5_N6thrust23THRUST_200600_302600_NS6detail15normal_iteratorINS8_7pointerIfNS8_11hip_rocprim5par_tENS8_11use_defaultESE_EEEENSA_INSB_IlSD_SE_SE_EEEEZNS1_13binary_searchIS3_S5_PfSG_SI_NS1_21lower_bound_search_opENS9_16wrapped_functionINS8_6system6detail7generic6detail18binary_search_lessEbEEEE10hipError_tPvRmT1_T2_T3_mmT4_T5_P12ihipStream_tbEUlRKfE_EEST_SX_SY_mSZ_S12_bEUlT_E_NS1_11comp_targetILNS1_3genE5ELNS1_11target_archE942ELNS1_3gpuE9ELNS1_3repE0EEENS1_30default_config_static_selectorELNS0_4arch9wavefront6targetE1EEEvSW_, .Lfunc_end34-_ZN7rocprim17ROCPRIM_400000_NS6detail17trampoline_kernelINS0_14default_configENS1_27lower_bound_config_selectorIflEEZNS1_14transform_implILb0ES3_S5_N6thrust23THRUST_200600_302600_NS6detail15normal_iteratorINS8_7pointerIfNS8_11hip_rocprim5par_tENS8_11use_defaultESE_EEEENSA_INSB_IlSD_SE_SE_EEEEZNS1_13binary_searchIS3_S5_PfSG_SI_NS1_21lower_bound_search_opENS9_16wrapped_functionINS8_6system6detail7generic6detail18binary_search_lessEbEEEE10hipError_tPvRmT1_T2_T3_mmT4_T5_P12ihipStream_tbEUlRKfE_EEST_SX_SY_mSZ_S12_bEUlT_E_NS1_11comp_targetILNS1_3genE5ELNS1_11target_archE942ELNS1_3gpuE9ELNS1_3repE0EEENS1_30default_config_static_selectorELNS0_4arch9wavefront6targetE1EEEvSW_
                                        ; -- End function
	.set _ZN7rocprim17ROCPRIM_400000_NS6detail17trampoline_kernelINS0_14default_configENS1_27lower_bound_config_selectorIflEEZNS1_14transform_implILb0ES3_S5_N6thrust23THRUST_200600_302600_NS6detail15normal_iteratorINS8_7pointerIfNS8_11hip_rocprim5par_tENS8_11use_defaultESE_EEEENSA_INSB_IlSD_SE_SE_EEEEZNS1_13binary_searchIS3_S5_PfSG_SI_NS1_21lower_bound_search_opENS9_16wrapped_functionINS8_6system6detail7generic6detail18binary_search_lessEbEEEE10hipError_tPvRmT1_T2_T3_mmT4_T5_P12ihipStream_tbEUlRKfE_EEST_SX_SY_mSZ_S12_bEUlT_E_NS1_11comp_targetILNS1_3genE5ELNS1_11target_archE942ELNS1_3gpuE9ELNS1_3repE0EEENS1_30default_config_static_selectorELNS0_4arch9wavefront6targetE1EEEvSW_.num_vgpr, 0
	.set _ZN7rocprim17ROCPRIM_400000_NS6detail17trampoline_kernelINS0_14default_configENS1_27lower_bound_config_selectorIflEEZNS1_14transform_implILb0ES3_S5_N6thrust23THRUST_200600_302600_NS6detail15normal_iteratorINS8_7pointerIfNS8_11hip_rocprim5par_tENS8_11use_defaultESE_EEEENSA_INSB_IlSD_SE_SE_EEEEZNS1_13binary_searchIS3_S5_PfSG_SI_NS1_21lower_bound_search_opENS9_16wrapped_functionINS8_6system6detail7generic6detail18binary_search_lessEbEEEE10hipError_tPvRmT1_T2_T3_mmT4_T5_P12ihipStream_tbEUlRKfE_EEST_SX_SY_mSZ_S12_bEUlT_E_NS1_11comp_targetILNS1_3genE5ELNS1_11target_archE942ELNS1_3gpuE9ELNS1_3repE0EEENS1_30default_config_static_selectorELNS0_4arch9wavefront6targetE1EEEvSW_.num_agpr, 0
	.set _ZN7rocprim17ROCPRIM_400000_NS6detail17trampoline_kernelINS0_14default_configENS1_27lower_bound_config_selectorIflEEZNS1_14transform_implILb0ES3_S5_N6thrust23THRUST_200600_302600_NS6detail15normal_iteratorINS8_7pointerIfNS8_11hip_rocprim5par_tENS8_11use_defaultESE_EEEENSA_INSB_IlSD_SE_SE_EEEEZNS1_13binary_searchIS3_S5_PfSG_SI_NS1_21lower_bound_search_opENS9_16wrapped_functionINS8_6system6detail7generic6detail18binary_search_lessEbEEEE10hipError_tPvRmT1_T2_T3_mmT4_T5_P12ihipStream_tbEUlRKfE_EEST_SX_SY_mSZ_S12_bEUlT_E_NS1_11comp_targetILNS1_3genE5ELNS1_11target_archE942ELNS1_3gpuE9ELNS1_3repE0EEENS1_30default_config_static_selectorELNS0_4arch9wavefront6targetE1EEEvSW_.numbered_sgpr, 0
	.set _ZN7rocprim17ROCPRIM_400000_NS6detail17trampoline_kernelINS0_14default_configENS1_27lower_bound_config_selectorIflEEZNS1_14transform_implILb0ES3_S5_N6thrust23THRUST_200600_302600_NS6detail15normal_iteratorINS8_7pointerIfNS8_11hip_rocprim5par_tENS8_11use_defaultESE_EEEENSA_INSB_IlSD_SE_SE_EEEEZNS1_13binary_searchIS3_S5_PfSG_SI_NS1_21lower_bound_search_opENS9_16wrapped_functionINS8_6system6detail7generic6detail18binary_search_lessEbEEEE10hipError_tPvRmT1_T2_T3_mmT4_T5_P12ihipStream_tbEUlRKfE_EEST_SX_SY_mSZ_S12_bEUlT_E_NS1_11comp_targetILNS1_3genE5ELNS1_11target_archE942ELNS1_3gpuE9ELNS1_3repE0EEENS1_30default_config_static_selectorELNS0_4arch9wavefront6targetE1EEEvSW_.num_named_barrier, 0
	.set _ZN7rocprim17ROCPRIM_400000_NS6detail17trampoline_kernelINS0_14default_configENS1_27lower_bound_config_selectorIflEEZNS1_14transform_implILb0ES3_S5_N6thrust23THRUST_200600_302600_NS6detail15normal_iteratorINS8_7pointerIfNS8_11hip_rocprim5par_tENS8_11use_defaultESE_EEEENSA_INSB_IlSD_SE_SE_EEEEZNS1_13binary_searchIS3_S5_PfSG_SI_NS1_21lower_bound_search_opENS9_16wrapped_functionINS8_6system6detail7generic6detail18binary_search_lessEbEEEE10hipError_tPvRmT1_T2_T3_mmT4_T5_P12ihipStream_tbEUlRKfE_EEST_SX_SY_mSZ_S12_bEUlT_E_NS1_11comp_targetILNS1_3genE5ELNS1_11target_archE942ELNS1_3gpuE9ELNS1_3repE0EEENS1_30default_config_static_selectorELNS0_4arch9wavefront6targetE1EEEvSW_.private_seg_size, 0
	.set _ZN7rocprim17ROCPRIM_400000_NS6detail17trampoline_kernelINS0_14default_configENS1_27lower_bound_config_selectorIflEEZNS1_14transform_implILb0ES3_S5_N6thrust23THRUST_200600_302600_NS6detail15normal_iteratorINS8_7pointerIfNS8_11hip_rocprim5par_tENS8_11use_defaultESE_EEEENSA_INSB_IlSD_SE_SE_EEEEZNS1_13binary_searchIS3_S5_PfSG_SI_NS1_21lower_bound_search_opENS9_16wrapped_functionINS8_6system6detail7generic6detail18binary_search_lessEbEEEE10hipError_tPvRmT1_T2_T3_mmT4_T5_P12ihipStream_tbEUlRKfE_EEST_SX_SY_mSZ_S12_bEUlT_E_NS1_11comp_targetILNS1_3genE5ELNS1_11target_archE942ELNS1_3gpuE9ELNS1_3repE0EEENS1_30default_config_static_selectorELNS0_4arch9wavefront6targetE1EEEvSW_.uses_vcc, 0
	.set _ZN7rocprim17ROCPRIM_400000_NS6detail17trampoline_kernelINS0_14default_configENS1_27lower_bound_config_selectorIflEEZNS1_14transform_implILb0ES3_S5_N6thrust23THRUST_200600_302600_NS6detail15normal_iteratorINS8_7pointerIfNS8_11hip_rocprim5par_tENS8_11use_defaultESE_EEEENSA_INSB_IlSD_SE_SE_EEEEZNS1_13binary_searchIS3_S5_PfSG_SI_NS1_21lower_bound_search_opENS9_16wrapped_functionINS8_6system6detail7generic6detail18binary_search_lessEbEEEE10hipError_tPvRmT1_T2_T3_mmT4_T5_P12ihipStream_tbEUlRKfE_EEST_SX_SY_mSZ_S12_bEUlT_E_NS1_11comp_targetILNS1_3genE5ELNS1_11target_archE942ELNS1_3gpuE9ELNS1_3repE0EEENS1_30default_config_static_selectorELNS0_4arch9wavefront6targetE1EEEvSW_.uses_flat_scratch, 0
	.set _ZN7rocprim17ROCPRIM_400000_NS6detail17trampoline_kernelINS0_14default_configENS1_27lower_bound_config_selectorIflEEZNS1_14transform_implILb0ES3_S5_N6thrust23THRUST_200600_302600_NS6detail15normal_iteratorINS8_7pointerIfNS8_11hip_rocprim5par_tENS8_11use_defaultESE_EEEENSA_INSB_IlSD_SE_SE_EEEEZNS1_13binary_searchIS3_S5_PfSG_SI_NS1_21lower_bound_search_opENS9_16wrapped_functionINS8_6system6detail7generic6detail18binary_search_lessEbEEEE10hipError_tPvRmT1_T2_T3_mmT4_T5_P12ihipStream_tbEUlRKfE_EEST_SX_SY_mSZ_S12_bEUlT_E_NS1_11comp_targetILNS1_3genE5ELNS1_11target_archE942ELNS1_3gpuE9ELNS1_3repE0EEENS1_30default_config_static_selectorELNS0_4arch9wavefront6targetE1EEEvSW_.has_dyn_sized_stack, 0
	.set _ZN7rocprim17ROCPRIM_400000_NS6detail17trampoline_kernelINS0_14default_configENS1_27lower_bound_config_selectorIflEEZNS1_14transform_implILb0ES3_S5_N6thrust23THRUST_200600_302600_NS6detail15normal_iteratorINS8_7pointerIfNS8_11hip_rocprim5par_tENS8_11use_defaultESE_EEEENSA_INSB_IlSD_SE_SE_EEEEZNS1_13binary_searchIS3_S5_PfSG_SI_NS1_21lower_bound_search_opENS9_16wrapped_functionINS8_6system6detail7generic6detail18binary_search_lessEbEEEE10hipError_tPvRmT1_T2_T3_mmT4_T5_P12ihipStream_tbEUlRKfE_EEST_SX_SY_mSZ_S12_bEUlT_E_NS1_11comp_targetILNS1_3genE5ELNS1_11target_archE942ELNS1_3gpuE9ELNS1_3repE0EEENS1_30default_config_static_selectorELNS0_4arch9wavefront6targetE1EEEvSW_.has_recursion, 0
	.set _ZN7rocprim17ROCPRIM_400000_NS6detail17trampoline_kernelINS0_14default_configENS1_27lower_bound_config_selectorIflEEZNS1_14transform_implILb0ES3_S5_N6thrust23THRUST_200600_302600_NS6detail15normal_iteratorINS8_7pointerIfNS8_11hip_rocprim5par_tENS8_11use_defaultESE_EEEENSA_INSB_IlSD_SE_SE_EEEEZNS1_13binary_searchIS3_S5_PfSG_SI_NS1_21lower_bound_search_opENS9_16wrapped_functionINS8_6system6detail7generic6detail18binary_search_lessEbEEEE10hipError_tPvRmT1_T2_T3_mmT4_T5_P12ihipStream_tbEUlRKfE_EEST_SX_SY_mSZ_S12_bEUlT_E_NS1_11comp_targetILNS1_3genE5ELNS1_11target_archE942ELNS1_3gpuE9ELNS1_3repE0EEENS1_30default_config_static_selectorELNS0_4arch9wavefront6targetE1EEEvSW_.has_indirect_call, 0
	.section	.AMDGPU.csdata,"",@progbits
; Kernel info:
; codeLenInByte = 0
; TotalNumSgprs: 4
; NumVgprs: 0
; ScratchSize: 0
; MemoryBound: 0
; FloatMode: 240
; IeeeMode: 1
; LDSByteSize: 0 bytes/workgroup (compile time only)
; SGPRBlocks: 0
; VGPRBlocks: 0
; NumSGPRsForWavesPerEU: 4
; NumVGPRsForWavesPerEU: 1
; Occupancy: 10
; WaveLimiterHint : 0
; COMPUTE_PGM_RSRC2:SCRATCH_EN: 0
; COMPUTE_PGM_RSRC2:USER_SGPR: 6
; COMPUTE_PGM_RSRC2:TRAP_HANDLER: 0
; COMPUTE_PGM_RSRC2:TGID_X_EN: 1
; COMPUTE_PGM_RSRC2:TGID_Y_EN: 0
; COMPUTE_PGM_RSRC2:TGID_Z_EN: 0
; COMPUTE_PGM_RSRC2:TIDIG_COMP_CNT: 0
	.section	.text._ZN7rocprim17ROCPRIM_400000_NS6detail17trampoline_kernelINS0_14default_configENS1_27lower_bound_config_selectorIflEEZNS1_14transform_implILb0ES3_S5_N6thrust23THRUST_200600_302600_NS6detail15normal_iteratorINS8_7pointerIfNS8_11hip_rocprim5par_tENS8_11use_defaultESE_EEEENSA_INSB_IlSD_SE_SE_EEEEZNS1_13binary_searchIS3_S5_PfSG_SI_NS1_21lower_bound_search_opENS9_16wrapped_functionINS8_6system6detail7generic6detail18binary_search_lessEbEEEE10hipError_tPvRmT1_T2_T3_mmT4_T5_P12ihipStream_tbEUlRKfE_EEST_SX_SY_mSZ_S12_bEUlT_E_NS1_11comp_targetILNS1_3genE4ELNS1_11target_archE910ELNS1_3gpuE8ELNS1_3repE0EEENS1_30default_config_static_selectorELNS0_4arch9wavefront6targetE1EEEvSW_,"axG",@progbits,_ZN7rocprim17ROCPRIM_400000_NS6detail17trampoline_kernelINS0_14default_configENS1_27lower_bound_config_selectorIflEEZNS1_14transform_implILb0ES3_S5_N6thrust23THRUST_200600_302600_NS6detail15normal_iteratorINS8_7pointerIfNS8_11hip_rocprim5par_tENS8_11use_defaultESE_EEEENSA_INSB_IlSD_SE_SE_EEEEZNS1_13binary_searchIS3_S5_PfSG_SI_NS1_21lower_bound_search_opENS9_16wrapped_functionINS8_6system6detail7generic6detail18binary_search_lessEbEEEE10hipError_tPvRmT1_T2_T3_mmT4_T5_P12ihipStream_tbEUlRKfE_EEST_SX_SY_mSZ_S12_bEUlT_E_NS1_11comp_targetILNS1_3genE4ELNS1_11target_archE910ELNS1_3gpuE8ELNS1_3repE0EEENS1_30default_config_static_selectorELNS0_4arch9wavefront6targetE1EEEvSW_,comdat
	.protected	_ZN7rocprim17ROCPRIM_400000_NS6detail17trampoline_kernelINS0_14default_configENS1_27lower_bound_config_selectorIflEEZNS1_14transform_implILb0ES3_S5_N6thrust23THRUST_200600_302600_NS6detail15normal_iteratorINS8_7pointerIfNS8_11hip_rocprim5par_tENS8_11use_defaultESE_EEEENSA_INSB_IlSD_SE_SE_EEEEZNS1_13binary_searchIS3_S5_PfSG_SI_NS1_21lower_bound_search_opENS9_16wrapped_functionINS8_6system6detail7generic6detail18binary_search_lessEbEEEE10hipError_tPvRmT1_T2_T3_mmT4_T5_P12ihipStream_tbEUlRKfE_EEST_SX_SY_mSZ_S12_bEUlT_E_NS1_11comp_targetILNS1_3genE4ELNS1_11target_archE910ELNS1_3gpuE8ELNS1_3repE0EEENS1_30default_config_static_selectorELNS0_4arch9wavefront6targetE1EEEvSW_ ; -- Begin function _ZN7rocprim17ROCPRIM_400000_NS6detail17trampoline_kernelINS0_14default_configENS1_27lower_bound_config_selectorIflEEZNS1_14transform_implILb0ES3_S5_N6thrust23THRUST_200600_302600_NS6detail15normal_iteratorINS8_7pointerIfNS8_11hip_rocprim5par_tENS8_11use_defaultESE_EEEENSA_INSB_IlSD_SE_SE_EEEEZNS1_13binary_searchIS3_S5_PfSG_SI_NS1_21lower_bound_search_opENS9_16wrapped_functionINS8_6system6detail7generic6detail18binary_search_lessEbEEEE10hipError_tPvRmT1_T2_T3_mmT4_T5_P12ihipStream_tbEUlRKfE_EEST_SX_SY_mSZ_S12_bEUlT_E_NS1_11comp_targetILNS1_3genE4ELNS1_11target_archE910ELNS1_3gpuE8ELNS1_3repE0EEENS1_30default_config_static_selectorELNS0_4arch9wavefront6targetE1EEEvSW_
	.globl	_ZN7rocprim17ROCPRIM_400000_NS6detail17trampoline_kernelINS0_14default_configENS1_27lower_bound_config_selectorIflEEZNS1_14transform_implILb0ES3_S5_N6thrust23THRUST_200600_302600_NS6detail15normal_iteratorINS8_7pointerIfNS8_11hip_rocprim5par_tENS8_11use_defaultESE_EEEENSA_INSB_IlSD_SE_SE_EEEEZNS1_13binary_searchIS3_S5_PfSG_SI_NS1_21lower_bound_search_opENS9_16wrapped_functionINS8_6system6detail7generic6detail18binary_search_lessEbEEEE10hipError_tPvRmT1_T2_T3_mmT4_T5_P12ihipStream_tbEUlRKfE_EEST_SX_SY_mSZ_S12_bEUlT_E_NS1_11comp_targetILNS1_3genE4ELNS1_11target_archE910ELNS1_3gpuE8ELNS1_3repE0EEENS1_30default_config_static_selectorELNS0_4arch9wavefront6targetE1EEEvSW_
	.p2align	8
	.type	_ZN7rocprim17ROCPRIM_400000_NS6detail17trampoline_kernelINS0_14default_configENS1_27lower_bound_config_selectorIflEEZNS1_14transform_implILb0ES3_S5_N6thrust23THRUST_200600_302600_NS6detail15normal_iteratorINS8_7pointerIfNS8_11hip_rocprim5par_tENS8_11use_defaultESE_EEEENSA_INSB_IlSD_SE_SE_EEEEZNS1_13binary_searchIS3_S5_PfSG_SI_NS1_21lower_bound_search_opENS9_16wrapped_functionINS8_6system6detail7generic6detail18binary_search_lessEbEEEE10hipError_tPvRmT1_T2_T3_mmT4_T5_P12ihipStream_tbEUlRKfE_EEST_SX_SY_mSZ_S12_bEUlT_E_NS1_11comp_targetILNS1_3genE4ELNS1_11target_archE910ELNS1_3gpuE8ELNS1_3repE0EEENS1_30default_config_static_selectorELNS0_4arch9wavefront6targetE1EEEvSW_,@function
_ZN7rocprim17ROCPRIM_400000_NS6detail17trampoline_kernelINS0_14default_configENS1_27lower_bound_config_selectorIflEEZNS1_14transform_implILb0ES3_S5_N6thrust23THRUST_200600_302600_NS6detail15normal_iteratorINS8_7pointerIfNS8_11hip_rocprim5par_tENS8_11use_defaultESE_EEEENSA_INSB_IlSD_SE_SE_EEEEZNS1_13binary_searchIS3_S5_PfSG_SI_NS1_21lower_bound_search_opENS9_16wrapped_functionINS8_6system6detail7generic6detail18binary_search_lessEbEEEE10hipError_tPvRmT1_T2_T3_mmT4_T5_P12ihipStream_tbEUlRKfE_EEST_SX_SY_mSZ_S12_bEUlT_E_NS1_11comp_targetILNS1_3genE4ELNS1_11target_archE910ELNS1_3gpuE8ELNS1_3repE0EEENS1_30default_config_static_selectorELNS0_4arch9wavefront6targetE1EEEvSW_: ; @_ZN7rocprim17ROCPRIM_400000_NS6detail17trampoline_kernelINS0_14default_configENS1_27lower_bound_config_selectorIflEEZNS1_14transform_implILb0ES3_S5_N6thrust23THRUST_200600_302600_NS6detail15normal_iteratorINS8_7pointerIfNS8_11hip_rocprim5par_tENS8_11use_defaultESE_EEEENSA_INSB_IlSD_SE_SE_EEEEZNS1_13binary_searchIS3_S5_PfSG_SI_NS1_21lower_bound_search_opENS9_16wrapped_functionINS8_6system6detail7generic6detail18binary_search_lessEbEEEE10hipError_tPvRmT1_T2_T3_mmT4_T5_P12ihipStream_tbEUlRKfE_EEST_SX_SY_mSZ_S12_bEUlT_E_NS1_11comp_targetILNS1_3genE4ELNS1_11target_archE910ELNS1_3gpuE8ELNS1_3repE0EEENS1_30default_config_static_selectorELNS0_4arch9wavefront6targetE1EEEvSW_
; %bb.0:
	.section	.rodata,"a",@progbits
	.p2align	6, 0x0
	.amdhsa_kernel _ZN7rocprim17ROCPRIM_400000_NS6detail17trampoline_kernelINS0_14default_configENS1_27lower_bound_config_selectorIflEEZNS1_14transform_implILb0ES3_S5_N6thrust23THRUST_200600_302600_NS6detail15normal_iteratorINS8_7pointerIfNS8_11hip_rocprim5par_tENS8_11use_defaultESE_EEEENSA_INSB_IlSD_SE_SE_EEEEZNS1_13binary_searchIS3_S5_PfSG_SI_NS1_21lower_bound_search_opENS9_16wrapped_functionINS8_6system6detail7generic6detail18binary_search_lessEbEEEE10hipError_tPvRmT1_T2_T3_mmT4_T5_P12ihipStream_tbEUlRKfE_EEST_SX_SY_mSZ_S12_bEUlT_E_NS1_11comp_targetILNS1_3genE4ELNS1_11target_archE910ELNS1_3gpuE8ELNS1_3repE0EEENS1_30default_config_static_selectorELNS0_4arch9wavefront6targetE1EEEvSW_
		.amdhsa_group_segment_fixed_size 0
		.amdhsa_private_segment_fixed_size 0
		.amdhsa_kernarg_size 56
		.amdhsa_user_sgpr_count 6
		.amdhsa_user_sgpr_private_segment_buffer 1
		.amdhsa_user_sgpr_dispatch_ptr 0
		.amdhsa_user_sgpr_queue_ptr 0
		.amdhsa_user_sgpr_kernarg_segment_ptr 1
		.amdhsa_user_sgpr_dispatch_id 0
		.amdhsa_user_sgpr_flat_scratch_init 0
		.amdhsa_user_sgpr_private_segment_size 0
		.amdhsa_uses_dynamic_stack 0
		.amdhsa_system_sgpr_private_segment_wavefront_offset 0
		.amdhsa_system_sgpr_workgroup_id_x 1
		.amdhsa_system_sgpr_workgroup_id_y 0
		.amdhsa_system_sgpr_workgroup_id_z 0
		.amdhsa_system_sgpr_workgroup_info 0
		.amdhsa_system_vgpr_workitem_id 0
		.amdhsa_next_free_vgpr 1
		.amdhsa_next_free_sgpr 0
		.amdhsa_reserve_vcc 0
		.amdhsa_reserve_flat_scratch 0
		.amdhsa_float_round_mode_32 0
		.amdhsa_float_round_mode_16_64 0
		.amdhsa_float_denorm_mode_32 3
		.amdhsa_float_denorm_mode_16_64 3
		.amdhsa_dx10_clamp 1
		.amdhsa_ieee_mode 1
		.amdhsa_fp16_overflow 0
		.amdhsa_exception_fp_ieee_invalid_op 0
		.amdhsa_exception_fp_denorm_src 0
		.amdhsa_exception_fp_ieee_div_zero 0
		.amdhsa_exception_fp_ieee_overflow 0
		.amdhsa_exception_fp_ieee_underflow 0
		.amdhsa_exception_fp_ieee_inexact 0
		.amdhsa_exception_int_div_zero 0
	.end_amdhsa_kernel
	.section	.text._ZN7rocprim17ROCPRIM_400000_NS6detail17trampoline_kernelINS0_14default_configENS1_27lower_bound_config_selectorIflEEZNS1_14transform_implILb0ES3_S5_N6thrust23THRUST_200600_302600_NS6detail15normal_iteratorINS8_7pointerIfNS8_11hip_rocprim5par_tENS8_11use_defaultESE_EEEENSA_INSB_IlSD_SE_SE_EEEEZNS1_13binary_searchIS3_S5_PfSG_SI_NS1_21lower_bound_search_opENS9_16wrapped_functionINS8_6system6detail7generic6detail18binary_search_lessEbEEEE10hipError_tPvRmT1_T2_T3_mmT4_T5_P12ihipStream_tbEUlRKfE_EEST_SX_SY_mSZ_S12_bEUlT_E_NS1_11comp_targetILNS1_3genE4ELNS1_11target_archE910ELNS1_3gpuE8ELNS1_3repE0EEENS1_30default_config_static_selectorELNS0_4arch9wavefront6targetE1EEEvSW_,"axG",@progbits,_ZN7rocprim17ROCPRIM_400000_NS6detail17trampoline_kernelINS0_14default_configENS1_27lower_bound_config_selectorIflEEZNS1_14transform_implILb0ES3_S5_N6thrust23THRUST_200600_302600_NS6detail15normal_iteratorINS8_7pointerIfNS8_11hip_rocprim5par_tENS8_11use_defaultESE_EEEENSA_INSB_IlSD_SE_SE_EEEEZNS1_13binary_searchIS3_S5_PfSG_SI_NS1_21lower_bound_search_opENS9_16wrapped_functionINS8_6system6detail7generic6detail18binary_search_lessEbEEEE10hipError_tPvRmT1_T2_T3_mmT4_T5_P12ihipStream_tbEUlRKfE_EEST_SX_SY_mSZ_S12_bEUlT_E_NS1_11comp_targetILNS1_3genE4ELNS1_11target_archE910ELNS1_3gpuE8ELNS1_3repE0EEENS1_30default_config_static_selectorELNS0_4arch9wavefront6targetE1EEEvSW_,comdat
.Lfunc_end35:
	.size	_ZN7rocprim17ROCPRIM_400000_NS6detail17trampoline_kernelINS0_14default_configENS1_27lower_bound_config_selectorIflEEZNS1_14transform_implILb0ES3_S5_N6thrust23THRUST_200600_302600_NS6detail15normal_iteratorINS8_7pointerIfNS8_11hip_rocprim5par_tENS8_11use_defaultESE_EEEENSA_INSB_IlSD_SE_SE_EEEEZNS1_13binary_searchIS3_S5_PfSG_SI_NS1_21lower_bound_search_opENS9_16wrapped_functionINS8_6system6detail7generic6detail18binary_search_lessEbEEEE10hipError_tPvRmT1_T2_T3_mmT4_T5_P12ihipStream_tbEUlRKfE_EEST_SX_SY_mSZ_S12_bEUlT_E_NS1_11comp_targetILNS1_3genE4ELNS1_11target_archE910ELNS1_3gpuE8ELNS1_3repE0EEENS1_30default_config_static_selectorELNS0_4arch9wavefront6targetE1EEEvSW_, .Lfunc_end35-_ZN7rocprim17ROCPRIM_400000_NS6detail17trampoline_kernelINS0_14default_configENS1_27lower_bound_config_selectorIflEEZNS1_14transform_implILb0ES3_S5_N6thrust23THRUST_200600_302600_NS6detail15normal_iteratorINS8_7pointerIfNS8_11hip_rocprim5par_tENS8_11use_defaultESE_EEEENSA_INSB_IlSD_SE_SE_EEEEZNS1_13binary_searchIS3_S5_PfSG_SI_NS1_21lower_bound_search_opENS9_16wrapped_functionINS8_6system6detail7generic6detail18binary_search_lessEbEEEE10hipError_tPvRmT1_T2_T3_mmT4_T5_P12ihipStream_tbEUlRKfE_EEST_SX_SY_mSZ_S12_bEUlT_E_NS1_11comp_targetILNS1_3genE4ELNS1_11target_archE910ELNS1_3gpuE8ELNS1_3repE0EEENS1_30default_config_static_selectorELNS0_4arch9wavefront6targetE1EEEvSW_
                                        ; -- End function
	.set _ZN7rocprim17ROCPRIM_400000_NS6detail17trampoline_kernelINS0_14default_configENS1_27lower_bound_config_selectorIflEEZNS1_14transform_implILb0ES3_S5_N6thrust23THRUST_200600_302600_NS6detail15normal_iteratorINS8_7pointerIfNS8_11hip_rocprim5par_tENS8_11use_defaultESE_EEEENSA_INSB_IlSD_SE_SE_EEEEZNS1_13binary_searchIS3_S5_PfSG_SI_NS1_21lower_bound_search_opENS9_16wrapped_functionINS8_6system6detail7generic6detail18binary_search_lessEbEEEE10hipError_tPvRmT1_T2_T3_mmT4_T5_P12ihipStream_tbEUlRKfE_EEST_SX_SY_mSZ_S12_bEUlT_E_NS1_11comp_targetILNS1_3genE4ELNS1_11target_archE910ELNS1_3gpuE8ELNS1_3repE0EEENS1_30default_config_static_selectorELNS0_4arch9wavefront6targetE1EEEvSW_.num_vgpr, 0
	.set _ZN7rocprim17ROCPRIM_400000_NS6detail17trampoline_kernelINS0_14default_configENS1_27lower_bound_config_selectorIflEEZNS1_14transform_implILb0ES3_S5_N6thrust23THRUST_200600_302600_NS6detail15normal_iteratorINS8_7pointerIfNS8_11hip_rocprim5par_tENS8_11use_defaultESE_EEEENSA_INSB_IlSD_SE_SE_EEEEZNS1_13binary_searchIS3_S5_PfSG_SI_NS1_21lower_bound_search_opENS9_16wrapped_functionINS8_6system6detail7generic6detail18binary_search_lessEbEEEE10hipError_tPvRmT1_T2_T3_mmT4_T5_P12ihipStream_tbEUlRKfE_EEST_SX_SY_mSZ_S12_bEUlT_E_NS1_11comp_targetILNS1_3genE4ELNS1_11target_archE910ELNS1_3gpuE8ELNS1_3repE0EEENS1_30default_config_static_selectorELNS0_4arch9wavefront6targetE1EEEvSW_.num_agpr, 0
	.set _ZN7rocprim17ROCPRIM_400000_NS6detail17trampoline_kernelINS0_14default_configENS1_27lower_bound_config_selectorIflEEZNS1_14transform_implILb0ES3_S5_N6thrust23THRUST_200600_302600_NS6detail15normal_iteratorINS8_7pointerIfNS8_11hip_rocprim5par_tENS8_11use_defaultESE_EEEENSA_INSB_IlSD_SE_SE_EEEEZNS1_13binary_searchIS3_S5_PfSG_SI_NS1_21lower_bound_search_opENS9_16wrapped_functionINS8_6system6detail7generic6detail18binary_search_lessEbEEEE10hipError_tPvRmT1_T2_T3_mmT4_T5_P12ihipStream_tbEUlRKfE_EEST_SX_SY_mSZ_S12_bEUlT_E_NS1_11comp_targetILNS1_3genE4ELNS1_11target_archE910ELNS1_3gpuE8ELNS1_3repE0EEENS1_30default_config_static_selectorELNS0_4arch9wavefront6targetE1EEEvSW_.numbered_sgpr, 0
	.set _ZN7rocprim17ROCPRIM_400000_NS6detail17trampoline_kernelINS0_14default_configENS1_27lower_bound_config_selectorIflEEZNS1_14transform_implILb0ES3_S5_N6thrust23THRUST_200600_302600_NS6detail15normal_iteratorINS8_7pointerIfNS8_11hip_rocprim5par_tENS8_11use_defaultESE_EEEENSA_INSB_IlSD_SE_SE_EEEEZNS1_13binary_searchIS3_S5_PfSG_SI_NS1_21lower_bound_search_opENS9_16wrapped_functionINS8_6system6detail7generic6detail18binary_search_lessEbEEEE10hipError_tPvRmT1_T2_T3_mmT4_T5_P12ihipStream_tbEUlRKfE_EEST_SX_SY_mSZ_S12_bEUlT_E_NS1_11comp_targetILNS1_3genE4ELNS1_11target_archE910ELNS1_3gpuE8ELNS1_3repE0EEENS1_30default_config_static_selectorELNS0_4arch9wavefront6targetE1EEEvSW_.num_named_barrier, 0
	.set _ZN7rocprim17ROCPRIM_400000_NS6detail17trampoline_kernelINS0_14default_configENS1_27lower_bound_config_selectorIflEEZNS1_14transform_implILb0ES3_S5_N6thrust23THRUST_200600_302600_NS6detail15normal_iteratorINS8_7pointerIfNS8_11hip_rocprim5par_tENS8_11use_defaultESE_EEEENSA_INSB_IlSD_SE_SE_EEEEZNS1_13binary_searchIS3_S5_PfSG_SI_NS1_21lower_bound_search_opENS9_16wrapped_functionINS8_6system6detail7generic6detail18binary_search_lessEbEEEE10hipError_tPvRmT1_T2_T3_mmT4_T5_P12ihipStream_tbEUlRKfE_EEST_SX_SY_mSZ_S12_bEUlT_E_NS1_11comp_targetILNS1_3genE4ELNS1_11target_archE910ELNS1_3gpuE8ELNS1_3repE0EEENS1_30default_config_static_selectorELNS0_4arch9wavefront6targetE1EEEvSW_.private_seg_size, 0
	.set _ZN7rocprim17ROCPRIM_400000_NS6detail17trampoline_kernelINS0_14default_configENS1_27lower_bound_config_selectorIflEEZNS1_14transform_implILb0ES3_S5_N6thrust23THRUST_200600_302600_NS6detail15normal_iteratorINS8_7pointerIfNS8_11hip_rocprim5par_tENS8_11use_defaultESE_EEEENSA_INSB_IlSD_SE_SE_EEEEZNS1_13binary_searchIS3_S5_PfSG_SI_NS1_21lower_bound_search_opENS9_16wrapped_functionINS8_6system6detail7generic6detail18binary_search_lessEbEEEE10hipError_tPvRmT1_T2_T3_mmT4_T5_P12ihipStream_tbEUlRKfE_EEST_SX_SY_mSZ_S12_bEUlT_E_NS1_11comp_targetILNS1_3genE4ELNS1_11target_archE910ELNS1_3gpuE8ELNS1_3repE0EEENS1_30default_config_static_selectorELNS0_4arch9wavefront6targetE1EEEvSW_.uses_vcc, 0
	.set _ZN7rocprim17ROCPRIM_400000_NS6detail17trampoline_kernelINS0_14default_configENS1_27lower_bound_config_selectorIflEEZNS1_14transform_implILb0ES3_S5_N6thrust23THRUST_200600_302600_NS6detail15normal_iteratorINS8_7pointerIfNS8_11hip_rocprim5par_tENS8_11use_defaultESE_EEEENSA_INSB_IlSD_SE_SE_EEEEZNS1_13binary_searchIS3_S5_PfSG_SI_NS1_21lower_bound_search_opENS9_16wrapped_functionINS8_6system6detail7generic6detail18binary_search_lessEbEEEE10hipError_tPvRmT1_T2_T3_mmT4_T5_P12ihipStream_tbEUlRKfE_EEST_SX_SY_mSZ_S12_bEUlT_E_NS1_11comp_targetILNS1_3genE4ELNS1_11target_archE910ELNS1_3gpuE8ELNS1_3repE0EEENS1_30default_config_static_selectorELNS0_4arch9wavefront6targetE1EEEvSW_.uses_flat_scratch, 0
	.set _ZN7rocprim17ROCPRIM_400000_NS6detail17trampoline_kernelINS0_14default_configENS1_27lower_bound_config_selectorIflEEZNS1_14transform_implILb0ES3_S5_N6thrust23THRUST_200600_302600_NS6detail15normal_iteratorINS8_7pointerIfNS8_11hip_rocprim5par_tENS8_11use_defaultESE_EEEENSA_INSB_IlSD_SE_SE_EEEEZNS1_13binary_searchIS3_S5_PfSG_SI_NS1_21lower_bound_search_opENS9_16wrapped_functionINS8_6system6detail7generic6detail18binary_search_lessEbEEEE10hipError_tPvRmT1_T2_T3_mmT4_T5_P12ihipStream_tbEUlRKfE_EEST_SX_SY_mSZ_S12_bEUlT_E_NS1_11comp_targetILNS1_3genE4ELNS1_11target_archE910ELNS1_3gpuE8ELNS1_3repE0EEENS1_30default_config_static_selectorELNS0_4arch9wavefront6targetE1EEEvSW_.has_dyn_sized_stack, 0
	.set _ZN7rocprim17ROCPRIM_400000_NS6detail17trampoline_kernelINS0_14default_configENS1_27lower_bound_config_selectorIflEEZNS1_14transform_implILb0ES3_S5_N6thrust23THRUST_200600_302600_NS6detail15normal_iteratorINS8_7pointerIfNS8_11hip_rocprim5par_tENS8_11use_defaultESE_EEEENSA_INSB_IlSD_SE_SE_EEEEZNS1_13binary_searchIS3_S5_PfSG_SI_NS1_21lower_bound_search_opENS9_16wrapped_functionINS8_6system6detail7generic6detail18binary_search_lessEbEEEE10hipError_tPvRmT1_T2_T3_mmT4_T5_P12ihipStream_tbEUlRKfE_EEST_SX_SY_mSZ_S12_bEUlT_E_NS1_11comp_targetILNS1_3genE4ELNS1_11target_archE910ELNS1_3gpuE8ELNS1_3repE0EEENS1_30default_config_static_selectorELNS0_4arch9wavefront6targetE1EEEvSW_.has_recursion, 0
	.set _ZN7rocprim17ROCPRIM_400000_NS6detail17trampoline_kernelINS0_14default_configENS1_27lower_bound_config_selectorIflEEZNS1_14transform_implILb0ES3_S5_N6thrust23THRUST_200600_302600_NS6detail15normal_iteratorINS8_7pointerIfNS8_11hip_rocprim5par_tENS8_11use_defaultESE_EEEENSA_INSB_IlSD_SE_SE_EEEEZNS1_13binary_searchIS3_S5_PfSG_SI_NS1_21lower_bound_search_opENS9_16wrapped_functionINS8_6system6detail7generic6detail18binary_search_lessEbEEEE10hipError_tPvRmT1_T2_T3_mmT4_T5_P12ihipStream_tbEUlRKfE_EEST_SX_SY_mSZ_S12_bEUlT_E_NS1_11comp_targetILNS1_3genE4ELNS1_11target_archE910ELNS1_3gpuE8ELNS1_3repE0EEENS1_30default_config_static_selectorELNS0_4arch9wavefront6targetE1EEEvSW_.has_indirect_call, 0
	.section	.AMDGPU.csdata,"",@progbits
; Kernel info:
; codeLenInByte = 0
; TotalNumSgprs: 4
; NumVgprs: 0
; ScratchSize: 0
; MemoryBound: 0
; FloatMode: 240
; IeeeMode: 1
; LDSByteSize: 0 bytes/workgroup (compile time only)
; SGPRBlocks: 0
; VGPRBlocks: 0
; NumSGPRsForWavesPerEU: 4
; NumVGPRsForWavesPerEU: 1
; Occupancy: 10
; WaveLimiterHint : 0
; COMPUTE_PGM_RSRC2:SCRATCH_EN: 0
; COMPUTE_PGM_RSRC2:USER_SGPR: 6
; COMPUTE_PGM_RSRC2:TRAP_HANDLER: 0
; COMPUTE_PGM_RSRC2:TGID_X_EN: 1
; COMPUTE_PGM_RSRC2:TGID_Y_EN: 0
; COMPUTE_PGM_RSRC2:TGID_Z_EN: 0
; COMPUTE_PGM_RSRC2:TIDIG_COMP_CNT: 0
	.section	.text._ZN7rocprim17ROCPRIM_400000_NS6detail17trampoline_kernelINS0_14default_configENS1_27lower_bound_config_selectorIflEEZNS1_14transform_implILb0ES3_S5_N6thrust23THRUST_200600_302600_NS6detail15normal_iteratorINS8_7pointerIfNS8_11hip_rocprim5par_tENS8_11use_defaultESE_EEEENSA_INSB_IlSD_SE_SE_EEEEZNS1_13binary_searchIS3_S5_PfSG_SI_NS1_21lower_bound_search_opENS9_16wrapped_functionINS8_6system6detail7generic6detail18binary_search_lessEbEEEE10hipError_tPvRmT1_T2_T3_mmT4_T5_P12ihipStream_tbEUlRKfE_EEST_SX_SY_mSZ_S12_bEUlT_E_NS1_11comp_targetILNS1_3genE3ELNS1_11target_archE908ELNS1_3gpuE7ELNS1_3repE0EEENS1_30default_config_static_selectorELNS0_4arch9wavefront6targetE1EEEvSW_,"axG",@progbits,_ZN7rocprim17ROCPRIM_400000_NS6detail17trampoline_kernelINS0_14default_configENS1_27lower_bound_config_selectorIflEEZNS1_14transform_implILb0ES3_S5_N6thrust23THRUST_200600_302600_NS6detail15normal_iteratorINS8_7pointerIfNS8_11hip_rocprim5par_tENS8_11use_defaultESE_EEEENSA_INSB_IlSD_SE_SE_EEEEZNS1_13binary_searchIS3_S5_PfSG_SI_NS1_21lower_bound_search_opENS9_16wrapped_functionINS8_6system6detail7generic6detail18binary_search_lessEbEEEE10hipError_tPvRmT1_T2_T3_mmT4_T5_P12ihipStream_tbEUlRKfE_EEST_SX_SY_mSZ_S12_bEUlT_E_NS1_11comp_targetILNS1_3genE3ELNS1_11target_archE908ELNS1_3gpuE7ELNS1_3repE0EEENS1_30default_config_static_selectorELNS0_4arch9wavefront6targetE1EEEvSW_,comdat
	.protected	_ZN7rocprim17ROCPRIM_400000_NS6detail17trampoline_kernelINS0_14default_configENS1_27lower_bound_config_selectorIflEEZNS1_14transform_implILb0ES3_S5_N6thrust23THRUST_200600_302600_NS6detail15normal_iteratorINS8_7pointerIfNS8_11hip_rocprim5par_tENS8_11use_defaultESE_EEEENSA_INSB_IlSD_SE_SE_EEEEZNS1_13binary_searchIS3_S5_PfSG_SI_NS1_21lower_bound_search_opENS9_16wrapped_functionINS8_6system6detail7generic6detail18binary_search_lessEbEEEE10hipError_tPvRmT1_T2_T3_mmT4_T5_P12ihipStream_tbEUlRKfE_EEST_SX_SY_mSZ_S12_bEUlT_E_NS1_11comp_targetILNS1_3genE3ELNS1_11target_archE908ELNS1_3gpuE7ELNS1_3repE0EEENS1_30default_config_static_selectorELNS0_4arch9wavefront6targetE1EEEvSW_ ; -- Begin function _ZN7rocprim17ROCPRIM_400000_NS6detail17trampoline_kernelINS0_14default_configENS1_27lower_bound_config_selectorIflEEZNS1_14transform_implILb0ES3_S5_N6thrust23THRUST_200600_302600_NS6detail15normal_iteratorINS8_7pointerIfNS8_11hip_rocprim5par_tENS8_11use_defaultESE_EEEENSA_INSB_IlSD_SE_SE_EEEEZNS1_13binary_searchIS3_S5_PfSG_SI_NS1_21lower_bound_search_opENS9_16wrapped_functionINS8_6system6detail7generic6detail18binary_search_lessEbEEEE10hipError_tPvRmT1_T2_T3_mmT4_T5_P12ihipStream_tbEUlRKfE_EEST_SX_SY_mSZ_S12_bEUlT_E_NS1_11comp_targetILNS1_3genE3ELNS1_11target_archE908ELNS1_3gpuE7ELNS1_3repE0EEENS1_30default_config_static_selectorELNS0_4arch9wavefront6targetE1EEEvSW_
	.globl	_ZN7rocprim17ROCPRIM_400000_NS6detail17trampoline_kernelINS0_14default_configENS1_27lower_bound_config_selectorIflEEZNS1_14transform_implILb0ES3_S5_N6thrust23THRUST_200600_302600_NS6detail15normal_iteratorINS8_7pointerIfNS8_11hip_rocprim5par_tENS8_11use_defaultESE_EEEENSA_INSB_IlSD_SE_SE_EEEEZNS1_13binary_searchIS3_S5_PfSG_SI_NS1_21lower_bound_search_opENS9_16wrapped_functionINS8_6system6detail7generic6detail18binary_search_lessEbEEEE10hipError_tPvRmT1_T2_T3_mmT4_T5_P12ihipStream_tbEUlRKfE_EEST_SX_SY_mSZ_S12_bEUlT_E_NS1_11comp_targetILNS1_3genE3ELNS1_11target_archE908ELNS1_3gpuE7ELNS1_3repE0EEENS1_30default_config_static_selectorELNS0_4arch9wavefront6targetE1EEEvSW_
	.p2align	8
	.type	_ZN7rocprim17ROCPRIM_400000_NS6detail17trampoline_kernelINS0_14default_configENS1_27lower_bound_config_selectorIflEEZNS1_14transform_implILb0ES3_S5_N6thrust23THRUST_200600_302600_NS6detail15normal_iteratorINS8_7pointerIfNS8_11hip_rocprim5par_tENS8_11use_defaultESE_EEEENSA_INSB_IlSD_SE_SE_EEEEZNS1_13binary_searchIS3_S5_PfSG_SI_NS1_21lower_bound_search_opENS9_16wrapped_functionINS8_6system6detail7generic6detail18binary_search_lessEbEEEE10hipError_tPvRmT1_T2_T3_mmT4_T5_P12ihipStream_tbEUlRKfE_EEST_SX_SY_mSZ_S12_bEUlT_E_NS1_11comp_targetILNS1_3genE3ELNS1_11target_archE908ELNS1_3gpuE7ELNS1_3repE0EEENS1_30default_config_static_selectorELNS0_4arch9wavefront6targetE1EEEvSW_,@function
_ZN7rocprim17ROCPRIM_400000_NS6detail17trampoline_kernelINS0_14default_configENS1_27lower_bound_config_selectorIflEEZNS1_14transform_implILb0ES3_S5_N6thrust23THRUST_200600_302600_NS6detail15normal_iteratorINS8_7pointerIfNS8_11hip_rocprim5par_tENS8_11use_defaultESE_EEEENSA_INSB_IlSD_SE_SE_EEEEZNS1_13binary_searchIS3_S5_PfSG_SI_NS1_21lower_bound_search_opENS9_16wrapped_functionINS8_6system6detail7generic6detail18binary_search_lessEbEEEE10hipError_tPvRmT1_T2_T3_mmT4_T5_P12ihipStream_tbEUlRKfE_EEST_SX_SY_mSZ_S12_bEUlT_E_NS1_11comp_targetILNS1_3genE3ELNS1_11target_archE908ELNS1_3gpuE7ELNS1_3repE0EEENS1_30default_config_static_selectorELNS0_4arch9wavefront6targetE1EEEvSW_: ; @_ZN7rocprim17ROCPRIM_400000_NS6detail17trampoline_kernelINS0_14default_configENS1_27lower_bound_config_selectorIflEEZNS1_14transform_implILb0ES3_S5_N6thrust23THRUST_200600_302600_NS6detail15normal_iteratorINS8_7pointerIfNS8_11hip_rocprim5par_tENS8_11use_defaultESE_EEEENSA_INSB_IlSD_SE_SE_EEEEZNS1_13binary_searchIS3_S5_PfSG_SI_NS1_21lower_bound_search_opENS9_16wrapped_functionINS8_6system6detail7generic6detail18binary_search_lessEbEEEE10hipError_tPvRmT1_T2_T3_mmT4_T5_P12ihipStream_tbEUlRKfE_EEST_SX_SY_mSZ_S12_bEUlT_E_NS1_11comp_targetILNS1_3genE3ELNS1_11target_archE908ELNS1_3gpuE7ELNS1_3repE0EEENS1_30default_config_static_selectorELNS0_4arch9wavefront6targetE1EEEvSW_
; %bb.0:
	.section	.rodata,"a",@progbits
	.p2align	6, 0x0
	.amdhsa_kernel _ZN7rocprim17ROCPRIM_400000_NS6detail17trampoline_kernelINS0_14default_configENS1_27lower_bound_config_selectorIflEEZNS1_14transform_implILb0ES3_S5_N6thrust23THRUST_200600_302600_NS6detail15normal_iteratorINS8_7pointerIfNS8_11hip_rocprim5par_tENS8_11use_defaultESE_EEEENSA_INSB_IlSD_SE_SE_EEEEZNS1_13binary_searchIS3_S5_PfSG_SI_NS1_21lower_bound_search_opENS9_16wrapped_functionINS8_6system6detail7generic6detail18binary_search_lessEbEEEE10hipError_tPvRmT1_T2_T3_mmT4_T5_P12ihipStream_tbEUlRKfE_EEST_SX_SY_mSZ_S12_bEUlT_E_NS1_11comp_targetILNS1_3genE3ELNS1_11target_archE908ELNS1_3gpuE7ELNS1_3repE0EEENS1_30default_config_static_selectorELNS0_4arch9wavefront6targetE1EEEvSW_
		.amdhsa_group_segment_fixed_size 0
		.amdhsa_private_segment_fixed_size 0
		.amdhsa_kernarg_size 56
		.amdhsa_user_sgpr_count 6
		.amdhsa_user_sgpr_private_segment_buffer 1
		.amdhsa_user_sgpr_dispatch_ptr 0
		.amdhsa_user_sgpr_queue_ptr 0
		.amdhsa_user_sgpr_kernarg_segment_ptr 1
		.amdhsa_user_sgpr_dispatch_id 0
		.amdhsa_user_sgpr_flat_scratch_init 0
		.amdhsa_user_sgpr_private_segment_size 0
		.amdhsa_uses_dynamic_stack 0
		.amdhsa_system_sgpr_private_segment_wavefront_offset 0
		.amdhsa_system_sgpr_workgroup_id_x 1
		.amdhsa_system_sgpr_workgroup_id_y 0
		.amdhsa_system_sgpr_workgroup_id_z 0
		.amdhsa_system_sgpr_workgroup_info 0
		.amdhsa_system_vgpr_workitem_id 0
		.amdhsa_next_free_vgpr 1
		.amdhsa_next_free_sgpr 0
		.amdhsa_reserve_vcc 0
		.amdhsa_reserve_flat_scratch 0
		.amdhsa_float_round_mode_32 0
		.amdhsa_float_round_mode_16_64 0
		.amdhsa_float_denorm_mode_32 3
		.amdhsa_float_denorm_mode_16_64 3
		.amdhsa_dx10_clamp 1
		.amdhsa_ieee_mode 1
		.amdhsa_fp16_overflow 0
		.amdhsa_exception_fp_ieee_invalid_op 0
		.amdhsa_exception_fp_denorm_src 0
		.amdhsa_exception_fp_ieee_div_zero 0
		.amdhsa_exception_fp_ieee_overflow 0
		.amdhsa_exception_fp_ieee_underflow 0
		.amdhsa_exception_fp_ieee_inexact 0
		.amdhsa_exception_int_div_zero 0
	.end_amdhsa_kernel
	.section	.text._ZN7rocprim17ROCPRIM_400000_NS6detail17trampoline_kernelINS0_14default_configENS1_27lower_bound_config_selectorIflEEZNS1_14transform_implILb0ES3_S5_N6thrust23THRUST_200600_302600_NS6detail15normal_iteratorINS8_7pointerIfNS8_11hip_rocprim5par_tENS8_11use_defaultESE_EEEENSA_INSB_IlSD_SE_SE_EEEEZNS1_13binary_searchIS3_S5_PfSG_SI_NS1_21lower_bound_search_opENS9_16wrapped_functionINS8_6system6detail7generic6detail18binary_search_lessEbEEEE10hipError_tPvRmT1_T2_T3_mmT4_T5_P12ihipStream_tbEUlRKfE_EEST_SX_SY_mSZ_S12_bEUlT_E_NS1_11comp_targetILNS1_3genE3ELNS1_11target_archE908ELNS1_3gpuE7ELNS1_3repE0EEENS1_30default_config_static_selectorELNS0_4arch9wavefront6targetE1EEEvSW_,"axG",@progbits,_ZN7rocprim17ROCPRIM_400000_NS6detail17trampoline_kernelINS0_14default_configENS1_27lower_bound_config_selectorIflEEZNS1_14transform_implILb0ES3_S5_N6thrust23THRUST_200600_302600_NS6detail15normal_iteratorINS8_7pointerIfNS8_11hip_rocprim5par_tENS8_11use_defaultESE_EEEENSA_INSB_IlSD_SE_SE_EEEEZNS1_13binary_searchIS3_S5_PfSG_SI_NS1_21lower_bound_search_opENS9_16wrapped_functionINS8_6system6detail7generic6detail18binary_search_lessEbEEEE10hipError_tPvRmT1_T2_T3_mmT4_T5_P12ihipStream_tbEUlRKfE_EEST_SX_SY_mSZ_S12_bEUlT_E_NS1_11comp_targetILNS1_3genE3ELNS1_11target_archE908ELNS1_3gpuE7ELNS1_3repE0EEENS1_30default_config_static_selectorELNS0_4arch9wavefront6targetE1EEEvSW_,comdat
.Lfunc_end36:
	.size	_ZN7rocprim17ROCPRIM_400000_NS6detail17trampoline_kernelINS0_14default_configENS1_27lower_bound_config_selectorIflEEZNS1_14transform_implILb0ES3_S5_N6thrust23THRUST_200600_302600_NS6detail15normal_iteratorINS8_7pointerIfNS8_11hip_rocprim5par_tENS8_11use_defaultESE_EEEENSA_INSB_IlSD_SE_SE_EEEEZNS1_13binary_searchIS3_S5_PfSG_SI_NS1_21lower_bound_search_opENS9_16wrapped_functionINS8_6system6detail7generic6detail18binary_search_lessEbEEEE10hipError_tPvRmT1_T2_T3_mmT4_T5_P12ihipStream_tbEUlRKfE_EEST_SX_SY_mSZ_S12_bEUlT_E_NS1_11comp_targetILNS1_3genE3ELNS1_11target_archE908ELNS1_3gpuE7ELNS1_3repE0EEENS1_30default_config_static_selectorELNS0_4arch9wavefront6targetE1EEEvSW_, .Lfunc_end36-_ZN7rocprim17ROCPRIM_400000_NS6detail17trampoline_kernelINS0_14default_configENS1_27lower_bound_config_selectorIflEEZNS1_14transform_implILb0ES3_S5_N6thrust23THRUST_200600_302600_NS6detail15normal_iteratorINS8_7pointerIfNS8_11hip_rocprim5par_tENS8_11use_defaultESE_EEEENSA_INSB_IlSD_SE_SE_EEEEZNS1_13binary_searchIS3_S5_PfSG_SI_NS1_21lower_bound_search_opENS9_16wrapped_functionINS8_6system6detail7generic6detail18binary_search_lessEbEEEE10hipError_tPvRmT1_T2_T3_mmT4_T5_P12ihipStream_tbEUlRKfE_EEST_SX_SY_mSZ_S12_bEUlT_E_NS1_11comp_targetILNS1_3genE3ELNS1_11target_archE908ELNS1_3gpuE7ELNS1_3repE0EEENS1_30default_config_static_selectorELNS0_4arch9wavefront6targetE1EEEvSW_
                                        ; -- End function
	.set _ZN7rocprim17ROCPRIM_400000_NS6detail17trampoline_kernelINS0_14default_configENS1_27lower_bound_config_selectorIflEEZNS1_14transform_implILb0ES3_S5_N6thrust23THRUST_200600_302600_NS6detail15normal_iteratorINS8_7pointerIfNS8_11hip_rocprim5par_tENS8_11use_defaultESE_EEEENSA_INSB_IlSD_SE_SE_EEEEZNS1_13binary_searchIS3_S5_PfSG_SI_NS1_21lower_bound_search_opENS9_16wrapped_functionINS8_6system6detail7generic6detail18binary_search_lessEbEEEE10hipError_tPvRmT1_T2_T3_mmT4_T5_P12ihipStream_tbEUlRKfE_EEST_SX_SY_mSZ_S12_bEUlT_E_NS1_11comp_targetILNS1_3genE3ELNS1_11target_archE908ELNS1_3gpuE7ELNS1_3repE0EEENS1_30default_config_static_selectorELNS0_4arch9wavefront6targetE1EEEvSW_.num_vgpr, 0
	.set _ZN7rocprim17ROCPRIM_400000_NS6detail17trampoline_kernelINS0_14default_configENS1_27lower_bound_config_selectorIflEEZNS1_14transform_implILb0ES3_S5_N6thrust23THRUST_200600_302600_NS6detail15normal_iteratorINS8_7pointerIfNS8_11hip_rocprim5par_tENS8_11use_defaultESE_EEEENSA_INSB_IlSD_SE_SE_EEEEZNS1_13binary_searchIS3_S5_PfSG_SI_NS1_21lower_bound_search_opENS9_16wrapped_functionINS8_6system6detail7generic6detail18binary_search_lessEbEEEE10hipError_tPvRmT1_T2_T3_mmT4_T5_P12ihipStream_tbEUlRKfE_EEST_SX_SY_mSZ_S12_bEUlT_E_NS1_11comp_targetILNS1_3genE3ELNS1_11target_archE908ELNS1_3gpuE7ELNS1_3repE0EEENS1_30default_config_static_selectorELNS0_4arch9wavefront6targetE1EEEvSW_.num_agpr, 0
	.set _ZN7rocprim17ROCPRIM_400000_NS6detail17trampoline_kernelINS0_14default_configENS1_27lower_bound_config_selectorIflEEZNS1_14transform_implILb0ES3_S5_N6thrust23THRUST_200600_302600_NS6detail15normal_iteratorINS8_7pointerIfNS8_11hip_rocprim5par_tENS8_11use_defaultESE_EEEENSA_INSB_IlSD_SE_SE_EEEEZNS1_13binary_searchIS3_S5_PfSG_SI_NS1_21lower_bound_search_opENS9_16wrapped_functionINS8_6system6detail7generic6detail18binary_search_lessEbEEEE10hipError_tPvRmT1_T2_T3_mmT4_T5_P12ihipStream_tbEUlRKfE_EEST_SX_SY_mSZ_S12_bEUlT_E_NS1_11comp_targetILNS1_3genE3ELNS1_11target_archE908ELNS1_3gpuE7ELNS1_3repE0EEENS1_30default_config_static_selectorELNS0_4arch9wavefront6targetE1EEEvSW_.numbered_sgpr, 0
	.set _ZN7rocprim17ROCPRIM_400000_NS6detail17trampoline_kernelINS0_14default_configENS1_27lower_bound_config_selectorIflEEZNS1_14transform_implILb0ES3_S5_N6thrust23THRUST_200600_302600_NS6detail15normal_iteratorINS8_7pointerIfNS8_11hip_rocprim5par_tENS8_11use_defaultESE_EEEENSA_INSB_IlSD_SE_SE_EEEEZNS1_13binary_searchIS3_S5_PfSG_SI_NS1_21lower_bound_search_opENS9_16wrapped_functionINS8_6system6detail7generic6detail18binary_search_lessEbEEEE10hipError_tPvRmT1_T2_T3_mmT4_T5_P12ihipStream_tbEUlRKfE_EEST_SX_SY_mSZ_S12_bEUlT_E_NS1_11comp_targetILNS1_3genE3ELNS1_11target_archE908ELNS1_3gpuE7ELNS1_3repE0EEENS1_30default_config_static_selectorELNS0_4arch9wavefront6targetE1EEEvSW_.num_named_barrier, 0
	.set _ZN7rocprim17ROCPRIM_400000_NS6detail17trampoline_kernelINS0_14default_configENS1_27lower_bound_config_selectorIflEEZNS1_14transform_implILb0ES3_S5_N6thrust23THRUST_200600_302600_NS6detail15normal_iteratorINS8_7pointerIfNS8_11hip_rocprim5par_tENS8_11use_defaultESE_EEEENSA_INSB_IlSD_SE_SE_EEEEZNS1_13binary_searchIS3_S5_PfSG_SI_NS1_21lower_bound_search_opENS9_16wrapped_functionINS8_6system6detail7generic6detail18binary_search_lessEbEEEE10hipError_tPvRmT1_T2_T3_mmT4_T5_P12ihipStream_tbEUlRKfE_EEST_SX_SY_mSZ_S12_bEUlT_E_NS1_11comp_targetILNS1_3genE3ELNS1_11target_archE908ELNS1_3gpuE7ELNS1_3repE0EEENS1_30default_config_static_selectorELNS0_4arch9wavefront6targetE1EEEvSW_.private_seg_size, 0
	.set _ZN7rocprim17ROCPRIM_400000_NS6detail17trampoline_kernelINS0_14default_configENS1_27lower_bound_config_selectorIflEEZNS1_14transform_implILb0ES3_S5_N6thrust23THRUST_200600_302600_NS6detail15normal_iteratorINS8_7pointerIfNS8_11hip_rocprim5par_tENS8_11use_defaultESE_EEEENSA_INSB_IlSD_SE_SE_EEEEZNS1_13binary_searchIS3_S5_PfSG_SI_NS1_21lower_bound_search_opENS9_16wrapped_functionINS8_6system6detail7generic6detail18binary_search_lessEbEEEE10hipError_tPvRmT1_T2_T3_mmT4_T5_P12ihipStream_tbEUlRKfE_EEST_SX_SY_mSZ_S12_bEUlT_E_NS1_11comp_targetILNS1_3genE3ELNS1_11target_archE908ELNS1_3gpuE7ELNS1_3repE0EEENS1_30default_config_static_selectorELNS0_4arch9wavefront6targetE1EEEvSW_.uses_vcc, 0
	.set _ZN7rocprim17ROCPRIM_400000_NS6detail17trampoline_kernelINS0_14default_configENS1_27lower_bound_config_selectorIflEEZNS1_14transform_implILb0ES3_S5_N6thrust23THRUST_200600_302600_NS6detail15normal_iteratorINS8_7pointerIfNS8_11hip_rocprim5par_tENS8_11use_defaultESE_EEEENSA_INSB_IlSD_SE_SE_EEEEZNS1_13binary_searchIS3_S5_PfSG_SI_NS1_21lower_bound_search_opENS9_16wrapped_functionINS8_6system6detail7generic6detail18binary_search_lessEbEEEE10hipError_tPvRmT1_T2_T3_mmT4_T5_P12ihipStream_tbEUlRKfE_EEST_SX_SY_mSZ_S12_bEUlT_E_NS1_11comp_targetILNS1_3genE3ELNS1_11target_archE908ELNS1_3gpuE7ELNS1_3repE0EEENS1_30default_config_static_selectorELNS0_4arch9wavefront6targetE1EEEvSW_.uses_flat_scratch, 0
	.set _ZN7rocprim17ROCPRIM_400000_NS6detail17trampoline_kernelINS0_14default_configENS1_27lower_bound_config_selectorIflEEZNS1_14transform_implILb0ES3_S5_N6thrust23THRUST_200600_302600_NS6detail15normal_iteratorINS8_7pointerIfNS8_11hip_rocprim5par_tENS8_11use_defaultESE_EEEENSA_INSB_IlSD_SE_SE_EEEEZNS1_13binary_searchIS3_S5_PfSG_SI_NS1_21lower_bound_search_opENS9_16wrapped_functionINS8_6system6detail7generic6detail18binary_search_lessEbEEEE10hipError_tPvRmT1_T2_T3_mmT4_T5_P12ihipStream_tbEUlRKfE_EEST_SX_SY_mSZ_S12_bEUlT_E_NS1_11comp_targetILNS1_3genE3ELNS1_11target_archE908ELNS1_3gpuE7ELNS1_3repE0EEENS1_30default_config_static_selectorELNS0_4arch9wavefront6targetE1EEEvSW_.has_dyn_sized_stack, 0
	.set _ZN7rocprim17ROCPRIM_400000_NS6detail17trampoline_kernelINS0_14default_configENS1_27lower_bound_config_selectorIflEEZNS1_14transform_implILb0ES3_S5_N6thrust23THRUST_200600_302600_NS6detail15normal_iteratorINS8_7pointerIfNS8_11hip_rocprim5par_tENS8_11use_defaultESE_EEEENSA_INSB_IlSD_SE_SE_EEEEZNS1_13binary_searchIS3_S5_PfSG_SI_NS1_21lower_bound_search_opENS9_16wrapped_functionINS8_6system6detail7generic6detail18binary_search_lessEbEEEE10hipError_tPvRmT1_T2_T3_mmT4_T5_P12ihipStream_tbEUlRKfE_EEST_SX_SY_mSZ_S12_bEUlT_E_NS1_11comp_targetILNS1_3genE3ELNS1_11target_archE908ELNS1_3gpuE7ELNS1_3repE0EEENS1_30default_config_static_selectorELNS0_4arch9wavefront6targetE1EEEvSW_.has_recursion, 0
	.set _ZN7rocprim17ROCPRIM_400000_NS6detail17trampoline_kernelINS0_14default_configENS1_27lower_bound_config_selectorIflEEZNS1_14transform_implILb0ES3_S5_N6thrust23THRUST_200600_302600_NS6detail15normal_iteratorINS8_7pointerIfNS8_11hip_rocprim5par_tENS8_11use_defaultESE_EEEENSA_INSB_IlSD_SE_SE_EEEEZNS1_13binary_searchIS3_S5_PfSG_SI_NS1_21lower_bound_search_opENS9_16wrapped_functionINS8_6system6detail7generic6detail18binary_search_lessEbEEEE10hipError_tPvRmT1_T2_T3_mmT4_T5_P12ihipStream_tbEUlRKfE_EEST_SX_SY_mSZ_S12_bEUlT_E_NS1_11comp_targetILNS1_3genE3ELNS1_11target_archE908ELNS1_3gpuE7ELNS1_3repE0EEENS1_30default_config_static_selectorELNS0_4arch9wavefront6targetE1EEEvSW_.has_indirect_call, 0
	.section	.AMDGPU.csdata,"",@progbits
; Kernel info:
; codeLenInByte = 0
; TotalNumSgprs: 4
; NumVgprs: 0
; ScratchSize: 0
; MemoryBound: 0
; FloatMode: 240
; IeeeMode: 1
; LDSByteSize: 0 bytes/workgroup (compile time only)
; SGPRBlocks: 0
; VGPRBlocks: 0
; NumSGPRsForWavesPerEU: 4
; NumVGPRsForWavesPerEU: 1
; Occupancy: 10
; WaveLimiterHint : 0
; COMPUTE_PGM_RSRC2:SCRATCH_EN: 0
; COMPUTE_PGM_RSRC2:USER_SGPR: 6
; COMPUTE_PGM_RSRC2:TRAP_HANDLER: 0
; COMPUTE_PGM_RSRC2:TGID_X_EN: 1
; COMPUTE_PGM_RSRC2:TGID_Y_EN: 0
; COMPUTE_PGM_RSRC2:TGID_Z_EN: 0
; COMPUTE_PGM_RSRC2:TIDIG_COMP_CNT: 0
	.section	.text._ZN7rocprim17ROCPRIM_400000_NS6detail17trampoline_kernelINS0_14default_configENS1_27lower_bound_config_selectorIflEEZNS1_14transform_implILb0ES3_S5_N6thrust23THRUST_200600_302600_NS6detail15normal_iteratorINS8_7pointerIfNS8_11hip_rocprim5par_tENS8_11use_defaultESE_EEEENSA_INSB_IlSD_SE_SE_EEEEZNS1_13binary_searchIS3_S5_PfSG_SI_NS1_21lower_bound_search_opENS9_16wrapped_functionINS8_6system6detail7generic6detail18binary_search_lessEbEEEE10hipError_tPvRmT1_T2_T3_mmT4_T5_P12ihipStream_tbEUlRKfE_EEST_SX_SY_mSZ_S12_bEUlT_E_NS1_11comp_targetILNS1_3genE2ELNS1_11target_archE906ELNS1_3gpuE6ELNS1_3repE0EEENS1_30default_config_static_selectorELNS0_4arch9wavefront6targetE1EEEvSW_,"axG",@progbits,_ZN7rocprim17ROCPRIM_400000_NS6detail17trampoline_kernelINS0_14default_configENS1_27lower_bound_config_selectorIflEEZNS1_14transform_implILb0ES3_S5_N6thrust23THRUST_200600_302600_NS6detail15normal_iteratorINS8_7pointerIfNS8_11hip_rocprim5par_tENS8_11use_defaultESE_EEEENSA_INSB_IlSD_SE_SE_EEEEZNS1_13binary_searchIS3_S5_PfSG_SI_NS1_21lower_bound_search_opENS9_16wrapped_functionINS8_6system6detail7generic6detail18binary_search_lessEbEEEE10hipError_tPvRmT1_T2_T3_mmT4_T5_P12ihipStream_tbEUlRKfE_EEST_SX_SY_mSZ_S12_bEUlT_E_NS1_11comp_targetILNS1_3genE2ELNS1_11target_archE906ELNS1_3gpuE6ELNS1_3repE0EEENS1_30default_config_static_selectorELNS0_4arch9wavefront6targetE1EEEvSW_,comdat
	.protected	_ZN7rocprim17ROCPRIM_400000_NS6detail17trampoline_kernelINS0_14default_configENS1_27lower_bound_config_selectorIflEEZNS1_14transform_implILb0ES3_S5_N6thrust23THRUST_200600_302600_NS6detail15normal_iteratorINS8_7pointerIfNS8_11hip_rocprim5par_tENS8_11use_defaultESE_EEEENSA_INSB_IlSD_SE_SE_EEEEZNS1_13binary_searchIS3_S5_PfSG_SI_NS1_21lower_bound_search_opENS9_16wrapped_functionINS8_6system6detail7generic6detail18binary_search_lessEbEEEE10hipError_tPvRmT1_T2_T3_mmT4_T5_P12ihipStream_tbEUlRKfE_EEST_SX_SY_mSZ_S12_bEUlT_E_NS1_11comp_targetILNS1_3genE2ELNS1_11target_archE906ELNS1_3gpuE6ELNS1_3repE0EEENS1_30default_config_static_selectorELNS0_4arch9wavefront6targetE1EEEvSW_ ; -- Begin function _ZN7rocprim17ROCPRIM_400000_NS6detail17trampoline_kernelINS0_14default_configENS1_27lower_bound_config_selectorIflEEZNS1_14transform_implILb0ES3_S5_N6thrust23THRUST_200600_302600_NS6detail15normal_iteratorINS8_7pointerIfNS8_11hip_rocprim5par_tENS8_11use_defaultESE_EEEENSA_INSB_IlSD_SE_SE_EEEEZNS1_13binary_searchIS3_S5_PfSG_SI_NS1_21lower_bound_search_opENS9_16wrapped_functionINS8_6system6detail7generic6detail18binary_search_lessEbEEEE10hipError_tPvRmT1_T2_T3_mmT4_T5_P12ihipStream_tbEUlRKfE_EEST_SX_SY_mSZ_S12_bEUlT_E_NS1_11comp_targetILNS1_3genE2ELNS1_11target_archE906ELNS1_3gpuE6ELNS1_3repE0EEENS1_30default_config_static_selectorELNS0_4arch9wavefront6targetE1EEEvSW_
	.globl	_ZN7rocprim17ROCPRIM_400000_NS6detail17trampoline_kernelINS0_14default_configENS1_27lower_bound_config_selectorIflEEZNS1_14transform_implILb0ES3_S5_N6thrust23THRUST_200600_302600_NS6detail15normal_iteratorINS8_7pointerIfNS8_11hip_rocprim5par_tENS8_11use_defaultESE_EEEENSA_INSB_IlSD_SE_SE_EEEEZNS1_13binary_searchIS3_S5_PfSG_SI_NS1_21lower_bound_search_opENS9_16wrapped_functionINS8_6system6detail7generic6detail18binary_search_lessEbEEEE10hipError_tPvRmT1_T2_T3_mmT4_T5_P12ihipStream_tbEUlRKfE_EEST_SX_SY_mSZ_S12_bEUlT_E_NS1_11comp_targetILNS1_3genE2ELNS1_11target_archE906ELNS1_3gpuE6ELNS1_3repE0EEENS1_30default_config_static_selectorELNS0_4arch9wavefront6targetE1EEEvSW_
	.p2align	8
	.type	_ZN7rocprim17ROCPRIM_400000_NS6detail17trampoline_kernelINS0_14default_configENS1_27lower_bound_config_selectorIflEEZNS1_14transform_implILb0ES3_S5_N6thrust23THRUST_200600_302600_NS6detail15normal_iteratorINS8_7pointerIfNS8_11hip_rocprim5par_tENS8_11use_defaultESE_EEEENSA_INSB_IlSD_SE_SE_EEEEZNS1_13binary_searchIS3_S5_PfSG_SI_NS1_21lower_bound_search_opENS9_16wrapped_functionINS8_6system6detail7generic6detail18binary_search_lessEbEEEE10hipError_tPvRmT1_T2_T3_mmT4_T5_P12ihipStream_tbEUlRKfE_EEST_SX_SY_mSZ_S12_bEUlT_E_NS1_11comp_targetILNS1_3genE2ELNS1_11target_archE906ELNS1_3gpuE6ELNS1_3repE0EEENS1_30default_config_static_selectorELNS0_4arch9wavefront6targetE1EEEvSW_,@function
_ZN7rocprim17ROCPRIM_400000_NS6detail17trampoline_kernelINS0_14default_configENS1_27lower_bound_config_selectorIflEEZNS1_14transform_implILb0ES3_S5_N6thrust23THRUST_200600_302600_NS6detail15normal_iteratorINS8_7pointerIfNS8_11hip_rocprim5par_tENS8_11use_defaultESE_EEEENSA_INSB_IlSD_SE_SE_EEEEZNS1_13binary_searchIS3_S5_PfSG_SI_NS1_21lower_bound_search_opENS9_16wrapped_functionINS8_6system6detail7generic6detail18binary_search_lessEbEEEE10hipError_tPvRmT1_T2_T3_mmT4_T5_P12ihipStream_tbEUlRKfE_EEST_SX_SY_mSZ_S12_bEUlT_E_NS1_11comp_targetILNS1_3genE2ELNS1_11target_archE906ELNS1_3gpuE6ELNS1_3repE0EEENS1_30default_config_static_selectorELNS0_4arch9wavefront6targetE1EEEvSW_: ; @_ZN7rocprim17ROCPRIM_400000_NS6detail17trampoline_kernelINS0_14default_configENS1_27lower_bound_config_selectorIflEEZNS1_14transform_implILb0ES3_S5_N6thrust23THRUST_200600_302600_NS6detail15normal_iteratorINS8_7pointerIfNS8_11hip_rocprim5par_tENS8_11use_defaultESE_EEEENSA_INSB_IlSD_SE_SE_EEEEZNS1_13binary_searchIS3_S5_PfSG_SI_NS1_21lower_bound_search_opENS9_16wrapped_functionINS8_6system6detail7generic6detail18binary_search_lessEbEEEE10hipError_tPvRmT1_T2_T3_mmT4_T5_P12ihipStream_tbEUlRKfE_EEST_SX_SY_mSZ_S12_bEUlT_E_NS1_11comp_targetILNS1_3genE2ELNS1_11target_archE906ELNS1_3gpuE6ELNS1_3repE0EEENS1_30default_config_static_selectorELNS0_4arch9wavefront6targetE1EEEvSW_
; %bb.0:
	s_load_dwordx4 s[16:19], s[4:5], 0x0
	s_load_dwordx4 s[8:11], s[4:5], 0x18
	s_load_dwordx2 s[12:13], s[4:5], 0x28
	s_load_dword s15, s[4:5], 0x38
	s_waitcnt lgkmcnt(0)
	s_lshl_b64 s[0:1], s[18:19], 2
	s_add_u32 s2, s16, s0
	s_addc_u32 s3, s17, s1
	s_lshl_b64 s[0:1], s[18:19], 3
	s_add_u32 s7, s8, s0
	s_addc_u32 s14, s9, s1
	s_lshl_b32 s8, s6, 8
	s_add_i32 s15, s15, -1
	s_mov_b32 s9, 0
	s_cmp_lg_u32 s6, s15
	s_mov_b64 s[0:1], -1
	s_cbranch_scc0 .LBB37_7
; %bb.1:
	s_cmp_eq_u64 s[12:13], 0
	s_mov_b64 s[0:1], 0
	s_cbranch_scc1 .LBB37_5
; %bb.2:
	s_lshl_b64 s[16:17], s[8:9], 2
	s_add_u32 s6, s2, s16
	s_addc_u32 s15, s3, s17
	v_lshlrev_b32_e32 v1, 2, v0
	v_mov_b32_e32 v2, s15
	v_add_co_u32_e32 v1, vcc, s6, v1
	v_addc_co_u32_e32 v2, vcc, 0, v2, vcc
	flat_load_dword v5, v[1:2]
	v_mov_b32_e32 v1, 0
	v_mov_b32_e32 v3, s12
	v_mov_b32_e32 v2, 0
	v_mov_b32_e32 v4, s13
	v_mov_b32_e32 v6, s11
.LBB37_3:                               ; =>This Inner Loop Header: Depth=1
	v_sub_co_u32_e32 v7, vcc, v3, v1
	v_subb_co_u32_e32 v8, vcc, v4, v2, vcc
	v_lshrrev_b64 v[9:10], 1, v[7:8]
	v_lshrrev_b64 v[7:8], 6, v[7:8]
	v_add_co_u32_e32 v9, vcc, v9, v1
	v_addc_co_u32_e32 v10, vcc, v10, v2, vcc
	v_add_co_u32_e32 v7, vcc, v9, v7
	v_addc_co_u32_e32 v8, vcc, v10, v8, vcc
	v_lshlrev_b64 v[9:10], 2, v[7:8]
	v_add_co_u32_e32 v9, vcc, s10, v9
	v_addc_co_u32_e32 v10, vcc, v6, v10, vcc
	global_load_dword v9, v[9:10], off
	v_add_co_u32_e32 v10, vcc, 1, v7
	v_addc_co_u32_e32 v11, vcc, 0, v8, vcc
	s_waitcnt vmcnt(0) lgkmcnt(0)
	v_cmp_lt_f32_e32 vcc, v9, v5
	v_cndmask_b32_e32 v4, v8, v4, vcc
	v_cndmask_b32_e32 v3, v7, v3, vcc
	;; [unrolled: 1-line block ×4, first 2 shown]
	v_cmp_ge_u64_e32 vcc, v[1:2], v[3:4]
	s_or_b64 s[0:1], vcc, s[0:1]
	s_andn2_b64 exec, exec, s[0:1]
	s_cbranch_execnz .LBB37_3
; %bb.4:
	s_or_b64 exec, exec, s[0:1]
	s_branch .LBB37_6
.LBB37_5:
	v_mov_b32_e32 v1, 0
	v_mov_b32_e32 v2, 0
.LBB37_6:
	s_lshl_b64 s[0:1], s[8:9], 3
	s_add_u32 s0, s7, s0
	s_addc_u32 s1, s14, s1
	v_lshlrev_b32_e32 v3, 3, v0
	v_mov_b32_e32 v4, s1
	v_add_co_u32_e32 v3, vcc, s0, v3
	v_addc_co_u32_e32 v4, vcc, 0, v4, vcc
	s_mov_b64 s[0:1], 0
	flat_store_dwordx2 v[3:4], v[1:2]
.LBB37_7:
	s_and_b64 vcc, exec, s[0:1]
	s_cbranch_vccz .LBB37_16
; %bb.8:
	s_load_dword s0, s[4:5], 0x10
                                        ; implicit-def: $vgpr5
	s_waitcnt lgkmcnt(0)
	s_sub_i32 s4, s0, s8
	v_cmp_le_u32_e64 s[0:1], s4, v0
	v_cmp_gt_u32_e32 vcc, s4, v0
	s_and_saveexec_b64 s[4:5], vcc
	s_cbranch_execz .LBB37_10
; %bb.9:
	s_lshl_b64 s[16:17], s[8:9], 2
	s_add_u32 s2, s2, s16
	s_addc_u32 s3, s3, s17
	v_lshlrev_b32_e32 v1, 2, v0
	v_mov_b32_e32 v2, s3
	v_add_co_u32_e64 v1, s[2:3], s2, v1
	v_addc_co_u32_e64 v2, s[2:3], 0, v2, s[2:3]
	flat_load_dword v5, v[1:2]
.LBB37_10:
	s_or_b64 exec, exec, s[4:5]
	s_cmp_lg_u64 s[12:13], 0
	s_cselect_b64 s[4:5], -1, 0
	s_xor_b64 s[0:1], s[0:1], -1
	v_mov_b32_e32 v1, 0
	s_mov_b64 s[2:3], 0
	v_mov_b32_e32 v2, 0
	s_and_b64 s[0:1], s[0:1], s[4:5]
	s_and_saveexec_b64 s[4:5], s[0:1]
	s_cbranch_execz .LBB37_14
; %bb.11:
	v_mov_b32_e32 v1, 0
	v_mov_b32_e32 v3, s12
	v_mov_b32_e32 v2, 0
	v_mov_b32_e32 v4, s13
	v_mov_b32_e32 v6, s11
.LBB37_12:                              ; =>This Inner Loop Header: Depth=1
	v_sub_co_u32_e64 v7, s[0:1], v3, v1
	v_subb_co_u32_e64 v8, s[0:1], v4, v2, s[0:1]
	v_lshrrev_b64 v[9:10], 1, v[7:8]
	v_lshrrev_b64 v[7:8], 6, v[7:8]
	v_add_co_u32_e64 v9, s[0:1], v9, v1
	v_addc_co_u32_e64 v10, s[0:1], v10, v2, s[0:1]
	v_add_co_u32_e64 v7, s[0:1], v9, v7
	v_addc_co_u32_e64 v8, s[0:1], v10, v8, s[0:1]
	v_lshlrev_b64 v[9:10], 2, v[7:8]
	v_add_co_u32_e64 v9, s[0:1], s10, v9
	v_addc_co_u32_e64 v10, s[0:1], v6, v10, s[0:1]
	global_load_dword v9, v[9:10], off
	v_add_co_u32_e64 v10, s[0:1], 1, v7
	v_addc_co_u32_e64 v11, s[0:1], 0, v8, s[0:1]
	s_waitcnt vmcnt(0) lgkmcnt(0)
	v_cmp_lt_f32_e64 s[0:1], v9, v5
	v_cndmask_b32_e64 v4, v8, v4, s[0:1]
	v_cndmask_b32_e64 v3, v7, v3, s[0:1]
	;; [unrolled: 1-line block ×4, first 2 shown]
	v_cmp_ge_u64_e64 s[0:1], v[1:2], v[3:4]
	s_or_b64 s[2:3], s[0:1], s[2:3]
	s_andn2_b64 exec, exec, s[2:3]
	s_cbranch_execnz .LBB37_12
; %bb.13:
	s_or_b64 exec, exec, s[2:3]
.LBB37_14:
	s_or_b64 exec, exec, s[4:5]
	s_and_saveexec_b64 s[0:1], vcc
	s_cbranch_execz .LBB37_16
; %bb.15:
	s_lshl_b64 s[0:1], s[8:9], 3
	s_add_u32 s0, s7, s0
	s_addc_u32 s1, s14, s1
	v_lshlrev_b32_e32 v0, 3, v0
	v_mov_b32_e32 v4, s1
	v_add_co_u32_e32 v3, vcc, s0, v0
	v_addc_co_u32_e32 v4, vcc, 0, v4, vcc
	flat_store_dwordx2 v[3:4], v[1:2]
.LBB37_16:
	s_endpgm
	.section	.rodata,"a",@progbits
	.p2align	6, 0x0
	.amdhsa_kernel _ZN7rocprim17ROCPRIM_400000_NS6detail17trampoline_kernelINS0_14default_configENS1_27lower_bound_config_selectorIflEEZNS1_14transform_implILb0ES3_S5_N6thrust23THRUST_200600_302600_NS6detail15normal_iteratorINS8_7pointerIfNS8_11hip_rocprim5par_tENS8_11use_defaultESE_EEEENSA_INSB_IlSD_SE_SE_EEEEZNS1_13binary_searchIS3_S5_PfSG_SI_NS1_21lower_bound_search_opENS9_16wrapped_functionINS8_6system6detail7generic6detail18binary_search_lessEbEEEE10hipError_tPvRmT1_T2_T3_mmT4_T5_P12ihipStream_tbEUlRKfE_EEST_SX_SY_mSZ_S12_bEUlT_E_NS1_11comp_targetILNS1_3genE2ELNS1_11target_archE906ELNS1_3gpuE6ELNS1_3repE0EEENS1_30default_config_static_selectorELNS0_4arch9wavefront6targetE1EEEvSW_
		.amdhsa_group_segment_fixed_size 0
		.amdhsa_private_segment_fixed_size 0
		.amdhsa_kernarg_size 312
		.amdhsa_user_sgpr_count 6
		.amdhsa_user_sgpr_private_segment_buffer 1
		.amdhsa_user_sgpr_dispatch_ptr 0
		.amdhsa_user_sgpr_queue_ptr 0
		.amdhsa_user_sgpr_kernarg_segment_ptr 1
		.amdhsa_user_sgpr_dispatch_id 0
		.amdhsa_user_sgpr_flat_scratch_init 0
		.amdhsa_user_sgpr_private_segment_size 0
		.amdhsa_uses_dynamic_stack 0
		.amdhsa_system_sgpr_private_segment_wavefront_offset 0
		.amdhsa_system_sgpr_workgroup_id_x 1
		.amdhsa_system_sgpr_workgroup_id_y 0
		.amdhsa_system_sgpr_workgroup_id_z 0
		.amdhsa_system_sgpr_workgroup_info 0
		.amdhsa_system_vgpr_workitem_id 0
		.amdhsa_next_free_vgpr 12
		.amdhsa_next_free_sgpr 20
		.amdhsa_reserve_vcc 1
		.amdhsa_reserve_flat_scratch 0
		.amdhsa_float_round_mode_32 0
		.amdhsa_float_round_mode_16_64 0
		.amdhsa_float_denorm_mode_32 3
		.amdhsa_float_denorm_mode_16_64 3
		.amdhsa_dx10_clamp 1
		.amdhsa_ieee_mode 1
		.amdhsa_fp16_overflow 0
		.amdhsa_exception_fp_ieee_invalid_op 0
		.amdhsa_exception_fp_denorm_src 0
		.amdhsa_exception_fp_ieee_div_zero 0
		.amdhsa_exception_fp_ieee_overflow 0
		.amdhsa_exception_fp_ieee_underflow 0
		.amdhsa_exception_fp_ieee_inexact 0
		.amdhsa_exception_int_div_zero 0
	.end_amdhsa_kernel
	.section	.text._ZN7rocprim17ROCPRIM_400000_NS6detail17trampoline_kernelINS0_14default_configENS1_27lower_bound_config_selectorIflEEZNS1_14transform_implILb0ES3_S5_N6thrust23THRUST_200600_302600_NS6detail15normal_iteratorINS8_7pointerIfNS8_11hip_rocprim5par_tENS8_11use_defaultESE_EEEENSA_INSB_IlSD_SE_SE_EEEEZNS1_13binary_searchIS3_S5_PfSG_SI_NS1_21lower_bound_search_opENS9_16wrapped_functionINS8_6system6detail7generic6detail18binary_search_lessEbEEEE10hipError_tPvRmT1_T2_T3_mmT4_T5_P12ihipStream_tbEUlRKfE_EEST_SX_SY_mSZ_S12_bEUlT_E_NS1_11comp_targetILNS1_3genE2ELNS1_11target_archE906ELNS1_3gpuE6ELNS1_3repE0EEENS1_30default_config_static_selectorELNS0_4arch9wavefront6targetE1EEEvSW_,"axG",@progbits,_ZN7rocprim17ROCPRIM_400000_NS6detail17trampoline_kernelINS0_14default_configENS1_27lower_bound_config_selectorIflEEZNS1_14transform_implILb0ES3_S5_N6thrust23THRUST_200600_302600_NS6detail15normal_iteratorINS8_7pointerIfNS8_11hip_rocprim5par_tENS8_11use_defaultESE_EEEENSA_INSB_IlSD_SE_SE_EEEEZNS1_13binary_searchIS3_S5_PfSG_SI_NS1_21lower_bound_search_opENS9_16wrapped_functionINS8_6system6detail7generic6detail18binary_search_lessEbEEEE10hipError_tPvRmT1_T2_T3_mmT4_T5_P12ihipStream_tbEUlRKfE_EEST_SX_SY_mSZ_S12_bEUlT_E_NS1_11comp_targetILNS1_3genE2ELNS1_11target_archE906ELNS1_3gpuE6ELNS1_3repE0EEENS1_30default_config_static_selectorELNS0_4arch9wavefront6targetE1EEEvSW_,comdat
.Lfunc_end37:
	.size	_ZN7rocprim17ROCPRIM_400000_NS6detail17trampoline_kernelINS0_14default_configENS1_27lower_bound_config_selectorIflEEZNS1_14transform_implILb0ES3_S5_N6thrust23THRUST_200600_302600_NS6detail15normal_iteratorINS8_7pointerIfNS8_11hip_rocprim5par_tENS8_11use_defaultESE_EEEENSA_INSB_IlSD_SE_SE_EEEEZNS1_13binary_searchIS3_S5_PfSG_SI_NS1_21lower_bound_search_opENS9_16wrapped_functionINS8_6system6detail7generic6detail18binary_search_lessEbEEEE10hipError_tPvRmT1_T2_T3_mmT4_T5_P12ihipStream_tbEUlRKfE_EEST_SX_SY_mSZ_S12_bEUlT_E_NS1_11comp_targetILNS1_3genE2ELNS1_11target_archE906ELNS1_3gpuE6ELNS1_3repE0EEENS1_30default_config_static_selectorELNS0_4arch9wavefront6targetE1EEEvSW_, .Lfunc_end37-_ZN7rocprim17ROCPRIM_400000_NS6detail17trampoline_kernelINS0_14default_configENS1_27lower_bound_config_selectorIflEEZNS1_14transform_implILb0ES3_S5_N6thrust23THRUST_200600_302600_NS6detail15normal_iteratorINS8_7pointerIfNS8_11hip_rocprim5par_tENS8_11use_defaultESE_EEEENSA_INSB_IlSD_SE_SE_EEEEZNS1_13binary_searchIS3_S5_PfSG_SI_NS1_21lower_bound_search_opENS9_16wrapped_functionINS8_6system6detail7generic6detail18binary_search_lessEbEEEE10hipError_tPvRmT1_T2_T3_mmT4_T5_P12ihipStream_tbEUlRKfE_EEST_SX_SY_mSZ_S12_bEUlT_E_NS1_11comp_targetILNS1_3genE2ELNS1_11target_archE906ELNS1_3gpuE6ELNS1_3repE0EEENS1_30default_config_static_selectorELNS0_4arch9wavefront6targetE1EEEvSW_
                                        ; -- End function
	.set _ZN7rocprim17ROCPRIM_400000_NS6detail17trampoline_kernelINS0_14default_configENS1_27lower_bound_config_selectorIflEEZNS1_14transform_implILb0ES3_S5_N6thrust23THRUST_200600_302600_NS6detail15normal_iteratorINS8_7pointerIfNS8_11hip_rocprim5par_tENS8_11use_defaultESE_EEEENSA_INSB_IlSD_SE_SE_EEEEZNS1_13binary_searchIS3_S5_PfSG_SI_NS1_21lower_bound_search_opENS9_16wrapped_functionINS8_6system6detail7generic6detail18binary_search_lessEbEEEE10hipError_tPvRmT1_T2_T3_mmT4_T5_P12ihipStream_tbEUlRKfE_EEST_SX_SY_mSZ_S12_bEUlT_E_NS1_11comp_targetILNS1_3genE2ELNS1_11target_archE906ELNS1_3gpuE6ELNS1_3repE0EEENS1_30default_config_static_selectorELNS0_4arch9wavefront6targetE1EEEvSW_.num_vgpr, 12
	.set _ZN7rocprim17ROCPRIM_400000_NS6detail17trampoline_kernelINS0_14default_configENS1_27lower_bound_config_selectorIflEEZNS1_14transform_implILb0ES3_S5_N6thrust23THRUST_200600_302600_NS6detail15normal_iteratorINS8_7pointerIfNS8_11hip_rocprim5par_tENS8_11use_defaultESE_EEEENSA_INSB_IlSD_SE_SE_EEEEZNS1_13binary_searchIS3_S5_PfSG_SI_NS1_21lower_bound_search_opENS9_16wrapped_functionINS8_6system6detail7generic6detail18binary_search_lessEbEEEE10hipError_tPvRmT1_T2_T3_mmT4_T5_P12ihipStream_tbEUlRKfE_EEST_SX_SY_mSZ_S12_bEUlT_E_NS1_11comp_targetILNS1_3genE2ELNS1_11target_archE906ELNS1_3gpuE6ELNS1_3repE0EEENS1_30default_config_static_selectorELNS0_4arch9wavefront6targetE1EEEvSW_.num_agpr, 0
	.set _ZN7rocprim17ROCPRIM_400000_NS6detail17trampoline_kernelINS0_14default_configENS1_27lower_bound_config_selectorIflEEZNS1_14transform_implILb0ES3_S5_N6thrust23THRUST_200600_302600_NS6detail15normal_iteratorINS8_7pointerIfNS8_11hip_rocprim5par_tENS8_11use_defaultESE_EEEENSA_INSB_IlSD_SE_SE_EEEEZNS1_13binary_searchIS3_S5_PfSG_SI_NS1_21lower_bound_search_opENS9_16wrapped_functionINS8_6system6detail7generic6detail18binary_search_lessEbEEEE10hipError_tPvRmT1_T2_T3_mmT4_T5_P12ihipStream_tbEUlRKfE_EEST_SX_SY_mSZ_S12_bEUlT_E_NS1_11comp_targetILNS1_3genE2ELNS1_11target_archE906ELNS1_3gpuE6ELNS1_3repE0EEENS1_30default_config_static_selectorELNS0_4arch9wavefront6targetE1EEEvSW_.numbered_sgpr, 20
	.set _ZN7rocprim17ROCPRIM_400000_NS6detail17trampoline_kernelINS0_14default_configENS1_27lower_bound_config_selectorIflEEZNS1_14transform_implILb0ES3_S5_N6thrust23THRUST_200600_302600_NS6detail15normal_iteratorINS8_7pointerIfNS8_11hip_rocprim5par_tENS8_11use_defaultESE_EEEENSA_INSB_IlSD_SE_SE_EEEEZNS1_13binary_searchIS3_S5_PfSG_SI_NS1_21lower_bound_search_opENS9_16wrapped_functionINS8_6system6detail7generic6detail18binary_search_lessEbEEEE10hipError_tPvRmT1_T2_T3_mmT4_T5_P12ihipStream_tbEUlRKfE_EEST_SX_SY_mSZ_S12_bEUlT_E_NS1_11comp_targetILNS1_3genE2ELNS1_11target_archE906ELNS1_3gpuE6ELNS1_3repE0EEENS1_30default_config_static_selectorELNS0_4arch9wavefront6targetE1EEEvSW_.num_named_barrier, 0
	.set _ZN7rocprim17ROCPRIM_400000_NS6detail17trampoline_kernelINS0_14default_configENS1_27lower_bound_config_selectorIflEEZNS1_14transform_implILb0ES3_S5_N6thrust23THRUST_200600_302600_NS6detail15normal_iteratorINS8_7pointerIfNS8_11hip_rocprim5par_tENS8_11use_defaultESE_EEEENSA_INSB_IlSD_SE_SE_EEEEZNS1_13binary_searchIS3_S5_PfSG_SI_NS1_21lower_bound_search_opENS9_16wrapped_functionINS8_6system6detail7generic6detail18binary_search_lessEbEEEE10hipError_tPvRmT1_T2_T3_mmT4_T5_P12ihipStream_tbEUlRKfE_EEST_SX_SY_mSZ_S12_bEUlT_E_NS1_11comp_targetILNS1_3genE2ELNS1_11target_archE906ELNS1_3gpuE6ELNS1_3repE0EEENS1_30default_config_static_selectorELNS0_4arch9wavefront6targetE1EEEvSW_.private_seg_size, 0
	.set _ZN7rocprim17ROCPRIM_400000_NS6detail17trampoline_kernelINS0_14default_configENS1_27lower_bound_config_selectorIflEEZNS1_14transform_implILb0ES3_S5_N6thrust23THRUST_200600_302600_NS6detail15normal_iteratorINS8_7pointerIfNS8_11hip_rocprim5par_tENS8_11use_defaultESE_EEEENSA_INSB_IlSD_SE_SE_EEEEZNS1_13binary_searchIS3_S5_PfSG_SI_NS1_21lower_bound_search_opENS9_16wrapped_functionINS8_6system6detail7generic6detail18binary_search_lessEbEEEE10hipError_tPvRmT1_T2_T3_mmT4_T5_P12ihipStream_tbEUlRKfE_EEST_SX_SY_mSZ_S12_bEUlT_E_NS1_11comp_targetILNS1_3genE2ELNS1_11target_archE906ELNS1_3gpuE6ELNS1_3repE0EEENS1_30default_config_static_selectorELNS0_4arch9wavefront6targetE1EEEvSW_.uses_vcc, 1
	.set _ZN7rocprim17ROCPRIM_400000_NS6detail17trampoline_kernelINS0_14default_configENS1_27lower_bound_config_selectorIflEEZNS1_14transform_implILb0ES3_S5_N6thrust23THRUST_200600_302600_NS6detail15normal_iteratorINS8_7pointerIfNS8_11hip_rocprim5par_tENS8_11use_defaultESE_EEEENSA_INSB_IlSD_SE_SE_EEEEZNS1_13binary_searchIS3_S5_PfSG_SI_NS1_21lower_bound_search_opENS9_16wrapped_functionINS8_6system6detail7generic6detail18binary_search_lessEbEEEE10hipError_tPvRmT1_T2_T3_mmT4_T5_P12ihipStream_tbEUlRKfE_EEST_SX_SY_mSZ_S12_bEUlT_E_NS1_11comp_targetILNS1_3genE2ELNS1_11target_archE906ELNS1_3gpuE6ELNS1_3repE0EEENS1_30default_config_static_selectorELNS0_4arch9wavefront6targetE1EEEvSW_.uses_flat_scratch, 0
	.set _ZN7rocprim17ROCPRIM_400000_NS6detail17trampoline_kernelINS0_14default_configENS1_27lower_bound_config_selectorIflEEZNS1_14transform_implILb0ES3_S5_N6thrust23THRUST_200600_302600_NS6detail15normal_iteratorINS8_7pointerIfNS8_11hip_rocprim5par_tENS8_11use_defaultESE_EEEENSA_INSB_IlSD_SE_SE_EEEEZNS1_13binary_searchIS3_S5_PfSG_SI_NS1_21lower_bound_search_opENS9_16wrapped_functionINS8_6system6detail7generic6detail18binary_search_lessEbEEEE10hipError_tPvRmT1_T2_T3_mmT4_T5_P12ihipStream_tbEUlRKfE_EEST_SX_SY_mSZ_S12_bEUlT_E_NS1_11comp_targetILNS1_3genE2ELNS1_11target_archE906ELNS1_3gpuE6ELNS1_3repE0EEENS1_30default_config_static_selectorELNS0_4arch9wavefront6targetE1EEEvSW_.has_dyn_sized_stack, 0
	.set _ZN7rocprim17ROCPRIM_400000_NS6detail17trampoline_kernelINS0_14default_configENS1_27lower_bound_config_selectorIflEEZNS1_14transform_implILb0ES3_S5_N6thrust23THRUST_200600_302600_NS6detail15normal_iteratorINS8_7pointerIfNS8_11hip_rocprim5par_tENS8_11use_defaultESE_EEEENSA_INSB_IlSD_SE_SE_EEEEZNS1_13binary_searchIS3_S5_PfSG_SI_NS1_21lower_bound_search_opENS9_16wrapped_functionINS8_6system6detail7generic6detail18binary_search_lessEbEEEE10hipError_tPvRmT1_T2_T3_mmT4_T5_P12ihipStream_tbEUlRKfE_EEST_SX_SY_mSZ_S12_bEUlT_E_NS1_11comp_targetILNS1_3genE2ELNS1_11target_archE906ELNS1_3gpuE6ELNS1_3repE0EEENS1_30default_config_static_selectorELNS0_4arch9wavefront6targetE1EEEvSW_.has_recursion, 0
	.set _ZN7rocprim17ROCPRIM_400000_NS6detail17trampoline_kernelINS0_14default_configENS1_27lower_bound_config_selectorIflEEZNS1_14transform_implILb0ES3_S5_N6thrust23THRUST_200600_302600_NS6detail15normal_iteratorINS8_7pointerIfNS8_11hip_rocprim5par_tENS8_11use_defaultESE_EEEENSA_INSB_IlSD_SE_SE_EEEEZNS1_13binary_searchIS3_S5_PfSG_SI_NS1_21lower_bound_search_opENS9_16wrapped_functionINS8_6system6detail7generic6detail18binary_search_lessEbEEEE10hipError_tPvRmT1_T2_T3_mmT4_T5_P12ihipStream_tbEUlRKfE_EEST_SX_SY_mSZ_S12_bEUlT_E_NS1_11comp_targetILNS1_3genE2ELNS1_11target_archE906ELNS1_3gpuE6ELNS1_3repE0EEENS1_30default_config_static_selectorELNS0_4arch9wavefront6targetE1EEEvSW_.has_indirect_call, 0
	.section	.AMDGPU.csdata,"",@progbits
; Kernel info:
; codeLenInByte = 700
; TotalNumSgprs: 24
; NumVgprs: 12
; ScratchSize: 0
; MemoryBound: 0
; FloatMode: 240
; IeeeMode: 1
; LDSByteSize: 0 bytes/workgroup (compile time only)
; SGPRBlocks: 2
; VGPRBlocks: 2
; NumSGPRsForWavesPerEU: 24
; NumVGPRsForWavesPerEU: 12
; Occupancy: 10
; WaveLimiterHint : 0
; COMPUTE_PGM_RSRC2:SCRATCH_EN: 0
; COMPUTE_PGM_RSRC2:USER_SGPR: 6
; COMPUTE_PGM_RSRC2:TRAP_HANDLER: 0
; COMPUTE_PGM_RSRC2:TGID_X_EN: 1
; COMPUTE_PGM_RSRC2:TGID_Y_EN: 0
; COMPUTE_PGM_RSRC2:TGID_Z_EN: 0
; COMPUTE_PGM_RSRC2:TIDIG_COMP_CNT: 0
	.section	.text._ZN7rocprim17ROCPRIM_400000_NS6detail17trampoline_kernelINS0_14default_configENS1_27lower_bound_config_selectorIflEEZNS1_14transform_implILb0ES3_S5_N6thrust23THRUST_200600_302600_NS6detail15normal_iteratorINS8_7pointerIfNS8_11hip_rocprim5par_tENS8_11use_defaultESE_EEEENSA_INSB_IlSD_SE_SE_EEEEZNS1_13binary_searchIS3_S5_PfSG_SI_NS1_21lower_bound_search_opENS9_16wrapped_functionINS8_6system6detail7generic6detail18binary_search_lessEbEEEE10hipError_tPvRmT1_T2_T3_mmT4_T5_P12ihipStream_tbEUlRKfE_EEST_SX_SY_mSZ_S12_bEUlT_E_NS1_11comp_targetILNS1_3genE10ELNS1_11target_archE1201ELNS1_3gpuE5ELNS1_3repE0EEENS1_30default_config_static_selectorELNS0_4arch9wavefront6targetE1EEEvSW_,"axG",@progbits,_ZN7rocprim17ROCPRIM_400000_NS6detail17trampoline_kernelINS0_14default_configENS1_27lower_bound_config_selectorIflEEZNS1_14transform_implILb0ES3_S5_N6thrust23THRUST_200600_302600_NS6detail15normal_iteratorINS8_7pointerIfNS8_11hip_rocprim5par_tENS8_11use_defaultESE_EEEENSA_INSB_IlSD_SE_SE_EEEEZNS1_13binary_searchIS3_S5_PfSG_SI_NS1_21lower_bound_search_opENS9_16wrapped_functionINS8_6system6detail7generic6detail18binary_search_lessEbEEEE10hipError_tPvRmT1_T2_T3_mmT4_T5_P12ihipStream_tbEUlRKfE_EEST_SX_SY_mSZ_S12_bEUlT_E_NS1_11comp_targetILNS1_3genE10ELNS1_11target_archE1201ELNS1_3gpuE5ELNS1_3repE0EEENS1_30default_config_static_selectorELNS0_4arch9wavefront6targetE1EEEvSW_,comdat
	.protected	_ZN7rocprim17ROCPRIM_400000_NS6detail17trampoline_kernelINS0_14default_configENS1_27lower_bound_config_selectorIflEEZNS1_14transform_implILb0ES3_S5_N6thrust23THRUST_200600_302600_NS6detail15normal_iteratorINS8_7pointerIfNS8_11hip_rocprim5par_tENS8_11use_defaultESE_EEEENSA_INSB_IlSD_SE_SE_EEEEZNS1_13binary_searchIS3_S5_PfSG_SI_NS1_21lower_bound_search_opENS9_16wrapped_functionINS8_6system6detail7generic6detail18binary_search_lessEbEEEE10hipError_tPvRmT1_T2_T3_mmT4_T5_P12ihipStream_tbEUlRKfE_EEST_SX_SY_mSZ_S12_bEUlT_E_NS1_11comp_targetILNS1_3genE10ELNS1_11target_archE1201ELNS1_3gpuE5ELNS1_3repE0EEENS1_30default_config_static_selectorELNS0_4arch9wavefront6targetE1EEEvSW_ ; -- Begin function _ZN7rocprim17ROCPRIM_400000_NS6detail17trampoline_kernelINS0_14default_configENS1_27lower_bound_config_selectorIflEEZNS1_14transform_implILb0ES3_S5_N6thrust23THRUST_200600_302600_NS6detail15normal_iteratorINS8_7pointerIfNS8_11hip_rocprim5par_tENS8_11use_defaultESE_EEEENSA_INSB_IlSD_SE_SE_EEEEZNS1_13binary_searchIS3_S5_PfSG_SI_NS1_21lower_bound_search_opENS9_16wrapped_functionINS8_6system6detail7generic6detail18binary_search_lessEbEEEE10hipError_tPvRmT1_T2_T3_mmT4_T5_P12ihipStream_tbEUlRKfE_EEST_SX_SY_mSZ_S12_bEUlT_E_NS1_11comp_targetILNS1_3genE10ELNS1_11target_archE1201ELNS1_3gpuE5ELNS1_3repE0EEENS1_30default_config_static_selectorELNS0_4arch9wavefront6targetE1EEEvSW_
	.globl	_ZN7rocprim17ROCPRIM_400000_NS6detail17trampoline_kernelINS0_14default_configENS1_27lower_bound_config_selectorIflEEZNS1_14transform_implILb0ES3_S5_N6thrust23THRUST_200600_302600_NS6detail15normal_iteratorINS8_7pointerIfNS8_11hip_rocprim5par_tENS8_11use_defaultESE_EEEENSA_INSB_IlSD_SE_SE_EEEEZNS1_13binary_searchIS3_S5_PfSG_SI_NS1_21lower_bound_search_opENS9_16wrapped_functionINS8_6system6detail7generic6detail18binary_search_lessEbEEEE10hipError_tPvRmT1_T2_T3_mmT4_T5_P12ihipStream_tbEUlRKfE_EEST_SX_SY_mSZ_S12_bEUlT_E_NS1_11comp_targetILNS1_3genE10ELNS1_11target_archE1201ELNS1_3gpuE5ELNS1_3repE0EEENS1_30default_config_static_selectorELNS0_4arch9wavefront6targetE1EEEvSW_
	.p2align	8
	.type	_ZN7rocprim17ROCPRIM_400000_NS6detail17trampoline_kernelINS0_14default_configENS1_27lower_bound_config_selectorIflEEZNS1_14transform_implILb0ES3_S5_N6thrust23THRUST_200600_302600_NS6detail15normal_iteratorINS8_7pointerIfNS8_11hip_rocprim5par_tENS8_11use_defaultESE_EEEENSA_INSB_IlSD_SE_SE_EEEEZNS1_13binary_searchIS3_S5_PfSG_SI_NS1_21lower_bound_search_opENS9_16wrapped_functionINS8_6system6detail7generic6detail18binary_search_lessEbEEEE10hipError_tPvRmT1_T2_T3_mmT4_T5_P12ihipStream_tbEUlRKfE_EEST_SX_SY_mSZ_S12_bEUlT_E_NS1_11comp_targetILNS1_3genE10ELNS1_11target_archE1201ELNS1_3gpuE5ELNS1_3repE0EEENS1_30default_config_static_selectorELNS0_4arch9wavefront6targetE1EEEvSW_,@function
_ZN7rocprim17ROCPRIM_400000_NS6detail17trampoline_kernelINS0_14default_configENS1_27lower_bound_config_selectorIflEEZNS1_14transform_implILb0ES3_S5_N6thrust23THRUST_200600_302600_NS6detail15normal_iteratorINS8_7pointerIfNS8_11hip_rocprim5par_tENS8_11use_defaultESE_EEEENSA_INSB_IlSD_SE_SE_EEEEZNS1_13binary_searchIS3_S5_PfSG_SI_NS1_21lower_bound_search_opENS9_16wrapped_functionINS8_6system6detail7generic6detail18binary_search_lessEbEEEE10hipError_tPvRmT1_T2_T3_mmT4_T5_P12ihipStream_tbEUlRKfE_EEST_SX_SY_mSZ_S12_bEUlT_E_NS1_11comp_targetILNS1_3genE10ELNS1_11target_archE1201ELNS1_3gpuE5ELNS1_3repE0EEENS1_30default_config_static_selectorELNS0_4arch9wavefront6targetE1EEEvSW_: ; @_ZN7rocprim17ROCPRIM_400000_NS6detail17trampoline_kernelINS0_14default_configENS1_27lower_bound_config_selectorIflEEZNS1_14transform_implILb0ES3_S5_N6thrust23THRUST_200600_302600_NS6detail15normal_iteratorINS8_7pointerIfNS8_11hip_rocprim5par_tENS8_11use_defaultESE_EEEENSA_INSB_IlSD_SE_SE_EEEEZNS1_13binary_searchIS3_S5_PfSG_SI_NS1_21lower_bound_search_opENS9_16wrapped_functionINS8_6system6detail7generic6detail18binary_search_lessEbEEEE10hipError_tPvRmT1_T2_T3_mmT4_T5_P12ihipStream_tbEUlRKfE_EEST_SX_SY_mSZ_S12_bEUlT_E_NS1_11comp_targetILNS1_3genE10ELNS1_11target_archE1201ELNS1_3gpuE5ELNS1_3repE0EEENS1_30default_config_static_selectorELNS0_4arch9wavefront6targetE1EEEvSW_
; %bb.0:
	.section	.rodata,"a",@progbits
	.p2align	6, 0x0
	.amdhsa_kernel _ZN7rocprim17ROCPRIM_400000_NS6detail17trampoline_kernelINS0_14default_configENS1_27lower_bound_config_selectorIflEEZNS1_14transform_implILb0ES3_S5_N6thrust23THRUST_200600_302600_NS6detail15normal_iteratorINS8_7pointerIfNS8_11hip_rocprim5par_tENS8_11use_defaultESE_EEEENSA_INSB_IlSD_SE_SE_EEEEZNS1_13binary_searchIS3_S5_PfSG_SI_NS1_21lower_bound_search_opENS9_16wrapped_functionINS8_6system6detail7generic6detail18binary_search_lessEbEEEE10hipError_tPvRmT1_T2_T3_mmT4_T5_P12ihipStream_tbEUlRKfE_EEST_SX_SY_mSZ_S12_bEUlT_E_NS1_11comp_targetILNS1_3genE10ELNS1_11target_archE1201ELNS1_3gpuE5ELNS1_3repE0EEENS1_30default_config_static_selectorELNS0_4arch9wavefront6targetE1EEEvSW_
		.amdhsa_group_segment_fixed_size 0
		.amdhsa_private_segment_fixed_size 0
		.amdhsa_kernarg_size 56
		.amdhsa_user_sgpr_count 6
		.amdhsa_user_sgpr_private_segment_buffer 1
		.amdhsa_user_sgpr_dispatch_ptr 0
		.amdhsa_user_sgpr_queue_ptr 0
		.amdhsa_user_sgpr_kernarg_segment_ptr 1
		.amdhsa_user_sgpr_dispatch_id 0
		.amdhsa_user_sgpr_flat_scratch_init 0
		.amdhsa_user_sgpr_private_segment_size 0
		.amdhsa_uses_dynamic_stack 0
		.amdhsa_system_sgpr_private_segment_wavefront_offset 0
		.amdhsa_system_sgpr_workgroup_id_x 1
		.amdhsa_system_sgpr_workgroup_id_y 0
		.amdhsa_system_sgpr_workgroup_id_z 0
		.amdhsa_system_sgpr_workgroup_info 0
		.amdhsa_system_vgpr_workitem_id 0
		.amdhsa_next_free_vgpr 1
		.amdhsa_next_free_sgpr 0
		.amdhsa_reserve_vcc 0
		.amdhsa_reserve_flat_scratch 0
		.amdhsa_float_round_mode_32 0
		.amdhsa_float_round_mode_16_64 0
		.amdhsa_float_denorm_mode_32 3
		.amdhsa_float_denorm_mode_16_64 3
		.amdhsa_dx10_clamp 1
		.amdhsa_ieee_mode 1
		.amdhsa_fp16_overflow 0
		.amdhsa_exception_fp_ieee_invalid_op 0
		.amdhsa_exception_fp_denorm_src 0
		.amdhsa_exception_fp_ieee_div_zero 0
		.amdhsa_exception_fp_ieee_overflow 0
		.amdhsa_exception_fp_ieee_underflow 0
		.amdhsa_exception_fp_ieee_inexact 0
		.amdhsa_exception_int_div_zero 0
	.end_amdhsa_kernel
	.section	.text._ZN7rocprim17ROCPRIM_400000_NS6detail17trampoline_kernelINS0_14default_configENS1_27lower_bound_config_selectorIflEEZNS1_14transform_implILb0ES3_S5_N6thrust23THRUST_200600_302600_NS6detail15normal_iteratorINS8_7pointerIfNS8_11hip_rocprim5par_tENS8_11use_defaultESE_EEEENSA_INSB_IlSD_SE_SE_EEEEZNS1_13binary_searchIS3_S5_PfSG_SI_NS1_21lower_bound_search_opENS9_16wrapped_functionINS8_6system6detail7generic6detail18binary_search_lessEbEEEE10hipError_tPvRmT1_T2_T3_mmT4_T5_P12ihipStream_tbEUlRKfE_EEST_SX_SY_mSZ_S12_bEUlT_E_NS1_11comp_targetILNS1_3genE10ELNS1_11target_archE1201ELNS1_3gpuE5ELNS1_3repE0EEENS1_30default_config_static_selectorELNS0_4arch9wavefront6targetE1EEEvSW_,"axG",@progbits,_ZN7rocprim17ROCPRIM_400000_NS6detail17trampoline_kernelINS0_14default_configENS1_27lower_bound_config_selectorIflEEZNS1_14transform_implILb0ES3_S5_N6thrust23THRUST_200600_302600_NS6detail15normal_iteratorINS8_7pointerIfNS8_11hip_rocprim5par_tENS8_11use_defaultESE_EEEENSA_INSB_IlSD_SE_SE_EEEEZNS1_13binary_searchIS3_S5_PfSG_SI_NS1_21lower_bound_search_opENS9_16wrapped_functionINS8_6system6detail7generic6detail18binary_search_lessEbEEEE10hipError_tPvRmT1_T2_T3_mmT4_T5_P12ihipStream_tbEUlRKfE_EEST_SX_SY_mSZ_S12_bEUlT_E_NS1_11comp_targetILNS1_3genE10ELNS1_11target_archE1201ELNS1_3gpuE5ELNS1_3repE0EEENS1_30default_config_static_selectorELNS0_4arch9wavefront6targetE1EEEvSW_,comdat
.Lfunc_end38:
	.size	_ZN7rocprim17ROCPRIM_400000_NS6detail17trampoline_kernelINS0_14default_configENS1_27lower_bound_config_selectorIflEEZNS1_14transform_implILb0ES3_S5_N6thrust23THRUST_200600_302600_NS6detail15normal_iteratorINS8_7pointerIfNS8_11hip_rocprim5par_tENS8_11use_defaultESE_EEEENSA_INSB_IlSD_SE_SE_EEEEZNS1_13binary_searchIS3_S5_PfSG_SI_NS1_21lower_bound_search_opENS9_16wrapped_functionINS8_6system6detail7generic6detail18binary_search_lessEbEEEE10hipError_tPvRmT1_T2_T3_mmT4_T5_P12ihipStream_tbEUlRKfE_EEST_SX_SY_mSZ_S12_bEUlT_E_NS1_11comp_targetILNS1_3genE10ELNS1_11target_archE1201ELNS1_3gpuE5ELNS1_3repE0EEENS1_30default_config_static_selectorELNS0_4arch9wavefront6targetE1EEEvSW_, .Lfunc_end38-_ZN7rocprim17ROCPRIM_400000_NS6detail17trampoline_kernelINS0_14default_configENS1_27lower_bound_config_selectorIflEEZNS1_14transform_implILb0ES3_S5_N6thrust23THRUST_200600_302600_NS6detail15normal_iteratorINS8_7pointerIfNS8_11hip_rocprim5par_tENS8_11use_defaultESE_EEEENSA_INSB_IlSD_SE_SE_EEEEZNS1_13binary_searchIS3_S5_PfSG_SI_NS1_21lower_bound_search_opENS9_16wrapped_functionINS8_6system6detail7generic6detail18binary_search_lessEbEEEE10hipError_tPvRmT1_T2_T3_mmT4_T5_P12ihipStream_tbEUlRKfE_EEST_SX_SY_mSZ_S12_bEUlT_E_NS1_11comp_targetILNS1_3genE10ELNS1_11target_archE1201ELNS1_3gpuE5ELNS1_3repE0EEENS1_30default_config_static_selectorELNS0_4arch9wavefront6targetE1EEEvSW_
                                        ; -- End function
	.set _ZN7rocprim17ROCPRIM_400000_NS6detail17trampoline_kernelINS0_14default_configENS1_27lower_bound_config_selectorIflEEZNS1_14transform_implILb0ES3_S5_N6thrust23THRUST_200600_302600_NS6detail15normal_iteratorINS8_7pointerIfNS8_11hip_rocprim5par_tENS8_11use_defaultESE_EEEENSA_INSB_IlSD_SE_SE_EEEEZNS1_13binary_searchIS3_S5_PfSG_SI_NS1_21lower_bound_search_opENS9_16wrapped_functionINS8_6system6detail7generic6detail18binary_search_lessEbEEEE10hipError_tPvRmT1_T2_T3_mmT4_T5_P12ihipStream_tbEUlRKfE_EEST_SX_SY_mSZ_S12_bEUlT_E_NS1_11comp_targetILNS1_3genE10ELNS1_11target_archE1201ELNS1_3gpuE5ELNS1_3repE0EEENS1_30default_config_static_selectorELNS0_4arch9wavefront6targetE1EEEvSW_.num_vgpr, 0
	.set _ZN7rocprim17ROCPRIM_400000_NS6detail17trampoline_kernelINS0_14default_configENS1_27lower_bound_config_selectorIflEEZNS1_14transform_implILb0ES3_S5_N6thrust23THRUST_200600_302600_NS6detail15normal_iteratorINS8_7pointerIfNS8_11hip_rocprim5par_tENS8_11use_defaultESE_EEEENSA_INSB_IlSD_SE_SE_EEEEZNS1_13binary_searchIS3_S5_PfSG_SI_NS1_21lower_bound_search_opENS9_16wrapped_functionINS8_6system6detail7generic6detail18binary_search_lessEbEEEE10hipError_tPvRmT1_T2_T3_mmT4_T5_P12ihipStream_tbEUlRKfE_EEST_SX_SY_mSZ_S12_bEUlT_E_NS1_11comp_targetILNS1_3genE10ELNS1_11target_archE1201ELNS1_3gpuE5ELNS1_3repE0EEENS1_30default_config_static_selectorELNS0_4arch9wavefront6targetE1EEEvSW_.num_agpr, 0
	.set _ZN7rocprim17ROCPRIM_400000_NS6detail17trampoline_kernelINS0_14default_configENS1_27lower_bound_config_selectorIflEEZNS1_14transform_implILb0ES3_S5_N6thrust23THRUST_200600_302600_NS6detail15normal_iteratorINS8_7pointerIfNS8_11hip_rocprim5par_tENS8_11use_defaultESE_EEEENSA_INSB_IlSD_SE_SE_EEEEZNS1_13binary_searchIS3_S5_PfSG_SI_NS1_21lower_bound_search_opENS9_16wrapped_functionINS8_6system6detail7generic6detail18binary_search_lessEbEEEE10hipError_tPvRmT1_T2_T3_mmT4_T5_P12ihipStream_tbEUlRKfE_EEST_SX_SY_mSZ_S12_bEUlT_E_NS1_11comp_targetILNS1_3genE10ELNS1_11target_archE1201ELNS1_3gpuE5ELNS1_3repE0EEENS1_30default_config_static_selectorELNS0_4arch9wavefront6targetE1EEEvSW_.numbered_sgpr, 0
	.set _ZN7rocprim17ROCPRIM_400000_NS6detail17trampoline_kernelINS0_14default_configENS1_27lower_bound_config_selectorIflEEZNS1_14transform_implILb0ES3_S5_N6thrust23THRUST_200600_302600_NS6detail15normal_iteratorINS8_7pointerIfNS8_11hip_rocprim5par_tENS8_11use_defaultESE_EEEENSA_INSB_IlSD_SE_SE_EEEEZNS1_13binary_searchIS3_S5_PfSG_SI_NS1_21lower_bound_search_opENS9_16wrapped_functionINS8_6system6detail7generic6detail18binary_search_lessEbEEEE10hipError_tPvRmT1_T2_T3_mmT4_T5_P12ihipStream_tbEUlRKfE_EEST_SX_SY_mSZ_S12_bEUlT_E_NS1_11comp_targetILNS1_3genE10ELNS1_11target_archE1201ELNS1_3gpuE5ELNS1_3repE0EEENS1_30default_config_static_selectorELNS0_4arch9wavefront6targetE1EEEvSW_.num_named_barrier, 0
	.set _ZN7rocprim17ROCPRIM_400000_NS6detail17trampoline_kernelINS0_14default_configENS1_27lower_bound_config_selectorIflEEZNS1_14transform_implILb0ES3_S5_N6thrust23THRUST_200600_302600_NS6detail15normal_iteratorINS8_7pointerIfNS8_11hip_rocprim5par_tENS8_11use_defaultESE_EEEENSA_INSB_IlSD_SE_SE_EEEEZNS1_13binary_searchIS3_S5_PfSG_SI_NS1_21lower_bound_search_opENS9_16wrapped_functionINS8_6system6detail7generic6detail18binary_search_lessEbEEEE10hipError_tPvRmT1_T2_T3_mmT4_T5_P12ihipStream_tbEUlRKfE_EEST_SX_SY_mSZ_S12_bEUlT_E_NS1_11comp_targetILNS1_3genE10ELNS1_11target_archE1201ELNS1_3gpuE5ELNS1_3repE0EEENS1_30default_config_static_selectorELNS0_4arch9wavefront6targetE1EEEvSW_.private_seg_size, 0
	.set _ZN7rocprim17ROCPRIM_400000_NS6detail17trampoline_kernelINS0_14default_configENS1_27lower_bound_config_selectorIflEEZNS1_14transform_implILb0ES3_S5_N6thrust23THRUST_200600_302600_NS6detail15normal_iteratorINS8_7pointerIfNS8_11hip_rocprim5par_tENS8_11use_defaultESE_EEEENSA_INSB_IlSD_SE_SE_EEEEZNS1_13binary_searchIS3_S5_PfSG_SI_NS1_21lower_bound_search_opENS9_16wrapped_functionINS8_6system6detail7generic6detail18binary_search_lessEbEEEE10hipError_tPvRmT1_T2_T3_mmT4_T5_P12ihipStream_tbEUlRKfE_EEST_SX_SY_mSZ_S12_bEUlT_E_NS1_11comp_targetILNS1_3genE10ELNS1_11target_archE1201ELNS1_3gpuE5ELNS1_3repE0EEENS1_30default_config_static_selectorELNS0_4arch9wavefront6targetE1EEEvSW_.uses_vcc, 0
	.set _ZN7rocprim17ROCPRIM_400000_NS6detail17trampoline_kernelINS0_14default_configENS1_27lower_bound_config_selectorIflEEZNS1_14transform_implILb0ES3_S5_N6thrust23THRUST_200600_302600_NS6detail15normal_iteratorINS8_7pointerIfNS8_11hip_rocprim5par_tENS8_11use_defaultESE_EEEENSA_INSB_IlSD_SE_SE_EEEEZNS1_13binary_searchIS3_S5_PfSG_SI_NS1_21lower_bound_search_opENS9_16wrapped_functionINS8_6system6detail7generic6detail18binary_search_lessEbEEEE10hipError_tPvRmT1_T2_T3_mmT4_T5_P12ihipStream_tbEUlRKfE_EEST_SX_SY_mSZ_S12_bEUlT_E_NS1_11comp_targetILNS1_3genE10ELNS1_11target_archE1201ELNS1_3gpuE5ELNS1_3repE0EEENS1_30default_config_static_selectorELNS0_4arch9wavefront6targetE1EEEvSW_.uses_flat_scratch, 0
	.set _ZN7rocprim17ROCPRIM_400000_NS6detail17trampoline_kernelINS0_14default_configENS1_27lower_bound_config_selectorIflEEZNS1_14transform_implILb0ES3_S5_N6thrust23THRUST_200600_302600_NS6detail15normal_iteratorINS8_7pointerIfNS8_11hip_rocprim5par_tENS8_11use_defaultESE_EEEENSA_INSB_IlSD_SE_SE_EEEEZNS1_13binary_searchIS3_S5_PfSG_SI_NS1_21lower_bound_search_opENS9_16wrapped_functionINS8_6system6detail7generic6detail18binary_search_lessEbEEEE10hipError_tPvRmT1_T2_T3_mmT4_T5_P12ihipStream_tbEUlRKfE_EEST_SX_SY_mSZ_S12_bEUlT_E_NS1_11comp_targetILNS1_3genE10ELNS1_11target_archE1201ELNS1_3gpuE5ELNS1_3repE0EEENS1_30default_config_static_selectorELNS0_4arch9wavefront6targetE1EEEvSW_.has_dyn_sized_stack, 0
	.set _ZN7rocprim17ROCPRIM_400000_NS6detail17trampoline_kernelINS0_14default_configENS1_27lower_bound_config_selectorIflEEZNS1_14transform_implILb0ES3_S5_N6thrust23THRUST_200600_302600_NS6detail15normal_iteratorINS8_7pointerIfNS8_11hip_rocprim5par_tENS8_11use_defaultESE_EEEENSA_INSB_IlSD_SE_SE_EEEEZNS1_13binary_searchIS3_S5_PfSG_SI_NS1_21lower_bound_search_opENS9_16wrapped_functionINS8_6system6detail7generic6detail18binary_search_lessEbEEEE10hipError_tPvRmT1_T2_T3_mmT4_T5_P12ihipStream_tbEUlRKfE_EEST_SX_SY_mSZ_S12_bEUlT_E_NS1_11comp_targetILNS1_3genE10ELNS1_11target_archE1201ELNS1_3gpuE5ELNS1_3repE0EEENS1_30default_config_static_selectorELNS0_4arch9wavefront6targetE1EEEvSW_.has_recursion, 0
	.set _ZN7rocprim17ROCPRIM_400000_NS6detail17trampoline_kernelINS0_14default_configENS1_27lower_bound_config_selectorIflEEZNS1_14transform_implILb0ES3_S5_N6thrust23THRUST_200600_302600_NS6detail15normal_iteratorINS8_7pointerIfNS8_11hip_rocprim5par_tENS8_11use_defaultESE_EEEENSA_INSB_IlSD_SE_SE_EEEEZNS1_13binary_searchIS3_S5_PfSG_SI_NS1_21lower_bound_search_opENS9_16wrapped_functionINS8_6system6detail7generic6detail18binary_search_lessEbEEEE10hipError_tPvRmT1_T2_T3_mmT4_T5_P12ihipStream_tbEUlRKfE_EEST_SX_SY_mSZ_S12_bEUlT_E_NS1_11comp_targetILNS1_3genE10ELNS1_11target_archE1201ELNS1_3gpuE5ELNS1_3repE0EEENS1_30default_config_static_selectorELNS0_4arch9wavefront6targetE1EEEvSW_.has_indirect_call, 0
	.section	.AMDGPU.csdata,"",@progbits
; Kernel info:
; codeLenInByte = 0
; TotalNumSgprs: 4
; NumVgprs: 0
; ScratchSize: 0
; MemoryBound: 0
; FloatMode: 240
; IeeeMode: 1
; LDSByteSize: 0 bytes/workgroup (compile time only)
; SGPRBlocks: 0
; VGPRBlocks: 0
; NumSGPRsForWavesPerEU: 4
; NumVGPRsForWavesPerEU: 1
; Occupancy: 10
; WaveLimiterHint : 0
; COMPUTE_PGM_RSRC2:SCRATCH_EN: 0
; COMPUTE_PGM_RSRC2:USER_SGPR: 6
; COMPUTE_PGM_RSRC2:TRAP_HANDLER: 0
; COMPUTE_PGM_RSRC2:TGID_X_EN: 1
; COMPUTE_PGM_RSRC2:TGID_Y_EN: 0
; COMPUTE_PGM_RSRC2:TGID_Z_EN: 0
; COMPUTE_PGM_RSRC2:TIDIG_COMP_CNT: 0
	.section	.text._ZN7rocprim17ROCPRIM_400000_NS6detail17trampoline_kernelINS0_14default_configENS1_27lower_bound_config_selectorIflEEZNS1_14transform_implILb0ES3_S5_N6thrust23THRUST_200600_302600_NS6detail15normal_iteratorINS8_7pointerIfNS8_11hip_rocprim5par_tENS8_11use_defaultESE_EEEENSA_INSB_IlSD_SE_SE_EEEEZNS1_13binary_searchIS3_S5_PfSG_SI_NS1_21lower_bound_search_opENS9_16wrapped_functionINS8_6system6detail7generic6detail18binary_search_lessEbEEEE10hipError_tPvRmT1_T2_T3_mmT4_T5_P12ihipStream_tbEUlRKfE_EEST_SX_SY_mSZ_S12_bEUlT_E_NS1_11comp_targetILNS1_3genE10ELNS1_11target_archE1200ELNS1_3gpuE4ELNS1_3repE0EEENS1_30default_config_static_selectorELNS0_4arch9wavefront6targetE1EEEvSW_,"axG",@progbits,_ZN7rocprim17ROCPRIM_400000_NS6detail17trampoline_kernelINS0_14default_configENS1_27lower_bound_config_selectorIflEEZNS1_14transform_implILb0ES3_S5_N6thrust23THRUST_200600_302600_NS6detail15normal_iteratorINS8_7pointerIfNS8_11hip_rocprim5par_tENS8_11use_defaultESE_EEEENSA_INSB_IlSD_SE_SE_EEEEZNS1_13binary_searchIS3_S5_PfSG_SI_NS1_21lower_bound_search_opENS9_16wrapped_functionINS8_6system6detail7generic6detail18binary_search_lessEbEEEE10hipError_tPvRmT1_T2_T3_mmT4_T5_P12ihipStream_tbEUlRKfE_EEST_SX_SY_mSZ_S12_bEUlT_E_NS1_11comp_targetILNS1_3genE10ELNS1_11target_archE1200ELNS1_3gpuE4ELNS1_3repE0EEENS1_30default_config_static_selectorELNS0_4arch9wavefront6targetE1EEEvSW_,comdat
	.protected	_ZN7rocprim17ROCPRIM_400000_NS6detail17trampoline_kernelINS0_14default_configENS1_27lower_bound_config_selectorIflEEZNS1_14transform_implILb0ES3_S5_N6thrust23THRUST_200600_302600_NS6detail15normal_iteratorINS8_7pointerIfNS8_11hip_rocprim5par_tENS8_11use_defaultESE_EEEENSA_INSB_IlSD_SE_SE_EEEEZNS1_13binary_searchIS3_S5_PfSG_SI_NS1_21lower_bound_search_opENS9_16wrapped_functionINS8_6system6detail7generic6detail18binary_search_lessEbEEEE10hipError_tPvRmT1_T2_T3_mmT4_T5_P12ihipStream_tbEUlRKfE_EEST_SX_SY_mSZ_S12_bEUlT_E_NS1_11comp_targetILNS1_3genE10ELNS1_11target_archE1200ELNS1_3gpuE4ELNS1_3repE0EEENS1_30default_config_static_selectorELNS0_4arch9wavefront6targetE1EEEvSW_ ; -- Begin function _ZN7rocprim17ROCPRIM_400000_NS6detail17trampoline_kernelINS0_14default_configENS1_27lower_bound_config_selectorIflEEZNS1_14transform_implILb0ES3_S5_N6thrust23THRUST_200600_302600_NS6detail15normal_iteratorINS8_7pointerIfNS8_11hip_rocprim5par_tENS8_11use_defaultESE_EEEENSA_INSB_IlSD_SE_SE_EEEEZNS1_13binary_searchIS3_S5_PfSG_SI_NS1_21lower_bound_search_opENS9_16wrapped_functionINS8_6system6detail7generic6detail18binary_search_lessEbEEEE10hipError_tPvRmT1_T2_T3_mmT4_T5_P12ihipStream_tbEUlRKfE_EEST_SX_SY_mSZ_S12_bEUlT_E_NS1_11comp_targetILNS1_3genE10ELNS1_11target_archE1200ELNS1_3gpuE4ELNS1_3repE0EEENS1_30default_config_static_selectorELNS0_4arch9wavefront6targetE1EEEvSW_
	.globl	_ZN7rocprim17ROCPRIM_400000_NS6detail17trampoline_kernelINS0_14default_configENS1_27lower_bound_config_selectorIflEEZNS1_14transform_implILb0ES3_S5_N6thrust23THRUST_200600_302600_NS6detail15normal_iteratorINS8_7pointerIfNS8_11hip_rocprim5par_tENS8_11use_defaultESE_EEEENSA_INSB_IlSD_SE_SE_EEEEZNS1_13binary_searchIS3_S5_PfSG_SI_NS1_21lower_bound_search_opENS9_16wrapped_functionINS8_6system6detail7generic6detail18binary_search_lessEbEEEE10hipError_tPvRmT1_T2_T3_mmT4_T5_P12ihipStream_tbEUlRKfE_EEST_SX_SY_mSZ_S12_bEUlT_E_NS1_11comp_targetILNS1_3genE10ELNS1_11target_archE1200ELNS1_3gpuE4ELNS1_3repE0EEENS1_30default_config_static_selectorELNS0_4arch9wavefront6targetE1EEEvSW_
	.p2align	8
	.type	_ZN7rocprim17ROCPRIM_400000_NS6detail17trampoline_kernelINS0_14default_configENS1_27lower_bound_config_selectorIflEEZNS1_14transform_implILb0ES3_S5_N6thrust23THRUST_200600_302600_NS6detail15normal_iteratorINS8_7pointerIfNS8_11hip_rocprim5par_tENS8_11use_defaultESE_EEEENSA_INSB_IlSD_SE_SE_EEEEZNS1_13binary_searchIS3_S5_PfSG_SI_NS1_21lower_bound_search_opENS9_16wrapped_functionINS8_6system6detail7generic6detail18binary_search_lessEbEEEE10hipError_tPvRmT1_T2_T3_mmT4_T5_P12ihipStream_tbEUlRKfE_EEST_SX_SY_mSZ_S12_bEUlT_E_NS1_11comp_targetILNS1_3genE10ELNS1_11target_archE1200ELNS1_3gpuE4ELNS1_3repE0EEENS1_30default_config_static_selectorELNS0_4arch9wavefront6targetE1EEEvSW_,@function
_ZN7rocprim17ROCPRIM_400000_NS6detail17trampoline_kernelINS0_14default_configENS1_27lower_bound_config_selectorIflEEZNS1_14transform_implILb0ES3_S5_N6thrust23THRUST_200600_302600_NS6detail15normal_iteratorINS8_7pointerIfNS8_11hip_rocprim5par_tENS8_11use_defaultESE_EEEENSA_INSB_IlSD_SE_SE_EEEEZNS1_13binary_searchIS3_S5_PfSG_SI_NS1_21lower_bound_search_opENS9_16wrapped_functionINS8_6system6detail7generic6detail18binary_search_lessEbEEEE10hipError_tPvRmT1_T2_T3_mmT4_T5_P12ihipStream_tbEUlRKfE_EEST_SX_SY_mSZ_S12_bEUlT_E_NS1_11comp_targetILNS1_3genE10ELNS1_11target_archE1200ELNS1_3gpuE4ELNS1_3repE0EEENS1_30default_config_static_selectorELNS0_4arch9wavefront6targetE1EEEvSW_: ; @_ZN7rocprim17ROCPRIM_400000_NS6detail17trampoline_kernelINS0_14default_configENS1_27lower_bound_config_selectorIflEEZNS1_14transform_implILb0ES3_S5_N6thrust23THRUST_200600_302600_NS6detail15normal_iteratorINS8_7pointerIfNS8_11hip_rocprim5par_tENS8_11use_defaultESE_EEEENSA_INSB_IlSD_SE_SE_EEEEZNS1_13binary_searchIS3_S5_PfSG_SI_NS1_21lower_bound_search_opENS9_16wrapped_functionINS8_6system6detail7generic6detail18binary_search_lessEbEEEE10hipError_tPvRmT1_T2_T3_mmT4_T5_P12ihipStream_tbEUlRKfE_EEST_SX_SY_mSZ_S12_bEUlT_E_NS1_11comp_targetILNS1_3genE10ELNS1_11target_archE1200ELNS1_3gpuE4ELNS1_3repE0EEENS1_30default_config_static_selectorELNS0_4arch9wavefront6targetE1EEEvSW_
; %bb.0:
	.section	.rodata,"a",@progbits
	.p2align	6, 0x0
	.amdhsa_kernel _ZN7rocprim17ROCPRIM_400000_NS6detail17trampoline_kernelINS0_14default_configENS1_27lower_bound_config_selectorIflEEZNS1_14transform_implILb0ES3_S5_N6thrust23THRUST_200600_302600_NS6detail15normal_iteratorINS8_7pointerIfNS8_11hip_rocprim5par_tENS8_11use_defaultESE_EEEENSA_INSB_IlSD_SE_SE_EEEEZNS1_13binary_searchIS3_S5_PfSG_SI_NS1_21lower_bound_search_opENS9_16wrapped_functionINS8_6system6detail7generic6detail18binary_search_lessEbEEEE10hipError_tPvRmT1_T2_T3_mmT4_T5_P12ihipStream_tbEUlRKfE_EEST_SX_SY_mSZ_S12_bEUlT_E_NS1_11comp_targetILNS1_3genE10ELNS1_11target_archE1200ELNS1_3gpuE4ELNS1_3repE0EEENS1_30default_config_static_selectorELNS0_4arch9wavefront6targetE1EEEvSW_
		.amdhsa_group_segment_fixed_size 0
		.amdhsa_private_segment_fixed_size 0
		.amdhsa_kernarg_size 56
		.amdhsa_user_sgpr_count 6
		.amdhsa_user_sgpr_private_segment_buffer 1
		.amdhsa_user_sgpr_dispatch_ptr 0
		.amdhsa_user_sgpr_queue_ptr 0
		.amdhsa_user_sgpr_kernarg_segment_ptr 1
		.amdhsa_user_sgpr_dispatch_id 0
		.amdhsa_user_sgpr_flat_scratch_init 0
		.amdhsa_user_sgpr_private_segment_size 0
		.amdhsa_uses_dynamic_stack 0
		.amdhsa_system_sgpr_private_segment_wavefront_offset 0
		.amdhsa_system_sgpr_workgroup_id_x 1
		.amdhsa_system_sgpr_workgroup_id_y 0
		.amdhsa_system_sgpr_workgroup_id_z 0
		.amdhsa_system_sgpr_workgroup_info 0
		.amdhsa_system_vgpr_workitem_id 0
		.amdhsa_next_free_vgpr 1
		.amdhsa_next_free_sgpr 0
		.amdhsa_reserve_vcc 0
		.amdhsa_reserve_flat_scratch 0
		.amdhsa_float_round_mode_32 0
		.amdhsa_float_round_mode_16_64 0
		.amdhsa_float_denorm_mode_32 3
		.amdhsa_float_denorm_mode_16_64 3
		.amdhsa_dx10_clamp 1
		.amdhsa_ieee_mode 1
		.amdhsa_fp16_overflow 0
		.amdhsa_exception_fp_ieee_invalid_op 0
		.amdhsa_exception_fp_denorm_src 0
		.amdhsa_exception_fp_ieee_div_zero 0
		.amdhsa_exception_fp_ieee_overflow 0
		.amdhsa_exception_fp_ieee_underflow 0
		.amdhsa_exception_fp_ieee_inexact 0
		.amdhsa_exception_int_div_zero 0
	.end_amdhsa_kernel
	.section	.text._ZN7rocprim17ROCPRIM_400000_NS6detail17trampoline_kernelINS0_14default_configENS1_27lower_bound_config_selectorIflEEZNS1_14transform_implILb0ES3_S5_N6thrust23THRUST_200600_302600_NS6detail15normal_iteratorINS8_7pointerIfNS8_11hip_rocprim5par_tENS8_11use_defaultESE_EEEENSA_INSB_IlSD_SE_SE_EEEEZNS1_13binary_searchIS3_S5_PfSG_SI_NS1_21lower_bound_search_opENS9_16wrapped_functionINS8_6system6detail7generic6detail18binary_search_lessEbEEEE10hipError_tPvRmT1_T2_T3_mmT4_T5_P12ihipStream_tbEUlRKfE_EEST_SX_SY_mSZ_S12_bEUlT_E_NS1_11comp_targetILNS1_3genE10ELNS1_11target_archE1200ELNS1_3gpuE4ELNS1_3repE0EEENS1_30default_config_static_selectorELNS0_4arch9wavefront6targetE1EEEvSW_,"axG",@progbits,_ZN7rocprim17ROCPRIM_400000_NS6detail17trampoline_kernelINS0_14default_configENS1_27lower_bound_config_selectorIflEEZNS1_14transform_implILb0ES3_S5_N6thrust23THRUST_200600_302600_NS6detail15normal_iteratorINS8_7pointerIfNS8_11hip_rocprim5par_tENS8_11use_defaultESE_EEEENSA_INSB_IlSD_SE_SE_EEEEZNS1_13binary_searchIS3_S5_PfSG_SI_NS1_21lower_bound_search_opENS9_16wrapped_functionINS8_6system6detail7generic6detail18binary_search_lessEbEEEE10hipError_tPvRmT1_T2_T3_mmT4_T5_P12ihipStream_tbEUlRKfE_EEST_SX_SY_mSZ_S12_bEUlT_E_NS1_11comp_targetILNS1_3genE10ELNS1_11target_archE1200ELNS1_3gpuE4ELNS1_3repE0EEENS1_30default_config_static_selectorELNS0_4arch9wavefront6targetE1EEEvSW_,comdat
.Lfunc_end39:
	.size	_ZN7rocprim17ROCPRIM_400000_NS6detail17trampoline_kernelINS0_14default_configENS1_27lower_bound_config_selectorIflEEZNS1_14transform_implILb0ES3_S5_N6thrust23THRUST_200600_302600_NS6detail15normal_iteratorINS8_7pointerIfNS8_11hip_rocprim5par_tENS8_11use_defaultESE_EEEENSA_INSB_IlSD_SE_SE_EEEEZNS1_13binary_searchIS3_S5_PfSG_SI_NS1_21lower_bound_search_opENS9_16wrapped_functionINS8_6system6detail7generic6detail18binary_search_lessEbEEEE10hipError_tPvRmT1_T2_T3_mmT4_T5_P12ihipStream_tbEUlRKfE_EEST_SX_SY_mSZ_S12_bEUlT_E_NS1_11comp_targetILNS1_3genE10ELNS1_11target_archE1200ELNS1_3gpuE4ELNS1_3repE0EEENS1_30default_config_static_selectorELNS0_4arch9wavefront6targetE1EEEvSW_, .Lfunc_end39-_ZN7rocprim17ROCPRIM_400000_NS6detail17trampoline_kernelINS0_14default_configENS1_27lower_bound_config_selectorIflEEZNS1_14transform_implILb0ES3_S5_N6thrust23THRUST_200600_302600_NS6detail15normal_iteratorINS8_7pointerIfNS8_11hip_rocprim5par_tENS8_11use_defaultESE_EEEENSA_INSB_IlSD_SE_SE_EEEEZNS1_13binary_searchIS3_S5_PfSG_SI_NS1_21lower_bound_search_opENS9_16wrapped_functionINS8_6system6detail7generic6detail18binary_search_lessEbEEEE10hipError_tPvRmT1_T2_T3_mmT4_T5_P12ihipStream_tbEUlRKfE_EEST_SX_SY_mSZ_S12_bEUlT_E_NS1_11comp_targetILNS1_3genE10ELNS1_11target_archE1200ELNS1_3gpuE4ELNS1_3repE0EEENS1_30default_config_static_selectorELNS0_4arch9wavefront6targetE1EEEvSW_
                                        ; -- End function
	.set _ZN7rocprim17ROCPRIM_400000_NS6detail17trampoline_kernelINS0_14default_configENS1_27lower_bound_config_selectorIflEEZNS1_14transform_implILb0ES3_S5_N6thrust23THRUST_200600_302600_NS6detail15normal_iteratorINS8_7pointerIfNS8_11hip_rocprim5par_tENS8_11use_defaultESE_EEEENSA_INSB_IlSD_SE_SE_EEEEZNS1_13binary_searchIS3_S5_PfSG_SI_NS1_21lower_bound_search_opENS9_16wrapped_functionINS8_6system6detail7generic6detail18binary_search_lessEbEEEE10hipError_tPvRmT1_T2_T3_mmT4_T5_P12ihipStream_tbEUlRKfE_EEST_SX_SY_mSZ_S12_bEUlT_E_NS1_11comp_targetILNS1_3genE10ELNS1_11target_archE1200ELNS1_3gpuE4ELNS1_3repE0EEENS1_30default_config_static_selectorELNS0_4arch9wavefront6targetE1EEEvSW_.num_vgpr, 0
	.set _ZN7rocprim17ROCPRIM_400000_NS6detail17trampoline_kernelINS0_14default_configENS1_27lower_bound_config_selectorIflEEZNS1_14transform_implILb0ES3_S5_N6thrust23THRUST_200600_302600_NS6detail15normal_iteratorINS8_7pointerIfNS8_11hip_rocprim5par_tENS8_11use_defaultESE_EEEENSA_INSB_IlSD_SE_SE_EEEEZNS1_13binary_searchIS3_S5_PfSG_SI_NS1_21lower_bound_search_opENS9_16wrapped_functionINS8_6system6detail7generic6detail18binary_search_lessEbEEEE10hipError_tPvRmT1_T2_T3_mmT4_T5_P12ihipStream_tbEUlRKfE_EEST_SX_SY_mSZ_S12_bEUlT_E_NS1_11comp_targetILNS1_3genE10ELNS1_11target_archE1200ELNS1_3gpuE4ELNS1_3repE0EEENS1_30default_config_static_selectorELNS0_4arch9wavefront6targetE1EEEvSW_.num_agpr, 0
	.set _ZN7rocprim17ROCPRIM_400000_NS6detail17trampoline_kernelINS0_14default_configENS1_27lower_bound_config_selectorIflEEZNS1_14transform_implILb0ES3_S5_N6thrust23THRUST_200600_302600_NS6detail15normal_iteratorINS8_7pointerIfNS8_11hip_rocprim5par_tENS8_11use_defaultESE_EEEENSA_INSB_IlSD_SE_SE_EEEEZNS1_13binary_searchIS3_S5_PfSG_SI_NS1_21lower_bound_search_opENS9_16wrapped_functionINS8_6system6detail7generic6detail18binary_search_lessEbEEEE10hipError_tPvRmT1_T2_T3_mmT4_T5_P12ihipStream_tbEUlRKfE_EEST_SX_SY_mSZ_S12_bEUlT_E_NS1_11comp_targetILNS1_3genE10ELNS1_11target_archE1200ELNS1_3gpuE4ELNS1_3repE0EEENS1_30default_config_static_selectorELNS0_4arch9wavefront6targetE1EEEvSW_.numbered_sgpr, 0
	.set _ZN7rocprim17ROCPRIM_400000_NS6detail17trampoline_kernelINS0_14default_configENS1_27lower_bound_config_selectorIflEEZNS1_14transform_implILb0ES3_S5_N6thrust23THRUST_200600_302600_NS6detail15normal_iteratorINS8_7pointerIfNS8_11hip_rocprim5par_tENS8_11use_defaultESE_EEEENSA_INSB_IlSD_SE_SE_EEEEZNS1_13binary_searchIS3_S5_PfSG_SI_NS1_21lower_bound_search_opENS9_16wrapped_functionINS8_6system6detail7generic6detail18binary_search_lessEbEEEE10hipError_tPvRmT1_T2_T3_mmT4_T5_P12ihipStream_tbEUlRKfE_EEST_SX_SY_mSZ_S12_bEUlT_E_NS1_11comp_targetILNS1_3genE10ELNS1_11target_archE1200ELNS1_3gpuE4ELNS1_3repE0EEENS1_30default_config_static_selectorELNS0_4arch9wavefront6targetE1EEEvSW_.num_named_barrier, 0
	.set _ZN7rocprim17ROCPRIM_400000_NS6detail17trampoline_kernelINS0_14default_configENS1_27lower_bound_config_selectorIflEEZNS1_14transform_implILb0ES3_S5_N6thrust23THRUST_200600_302600_NS6detail15normal_iteratorINS8_7pointerIfNS8_11hip_rocprim5par_tENS8_11use_defaultESE_EEEENSA_INSB_IlSD_SE_SE_EEEEZNS1_13binary_searchIS3_S5_PfSG_SI_NS1_21lower_bound_search_opENS9_16wrapped_functionINS8_6system6detail7generic6detail18binary_search_lessEbEEEE10hipError_tPvRmT1_T2_T3_mmT4_T5_P12ihipStream_tbEUlRKfE_EEST_SX_SY_mSZ_S12_bEUlT_E_NS1_11comp_targetILNS1_3genE10ELNS1_11target_archE1200ELNS1_3gpuE4ELNS1_3repE0EEENS1_30default_config_static_selectorELNS0_4arch9wavefront6targetE1EEEvSW_.private_seg_size, 0
	.set _ZN7rocprim17ROCPRIM_400000_NS6detail17trampoline_kernelINS0_14default_configENS1_27lower_bound_config_selectorIflEEZNS1_14transform_implILb0ES3_S5_N6thrust23THRUST_200600_302600_NS6detail15normal_iteratorINS8_7pointerIfNS8_11hip_rocprim5par_tENS8_11use_defaultESE_EEEENSA_INSB_IlSD_SE_SE_EEEEZNS1_13binary_searchIS3_S5_PfSG_SI_NS1_21lower_bound_search_opENS9_16wrapped_functionINS8_6system6detail7generic6detail18binary_search_lessEbEEEE10hipError_tPvRmT1_T2_T3_mmT4_T5_P12ihipStream_tbEUlRKfE_EEST_SX_SY_mSZ_S12_bEUlT_E_NS1_11comp_targetILNS1_3genE10ELNS1_11target_archE1200ELNS1_3gpuE4ELNS1_3repE0EEENS1_30default_config_static_selectorELNS0_4arch9wavefront6targetE1EEEvSW_.uses_vcc, 0
	.set _ZN7rocprim17ROCPRIM_400000_NS6detail17trampoline_kernelINS0_14default_configENS1_27lower_bound_config_selectorIflEEZNS1_14transform_implILb0ES3_S5_N6thrust23THRUST_200600_302600_NS6detail15normal_iteratorINS8_7pointerIfNS8_11hip_rocprim5par_tENS8_11use_defaultESE_EEEENSA_INSB_IlSD_SE_SE_EEEEZNS1_13binary_searchIS3_S5_PfSG_SI_NS1_21lower_bound_search_opENS9_16wrapped_functionINS8_6system6detail7generic6detail18binary_search_lessEbEEEE10hipError_tPvRmT1_T2_T3_mmT4_T5_P12ihipStream_tbEUlRKfE_EEST_SX_SY_mSZ_S12_bEUlT_E_NS1_11comp_targetILNS1_3genE10ELNS1_11target_archE1200ELNS1_3gpuE4ELNS1_3repE0EEENS1_30default_config_static_selectorELNS0_4arch9wavefront6targetE1EEEvSW_.uses_flat_scratch, 0
	.set _ZN7rocprim17ROCPRIM_400000_NS6detail17trampoline_kernelINS0_14default_configENS1_27lower_bound_config_selectorIflEEZNS1_14transform_implILb0ES3_S5_N6thrust23THRUST_200600_302600_NS6detail15normal_iteratorINS8_7pointerIfNS8_11hip_rocprim5par_tENS8_11use_defaultESE_EEEENSA_INSB_IlSD_SE_SE_EEEEZNS1_13binary_searchIS3_S5_PfSG_SI_NS1_21lower_bound_search_opENS9_16wrapped_functionINS8_6system6detail7generic6detail18binary_search_lessEbEEEE10hipError_tPvRmT1_T2_T3_mmT4_T5_P12ihipStream_tbEUlRKfE_EEST_SX_SY_mSZ_S12_bEUlT_E_NS1_11comp_targetILNS1_3genE10ELNS1_11target_archE1200ELNS1_3gpuE4ELNS1_3repE0EEENS1_30default_config_static_selectorELNS0_4arch9wavefront6targetE1EEEvSW_.has_dyn_sized_stack, 0
	.set _ZN7rocprim17ROCPRIM_400000_NS6detail17trampoline_kernelINS0_14default_configENS1_27lower_bound_config_selectorIflEEZNS1_14transform_implILb0ES3_S5_N6thrust23THRUST_200600_302600_NS6detail15normal_iteratorINS8_7pointerIfNS8_11hip_rocprim5par_tENS8_11use_defaultESE_EEEENSA_INSB_IlSD_SE_SE_EEEEZNS1_13binary_searchIS3_S5_PfSG_SI_NS1_21lower_bound_search_opENS9_16wrapped_functionINS8_6system6detail7generic6detail18binary_search_lessEbEEEE10hipError_tPvRmT1_T2_T3_mmT4_T5_P12ihipStream_tbEUlRKfE_EEST_SX_SY_mSZ_S12_bEUlT_E_NS1_11comp_targetILNS1_3genE10ELNS1_11target_archE1200ELNS1_3gpuE4ELNS1_3repE0EEENS1_30default_config_static_selectorELNS0_4arch9wavefront6targetE1EEEvSW_.has_recursion, 0
	.set _ZN7rocprim17ROCPRIM_400000_NS6detail17trampoline_kernelINS0_14default_configENS1_27lower_bound_config_selectorIflEEZNS1_14transform_implILb0ES3_S5_N6thrust23THRUST_200600_302600_NS6detail15normal_iteratorINS8_7pointerIfNS8_11hip_rocprim5par_tENS8_11use_defaultESE_EEEENSA_INSB_IlSD_SE_SE_EEEEZNS1_13binary_searchIS3_S5_PfSG_SI_NS1_21lower_bound_search_opENS9_16wrapped_functionINS8_6system6detail7generic6detail18binary_search_lessEbEEEE10hipError_tPvRmT1_T2_T3_mmT4_T5_P12ihipStream_tbEUlRKfE_EEST_SX_SY_mSZ_S12_bEUlT_E_NS1_11comp_targetILNS1_3genE10ELNS1_11target_archE1200ELNS1_3gpuE4ELNS1_3repE0EEENS1_30default_config_static_selectorELNS0_4arch9wavefront6targetE1EEEvSW_.has_indirect_call, 0
	.section	.AMDGPU.csdata,"",@progbits
; Kernel info:
; codeLenInByte = 0
; TotalNumSgprs: 4
; NumVgprs: 0
; ScratchSize: 0
; MemoryBound: 0
; FloatMode: 240
; IeeeMode: 1
; LDSByteSize: 0 bytes/workgroup (compile time only)
; SGPRBlocks: 0
; VGPRBlocks: 0
; NumSGPRsForWavesPerEU: 4
; NumVGPRsForWavesPerEU: 1
; Occupancy: 10
; WaveLimiterHint : 0
; COMPUTE_PGM_RSRC2:SCRATCH_EN: 0
; COMPUTE_PGM_RSRC2:USER_SGPR: 6
; COMPUTE_PGM_RSRC2:TRAP_HANDLER: 0
; COMPUTE_PGM_RSRC2:TGID_X_EN: 1
; COMPUTE_PGM_RSRC2:TGID_Y_EN: 0
; COMPUTE_PGM_RSRC2:TGID_Z_EN: 0
; COMPUTE_PGM_RSRC2:TIDIG_COMP_CNT: 0
	.section	.text._ZN7rocprim17ROCPRIM_400000_NS6detail17trampoline_kernelINS0_14default_configENS1_27lower_bound_config_selectorIflEEZNS1_14transform_implILb0ES3_S5_N6thrust23THRUST_200600_302600_NS6detail15normal_iteratorINS8_7pointerIfNS8_11hip_rocprim5par_tENS8_11use_defaultESE_EEEENSA_INSB_IlSD_SE_SE_EEEEZNS1_13binary_searchIS3_S5_PfSG_SI_NS1_21lower_bound_search_opENS9_16wrapped_functionINS8_6system6detail7generic6detail18binary_search_lessEbEEEE10hipError_tPvRmT1_T2_T3_mmT4_T5_P12ihipStream_tbEUlRKfE_EEST_SX_SY_mSZ_S12_bEUlT_E_NS1_11comp_targetILNS1_3genE9ELNS1_11target_archE1100ELNS1_3gpuE3ELNS1_3repE0EEENS1_30default_config_static_selectorELNS0_4arch9wavefront6targetE1EEEvSW_,"axG",@progbits,_ZN7rocprim17ROCPRIM_400000_NS6detail17trampoline_kernelINS0_14default_configENS1_27lower_bound_config_selectorIflEEZNS1_14transform_implILb0ES3_S5_N6thrust23THRUST_200600_302600_NS6detail15normal_iteratorINS8_7pointerIfNS8_11hip_rocprim5par_tENS8_11use_defaultESE_EEEENSA_INSB_IlSD_SE_SE_EEEEZNS1_13binary_searchIS3_S5_PfSG_SI_NS1_21lower_bound_search_opENS9_16wrapped_functionINS8_6system6detail7generic6detail18binary_search_lessEbEEEE10hipError_tPvRmT1_T2_T3_mmT4_T5_P12ihipStream_tbEUlRKfE_EEST_SX_SY_mSZ_S12_bEUlT_E_NS1_11comp_targetILNS1_3genE9ELNS1_11target_archE1100ELNS1_3gpuE3ELNS1_3repE0EEENS1_30default_config_static_selectorELNS0_4arch9wavefront6targetE1EEEvSW_,comdat
	.protected	_ZN7rocprim17ROCPRIM_400000_NS6detail17trampoline_kernelINS0_14default_configENS1_27lower_bound_config_selectorIflEEZNS1_14transform_implILb0ES3_S5_N6thrust23THRUST_200600_302600_NS6detail15normal_iteratorINS8_7pointerIfNS8_11hip_rocprim5par_tENS8_11use_defaultESE_EEEENSA_INSB_IlSD_SE_SE_EEEEZNS1_13binary_searchIS3_S5_PfSG_SI_NS1_21lower_bound_search_opENS9_16wrapped_functionINS8_6system6detail7generic6detail18binary_search_lessEbEEEE10hipError_tPvRmT1_T2_T3_mmT4_T5_P12ihipStream_tbEUlRKfE_EEST_SX_SY_mSZ_S12_bEUlT_E_NS1_11comp_targetILNS1_3genE9ELNS1_11target_archE1100ELNS1_3gpuE3ELNS1_3repE0EEENS1_30default_config_static_selectorELNS0_4arch9wavefront6targetE1EEEvSW_ ; -- Begin function _ZN7rocprim17ROCPRIM_400000_NS6detail17trampoline_kernelINS0_14default_configENS1_27lower_bound_config_selectorIflEEZNS1_14transform_implILb0ES3_S5_N6thrust23THRUST_200600_302600_NS6detail15normal_iteratorINS8_7pointerIfNS8_11hip_rocprim5par_tENS8_11use_defaultESE_EEEENSA_INSB_IlSD_SE_SE_EEEEZNS1_13binary_searchIS3_S5_PfSG_SI_NS1_21lower_bound_search_opENS9_16wrapped_functionINS8_6system6detail7generic6detail18binary_search_lessEbEEEE10hipError_tPvRmT1_T2_T3_mmT4_T5_P12ihipStream_tbEUlRKfE_EEST_SX_SY_mSZ_S12_bEUlT_E_NS1_11comp_targetILNS1_3genE9ELNS1_11target_archE1100ELNS1_3gpuE3ELNS1_3repE0EEENS1_30default_config_static_selectorELNS0_4arch9wavefront6targetE1EEEvSW_
	.globl	_ZN7rocprim17ROCPRIM_400000_NS6detail17trampoline_kernelINS0_14default_configENS1_27lower_bound_config_selectorIflEEZNS1_14transform_implILb0ES3_S5_N6thrust23THRUST_200600_302600_NS6detail15normal_iteratorINS8_7pointerIfNS8_11hip_rocprim5par_tENS8_11use_defaultESE_EEEENSA_INSB_IlSD_SE_SE_EEEEZNS1_13binary_searchIS3_S5_PfSG_SI_NS1_21lower_bound_search_opENS9_16wrapped_functionINS8_6system6detail7generic6detail18binary_search_lessEbEEEE10hipError_tPvRmT1_T2_T3_mmT4_T5_P12ihipStream_tbEUlRKfE_EEST_SX_SY_mSZ_S12_bEUlT_E_NS1_11comp_targetILNS1_3genE9ELNS1_11target_archE1100ELNS1_3gpuE3ELNS1_3repE0EEENS1_30default_config_static_selectorELNS0_4arch9wavefront6targetE1EEEvSW_
	.p2align	8
	.type	_ZN7rocprim17ROCPRIM_400000_NS6detail17trampoline_kernelINS0_14default_configENS1_27lower_bound_config_selectorIflEEZNS1_14transform_implILb0ES3_S5_N6thrust23THRUST_200600_302600_NS6detail15normal_iteratorINS8_7pointerIfNS8_11hip_rocprim5par_tENS8_11use_defaultESE_EEEENSA_INSB_IlSD_SE_SE_EEEEZNS1_13binary_searchIS3_S5_PfSG_SI_NS1_21lower_bound_search_opENS9_16wrapped_functionINS8_6system6detail7generic6detail18binary_search_lessEbEEEE10hipError_tPvRmT1_T2_T3_mmT4_T5_P12ihipStream_tbEUlRKfE_EEST_SX_SY_mSZ_S12_bEUlT_E_NS1_11comp_targetILNS1_3genE9ELNS1_11target_archE1100ELNS1_3gpuE3ELNS1_3repE0EEENS1_30default_config_static_selectorELNS0_4arch9wavefront6targetE1EEEvSW_,@function
_ZN7rocprim17ROCPRIM_400000_NS6detail17trampoline_kernelINS0_14default_configENS1_27lower_bound_config_selectorIflEEZNS1_14transform_implILb0ES3_S5_N6thrust23THRUST_200600_302600_NS6detail15normal_iteratorINS8_7pointerIfNS8_11hip_rocprim5par_tENS8_11use_defaultESE_EEEENSA_INSB_IlSD_SE_SE_EEEEZNS1_13binary_searchIS3_S5_PfSG_SI_NS1_21lower_bound_search_opENS9_16wrapped_functionINS8_6system6detail7generic6detail18binary_search_lessEbEEEE10hipError_tPvRmT1_T2_T3_mmT4_T5_P12ihipStream_tbEUlRKfE_EEST_SX_SY_mSZ_S12_bEUlT_E_NS1_11comp_targetILNS1_3genE9ELNS1_11target_archE1100ELNS1_3gpuE3ELNS1_3repE0EEENS1_30default_config_static_selectorELNS0_4arch9wavefront6targetE1EEEvSW_: ; @_ZN7rocprim17ROCPRIM_400000_NS6detail17trampoline_kernelINS0_14default_configENS1_27lower_bound_config_selectorIflEEZNS1_14transform_implILb0ES3_S5_N6thrust23THRUST_200600_302600_NS6detail15normal_iteratorINS8_7pointerIfNS8_11hip_rocprim5par_tENS8_11use_defaultESE_EEEENSA_INSB_IlSD_SE_SE_EEEEZNS1_13binary_searchIS3_S5_PfSG_SI_NS1_21lower_bound_search_opENS9_16wrapped_functionINS8_6system6detail7generic6detail18binary_search_lessEbEEEE10hipError_tPvRmT1_T2_T3_mmT4_T5_P12ihipStream_tbEUlRKfE_EEST_SX_SY_mSZ_S12_bEUlT_E_NS1_11comp_targetILNS1_3genE9ELNS1_11target_archE1100ELNS1_3gpuE3ELNS1_3repE0EEENS1_30default_config_static_selectorELNS0_4arch9wavefront6targetE1EEEvSW_
; %bb.0:
	.section	.rodata,"a",@progbits
	.p2align	6, 0x0
	.amdhsa_kernel _ZN7rocprim17ROCPRIM_400000_NS6detail17trampoline_kernelINS0_14default_configENS1_27lower_bound_config_selectorIflEEZNS1_14transform_implILb0ES3_S5_N6thrust23THRUST_200600_302600_NS6detail15normal_iteratorINS8_7pointerIfNS8_11hip_rocprim5par_tENS8_11use_defaultESE_EEEENSA_INSB_IlSD_SE_SE_EEEEZNS1_13binary_searchIS3_S5_PfSG_SI_NS1_21lower_bound_search_opENS9_16wrapped_functionINS8_6system6detail7generic6detail18binary_search_lessEbEEEE10hipError_tPvRmT1_T2_T3_mmT4_T5_P12ihipStream_tbEUlRKfE_EEST_SX_SY_mSZ_S12_bEUlT_E_NS1_11comp_targetILNS1_3genE9ELNS1_11target_archE1100ELNS1_3gpuE3ELNS1_3repE0EEENS1_30default_config_static_selectorELNS0_4arch9wavefront6targetE1EEEvSW_
		.amdhsa_group_segment_fixed_size 0
		.amdhsa_private_segment_fixed_size 0
		.amdhsa_kernarg_size 56
		.amdhsa_user_sgpr_count 6
		.amdhsa_user_sgpr_private_segment_buffer 1
		.amdhsa_user_sgpr_dispatch_ptr 0
		.amdhsa_user_sgpr_queue_ptr 0
		.amdhsa_user_sgpr_kernarg_segment_ptr 1
		.amdhsa_user_sgpr_dispatch_id 0
		.amdhsa_user_sgpr_flat_scratch_init 0
		.amdhsa_user_sgpr_private_segment_size 0
		.amdhsa_uses_dynamic_stack 0
		.amdhsa_system_sgpr_private_segment_wavefront_offset 0
		.amdhsa_system_sgpr_workgroup_id_x 1
		.amdhsa_system_sgpr_workgroup_id_y 0
		.amdhsa_system_sgpr_workgroup_id_z 0
		.amdhsa_system_sgpr_workgroup_info 0
		.amdhsa_system_vgpr_workitem_id 0
		.amdhsa_next_free_vgpr 1
		.amdhsa_next_free_sgpr 0
		.amdhsa_reserve_vcc 0
		.amdhsa_reserve_flat_scratch 0
		.amdhsa_float_round_mode_32 0
		.amdhsa_float_round_mode_16_64 0
		.amdhsa_float_denorm_mode_32 3
		.amdhsa_float_denorm_mode_16_64 3
		.amdhsa_dx10_clamp 1
		.amdhsa_ieee_mode 1
		.amdhsa_fp16_overflow 0
		.amdhsa_exception_fp_ieee_invalid_op 0
		.amdhsa_exception_fp_denorm_src 0
		.amdhsa_exception_fp_ieee_div_zero 0
		.amdhsa_exception_fp_ieee_overflow 0
		.amdhsa_exception_fp_ieee_underflow 0
		.amdhsa_exception_fp_ieee_inexact 0
		.amdhsa_exception_int_div_zero 0
	.end_amdhsa_kernel
	.section	.text._ZN7rocprim17ROCPRIM_400000_NS6detail17trampoline_kernelINS0_14default_configENS1_27lower_bound_config_selectorIflEEZNS1_14transform_implILb0ES3_S5_N6thrust23THRUST_200600_302600_NS6detail15normal_iteratorINS8_7pointerIfNS8_11hip_rocprim5par_tENS8_11use_defaultESE_EEEENSA_INSB_IlSD_SE_SE_EEEEZNS1_13binary_searchIS3_S5_PfSG_SI_NS1_21lower_bound_search_opENS9_16wrapped_functionINS8_6system6detail7generic6detail18binary_search_lessEbEEEE10hipError_tPvRmT1_T2_T3_mmT4_T5_P12ihipStream_tbEUlRKfE_EEST_SX_SY_mSZ_S12_bEUlT_E_NS1_11comp_targetILNS1_3genE9ELNS1_11target_archE1100ELNS1_3gpuE3ELNS1_3repE0EEENS1_30default_config_static_selectorELNS0_4arch9wavefront6targetE1EEEvSW_,"axG",@progbits,_ZN7rocprim17ROCPRIM_400000_NS6detail17trampoline_kernelINS0_14default_configENS1_27lower_bound_config_selectorIflEEZNS1_14transform_implILb0ES3_S5_N6thrust23THRUST_200600_302600_NS6detail15normal_iteratorINS8_7pointerIfNS8_11hip_rocprim5par_tENS8_11use_defaultESE_EEEENSA_INSB_IlSD_SE_SE_EEEEZNS1_13binary_searchIS3_S5_PfSG_SI_NS1_21lower_bound_search_opENS9_16wrapped_functionINS8_6system6detail7generic6detail18binary_search_lessEbEEEE10hipError_tPvRmT1_T2_T3_mmT4_T5_P12ihipStream_tbEUlRKfE_EEST_SX_SY_mSZ_S12_bEUlT_E_NS1_11comp_targetILNS1_3genE9ELNS1_11target_archE1100ELNS1_3gpuE3ELNS1_3repE0EEENS1_30default_config_static_selectorELNS0_4arch9wavefront6targetE1EEEvSW_,comdat
.Lfunc_end40:
	.size	_ZN7rocprim17ROCPRIM_400000_NS6detail17trampoline_kernelINS0_14default_configENS1_27lower_bound_config_selectorIflEEZNS1_14transform_implILb0ES3_S5_N6thrust23THRUST_200600_302600_NS6detail15normal_iteratorINS8_7pointerIfNS8_11hip_rocprim5par_tENS8_11use_defaultESE_EEEENSA_INSB_IlSD_SE_SE_EEEEZNS1_13binary_searchIS3_S5_PfSG_SI_NS1_21lower_bound_search_opENS9_16wrapped_functionINS8_6system6detail7generic6detail18binary_search_lessEbEEEE10hipError_tPvRmT1_T2_T3_mmT4_T5_P12ihipStream_tbEUlRKfE_EEST_SX_SY_mSZ_S12_bEUlT_E_NS1_11comp_targetILNS1_3genE9ELNS1_11target_archE1100ELNS1_3gpuE3ELNS1_3repE0EEENS1_30default_config_static_selectorELNS0_4arch9wavefront6targetE1EEEvSW_, .Lfunc_end40-_ZN7rocprim17ROCPRIM_400000_NS6detail17trampoline_kernelINS0_14default_configENS1_27lower_bound_config_selectorIflEEZNS1_14transform_implILb0ES3_S5_N6thrust23THRUST_200600_302600_NS6detail15normal_iteratorINS8_7pointerIfNS8_11hip_rocprim5par_tENS8_11use_defaultESE_EEEENSA_INSB_IlSD_SE_SE_EEEEZNS1_13binary_searchIS3_S5_PfSG_SI_NS1_21lower_bound_search_opENS9_16wrapped_functionINS8_6system6detail7generic6detail18binary_search_lessEbEEEE10hipError_tPvRmT1_T2_T3_mmT4_T5_P12ihipStream_tbEUlRKfE_EEST_SX_SY_mSZ_S12_bEUlT_E_NS1_11comp_targetILNS1_3genE9ELNS1_11target_archE1100ELNS1_3gpuE3ELNS1_3repE0EEENS1_30default_config_static_selectorELNS0_4arch9wavefront6targetE1EEEvSW_
                                        ; -- End function
	.set _ZN7rocprim17ROCPRIM_400000_NS6detail17trampoline_kernelINS0_14default_configENS1_27lower_bound_config_selectorIflEEZNS1_14transform_implILb0ES3_S5_N6thrust23THRUST_200600_302600_NS6detail15normal_iteratorINS8_7pointerIfNS8_11hip_rocprim5par_tENS8_11use_defaultESE_EEEENSA_INSB_IlSD_SE_SE_EEEEZNS1_13binary_searchIS3_S5_PfSG_SI_NS1_21lower_bound_search_opENS9_16wrapped_functionINS8_6system6detail7generic6detail18binary_search_lessEbEEEE10hipError_tPvRmT1_T2_T3_mmT4_T5_P12ihipStream_tbEUlRKfE_EEST_SX_SY_mSZ_S12_bEUlT_E_NS1_11comp_targetILNS1_3genE9ELNS1_11target_archE1100ELNS1_3gpuE3ELNS1_3repE0EEENS1_30default_config_static_selectorELNS0_4arch9wavefront6targetE1EEEvSW_.num_vgpr, 0
	.set _ZN7rocprim17ROCPRIM_400000_NS6detail17trampoline_kernelINS0_14default_configENS1_27lower_bound_config_selectorIflEEZNS1_14transform_implILb0ES3_S5_N6thrust23THRUST_200600_302600_NS6detail15normal_iteratorINS8_7pointerIfNS8_11hip_rocprim5par_tENS8_11use_defaultESE_EEEENSA_INSB_IlSD_SE_SE_EEEEZNS1_13binary_searchIS3_S5_PfSG_SI_NS1_21lower_bound_search_opENS9_16wrapped_functionINS8_6system6detail7generic6detail18binary_search_lessEbEEEE10hipError_tPvRmT1_T2_T3_mmT4_T5_P12ihipStream_tbEUlRKfE_EEST_SX_SY_mSZ_S12_bEUlT_E_NS1_11comp_targetILNS1_3genE9ELNS1_11target_archE1100ELNS1_3gpuE3ELNS1_3repE0EEENS1_30default_config_static_selectorELNS0_4arch9wavefront6targetE1EEEvSW_.num_agpr, 0
	.set _ZN7rocprim17ROCPRIM_400000_NS6detail17trampoline_kernelINS0_14default_configENS1_27lower_bound_config_selectorIflEEZNS1_14transform_implILb0ES3_S5_N6thrust23THRUST_200600_302600_NS6detail15normal_iteratorINS8_7pointerIfNS8_11hip_rocprim5par_tENS8_11use_defaultESE_EEEENSA_INSB_IlSD_SE_SE_EEEEZNS1_13binary_searchIS3_S5_PfSG_SI_NS1_21lower_bound_search_opENS9_16wrapped_functionINS8_6system6detail7generic6detail18binary_search_lessEbEEEE10hipError_tPvRmT1_T2_T3_mmT4_T5_P12ihipStream_tbEUlRKfE_EEST_SX_SY_mSZ_S12_bEUlT_E_NS1_11comp_targetILNS1_3genE9ELNS1_11target_archE1100ELNS1_3gpuE3ELNS1_3repE0EEENS1_30default_config_static_selectorELNS0_4arch9wavefront6targetE1EEEvSW_.numbered_sgpr, 0
	.set _ZN7rocprim17ROCPRIM_400000_NS6detail17trampoline_kernelINS0_14default_configENS1_27lower_bound_config_selectorIflEEZNS1_14transform_implILb0ES3_S5_N6thrust23THRUST_200600_302600_NS6detail15normal_iteratorINS8_7pointerIfNS8_11hip_rocprim5par_tENS8_11use_defaultESE_EEEENSA_INSB_IlSD_SE_SE_EEEEZNS1_13binary_searchIS3_S5_PfSG_SI_NS1_21lower_bound_search_opENS9_16wrapped_functionINS8_6system6detail7generic6detail18binary_search_lessEbEEEE10hipError_tPvRmT1_T2_T3_mmT4_T5_P12ihipStream_tbEUlRKfE_EEST_SX_SY_mSZ_S12_bEUlT_E_NS1_11comp_targetILNS1_3genE9ELNS1_11target_archE1100ELNS1_3gpuE3ELNS1_3repE0EEENS1_30default_config_static_selectorELNS0_4arch9wavefront6targetE1EEEvSW_.num_named_barrier, 0
	.set _ZN7rocprim17ROCPRIM_400000_NS6detail17trampoline_kernelINS0_14default_configENS1_27lower_bound_config_selectorIflEEZNS1_14transform_implILb0ES3_S5_N6thrust23THRUST_200600_302600_NS6detail15normal_iteratorINS8_7pointerIfNS8_11hip_rocprim5par_tENS8_11use_defaultESE_EEEENSA_INSB_IlSD_SE_SE_EEEEZNS1_13binary_searchIS3_S5_PfSG_SI_NS1_21lower_bound_search_opENS9_16wrapped_functionINS8_6system6detail7generic6detail18binary_search_lessEbEEEE10hipError_tPvRmT1_T2_T3_mmT4_T5_P12ihipStream_tbEUlRKfE_EEST_SX_SY_mSZ_S12_bEUlT_E_NS1_11comp_targetILNS1_3genE9ELNS1_11target_archE1100ELNS1_3gpuE3ELNS1_3repE0EEENS1_30default_config_static_selectorELNS0_4arch9wavefront6targetE1EEEvSW_.private_seg_size, 0
	.set _ZN7rocprim17ROCPRIM_400000_NS6detail17trampoline_kernelINS0_14default_configENS1_27lower_bound_config_selectorIflEEZNS1_14transform_implILb0ES3_S5_N6thrust23THRUST_200600_302600_NS6detail15normal_iteratorINS8_7pointerIfNS8_11hip_rocprim5par_tENS8_11use_defaultESE_EEEENSA_INSB_IlSD_SE_SE_EEEEZNS1_13binary_searchIS3_S5_PfSG_SI_NS1_21lower_bound_search_opENS9_16wrapped_functionINS8_6system6detail7generic6detail18binary_search_lessEbEEEE10hipError_tPvRmT1_T2_T3_mmT4_T5_P12ihipStream_tbEUlRKfE_EEST_SX_SY_mSZ_S12_bEUlT_E_NS1_11comp_targetILNS1_3genE9ELNS1_11target_archE1100ELNS1_3gpuE3ELNS1_3repE0EEENS1_30default_config_static_selectorELNS0_4arch9wavefront6targetE1EEEvSW_.uses_vcc, 0
	.set _ZN7rocprim17ROCPRIM_400000_NS6detail17trampoline_kernelINS0_14default_configENS1_27lower_bound_config_selectorIflEEZNS1_14transform_implILb0ES3_S5_N6thrust23THRUST_200600_302600_NS6detail15normal_iteratorINS8_7pointerIfNS8_11hip_rocprim5par_tENS8_11use_defaultESE_EEEENSA_INSB_IlSD_SE_SE_EEEEZNS1_13binary_searchIS3_S5_PfSG_SI_NS1_21lower_bound_search_opENS9_16wrapped_functionINS8_6system6detail7generic6detail18binary_search_lessEbEEEE10hipError_tPvRmT1_T2_T3_mmT4_T5_P12ihipStream_tbEUlRKfE_EEST_SX_SY_mSZ_S12_bEUlT_E_NS1_11comp_targetILNS1_3genE9ELNS1_11target_archE1100ELNS1_3gpuE3ELNS1_3repE0EEENS1_30default_config_static_selectorELNS0_4arch9wavefront6targetE1EEEvSW_.uses_flat_scratch, 0
	.set _ZN7rocprim17ROCPRIM_400000_NS6detail17trampoline_kernelINS0_14default_configENS1_27lower_bound_config_selectorIflEEZNS1_14transform_implILb0ES3_S5_N6thrust23THRUST_200600_302600_NS6detail15normal_iteratorINS8_7pointerIfNS8_11hip_rocprim5par_tENS8_11use_defaultESE_EEEENSA_INSB_IlSD_SE_SE_EEEEZNS1_13binary_searchIS3_S5_PfSG_SI_NS1_21lower_bound_search_opENS9_16wrapped_functionINS8_6system6detail7generic6detail18binary_search_lessEbEEEE10hipError_tPvRmT1_T2_T3_mmT4_T5_P12ihipStream_tbEUlRKfE_EEST_SX_SY_mSZ_S12_bEUlT_E_NS1_11comp_targetILNS1_3genE9ELNS1_11target_archE1100ELNS1_3gpuE3ELNS1_3repE0EEENS1_30default_config_static_selectorELNS0_4arch9wavefront6targetE1EEEvSW_.has_dyn_sized_stack, 0
	.set _ZN7rocprim17ROCPRIM_400000_NS6detail17trampoline_kernelINS0_14default_configENS1_27lower_bound_config_selectorIflEEZNS1_14transform_implILb0ES3_S5_N6thrust23THRUST_200600_302600_NS6detail15normal_iteratorINS8_7pointerIfNS8_11hip_rocprim5par_tENS8_11use_defaultESE_EEEENSA_INSB_IlSD_SE_SE_EEEEZNS1_13binary_searchIS3_S5_PfSG_SI_NS1_21lower_bound_search_opENS9_16wrapped_functionINS8_6system6detail7generic6detail18binary_search_lessEbEEEE10hipError_tPvRmT1_T2_T3_mmT4_T5_P12ihipStream_tbEUlRKfE_EEST_SX_SY_mSZ_S12_bEUlT_E_NS1_11comp_targetILNS1_3genE9ELNS1_11target_archE1100ELNS1_3gpuE3ELNS1_3repE0EEENS1_30default_config_static_selectorELNS0_4arch9wavefront6targetE1EEEvSW_.has_recursion, 0
	.set _ZN7rocprim17ROCPRIM_400000_NS6detail17trampoline_kernelINS0_14default_configENS1_27lower_bound_config_selectorIflEEZNS1_14transform_implILb0ES3_S5_N6thrust23THRUST_200600_302600_NS6detail15normal_iteratorINS8_7pointerIfNS8_11hip_rocprim5par_tENS8_11use_defaultESE_EEEENSA_INSB_IlSD_SE_SE_EEEEZNS1_13binary_searchIS3_S5_PfSG_SI_NS1_21lower_bound_search_opENS9_16wrapped_functionINS8_6system6detail7generic6detail18binary_search_lessEbEEEE10hipError_tPvRmT1_T2_T3_mmT4_T5_P12ihipStream_tbEUlRKfE_EEST_SX_SY_mSZ_S12_bEUlT_E_NS1_11comp_targetILNS1_3genE9ELNS1_11target_archE1100ELNS1_3gpuE3ELNS1_3repE0EEENS1_30default_config_static_selectorELNS0_4arch9wavefront6targetE1EEEvSW_.has_indirect_call, 0
	.section	.AMDGPU.csdata,"",@progbits
; Kernel info:
; codeLenInByte = 0
; TotalNumSgprs: 4
; NumVgprs: 0
; ScratchSize: 0
; MemoryBound: 0
; FloatMode: 240
; IeeeMode: 1
; LDSByteSize: 0 bytes/workgroup (compile time only)
; SGPRBlocks: 0
; VGPRBlocks: 0
; NumSGPRsForWavesPerEU: 4
; NumVGPRsForWavesPerEU: 1
; Occupancy: 10
; WaveLimiterHint : 0
; COMPUTE_PGM_RSRC2:SCRATCH_EN: 0
; COMPUTE_PGM_RSRC2:USER_SGPR: 6
; COMPUTE_PGM_RSRC2:TRAP_HANDLER: 0
; COMPUTE_PGM_RSRC2:TGID_X_EN: 1
; COMPUTE_PGM_RSRC2:TGID_Y_EN: 0
; COMPUTE_PGM_RSRC2:TGID_Z_EN: 0
; COMPUTE_PGM_RSRC2:TIDIG_COMP_CNT: 0
	.section	.text._ZN7rocprim17ROCPRIM_400000_NS6detail17trampoline_kernelINS0_14default_configENS1_27lower_bound_config_selectorIflEEZNS1_14transform_implILb0ES3_S5_N6thrust23THRUST_200600_302600_NS6detail15normal_iteratorINS8_7pointerIfNS8_11hip_rocprim5par_tENS8_11use_defaultESE_EEEENSA_INSB_IlSD_SE_SE_EEEEZNS1_13binary_searchIS3_S5_PfSG_SI_NS1_21lower_bound_search_opENS9_16wrapped_functionINS8_6system6detail7generic6detail18binary_search_lessEbEEEE10hipError_tPvRmT1_T2_T3_mmT4_T5_P12ihipStream_tbEUlRKfE_EEST_SX_SY_mSZ_S12_bEUlT_E_NS1_11comp_targetILNS1_3genE8ELNS1_11target_archE1030ELNS1_3gpuE2ELNS1_3repE0EEENS1_30default_config_static_selectorELNS0_4arch9wavefront6targetE1EEEvSW_,"axG",@progbits,_ZN7rocprim17ROCPRIM_400000_NS6detail17trampoline_kernelINS0_14default_configENS1_27lower_bound_config_selectorIflEEZNS1_14transform_implILb0ES3_S5_N6thrust23THRUST_200600_302600_NS6detail15normal_iteratorINS8_7pointerIfNS8_11hip_rocprim5par_tENS8_11use_defaultESE_EEEENSA_INSB_IlSD_SE_SE_EEEEZNS1_13binary_searchIS3_S5_PfSG_SI_NS1_21lower_bound_search_opENS9_16wrapped_functionINS8_6system6detail7generic6detail18binary_search_lessEbEEEE10hipError_tPvRmT1_T2_T3_mmT4_T5_P12ihipStream_tbEUlRKfE_EEST_SX_SY_mSZ_S12_bEUlT_E_NS1_11comp_targetILNS1_3genE8ELNS1_11target_archE1030ELNS1_3gpuE2ELNS1_3repE0EEENS1_30default_config_static_selectorELNS0_4arch9wavefront6targetE1EEEvSW_,comdat
	.protected	_ZN7rocprim17ROCPRIM_400000_NS6detail17trampoline_kernelINS0_14default_configENS1_27lower_bound_config_selectorIflEEZNS1_14transform_implILb0ES3_S5_N6thrust23THRUST_200600_302600_NS6detail15normal_iteratorINS8_7pointerIfNS8_11hip_rocprim5par_tENS8_11use_defaultESE_EEEENSA_INSB_IlSD_SE_SE_EEEEZNS1_13binary_searchIS3_S5_PfSG_SI_NS1_21lower_bound_search_opENS9_16wrapped_functionINS8_6system6detail7generic6detail18binary_search_lessEbEEEE10hipError_tPvRmT1_T2_T3_mmT4_T5_P12ihipStream_tbEUlRKfE_EEST_SX_SY_mSZ_S12_bEUlT_E_NS1_11comp_targetILNS1_3genE8ELNS1_11target_archE1030ELNS1_3gpuE2ELNS1_3repE0EEENS1_30default_config_static_selectorELNS0_4arch9wavefront6targetE1EEEvSW_ ; -- Begin function _ZN7rocprim17ROCPRIM_400000_NS6detail17trampoline_kernelINS0_14default_configENS1_27lower_bound_config_selectorIflEEZNS1_14transform_implILb0ES3_S5_N6thrust23THRUST_200600_302600_NS6detail15normal_iteratorINS8_7pointerIfNS8_11hip_rocprim5par_tENS8_11use_defaultESE_EEEENSA_INSB_IlSD_SE_SE_EEEEZNS1_13binary_searchIS3_S5_PfSG_SI_NS1_21lower_bound_search_opENS9_16wrapped_functionINS8_6system6detail7generic6detail18binary_search_lessEbEEEE10hipError_tPvRmT1_T2_T3_mmT4_T5_P12ihipStream_tbEUlRKfE_EEST_SX_SY_mSZ_S12_bEUlT_E_NS1_11comp_targetILNS1_3genE8ELNS1_11target_archE1030ELNS1_3gpuE2ELNS1_3repE0EEENS1_30default_config_static_selectorELNS0_4arch9wavefront6targetE1EEEvSW_
	.globl	_ZN7rocprim17ROCPRIM_400000_NS6detail17trampoline_kernelINS0_14default_configENS1_27lower_bound_config_selectorIflEEZNS1_14transform_implILb0ES3_S5_N6thrust23THRUST_200600_302600_NS6detail15normal_iteratorINS8_7pointerIfNS8_11hip_rocprim5par_tENS8_11use_defaultESE_EEEENSA_INSB_IlSD_SE_SE_EEEEZNS1_13binary_searchIS3_S5_PfSG_SI_NS1_21lower_bound_search_opENS9_16wrapped_functionINS8_6system6detail7generic6detail18binary_search_lessEbEEEE10hipError_tPvRmT1_T2_T3_mmT4_T5_P12ihipStream_tbEUlRKfE_EEST_SX_SY_mSZ_S12_bEUlT_E_NS1_11comp_targetILNS1_3genE8ELNS1_11target_archE1030ELNS1_3gpuE2ELNS1_3repE0EEENS1_30default_config_static_selectorELNS0_4arch9wavefront6targetE1EEEvSW_
	.p2align	8
	.type	_ZN7rocprim17ROCPRIM_400000_NS6detail17trampoline_kernelINS0_14default_configENS1_27lower_bound_config_selectorIflEEZNS1_14transform_implILb0ES3_S5_N6thrust23THRUST_200600_302600_NS6detail15normal_iteratorINS8_7pointerIfNS8_11hip_rocprim5par_tENS8_11use_defaultESE_EEEENSA_INSB_IlSD_SE_SE_EEEEZNS1_13binary_searchIS3_S5_PfSG_SI_NS1_21lower_bound_search_opENS9_16wrapped_functionINS8_6system6detail7generic6detail18binary_search_lessEbEEEE10hipError_tPvRmT1_T2_T3_mmT4_T5_P12ihipStream_tbEUlRKfE_EEST_SX_SY_mSZ_S12_bEUlT_E_NS1_11comp_targetILNS1_3genE8ELNS1_11target_archE1030ELNS1_3gpuE2ELNS1_3repE0EEENS1_30default_config_static_selectorELNS0_4arch9wavefront6targetE1EEEvSW_,@function
_ZN7rocprim17ROCPRIM_400000_NS6detail17trampoline_kernelINS0_14default_configENS1_27lower_bound_config_selectorIflEEZNS1_14transform_implILb0ES3_S5_N6thrust23THRUST_200600_302600_NS6detail15normal_iteratorINS8_7pointerIfNS8_11hip_rocprim5par_tENS8_11use_defaultESE_EEEENSA_INSB_IlSD_SE_SE_EEEEZNS1_13binary_searchIS3_S5_PfSG_SI_NS1_21lower_bound_search_opENS9_16wrapped_functionINS8_6system6detail7generic6detail18binary_search_lessEbEEEE10hipError_tPvRmT1_T2_T3_mmT4_T5_P12ihipStream_tbEUlRKfE_EEST_SX_SY_mSZ_S12_bEUlT_E_NS1_11comp_targetILNS1_3genE8ELNS1_11target_archE1030ELNS1_3gpuE2ELNS1_3repE0EEENS1_30default_config_static_selectorELNS0_4arch9wavefront6targetE1EEEvSW_: ; @_ZN7rocprim17ROCPRIM_400000_NS6detail17trampoline_kernelINS0_14default_configENS1_27lower_bound_config_selectorIflEEZNS1_14transform_implILb0ES3_S5_N6thrust23THRUST_200600_302600_NS6detail15normal_iteratorINS8_7pointerIfNS8_11hip_rocprim5par_tENS8_11use_defaultESE_EEEENSA_INSB_IlSD_SE_SE_EEEEZNS1_13binary_searchIS3_S5_PfSG_SI_NS1_21lower_bound_search_opENS9_16wrapped_functionINS8_6system6detail7generic6detail18binary_search_lessEbEEEE10hipError_tPvRmT1_T2_T3_mmT4_T5_P12ihipStream_tbEUlRKfE_EEST_SX_SY_mSZ_S12_bEUlT_E_NS1_11comp_targetILNS1_3genE8ELNS1_11target_archE1030ELNS1_3gpuE2ELNS1_3repE0EEENS1_30default_config_static_selectorELNS0_4arch9wavefront6targetE1EEEvSW_
; %bb.0:
	.section	.rodata,"a",@progbits
	.p2align	6, 0x0
	.amdhsa_kernel _ZN7rocprim17ROCPRIM_400000_NS6detail17trampoline_kernelINS0_14default_configENS1_27lower_bound_config_selectorIflEEZNS1_14transform_implILb0ES3_S5_N6thrust23THRUST_200600_302600_NS6detail15normal_iteratorINS8_7pointerIfNS8_11hip_rocprim5par_tENS8_11use_defaultESE_EEEENSA_INSB_IlSD_SE_SE_EEEEZNS1_13binary_searchIS3_S5_PfSG_SI_NS1_21lower_bound_search_opENS9_16wrapped_functionINS8_6system6detail7generic6detail18binary_search_lessEbEEEE10hipError_tPvRmT1_T2_T3_mmT4_T5_P12ihipStream_tbEUlRKfE_EEST_SX_SY_mSZ_S12_bEUlT_E_NS1_11comp_targetILNS1_3genE8ELNS1_11target_archE1030ELNS1_3gpuE2ELNS1_3repE0EEENS1_30default_config_static_selectorELNS0_4arch9wavefront6targetE1EEEvSW_
		.amdhsa_group_segment_fixed_size 0
		.amdhsa_private_segment_fixed_size 0
		.amdhsa_kernarg_size 56
		.amdhsa_user_sgpr_count 6
		.amdhsa_user_sgpr_private_segment_buffer 1
		.amdhsa_user_sgpr_dispatch_ptr 0
		.amdhsa_user_sgpr_queue_ptr 0
		.amdhsa_user_sgpr_kernarg_segment_ptr 1
		.amdhsa_user_sgpr_dispatch_id 0
		.amdhsa_user_sgpr_flat_scratch_init 0
		.amdhsa_user_sgpr_private_segment_size 0
		.amdhsa_uses_dynamic_stack 0
		.amdhsa_system_sgpr_private_segment_wavefront_offset 0
		.amdhsa_system_sgpr_workgroup_id_x 1
		.amdhsa_system_sgpr_workgroup_id_y 0
		.amdhsa_system_sgpr_workgroup_id_z 0
		.amdhsa_system_sgpr_workgroup_info 0
		.amdhsa_system_vgpr_workitem_id 0
		.amdhsa_next_free_vgpr 1
		.amdhsa_next_free_sgpr 0
		.amdhsa_reserve_vcc 0
		.amdhsa_reserve_flat_scratch 0
		.amdhsa_float_round_mode_32 0
		.amdhsa_float_round_mode_16_64 0
		.amdhsa_float_denorm_mode_32 3
		.amdhsa_float_denorm_mode_16_64 3
		.amdhsa_dx10_clamp 1
		.amdhsa_ieee_mode 1
		.amdhsa_fp16_overflow 0
		.amdhsa_exception_fp_ieee_invalid_op 0
		.amdhsa_exception_fp_denorm_src 0
		.amdhsa_exception_fp_ieee_div_zero 0
		.amdhsa_exception_fp_ieee_overflow 0
		.amdhsa_exception_fp_ieee_underflow 0
		.amdhsa_exception_fp_ieee_inexact 0
		.amdhsa_exception_int_div_zero 0
	.end_amdhsa_kernel
	.section	.text._ZN7rocprim17ROCPRIM_400000_NS6detail17trampoline_kernelINS0_14default_configENS1_27lower_bound_config_selectorIflEEZNS1_14transform_implILb0ES3_S5_N6thrust23THRUST_200600_302600_NS6detail15normal_iteratorINS8_7pointerIfNS8_11hip_rocprim5par_tENS8_11use_defaultESE_EEEENSA_INSB_IlSD_SE_SE_EEEEZNS1_13binary_searchIS3_S5_PfSG_SI_NS1_21lower_bound_search_opENS9_16wrapped_functionINS8_6system6detail7generic6detail18binary_search_lessEbEEEE10hipError_tPvRmT1_T2_T3_mmT4_T5_P12ihipStream_tbEUlRKfE_EEST_SX_SY_mSZ_S12_bEUlT_E_NS1_11comp_targetILNS1_3genE8ELNS1_11target_archE1030ELNS1_3gpuE2ELNS1_3repE0EEENS1_30default_config_static_selectorELNS0_4arch9wavefront6targetE1EEEvSW_,"axG",@progbits,_ZN7rocprim17ROCPRIM_400000_NS6detail17trampoline_kernelINS0_14default_configENS1_27lower_bound_config_selectorIflEEZNS1_14transform_implILb0ES3_S5_N6thrust23THRUST_200600_302600_NS6detail15normal_iteratorINS8_7pointerIfNS8_11hip_rocprim5par_tENS8_11use_defaultESE_EEEENSA_INSB_IlSD_SE_SE_EEEEZNS1_13binary_searchIS3_S5_PfSG_SI_NS1_21lower_bound_search_opENS9_16wrapped_functionINS8_6system6detail7generic6detail18binary_search_lessEbEEEE10hipError_tPvRmT1_T2_T3_mmT4_T5_P12ihipStream_tbEUlRKfE_EEST_SX_SY_mSZ_S12_bEUlT_E_NS1_11comp_targetILNS1_3genE8ELNS1_11target_archE1030ELNS1_3gpuE2ELNS1_3repE0EEENS1_30default_config_static_selectorELNS0_4arch9wavefront6targetE1EEEvSW_,comdat
.Lfunc_end41:
	.size	_ZN7rocprim17ROCPRIM_400000_NS6detail17trampoline_kernelINS0_14default_configENS1_27lower_bound_config_selectorIflEEZNS1_14transform_implILb0ES3_S5_N6thrust23THRUST_200600_302600_NS6detail15normal_iteratorINS8_7pointerIfNS8_11hip_rocprim5par_tENS8_11use_defaultESE_EEEENSA_INSB_IlSD_SE_SE_EEEEZNS1_13binary_searchIS3_S5_PfSG_SI_NS1_21lower_bound_search_opENS9_16wrapped_functionINS8_6system6detail7generic6detail18binary_search_lessEbEEEE10hipError_tPvRmT1_T2_T3_mmT4_T5_P12ihipStream_tbEUlRKfE_EEST_SX_SY_mSZ_S12_bEUlT_E_NS1_11comp_targetILNS1_3genE8ELNS1_11target_archE1030ELNS1_3gpuE2ELNS1_3repE0EEENS1_30default_config_static_selectorELNS0_4arch9wavefront6targetE1EEEvSW_, .Lfunc_end41-_ZN7rocprim17ROCPRIM_400000_NS6detail17trampoline_kernelINS0_14default_configENS1_27lower_bound_config_selectorIflEEZNS1_14transform_implILb0ES3_S5_N6thrust23THRUST_200600_302600_NS6detail15normal_iteratorINS8_7pointerIfNS8_11hip_rocprim5par_tENS8_11use_defaultESE_EEEENSA_INSB_IlSD_SE_SE_EEEEZNS1_13binary_searchIS3_S5_PfSG_SI_NS1_21lower_bound_search_opENS9_16wrapped_functionINS8_6system6detail7generic6detail18binary_search_lessEbEEEE10hipError_tPvRmT1_T2_T3_mmT4_T5_P12ihipStream_tbEUlRKfE_EEST_SX_SY_mSZ_S12_bEUlT_E_NS1_11comp_targetILNS1_3genE8ELNS1_11target_archE1030ELNS1_3gpuE2ELNS1_3repE0EEENS1_30default_config_static_selectorELNS0_4arch9wavefront6targetE1EEEvSW_
                                        ; -- End function
	.set _ZN7rocprim17ROCPRIM_400000_NS6detail17trampoline_kernelINS0_14default_configENS1_27lower_bound_config_selectorIflEEZNS1_14transform_implILb0ES3_S5_N6thrust23THRUST_200600_302600_NS6detail15normal_iteratorINS8_7pointerIfNS8_11hip_rocprim5par_tENS8_11use_defaultESE_EEEENSA_INSB_IlSD_SE_SE_EEEEZNS1_13binary_searchIS3_S5_PfSG_SI_NS1_21lower_bound_search_opENS9_16wrapped_functionINS8_6system6detail7generic6detail18binary_search_lessEbEEEE10hipError_tPvRmT1_T2_T3_mmT4_T5_P12ihipStream_tbEUlRKfE_EEST_SX_SY_mSZ_S12_bEUlT_E_NS1_11comp_targetILNS1_3genE8ELNS1_11target_archE1030ELNS1_3gpuE2ELNS1_3repE0EEENS1_30default_config_static_selectorELNS0_4arch9wavefront6targetE1EEEvSW_.num_vgpr, 0
	.set _ZN7rocprim17ROCPRIM_400000_NS6detail17trampoline_kernelINS0_14default_configENS1_27lower_bound_config_selectorIflEEZNS1_14transform_implILb0ES3_S5_N6thrust23THRUST_200600_302600_NS6detail15normal_iteratorINS8_7pointerIfNS8_11hip_rocprim5par_tENS8_11use_defaultESE_EEEENSA_INSB_IlSD_SE_SE_EEEEZNS1_13binary_searchIS3_S5_PfSG_SI_NS1_21lower_bound_search_opENS9_16wrapped_functionINS8_6system6detail7generic6detail18binary_search_lessEbEEEE10hipError_tPvRmT1_T2_T3_mmT4_T5_P12ihipStream_tbEUlRKfE_EEST_SX_SY_mSZ_S12_bEUlT_E_NS1_11comp_targetILNS1_3genE8ELNS1_11target_archE1030ELNS1_3gpuE2ELNS1_3repE0EEENS1_30default_config_static_selectorELNS0_4arch9wavefront6targetE1EEEvSW_.num_agpr, 0
	.set _ZN7rocprim17ROCPRIM_400000_NS6detail17trampoline_kernelINS0_14default_configENS1_27lower_bound_config_selectorIflEEZNS1_14transform_implILb0ES3_S5_N6thrust23THRUST_200600_302600_NS6detail15normal_iteratorINS8_7pointerIfNS8_11hip_rocprim5par_tENS8_11use_defaultESE_EEEENSA_INSB_IlSD_SE_SE_EEEEZNS1_13binary_searchIS3_S5_PfSG_SI_NS1_21lower_bound_search_opENS9_16wrapped_functionINS8_6system6detail7generic6detail18binary_search_lessEbEEEE10hipError_tPvRmT1_T2_T3_mmT4_T5_P12ihipStream_tbEUlRKfE_EEST_SX_SY_mSZ_S12_bEUlT_E_NS1_11comp_targetILNS1_3genE8ELNS1_11target_archE1030ELNS1_3gpuE2ELNS1_3repE0EEENS1_30default_config_static_selectorELNS0_4arch9wavefront6targetE1EEEvSW_.numbered_sgpr, 0
	.set _ZN7rocprim17ROCPRIM_400000_NS6detail17trampoline_kernelINS0_14default_configENS1_27lower_bound_config_selectorIflEEZNS1_14transform_implILb0ES3_S5_N6thrust23THRUST_200600_302600_NS6detail15normal_iteratorINS8_7pointerIfNS8_11hip_rocprim5par_tENS8_11use_defaultESE_EEEENSA_INSB_IlSD_SE_SE_EEEEZNS1_13binary_searchIS3_S5_PfSG_SI_NS1_21lower_bound_search_opENS9_16wrapped_functionINS8_6system6detail7generic6detail18binary_search_lessEbEEEE10hipError_tPvRmT1_T2_T3_mmT4_T5_P12ihipStream_tbEUlRKfE_EEST_SX_SY_mSZ_S12_bEUlT_E_NS1_11comp_targetILNS1_3genE8ELNS1_11target_archE1030ELNS1_3gpuE2ELNS1_3repE0EEENS1_30default_config_static_selectorELNS0_4arch9wavefront6targetE1EEEvSW_.num_named_barrier, 0
	.set _ZN7rocprim17ROCPRIM_400000_NS6detail17trampoline_kernelINS0_14default_configENS1_27lower_bound_config_selectorIflEEZNS1_14transform_implILb0ES3_S5_N6thrust23THRUST_200600_302600_NS6detail15normal_iteratorINS8_7pointerIfNS8_11hip_rocprim5par_tENS8_11use_defaultESE_EEEENSA_INSB_IlSD_SE_SE_EEEEZNS1_13binary_searchIS3_S5_PfSG_SI_NS1_21lower_bound_search_opENS9_16wrapped_functionINS8_6system6detail7generic6detail18binary_search_lessEbEEEE10hipError_tPvRmT1_T2_T3_mmT4_T5_P12ihipStream_tbEUlRKfE_EEST_SX_SY_mSZ_S12_bEUlT_E_NS1_11comp_targetILNS1_3genE8ELNS1_11target_archE1030ELNS1_3gpuE2ELNS1_3repE0EEENS1_30default_config_static_selectorELNS0_4arch9wavefront6targetE1EEEvSW_.private_seg_size, 0
	.set _ZN7rocprim17ROCPRIM_400000_NS6detail17trampoline_kernelINS0_14default_configENS1_27lower_bound_config_selectorIflEEZNS1_14transform_implILb0ES3_S5_N6thrust23THRUST_200600_302600_NS6detail15normal_iteratorINS8_7pointerIfNS8_11hip_rocprim5par_tENS8_11use_defaultESE_EEEENSA_INSB_IlSD_SE_SE_EEEEZNS1_13binary_searchIS3_S5_PfSG_SI_NS1_21lower_bound_search_opENS9_16wrapped_functionINS8_6system6detail7generic6detail18binary_search_lessEbEEEE10hipError_tPvRmT1_T2_T3_mmT4_T5_P12ihipStream_tbEUlRKfE_EEST_SX_SY_mSZ_S12_bEUlT_E_NS1_11comp_targetILNS1_3genE8ELNS1_11target_archE1030ELNS1_3gpuE2ELNS1_3repE0EEENS1_30default_config_static_selectorELNS0_4arch9wavefront6targetE1EEEvSW_.uses_vcc, 0
	.set _ZN7rocprim17ROCPRIM_400000_NS6detail17trampoline_kernelINS0_14default_configENS1_27lower_bound_config_selectorIflEEZNS1_14transform_implILb0ES3_S5_N6thrust23THRUST_200600_302600_NS6detail15normal_iteratorINS8_7pointerIfNS8_11hip_rocprim5par_tENS8_11use_defaultESE_EEEENSA_INSB_IlSD_SE_SE_EEEEZNS1_13binary_searchIS3_S5_PfSG_SI_NS1_21lower_bound_search_opENS9_16wrapped_functionINS8_6system6detail7generic6detail18binary_search_lessEbEEEE10hipError_tPvRmT1_T2_T3_mmT4_T5_P12ihipStream_tbEUlRKfE_EEST_SX_SY_mSZ_S12_bEUlT_E_NS1_11comp_targetILNS1_3genE8ELNS1_11target_archE1030ELNS1_3gpuE2ELNS1_3repE0EEENS1_30default_config_static_selectorELNS0_4arch9wavefront6targetE1EEEvSW_.uses_flat_scratch, 0
	.set _ZN7rocprim17ROCPRIM_400000_NS6detail17trampoline_kernelINS0_14default_configENS1_27lower_bound_config_selectorIflEEZNS1_14transform_implILb0ES3_S5_N6thrust23THRUST_200600_302600_NS6detail15normal_iteratorINS8_7pointerIfNS8_11hip_rocprim5par_tENS8_11use_defaultESE_EEEENSA_INSB_IlSD_SE_SE_EEEEZNS1_13binary_searchIS3_S5_PfSG_SI_NS1_21lower_bound_search_opENS9_16wrapped_functionINS8_6system6detail7generic6detail18binary_search_lessEbEEEE10hipError_tPvRmT1_T2_T3_mmT4_T5_P12ihipStream_tbEUlRKfE_EEST_SX_SY_mSZ_S12_bEUlT_E_NS1_11comp_targetILNS1_3genE8ELNS1_11target_archE1030ELNS1_3gpuE2ELNS1_3repE0EEENS1_30default_config_static_selectorELNS0_4arch9wavefront6targetE1EEEvSW_.has_dyn_sized_stack, 0
	.set _ZN7rocprim17ROCPRIM_400000_NS6detail17trampoline_kernelINS0_14default_configENS1_27lower_bound_config_selectorIflEEZNS1_14transform_implILb0ES3_S5_N6thrust23THRUST_200600_302600_NS6detail15normal_iteratorINS8_7pointerIfNS8_11hip_rocprim5par_tENS8_11use_defaultESE_EEEENSA_INSB_IlSD_SE_SE_EEEEZNS1_13binary_searchIS3_S5_PfSG_SI_NS1_21lower_bound_search_opENS9_16wrapped_functionINS8_6system6detail7generic6detail18binary_search_lessEbEEEE10hipError_tPvRmT1_T2_T3_mmT4_T5_P12ihipStream_tbEUlRKfE_EEST_SX_SY_mSZ_S12_bEUlT_E_NS1_11comp_targetILNS1_3genE8ELNS1_11target_archE1030ELNS1_3gpuE2ELNS1_3repE0EEENS1_30default_config_static_selectorELNS0_4arch9wavefront6targetE1EEEvSW_.has_recursion, 0
	.set _ZN7rocprim17ROCPRIM_400000_NS6detail17trampoline_kernelINS0_14default_configENS1_27lower_bound_config_selectorIflEEZNS1_14transform_implILb0ES3_S5_N6thrust23THRUST_200600_302600_NS6detail15normal_iteratorINS8_7pointerIfNS8_11hip_rocprim5par_tENS8_11use_defaultESE_EEEENSA_INSB_IlSD_SE_SE_EEEEZNS1_13binary_searchIS3_S5_PfSG_SI_NS1_21lower_bound_search_opENS9_16wrapped_functionINS8_6system6detail7generic6detail18binary_search_lessEbEEEE10hipError_tPvRmT1_T2_T3_mmT4_T5_P12ihipStream_tbEUlRKfE_EEST_SX_SY_mSZ_S12_bEUlT_E_NS1_11comp_targetILNS1_3genE8ELNS1_11target_archE1030ELNS1_3gpuE2ELNS1_3repE0EEENS1_30default_config_static_selectorELNS0_4arch9wavefront6targetE1EEEvSW_.has_indirect_call, 0
	.section	.AMDGPU.csdata,"",@progbits
; Kernel info:
; codeLenInByte = 0
; TotalNumSgprs: 4
; NumVgprs: 0
; ScratchSize: 0
; MemoryBound: 0
; FloatMode: 240
; IeeeMode: 1
; LDSByteSize: 0 bytes/workgroup (compile time only)
; SGPRBlocks: 0
; VGPRBlocks: 0
; NumSGPRsForWavesPerEU: 4
; NumVGPRsForWavesPerEU: 1
; Occupancy: 10
; WaveLimiterHint : 0
; COMPUTE_PGM_RSRC2:SCRATCH_EN: 0
; COMPUTE_PGM_RSRC2:USER_SGPR: 6
; COMPUTE_PGM_RSRC2:TRAP_HANDLER: 0
; COMPUTE_PGM_RSRC2:TGID_X_EN: 1
; COMPUTE_PGM_RSRC2:TGID_Y_EN: 0
; COMPUTE_PGM_RSRC2:TGID_Z_EN: 0
; COMPUTE_PGM_RSRC2:TIDIG_COMP_CNT: 0
	.section	.text._ZN6thrust23THRUST_200600_302600_NS11hip_rocprim14__parallel_for6kernelILj256ENS1_20__uninitialized_fill7functorINS0_10device_ptrIyEEyEEmLj1EEEvT0_T1_SA_,"axG",@progbits,_ZN6thrust23THRUST_200600_302600_NS11hip_rocprim14__parallel_for6kernelILj256ENS1_20__uninitialized_fill7functorINS0_10device_ptrIyEEyEEmLj1EEEvT0_T1_SA_,comdat
	.protected	_ZN6thrust23THRUST_200600_302600_NS11hip_rocprim14__parallel_for6kernelILj256ENS1_20__uninitialized_fill7functorINS0_10device_ptrIyEEyEEmLj1EEEvT0_T1_SA_ ; -- Begin function _ZN6thrust23THRUST_200600_302600_NS11hip_rocprim14__parallel_for6kernelILj256ENS1_20__uninitialized_fill7functorINS0_10device_ptrIyEEyEEmLj1EEEvT0_T1_SA_
	.globl	_ZN6thrust23THRUST_200600_302600_NS11hip_rocprim14__parallel_for6kernelILj256ENS1_20__uninitialized_fill7functorINS0_10device_ptrIyEEyEEmLj1EEEvT0_T1_SA_
	.p2align	8
	.type	_ZN6thrust23THRUST_200600_302600_NS11hip_rocprim14__parallel_for6kernelILj256ENS1_20__uninitialized_fill7functorINS0_10device_ptrIyEEyEEmLj1EEEvT0_T1_SA_,@function
_ZN6thrust23THRUST_200600_302600_NS11hip_rocprim14__parallel_for6kernelILj256ENS1_20__uninitialized_fill7functorINS0_10device_ptrIyEEyEEmLj1EEEvT0_T1_SA_: ; @_ZN6thrust23THRUST_200600_302600_NS11hip_rocprim14__parallel_for6kernelILj256ENS1_20__uninitialized_fill7functorINS0_10device_ptrIyEEyEEmLj1EEEvT0_T1_SA_
; %bb.0:
	s_load_dwordx8 s[8:15], s[4:5], 0x0
	s_lshl_b32 s0, s6, 8
	v_mov_b32_e32 v1, 0xff
	v_mov_b32_e32 v2, 0
	s_mov_b64 s[4:5], -1
	s_waitcnt lgkmcnt(0)
	s_add_u32 s0, s14, s0
	s_addc_u32 s1, s15, 0
	s_sub_u32 s2, s12, s0
	s_subb_u32 s3, s13, s1
	v_cmp_gt_u64_e32 vcc, s[2:3], v[1:2]
	s_cbranch_vccz .LBB42_3
; %bb.1:
	s_andn2_b64 vcc, exec, s[4:5]
	s_cbranch_vccz .LBB42_6
.LBB42_2:
	s_endpgm
.LBB42_3:
	v_cmp_gt_u32_e32 vcc, s2, v0
	s_and_saveexec_b64 s[2:3], vcc
	s_cbranch_execz .LBB42_5
; %bb.4:
	s_lshl_b64 s[4:5], s[0:1], 3
	s_add_u32 s4, s8, s4
	s_addc_u32 s5, s9, s5
	v_lshlrev_b32_e32 v1, 3, v0
	v_mov_b32_e32 v2, s5
	v_add_co_u32_e32 v1, vcc, s4, v1
	v_mov_b32_e32 v3, s10
	v_addc_co_u32_e32 v2, vcc, 0, v2, vcc
	v_mov_b32_e32 v4, s11
	flat_store_dwordx2 v[1:2], v[3:4]
.LBB42_5:
	s_or_b64 exec, exec, s[2:3]
	s_cbranch_execnz .LBB42_2
.LBB42_6:
	s_lshl_b64 s[0:1], s[0:1], 3
	s_add_u32 s0, s8, s0
	s_addc_u32 s1, s9, s1
	v_lshlrev_b32_e32 v0, 3, v0
	v_mov_b32_e32 v1, s1
	v_add_co_u32_e32 v0, vcc, s0, v0
	v_mov_b32_e32 v2, s10
	v_addc_co_u32_e32 v1, vcc, 0, v1, vcc
	v_mov_b32_e32 v3, s11
	flat_store_dwordx2 v[0:1], v[2:3]
	s_endpgm
	.section	.rodata,"a",@progbits
	.p2align	6, 0x0
	.amdhsa_kernel _ZN6thrust23THRUST_200600_302600_NS11hip_rocprim14__parallel_for6kernelILj256ENS1_20__uninitialized_fill7functorINS0_10device_ptrIyEEyEEmLj1EEEvT0_T1_SA_
		.amdhsa_group_segment_fixed_size 0
		.amdhsa_private_segment_fixed_size 0
		.amdhsa_kernarg_size 32
		.amdhsa_user_sgpr_count 6
		.amdhsa_user_sgpr_private_segment_buffer 1
		.amdhsa_user_sgpr_dispatch_ptr 0
		.amdhsa_user_sgpr_queue_ptr 0
		.amdhsa_user_sgpr_kernarg_segment_ptr 1
		.amdhsa_user_sgpr_dispatch_id 0
		.amdhsa_user_sgpr_flat_scratch_init 0
		.amdhsa_user_sgpr_private_segment_size 0
		.amdhsa_uses_dynamic_stack 0
		.amdhsa_system_sgpr_private_segment_wavefront_offset 0
		.amdhsa_system_sgpr_workgroup_id_x 1
		.amdhsa_system_sgpr_workgroup_id_y 0
		.amdhsa_system_sgpr_workgroup_id_z 0
		.amdhsa_system_sgpr_workgroup_info 0
		.amdhsa_system_vgpr_workitem_id 0
		.amdhsa_next_free_vgpr 5
		.amdhsa_next_free_sgpr 16
		.amdhsa_reserve_vcc 1
		.amdhsa_reserve_flat_scratch 0
		.amdhsa_float_round_mode_32 0
		.amdhsa_float_round_mode_16_64 0
		.amdhsa_float_denorm_mode_32 3
		.amdhsa_float_denorm_mode_16_64 3
		.amdhsa_dx10_clamp 1
		.amdhsa_ieee_mode 1
		.amdhsa_fp16_overflow 0
		.amdhsa_exception_fp_ieee_invalid_op 0
		.amdhsa_exception_fp_denorm_src 0
		.amdhsa_exception_fp_ieee_div_zero 0
		.amdhsa_exception_fp_ieee_overflow 0
		.amdhsa_exception_fp_ieee_underflow 0
		.amdhsa_exception_fp_ieee_inexact 0
		.amdhsa_exception_int_div_zero 0
	.end_amdhsa_kernel
	.section	.text._ZN6thrust23THRUST_200600_302600_NS11hip_rocprim14__parallel_for6kernelILj256ENS1_20__uninitialized_fill7functorINS0_10device_ptrIyEEyEEmLj1EEEvT0_T1_SA_,"axG",@progbits,_ZN6thrust23THRUST_200600_302600_NS11hip_rocprim14__parallel_for6kernelILj256ENS1_20__uninitialized_fill7functorINS0_10device_ptrIyEEyEEmLj1EEEvT0_T1_SA_,comdat
.Lfunc_end42:
	.size	_ZN6thrust23THRUST_200600_302600_NS11hip_rocprim14__parallel_for6kernelILj256ENS1_20__uninitialized_fill7functorINS0_10device_ptrIyEEyEEmLj1EEEvT0_T1_SA_, .Lfunc_end42-_ZN6thrust23THRUST_200600_302600_NS11hip_rocprim14__parallel_for6kernelILj256ENS1_20__uninitialized_fill7functorINS0_10device_ptrIyEEyEEmLj1EEEvT0_T1_SA_
                                        ; -- End function
	.set _ZN6thrust23THRUST_200600_302600_NS11hip_rocprim14__parallel_for6kernelILj256ENS1_20__uninitialized_fill7functorINS0_10device_ptrIyEEyEEmLj1EEEvT0_T1_SA_.num_vgpr, 5
	.set _ZN6thrust23THRUST_200600_302600_NS11hip_rocprim14__parallel_for6kernelILj256ENS1_20__uninitialized_fill7functorINS0_10device_ptrIyEEyEEmLj1EEEvT0_T1_SA_.num_agpr, 0
	.set _ZN6thrust23THRUST_200600_302600_NS11hip_rocprim14__parallel_for6kernelILj256ENS1_20__uninitialized_fill7functorINS0_10device_ptrIyEEyEEmLj1EEEvT0_T1_SA_.numbered_sgpr, 16
	.set _ZN6thrust23THRUST_200600_302600_NS11hip_rocprim14__parallel_for6kernelILj256ENS1_20__uninitialized_fill7functorINS0_10device_ptrIyEEyEEmLj1EEEvT0_T1_SA_.num_named_barrier, 0
	.set _ZN6thrust23THRUST_200600_302600_NS11hip_rocprim14__parallel_for6kernelILj256ENS1_20__uninitialized_fill7functorINS0_10device_ptrIyEEyEEmLj1EEEvT0_T1_SA_.private_seg_size, 0
	.set _ZN6thrust23THRUST_200600_302600_NS11hip_rocprim14__parallel_for6kernelILj256ENS1_20__uninitialized_fill7functorINS0_10device_ptrIyEEyEEmLj1EEEvT0_T1_SA_.uses_vcc, 1
	.set _ZN6thrust23THRUST_200600_302600_NS11hip_rocprim14__parallel_for6kernelILj256ENS1_20__uninitialized_fill7functorINS0_10device_ptrIyEEyEEmLj1EEEvT0_T1_SA_.uses_flat_scratch, 0
	.set _ZN6thrust23THRUST_200600_302600_NS11hip_rocprim14__parallel_for6kernelILj256ENS1_20__uninitialized_fill7functorINS0_10device_ptrIyEEyEEmLj1EEEvT0_T1_SA_.has_dyn_sized_stack, 0
	.set _ZN6thrust23THRUST_200600_302600_NS11hip_rocprim14__parallel_for6kernelILj256ENS1_20__uninitialized_fill7functorINS0_10device_ptrIyEEyEEmLj1EEEvT0_T1_SA_.has_recursion, 0
	.set _ZN6thrust23THRUST_200600_302600_NS11hip_rocprim14__parallel_for6kernelILj256ENS1_20__uninitialized_fill7functorINS0_10device_ptrIyEEyEEmLj1EEEvT0_T1_SA_.has_indirect_call, 0
	.section	.AMDGPU.csdata,"",@progbits
; Kernel info:
; codeLenInByte = 180
; TotalNumSgprs: 20
; NumVgprs: 5
; ScratchSize: 0
; MemoryBound: 0
; FloatMode: 240
; IeeeMode: 1
; LDSByteSize: 0 bytes/workgroup (compile time only)
; SGPRBlocks: 2
; VGPRBlocks: 1
; NumSGPRsForWavesPerEU: 20
; NumVGPRsForWavesPerEU: 5
; Occupancy: 10
; WaveLimiterHint : 0
; COMPUTE_PGM_RSRC2:SCRATCH_EN: 0
; COMPUTE_PGM_RSRC2:USER_SGPR: 6
; COMPUTE_PGM_RSRC2:TRAP_HANDLER: 0
; COMPUTE_PGM_RSRC2:TGID_X_EN: 1
; COMPUTE_PGM_RSRC2:TGID_Y_EN: 0
; COMPUTE_PGM_RSRC2:TGID_Z_EN: 0
; COMPUTE_PGM_RSRC2:TIDIG_COMP_CNT: 0
	.section	.text._Z18lower_bound_kernelIyEvmPT_Pl,"axG",@progbits,_Z18lower_bound_kernelIyEvmPT_Pl,comdat
	.protected	_Z18lower_bound_kernelIyEvmPT_Pl ; -- Begin function _Z18lower_bound_kernelIyEvmPT_Pl
	.globl	_Z18lower_bound_kernelIyEvmPT_Pl
	.p2align	8
	.type	_Z18lower_bound_kernelIyEvmPT_Pl,@function
_Z18lower_bound_kernelIyEvmPT_Pl:       ; @_Z18lower_bound_kernelIyEvmPT_Pl
; %bb.0:
	s_load_dwordx4 s[0:3], s[4:5], 0x0
	v_mov_b32_e32 v0, 0
	s_load_dwordx2 s[4:5], s[4:5], 0x10
	v_mov_b32_e32 v1, v0
	s_mov_b64 s[8:9], -1
	s_waitcnt lgkmcnt(0)
	s_lshl_b64 s[0:1], s[0:1], 3
	s_add_u32 s0, s2, s0
	s_addc_u32 s1, s3, s1
	s_sub_u32 s0, s0, s2
	s_subb_u32 s1, s1, s3
	s_ashr_i64 s[6:7], s[0:1], 3
	v_cmp_lt_i64_e64 s[0:1], s[6:7], 1
	global_store_dwordx2 v0, v[0:1], s[4:5]
	s_and_b64 s[0:1], exec, s[0:1]
	s_mov_b64 vcc, s[0:1]
	s_cbranch_vccz .LBB43_2
; %bb.1:
	v_mov_b32_e32 v1, v0
	v_mov_b32_e32 v2, v0
	;; [unrolled: 1-line block ×3, first 2 shown]
	global_store_dwordx4 v0, v[0:3], s[4:5] offset:8
	s_mov_b64 s[8:9], 0
.LBB43_2:
	s_andn2_b64 vcc, exec, s[8:9]
	s_mov_b64 s[8:9], 0
	s_cbranch_vccnz .LBB43_9
; %bb.3:
	s_mov_b64 s[10:11], s[6:7]
.LBB43_4:                               ; =>This Inner Loop Header: Depth=1
	s_sub_u32 s12, s10, s8
	s_subb_u32 s13, s11, s9
	s_lshr_b64 s[12:13], s[12:13], 1
	s_add_u32 s12, s12, s8
	s_addc_u32 s13, s13, s9
	s_lshl_b64 s[14:15], s[12:13], 3
	s_add_u32 s14, s2, s14
	s_addc_u32 s15, s3, s15
	s_load_dwordx2 s[14:15], s[14:15], 0x0
	s_add_u32 s16, s12, 1
	s_addc_u32 s17, s13, 0
	s_waitcnt lgkmcnt(0)
	s_cmp_eq_u64 s[14:15], 0
	s_cselect_b32 s10, s10, s12
	s_cselect_b32 s11, s11, s13
	v_mov_b32_e32 v0, s10
	s_cselect_b32 s9, s17, s9
	s_cselect_b32 s8, s16, s8
	v_mov_b32_e32 v1, s11
	v_cmp_lt_i64_e32 vcc, s[8:9], v[0:1]
	s_cbranch_vccnz .LBB43_4
; %bb.5:
	s_lshl_b64 s[8:9], s[8:9], 3
	s_add_u32 s8, s2, s8
	s_addc_u32 s9, s3, s9
	s_sub_u32 s8, s8, s2
	s_subb_u32 s9, s9, s3
	s_ashr_i64 s[8:9], s[8:9], 3
	v_mov_b32_e32 v0, s8
	v_mov_b32_e32 v2, 0
	;; [unrolled: 1-line block ×3, first 2 shown]
	s_mov_b64 s[8:9], 0
	s_mov_b64 s[10:11], s[6:7]
	global_store_dwordx2 v2, v[0:1], s[4:5] offset:8
.LBB43_6:                               ; =>This Inner Loop Header: Depth=1
	s_sub_u32 s12, s10, s8
	s_subb_u32 s13, s11, s9
	s_lshr_b64 s[12:13], s[12:13], 1
	s_add_u32 s12, s12, s8
	s_addc_u32 s13, s13, s9
	s_lshl_b64 s[14:15], s[12:13], 3
	s_add_u32 s14, s2, s14
	s_addc_u32 s15, s3, s15
	s_load_dwordx2 s[14:15], s[14:15], 0x0
	s_add_u32 s16, s12, 1
	s_addc_u32 s17, s13, 0
	s_waitcnt lgkmcnt(0)
	v_cmp_lt_u64_e64 s[14:15], s[14:15], 2
	s_and_b64 s[14:15], s[14:15], exec
	s_cselect_b32 s10, s10, s12
	s_cselect_b32 s11, s11, s13
	v_mov_b32_e32 v0, s10
	s_cselect_b32 s9, s17, s9
	s_cselect_b32 s8, s16, s8
	v_mov_b32_e32 v1, s11
	v_cmp_lt_i64_e32 vcc, s[8:9], v[0:1]
	s_cbranch_vccnz .LBB43_6
; %bb.7:
	s_lshl_b64 s[8:9], s[8:9], 3
	s_add_u32 s8, s2, s8
	s_addc_u32 s9, s3, s9
	s_sub_u32 s8, s8, s2
	s_subb_u32 s9, s9, s3
	s_ashr_i64 s[8:9], s[8:9], 3
	v_mov_b32_e32 v0, s8
	v_mov_b32_e32 v2, 0
	;; [unrolled: 1-line block ×3, first 2 shown]
	s_mov_b64 s[8:9], 0
	s_mov_b64 s[10:11], s[6:7]
	global_store_dwordx2 v2, v[0:1], s[4:5] offset:16
.LBB43_8:                               ; =>This Inner Loop Header: Depth=1
	s_sub_u32 s12, s10, s8
	s_subb_u32 s13, s11, s9
	s_lshr_b64 s[12:13], s[12:13], 1
	s_add_u32 s12, s12, s8
	s_addc_u32 s13, s13, s9
	s_lshl_b64 s[14:15], s[12:13], 3
	s_add_u32 s14, s2, s14
	s_addc_u32 s15, s3, s15
	s_load_dwordx2 s[14:15], s[14:15], 0x0
	s_add_u32 s16, s12, 1
	s_addc_u32 s17, s13, 0
	s_waitcnt lgkmcnt(0)
	v_cmp_lt_u64_e64 s[14:15], s[14:15], 3
	s_and_b64 s[14:15], s[14:15], exec
	s_cselect_b32 s10, s10, s12
	s_cselect_b32 s11, s11, s13
	v_mov_b32_e32 v0, s10
	s_cselect_b32 s9, s17, s9
	s_cselect_b32 s8, s16, s8
	v_mov_b32_e32 v1, s11
	v_cmp_ge_i64_e32 vcc, s[8:9], v[0:1]
	s_cbranch_vccz .LBB43_8
.LBB43_9:
	s_lshl_b64 s[8:9], s[8:9], 3
	s_add_u32 s8, s2, s8
	s_addc_u32 s9, s3, s9
	s_sub_u32 s8, s8, s2
	s_subb_u32 s9, s9, s3
	s_ashr_i64 s[8:9], s[8:9], 3
	v_mov_b32_e32 v1, s8
	v_mov_b32_e32 v0, 0
	;; [unrolled: 1-line block ×3, first 2 shown]
	s_mov_b64 s[8:9], -1
	s_mov_b64 vcc, s[0:1]
	global_store_dwordx2 v0, v[1:2], s[4:5] offset:24
	s_cbranch_vccz .LBB43_11
; %bb.10:
	v_mov_b32_e32 v1, v0
	global_store_dwordx2 v0, v[0:1], s[4:5] offset:32
	s_mov_b64 s[8:9], 0
.LBB43_11:
	s_andn2_b64 vcc, exec, s[8:9]
	s_mov_b64 s[8:9], 0
	s_cbranch_vccnz .LBB43_16
; %bb.12:
	s_mov_b64 s[10:11], s[6:7]
.LBB43_13:                              ; =>This Inner Loop Header: Depth=1
	s_sub_u32 s12, s10, s8
	s_subb_u32 s13, s11, s9
	s_lshr_b64 s[12:13], s[12:13], 1
	s_add_u32 s12, s12, s8
	s_addc_u32 s13, s13, s9
	s_lshl_b64 s[14:15], s[12:13], 3
	s_add_u32 s14, s2, s14
	s_addc_u32 s15, s3, s15
	s_load_dwordx2 s[14:15], s[14:15], 0x0
	s_add_u32 s16, s12, 1
	s_addc_u32 s17, s13, 0
	s_waitcnt lgkmcnt(0)
	v_cmp_lt_u64_e64 s[14:15], s[14:15], 4
	s_and_b64 s[14:15], s[14:15], exec
	s_cselect_b32 s10, s10, s12
	s_cselect_b32 s11, s11, s13
	v_mov_b32_e32 v0, s10
	s_cselect_b32 s9, s17, s9
	s_cselect_b32 s8, s16, s8
	v_mov_b32_e32 v1, s11
	v_cmp_lt_i64_e32 vcc, s[8:9], v[0:1]
	s_cbranch_vccnz .LBB43_13
; %bb.14:
	s_lshl_b64 s[8:9], s[8:9], 3
	s_add_u32 s8, s2, s8
	s_addc_u32 s9, s3, s9
	s_sub_u32 s8, s8, s2
	s_subb_u32 s9, s9, s3
	s_ashr_i64 s[8:9], s[8:9], 3
	v_mov_b32_e32 v0, s8
	v_mov_b32_e32 v2, 0
	;; [unrolled: 1-line block ×3, first 2 shown]
	s_mov_b64 s[8:9], 0
	s_mov_b64 s[10:11], s[6:7]
	global_store_dwordx2 v2, v[0:1], s[4:5] offset:32
.LBB43_15:                              ; =>This Inner Loop Header: Depth=1
	s_sub_u32 s12, s10, s8
	s_subb_u32 s13, s11, s9
	s_lshr_b64 s[12:13], s[12:13], 1
	s_add_u32 s12, s12, s8
	s_addc_u32 s13, s13, s9
	s_lshl_b64 s[14:15], s[12:13], 3
	s_add_u32 s14, s2, s14
	s_addc_u32 s15, s3, s15
	s_load_dwordx2 s[14:15], s[14:15], 0x0
	s_add_u32 s16, s12, 1
	s_addc_u32 s17, s13, 0
	s_waitcnt lgkmcnt(0)
	v_cmp_lt_u64_e64 s[14:15], s[14:15], 5
	s_and_b64 s[14:15], s[14:15], exec
	s_cselect_b32 s10, s10, s12
	s_cselect_b32 s11, s11, s13
	v_mov_b32_e32 v0, s10
	s_cselect_b32 s9, s17, s9
	s_cselect_b32 s8, s16, s8
	v_mov_b32_e32 v1, s11
	v_cmp_ge_i64_e32 vcc, s[8:9], v[0:1]
	s_cbranch_vccz .LBB43_15
.LBB43_16:
	s_lshl_b64 s[8:9], s[8:9], 3
	s_add_u32 s8, s2, s8
	s_addc_u32 s9, s3, s9
	s_sub_u32 s8, s8, s2
	s_subb_u32 s9, s9, s3
	s_ashr_i64 s[8:9], s[8:9], 3
	v_mov_b32_e32 v1, s8
	v_mov_b32_e32 v0, 0
	;; [unrolled: 1-line block ×3, first 2 shown]
	s_mov_b64 s[8:9], -1
	s_mov_b64 vcc, s[0:1]
	global_store_dwordx2 v0, v[1:2], s[4:5] offset:40
	s_cbranch_vccz .LBB43_18
; %bb.17:
	v_mov_b32_e32 v1, v0
	global_store_dwordx2 v0, v[0:1], s[4:5] offset:48
	s_mov_b64 s[8:9], 0
.LBB43_18:
	s_andn2_b64 vcc, exec, s[8:9]
	s_mov_b64 s[8:9], 0
	s_cbranch_vccnz .LBB43_23
; %bb.19:
	s_mov_b64 s[10:11], s[6:7]
.LBB43_20:                              ; =>This Inner Loop Header: Depth=1
	s_sub_u32 s12, s10, s8
	s_subb_u32 s13, s11, s9
	s_lshr_b64 s[12:13], s[12:13], 1
	s_add_u32 s12, s12, s8
	s_addc_u32 s13, s13, s9
	s_lshl_b64 s[14:15], s[12:13], 3
	s_add_u32 s14, s2, s14
	s_addc_u32 s15, s3, s15
	s_load_dwordx2 s[14:15], s[14:15], 0x0
	s_add_u32 s16, s12, 1
	s_addc_u32 s17, s13, 0
	s_waitcnt lgkmcnt(0)
	v_cmp_lt_u64_e64 s[14:15], s[14:15], 6
	s_and_b64 s[14:15], s[14:15], exec
	s_cselect_b32 s10, s10, s12
	s_cselect_b32 s11, s11, s13
	v_mov_b32_e32 v0, s10
	s_cselect_b32 s9, s17, s9
	s_cselect_b32 s8, s16, s8
	v_mov_b32_e32 v1, s11
	v_cmp_lt_i64_e32 vcc, s[8:9], v[0:1]
	s_cbranch_vccnz .LBB43_20
; %bb.21:
	s_lshl_b64 s[8:9], s[8:9], 3
	s_add_u32 s8, s2, s8
	s_addc_u32 s9, s3, s9
	s_sub_u32 s8, s8, s2
	s_subb_u32 s9, s9, s3
	s_ashr_i64 s[8:9], s[8:9], 3
	v_mov_b32_e32 v0, s8
	v_mov_b32_e32 v2, 0
	;; [unrolled: 1-line block ×3, first 2 shown]
	s_mov_b64 s[8:9], 0
	s_mov_b64 s[10:11], s[6:7]
	global_store_dwordx2 v2, v[0:1], s[4:5] offset:48
.LBB43_22:                              ; =>This Inner Loop Header: Depth=1
	s_sub_u32 s12, s10, s8
	s_subb_u32 s13, s11, s9
	s_lshr_b64 s[12:13], s[12:13], 1
	s_add_u32 s12, s12, s8
	s_addc_u32 s13, s13, s9
	s_lshl_b64 s[14:15], s[12:13], 3
	s_add_u32 s14, s2, s14
	s_addc_u32 s15, s3, s15
	s_load_dwordx2 s[14:15], s[14:15], 0x0
	s_add_u32 s16, s12, 1
	s_addc_u32 s17, s13, 0
	s_waitcnt lgkmcnt(0)
	v_cmp_lt_u64_e64 s[14:15], s[14:15], 7
	s_and_b64 s[14:15], s[14:15], exec
	s_cselect_b32 s10, s10, s12
	s_cselect_b32 s11, s11, s13
	v_mov_b32_e32 v0, s10
	s_cselect_b32 s9, s17, s9
	s_cselect_b32 s8, s16, s8
	v_mov_b32_e32 v1, s11
	v_cmp_ge_i64_e32 vcc, s[8:9], v[0:1]
	s_cbranch_vccz .LBB43_22
.LBB43_23:
	s_lshl_b64 s[8:9], s[8:9], 3
	s_add_u32 s8, s2, s8
	s_addc_u32 s9, s3, s9
	s_sub_u32 s8, s8, s2
	s_subb_u32 s9, s9, s3
	s_ashr_i64 s[8:9], s[8:9], 3
	v_mov_b32_e32 v1, s8
	v_mov_b32_e32 v0, 0
	v_mov_b32_e32 v2, s9
	s_mov_b64 s[8:9], -1
	s_mov_b64 vcc, s[0:1]
	global_store_dwordx2 v0, v[1:2], s[4:5] offset:56
	s_cbranch_vccz .LBB43_25
; %bb.24:
	v_mov_b32_e32 v1, v0
	global_store_dwordx2 v0, v[0:1], s[4:5] offset:64
	s_mov_b64 s[8:9], 0
.LBB43_25:
	s_andn2_b64 vcc, exec, s[8:9]
	s_mov_b64 s[0:1], 0
	s_cbranch_vccnz .LBB43_30
; %bb.26:
	s_mov_b64 s[8:9], s[6:7]
.LBB43_27:                              ; =>This Inner Loop Header: Depth=1
	s_sub_u32 s10, s8, s0
	s_subb_u32 s11, s9, s1
	s_lshr_b64 s[10:11], s[10:11], 1
	s_add_u32 s10, s10, s0
	s_addc_u32 s11, s11, s1
	s_lshl_b64 s[12:13], s[10:11], 3
	s_add_u32 s12, s2, s12
	s_addc_u32 s13, s3, s13
	s_load_dwordx2 s[12:13], s[12:13], 0x0
	s_add_u32 s14, s10, 1
	s_addc_u32 s15, s11, 0
	s_waitcnt lgkmcnt(0)
	v_cmp_lt_u64_e64 s[12:13], s[12:13], 8
	s_and_b64 s[12:13], s[12:13], exec
	s_cselect_b32 s8, s8, s10
	s_cselect_b32 s9, s9, s11
	v_mov_b32_e32 v0, s8
	s_cselect_b32 s1, s15, s1
	s_cselect_b32 s0, s14, s0
	v_mov_b32_e32 v1, s9
	v_cmp_lt_i64_e32 vcc, s[0:1], v[0:1]
	s_cbranch_vccnz .LBB43_27
; %bb.28:
	s_lshl_b64 s[0:1], s[0:1], 3
	s_add_u32 s0, s2, s0
	s_addc_u32 s1, s3, s1
	s_sub_u32 s0, s0, s2
	s_subb_u32 s1, s1, s3
	s_ashr_i64 s[0:1], s[0:1], 3
	v_mov_b32_e32 v0, s0
	v_mov_b32_e32 v2, 0
	v_mov_b32_e32 v1, s1
	s_mov_b64 s[0:1], 0
	global_store_dwordx2 v2, v[0:1], s[4:5] offset:64
.LBB43_29:                              ; =>This Inner Loop Header: Depth=1
	s_sub_u32 s8, s6, s0
	s_subb_u32 s9, s7, s1
	s_lshr_b64 s[8:9], s[8:9], 1
	s_add_u32 s8, s8, s0
	s_addc_u32 s9, s9, s1
	s_lshl_b64 s[10:11], s[8:9], 3
	s_add_u32 s10, s2, s10
	s_addc_u32 s11, s3, s11
	s_load_dwordx2 s[10:11], s[10:11], 0x0
	s_add_u32 s12, s8, 1
	s_addc_u32 s13, s9, 0
	s_waitcnt lgkmcnt(0)
	v_cmp_lt_u64_e64 s[10:11], s[10:11], 9
	s_and_b64 s[10:11], s[10:11], exec
	s_cselect_b32 s6, s6, s8
	s_cselect_b32 s7, s7, s9
	v_mov_b32_e32 v0, s6
	s_cselect_b32 s1, s13, s1
	s_cselect_b32 s0, s12, s0
	v_mov_b32_e32 v1, s7
	v_cmp_ge_i64_e32 vcc, s[0:1], v[0:1]
	s_cbranch_vccz .LBB43_29
.LBB43_30:
	s_lshl_b64 s[0:1], s[0:1], 3
	s_add_u32 s0, s2, s0
	s_addc_u32 s1, s3, s1
	s_sub_u32 s0, s0, s2
	s_subb_u32 s1, s1, s3
	s_ashr_i64 s[0:1], s[0:1], 3
	v_mov_b32_e32 v0, s0
	v_mov_b32_e32 v2, 0
	v_mov_b32_e32 v1, s1
	global_store_dwordx2 v2, v[0:1], s[4:5] offset:72
	s_endpgm
	.section	.rodata,"a",@progbits
	.p2align	6, 0x0
	.amdhsa_kernel _Z18lower_bound_kernelIyEvmPT_Pl
		.amdhsa_group_segment_fixed_size 0
		.amdhsa_private_segment_fixed_size 0
		.amdhsa_kernarg_size 24
		.amdhsa_user_sgpr_count 6
		.amdhsa_user_sgpr_private_segment_buffer 1
		.amdhsa_user_sgpr_dispatch_ptr 0
		.amdhsa_user_sgpr_queue_ptr 0
		.amdhsa_user_sgpr_kernarg_segment_ptr 1
		.amdhsa_user_sgpr_dispatch_id 0
		.amdhsa_user_sgpr_flat_scratch_init 0
		.amdhsa_user_sgpr_private_segment_size 0
		.amdhsa_uses_dynamic_stack 0
		.amdhsa_system_sgpr_private_segment_wavefront_offset 0
		.amdhsa_system_sgpr_workgroup_id_x 1
		.amdhsa_system_sgpr_workgroup_id_y 0
		.amdhsa_system_sgpr_workgroup_id_z 0
		.amdhsa_system_sgpr_workgroup_info 0
		.amdhsa_system_vgpr_workitem_id 0
		.amdhsa_next_free_vgpr 4
		.amdhsa_next_free_sgpr 18
		.amdhsa_reserve_vcc 1
		.amdhsa_reserve_flat_scratch 0
		.amdhsa_float_round_mode_32 0
		.amdhsa_float_round_mode_16_64 0
		.amdhsa_float_denorm_mode_32 3
		.amdhsa_float_denorm_mode_16_64 3
		.amdhsa_dx10_clamp 1
		.amdhsa_ieee_mode 1
		.amdhsa_fp16_overflow 0
		.amdhsa_exception_fp_ieee_invalid_op 0
		.amdhsa_exception_fp_denorm_src 0
		.amdhsa_exception_fp_ieee_div_zero 0
		.amdhsa_exception_fp_ieee_overflow 0
		.amdhsa_exception_fp_ieee_underflow 0
		.amdhsa_exception_fp_ieee_inexact 0
		.amdhsa_exception_int_div_zero 0
	.end_amdhsa_kernel
	.section	.text._Z18lower_bound_kernelIyEvmPT_Pl,"axG",@progbits,_Z18lower_bound_kernelIyEvmPT_Pl,comdat
.Lfunc_end43:
	.size	_Z18lower_bound_kernelIyEvmPT_Pl, .Lfunc_end43-_Z18lower_bound_kernelIyEvmPT_Pl
                                        ; -- End function
	.set _Z18lower_bound_kernelIyEvmPT_Pl.num_vgpr, 4
	.set _Z18lower_bound_kernelIyEvmPT_Pl.num_agpr, 0
	.set _Z18lower_bound_kernelIyEvmPT_Pl.numbered_sgpr, 18
	.set _Z18lower_bound_kernelIyEvmPT_Pl.num_named_barrier, 0
	.set _Z18lower_bound_kernelIyEvmPT_Pl.private_seg_size, 0
	.set _Z18lower_bound_kernelIyEvmPT_Pl.uses_vcc, 1
	.set _Z18lower_bound_kernelIyEvmPT_Pl.uses_flat_scratch, 0
	.set _Z18lower_bound_kernelIyEvmPT_Pl.has_dyn_sized_stack, 0
	.set _Z18lower_bound_kernelIyEvmPT_Pl.has_recursion, 0
	.set _Z18lower_bound_kernelIyEvmPT_Pl.has_indirect_call, 0
	.section	.AMDGPU.csdata,"",@progbits
; Kernel info:
; codeLenInByte = 1548
; TotalNumSgprs: 22
; NumVgprs: 4
; ScratchSize: 0
; MemoryBound: 0
; FloatMode: 240
; IeeeMode: 1
; LDSByteSize: 0 bytes/workgroup (compile time only)
; SGPRBlocks: 2
; VGPRBlocks: 0
; NumSGPRsForWavesPerEU: 22
; NumVGPRsForWavesPerEU: 4
; Occupancy: 10
; WaveLimiterHint : 0
; COMPUTE_PGM_RSRC2:SCRATCH_EN: 0
; COMPUTE_PGM_RSRC2:USER_SGPR: 6
; COMPUTE_PGM_RSRC2:TRAP_HANDLER: 0
; COMPUTE_PGM_RSRC2:TGID_X_EN: 1
; COMPUTE_PGM_RSRC2:TGID_Y_EN: 0
; COMPUTE_PGM_RSRC2:TGID_Z_EN: 0
; COMPUTE_PGM_RSRC2:TIDIG_COMP_CNT: 0
	.section	.text._ZN7rocprim17ROCPRIM_400000_NS6detail17trampoline_kernelINS0_14default_configENS1_27lower_bound_config_selectorIylEEZNS1_14transform_implILb0ES3_S5_N6thrust23THRUST_200600_302600_NS6detail15normal_iteratorINS8_7pointerIyNS8_11hip_rocprim5par_tENS8_11use_defaultESE_EEEENSA_INSB_IlSD_SE_SE_EEEEZNS1_13binary_searchIS3_S5_PySG_SI_NS1_21lower_bound_search_opENS9_16wrapped_functionI11custom_lessbEEEE10hipError_tPvRmT1_T2_T3_mmT4_T5_P12ihipStream_tbEUlRKyE_EESP_ST_SU_mSV_SY_bEUlT_E_NS1_11comp_targetILNS1_3genE0ELNS1_11target_archE4294967295ELNS1_3gpuE0ELNS1_3repE0EEENS1_30default_config_static_selectorELNS0_4arch9wavefront6targetE1EEEvSS_,"axG",@progbits,_ZN7rocprim17ROCPRIM_400000_NS6detail17trampoline_kernelINS0_14default_configENS1_27lower_bound_config_selectorIylEEZNS1_14transform_implILb0ES3_S5_N6thrust23THRUST_200600_302600_NS6detail15normal_iteratorINS8_7pointerIyNS8_11hip_rocprim5par_tENS8_11use_defaultESE_EEEENSA_INSB_IlSD_SE_SE_EEEEZNS1_13binary_searchIS3_S5_PySG_SI_NS1_21lower_bound_search_opENS9_16wrapped_functionI11custom_lessbEEEE10hipError_tPvRmT1_T2_T3_mmT4_T5_P12ihipStream_tbEUlRKyE_EESP_ST_SU_mSV_SY_bEUlT_E_NS1_11comp_targetILNS1_3genE0ELNS1_11target_archE4294967295ELNS1_3gpuE0ELNS1_3repE0EEENS1_30default_config_static_selectorELNS0_4arch9wavefront6targetE1EEEvSS_,comdat
	.protected	_ZN7rocprim17ROCPRIM_400000_NS6detail17trampoline_kernelINS0_14default_configENS1_27lower_bound_config_selectorIylEEZNS1_14transform_implILb0ES3_S5_N6thrust23THRUST_200600_302600_NS6detail15normal_iteratorINS8_7pointerIyNS8_11hip_rocprim5par_tENS8_11use_defaultESE_EEEENSA_INSB_IlSD_SE_SE_EEEEZNS1_13binary_searchIS3_S5_PySG_SI_NS1_21lower_bound_search_opENS9_16wrapped_functionI11custom_lessbEEEE10hipError_tPvRmT1_T2_T3_mmT4_T5_P12ihipStream_tbEUlRKyE_EESP_ST_SU_mSV_SY_bEUlT_E_NS1_11comp_targetILNS1_3genE0ELNS1_11target_archE4294967295ELNS1_3gpuE0ELNS1_3repE0EEENS1_30default_config_static_selectorELNS0_4arch9wavefront6targetE1EEEvSS_ ; -- Begin function _ZN7rocprim17ROCPRIM_400000_NS6detail17trampoline_kernelINS0_14default_configENS1_27lower_bound_config_selectorIylEEZNS1_14transform_implILb0ES3_S5_N6thrust23THRUST_200600_302600_NS6detail15normal_iteratorINS8_7pointerIyNS8_11hip_rocprim5par_tENS8_11use_defaultESE_EEEENSA_INSB_IlSD_SE_SE_EEEEZNS1_13binary_searchIS3_S5_PySG_SI_NS1_21lower_bound_search_opENS9_16wrapped_functionI11custom_lessbEEEE10hipError_tPvRmT1_T2_T3_mmT4_T5_P12ihipStream_tbEUlRKyE_EESP_ST_SU_mSV_SY_bEUlT_E_NS1_11comp_targetILNS1_3genE0ELNS1_11target_archE4294967295ELNS1_3gpuE0ELNS1_3repE0EEENS1_30default_config_static_selectorELNS0_4arch9wavefront6targetE1EEEvSS_
	.globl	_ZN7rocprim17ROCPRIM_400000_NS6detail17trampoline_kernelINS0_14default_configENS1_27lower_bound_config_selectorIylEEZNS1_14transform_implILb0ES3_S5_N6thrust23THRUST_200600_302600_NS6detail15normal_iteratorINS8_7pointerIyNS8_11hip_rocprim5par_tENS8_11use_defaultESE_EEEENSA_INSB_IlSD_SE_SE_EEEEZNS1_13binary_searchIS3_S5_PySG_SI_NS1_21lower_bound_search_opENS9_16wrapped_functionI11custom_lessbEEEE10hipError_tPvRmT1_T2_T3_mmT4_T5_P12ihipStream_tbEUlRKyE_EESP_ST_SU_mSV_SY_bEUlT_E_NS1_11comp_targetILNS1_3genE0ELNS1_11target_archE4294967295ELNS1_3gpuE0ELNS1_3repE0EEENS1_30default_config_static_selectorELNS0_4arch9wavefront6targetE1EEEvSS_
	.p2align	8
	.type	_ZN7rocprim17ROCPRIM_400000_NS6detail17trampoline_kernelINS0_14default_configENS1_27lower_bound_config_selectorIylEEZNS1_14transform_implILb0ES3_S5_N6thrust23THRUST_200600_302600_NS6detail15normal_iteratorINS8_7pointerIyNS8_11hip_rocprim5par_tENS8_11use_defaultESE_EEEENSA_INSB_IlSD_SE_SE_EEEEZNS1_13binary_searchIS3_S5_PySG_SI_NS1_21lower_bound_search_opENS9_16wrapped_functionI11custom_lessbEEEE10hipError_tPvRmT1_T2_T3_mmT4_T5_P12ihipStream_tbEUlRKyE_EESP_ST_SU_mSV_SY_bEUlT_E_NS1_11comp_targetILNS1_3genE0ELNS1_11target_archE4294967295ELNS1_3gpuE0ELNS1_3repE0EEENS1_30default_config_static_selectorELNS0_4arch9wavefront6targetE1EEEvSS_,@function
_ZN7rocprim17ROCPRIM_400000_NS6detail17trampoline_kernelINS0_14default_configENS1_27lower_bound_config_selectorIylEEZNS1_14transform_implILb0ES3_S5_N6thrust23THRUST_200600_302600_NS6detail15normal_iteratorINS8_7pointerIyNS8_11hip_rocprim5par_tENS8_11use_defaultESE_EEEENSA_INSB_IlSD_SE_SE_EEEEZNS1_13binary_searchIS3_S5_PySG_SI_NS1_21lower_bound_search_opENS9_16wrapped_functionI11custom_lessbEEEE10hipError_tPvRmT1_T2_T3_mmT4_T5_P12ihipStream_tbEUlRKyE_EESP_ST_SU_mSV_SY_bEUlT_E_NS1_11comp_targetILNS1_3genE0ELNS1_11target_archE4294967295ELNS1_3gpuE0ELNS1_3repE0EEENS1_30default_config_static_selectorELNS0_4arch9wavefront6targetE1EEEvSS_: ; @_ZN7rocprim17ROCPRIM_400000_NS6detail17trampoline_kernelINS0_14default_configENS1_27lower_bound_config_selectorIylEEZNS1_14transform_implILb0ES3_S5_N6thrust23THRUST_200600_302600_NS6detail15normal_iteratorINS8_7pointerIyNS8_11hip_rocprim5par_tENS8_11use_defaultESE_EEEENSA_INSB_IlSD_SE_SE_EEEEZNS1_13binary_searchIS3_S5_PySG_SI_NS1_21lower_bound_search_opENS9_16wrapped_functionI11custom_lessbEEEE10hipError_tPvRmT1_T2_T3_mmT4_T5_P12ihipStream_tbEUlRKyE_EESP_ST_SU_mSV_SY_bEUlT_E_NS1_11comp_targetILNS1_3genE0ELNS1_11target_archE4294967295ELNS1_3gpuE0ELNS1_3repE0EEENS1_30default_config_static_selectorELNS0_4arch9wavefront6targetE1EEEvSS_
; %bb.0:
	.section	.rodata,"a",@progbits
	.p2align	6, 0x0
	.amdhsa_kernel _ZN7rocprim17ROCPRIM_400000_NS6detail17trampoline_kernelINS0_14default_configENS1_27lower_bound_config_selectorIylEEZNS1_14transform_implILb0ES3_S5_N6thrust23THRUST_200600_302600_NS6detail15normal_iteratorINS8_7pointerIyNS8_11hip_rocprim5par_tENS8_11use_defaultESE_EEEENSA_INSB_IlSD_SE_SE_EEEEZNS1_13binary_searchIS3_S5_PySG_SI_NS1_21lower_bound_search_opENS9_16wrapped_functionI11custom_lessbEEEE10hipError_tPvRmT1_T2_T3_mmT4_T5_P12ihipStream_tbEUlRKyE_EESP_ST_SU_mSV_SY_bEUlT_E_NS1_11comp_targetILNS1_3genE0ELNS1_11target_archE4294967295ELNS1_3gpuE0ELNS1_3repE0EEENS1_30default_config_static_selectorELNS0_4arch9wavefront6targetE1EEEvSS_
		.amdhsa_group_segment_fixed_size 0
		.amdhsa_private_segment_fixed_size 0
		.amdhsa_kernarg_size 56
		.amdhsa_user_sgpr_count 6
		.amdhsa_user_sgpr_private_segment_buffer 1
		.amdhsa_user_sgpr_dispatch_ptr 0
		.amdhsa_user_sgpr_queue_ptr 0
		.amdhsa_user_sgpr_kernarg_segment_ptr 1
		.amdhsa_user_sgpr_dispatch_id 0
		.amdhsa_user_sgpr_flat_scratch_init 0
		.amdhsa_user_sgpr_private_segment_size 0
		.amdhsa_uses_dynamic_stack 0
		.amdhsa_system_sgpr_private_segment_wavefront_offset 0
		.amdhsa_system_sgpr_workgroup_id_x 1
		.amdhsa_system_sgpr_workgroup_id_y 0
		.amdhsa_system_sgpr_workgroup_id_z 0
		.amdhsa_system_sgpr_workgroup_info 0
		.amdhsa_system_vgpr_workitem_id 0
		.amdhsa_next_free_vgpr 1
		.amdhsa_next_free_sgpr 0
		.amdhsa_reserve_vcc 0
		.amdhsa_reserve_flat_scratch 0
		.amdhsa_float_round_mode_32 0
		.amdhsa_float_round_mode_16_64 0
		.amdhsa_float_denorm_mode_32 3
		.amdhsa_float_denorm_mode_16_64 3
		.amdhsa_dx10_clamp 1
		.amdhsa_ieee_mode 1
		.amdhsa_fp16_overflow 0
		.amdhsa_exception_fp_ieee_invalid_op 0
		.amdhsa_exception_fp_denorm_src 0
		.amdhsa_exception_fp_ieee_div_zero 0
		.amdhsa_exception_fp_ieee_overflow 0
		.amdhsa_exception_fp_ieee_underflow 0
		.amdhsa_exception_fp_ieee_inexact 0
		.amdhsa_exception_int_div_zero 0
	.end_amdhsa_kernel
	.section	.text._ZN7rocprim17ROCPRIM_400000_NS6detail17trampoline_kernelINS0_14default_configENS1_27lower_bound_config_selectorIylEEZNS1_14transform_implILb0ES3_S5_N6thrust23THRUST_200600_302600_NS6detail15normal_iteratorINS8_7pointerIyNS8_11hip_rocprim5par_tENS8_11use_defaultESE_EEEENSA_INSB_IlSD_SE_SE_EEEEZNS1_13binary_searchIS3_S5_PySG_SI_NS1_21lower_bound_search_opENS9_16wrapped_functionI11custom_lessbEEEE10hipError_tPvRmT1_T2_T3_mmT4_T5_P12ihipStream_tbEUlRKyE_EESP_ST_SU_mSV_SY_bEUlT_E_NS1_11comp_targetILNS1_3genE0ELNS1_11target_archE4294967295ELNS1_3gpuE0ELNS1_3repE0EEENS1_30default_config_static_selectorELNS0_4arch9wavefront6targetE1EEEvSS_,"axG",@progbits,_ZN7rocprim17ROCPRIM_400000_NS6detail17trampoline_kernelINS0_14default_configENS1_27lower_bound_config_selectorIylEEZNS1_14transform_implILb0ES3_S5_N6thrust23THRUST_200600_302600_NS6detail15normal_iteratorINS8_7pointerIyNS8_11hip_rocprim5par_tENS8_11use_defaultESE_EEEENSA_INSB_IlSD_SE_SE_EEEEZNS1_13binary_searchIS3_S5_PySG_SI_NS1_21lower_bound_search_opENS9_16wrapped_functionI11custom_lessbEEEE10hipError_tPvRmT1_T2_T3_mmT4_T5_P12ihipStream_tbEUlRKyE_EESP_ST_SU_mSV_SY_bEUlT_E_NS1_11comp_targetILNS1_3genE0ELNS1_11target_archE4294967295ELNS1_3gpuE0ELNS1_3repE0EEENS1_30default_config_static_selectorELNS0_4arch9wavefront6targetE1EEEvSS_,comdat
.Lfunc_end44:
	.size	_ZN7rocprim17ROCPRIM_400000_NS6detail17trampoline_kernelINS0_14default_configENS1_27lower_bound_config_selectorIylEEZNS1_14transform_implILb0ES3_S5_N6thrust23THRUST_200600_302600_NS6detail15normal_iteratorINS8_7pointerIyNS8_11hip_rocprim5par_tENS8_11use_defaultESE_EEEENSA_INSB_IlSD_SE_SE_EEEEZNS1_13binary_searchIS3_S5_PySG_SI_NS1_21lower_bound_search_opENS9_16wrapped_functionI11custom_lessbEEEE10hipError_tPvRmT1_T2_T3_mmT4_T5_P12ihipStream_tbEUlRKyE_EESP_ST_SU_mSV_SY_bEUlT_E_NS1_11comp_targetILNS1_3genE0ELNS1_11target_archE4294967295ELNS1_3gpuE0ELNS1_3repE0EEENS1_30default_config_static_selectorELNS0_4arch9wavefront6targetE1EEEvSS_, .Lfunc_end44-_ZN7rocprim17ROCPRIM_400000_NS6detail17trampoline_kernelINS0_14default_configENS1_27lower_bound_config_selectorIylEEZNS1_14transform_implILb0ES3_S5_N6thrust23THRUST_200600_302600_NS6detail15normal_iteratorINS8_7pointerIyNS8_11hip_rocprim5par_tENS8_11use_defaultESE_EEEENSA_INSB_IlSD_SE_SE_EEEEZNS1_13binary_searchIS3_S5_PySG_SI_NS1_21lower_bound_search_opENS9_16wrapped_functionI11custom_lessbEEEE10hipError_tPvRmT1_T2_T3_mmT4_T5_P12ihipStream_tbEUlRKyE_EESP_ST_SU_mSV_SY_bEUlT_E_NS1_11comp_targetILNS1_3genE0ELNS1_11target_archE4294967295ELNS1_3gpuE0ELNS1_3repE0EEENS1_30default_config_static_selectorELNS0_4arch9wavefront6targetE1EEEvSS_
                                        ; -- End function
	.set _ZN7rocprim17ROCPRIM_400000_NS6detail17trampoline_kernelINS0_14default_configENS1_27lower_bound_config_selectorIylEEZNS1_14transform_implILb0ES3_S5_N6thrust23THRUST_200600_302600_NS6detail15normal_iteratorINS8_7pointerIyNS8_11hip_rocprim5par_tENS8_11use_defaultESE_EEEENSA_INSB_IlSD_SE_SE_EEEEZNS1_13binary_searchIS3_S5_PySG_SI_NS1_21lower_bound_search_opENS9_16wrapped_functionI11custom_lessbEEEE10hipError_tPvRmT1_T2_T3_mmT4_T5_P12ihipStream_tbEUlRKyE_EESP_ST_SU_mSV_SY_bEUlT_E_NS1_11comp_targetILNS1_3genE0ELNS1_11target_archE4294967295ELNS1_3gpuE0ELNS1_3repE0EEENS1_30default_config_static_selectorELNS0_4arch9wavefront6targetE1EEEvSS_.num_vgpr, 0
	.set _ZN7rocprim17ROCPRIM_400000_NS6detail17trampoline_kernelINS0_14default_configENS1_27lower_bound_config_selectorIylEEZNS1_14transform_implILb0ES3_S5_N6thrust23THRUST_200600_302600_NS6detail15normal_iteratorINS8_7pointerIyNS8_11hip_rocprim5par_tENS8_11use_defaultESE_EEEENSA_INSB_IlSD_SE_SE_EEEEZNS1_13binary_searchIS3_S5_PySG_SI_NS1_21lower_bound_search_opENS9_16wrapped_functionI11custom_lessbEEEE10hipError_tPvRmT1_T2_T3_mmT4_T5_P12ihipStream_tbEUlRKyE_EESP_ST_SU_mSV_SY_bEUlT_E_NS1_11comp_targetILNS1_3genE0ELNS1_11target_archE4294967295ELNS1_3gpuE0ELNS1_3repE0EEENS1_30default_config_static_selectorELNS0_4arch9wavefront6targetE1EEEvSS_.num_agpr, 0
	.set _ZN7rocprim17ROCPRIM_400000_NS6detail17trampoline_kernelINS0_14default_configENS1_27lower_bound_config_selectorIylEEZNS1_14transform_implILb0ES3_S5_N6thrust23THRUST_200600_302600_NS6detail15normal_iteratorINS8_7pointerIyNS8_11hip_rocprim5par_tENS8_11use_defaultESE_EEEENSA_INSB_IlSD_SE_SE_EEEEZNS1_13binary_searchIS3_S5_PySG_SI_NS1_21lower_bound_search_opENS9_16wrapped_functionI11custom_lessbEEEE10hipError_tPvRmT1_T2_T3_mmT4_T5_P12ihipStream_tbEUlRKyE_EESP_ST_SU_mSV_SY_bEUlT_E_NS1_11comp_targetILNS1_3genE0ELNS1_11target_archE4294967295ELNS1_3gpuE0ELNS1_3repE0EEENS1_30default_config_static_selectorELNS0_4arch9wavefront6targetE1EEEvSS_.numbered_sgpr, 0
	.set _ZN7rocprim17ROCPRIM_400000_NS6detail17trampoline_kernelINS0_14default_configENS1_27lower_bound_config_selectorIylEEZNS1_14transform_implILb0ES3_S5_N6thrust23THRUST_200600_302600_NS6detail15normal_iteratorINS8_7pointerIyNS8_11hip_rocprim5par_tENS8_11use_defaultESE_EEEENSA_INSB_IlSD_SE_SE_EEEEZNS1_13binary_searchIS3_S5_PySG_SI_NS1_21lower_bound_search_opENS9_16wrapped_functionI11custom_lessbEEEE10hipError_tPvRmT1_T2_T3_mmT4_T5_P12ihipStream_tbEUlRKyE_EESP_ST_SU_mSV_SY_bEUlT_E_NS1_11comp_targetILNS1_3genE0ELNS1_11target_archE4294967295ELNS1_3gpuE0ELNS1_3repE0EEENS1_30default_config_static_selectorELNS0_4arch9wavefront6targetE1EEEvSS_.num_named_barrier, 0
	.set _ZN7rocprim17ROCPRIM_400000_NS6detail17trampoline_kernelINS0_14default_configENS1_27lower_bound_config_selectorIylEEZNS1_14transform_implILb0ES3_S5_N6thrust23THRUST_200600_302600_NS6detail15normal_iteratorINS8_7pointerIyNS8_11hip_rocprim5par_tENS8_11use_defaultESE_EEEENSA_INSB_IlSD_SE_SE_EEEEZNS1_13binary_searchIS3_S5_PySG_SI_NS1_21lower_bound_search_opENS9_16wrapped_functionI11custom_lessbEEEE10hipError_tPvRmT1_T2_T3_mmT4_T5_P12ihipStream_tbEUlRKyE_EESP_ST_SU_mSV_SY_bEUlT_E_NS1_11comp_targetILNS1_3genE0ELNS1_11target_archE4294967295ELNS1_3gpuE0ELNS1_3repE0EEENS1_30default_config_static_selectorELNS0_4arch9wavefront6targetE1EEEvSS_.private_seg_size, 0
	.set _ZN7rocprim17ROCPRIM_400000_NS6detail17trampoline_kernelINS0_14default_configENS1_27lower_bound_config_selectorIylEEZNS1_14transform_implILb0ES3_S5_N6thrust23THRUST_200600_302600_NS6detail15normal_iteratorINS8_7pointerIyNS8_11hip_rocprim5par_tENS8_11use_defaultESE_EEEENSA_INSB_IlSD_SE_SE_EEEEZNS1_13binary_searchIS3_S5_PySG_SI_NS1_21lower_bound_search_opENS9_16wrapped_functionI11custom_lessbEEEE10hipError_tPvRmT1_T2_T3_mmT4_T5_P12ihipStream_tbEUlRKyE_EESP_ST_SU_mSV_SY_bEUlT_E_NS1_11comp_targetILNS1_3genE0ELNS1_11target_archE4294967295ELNS1_3gpuE0ELNS1_3repE0EEENS1_30default_config_static_selectorELNS0_4arch9wavefront6targetE1EEEvSS_.uses_vcc, 0
	.set _ZN7rocprim17ROCPRIM_400000_NS6detail17trampoline_kernelINS0_14default_configENS1_27lower_bound_config_selectorIylEEZNS1_14transform_implILb0ES3_S5_N6thrust23THRUST_200600_302600_NS6detail15normal_iteratorINS8_7pointerIyNS8_11hip_rocprim5par_tENS8_11use_defaultESE_EEEENSA_INSB_IlSD_SE_SE_EEEEZNS1_13binary_searchIS3_S5_PySG_SI_NS1_21lower_bound_search_opENS9_16wrapped_functionI11custom_lessbEEEE10hipError_tPvRmT1_T2_T3_mmT4_T5_P12ihipStream_tbEUlRKyE_EESP_ST_SU_mSV_SY_bEUlT_E_NS1_11comp_targetILNS1_3genE0ELNS1_11target_archE4294967295ELNS1_3gpuE0ELNS1_3repE0EEENS1_30default_config_static_selectorELNS0_4arch9wavefront6targetE1EEEvSS_.uses_flat_scratch, 0
	.set _ZN7rocprim17ROCPRIM_400000_NS6detail17trampoline_kernelINS0_14default_configENS1_27lower_bound_config_selectorIylEEZNS1_14transform_implILb0ES3_S5_N6thrust23THRUST_200600_302600_NS6detail15normal_iteratorINS8_7pointerIyNS8_11hip_rocprim5par_tENS8_11use_defaultESE_EEEENSA_INSB_IlSD_SE_SE_EEEEZNS1_13binary_searchIS3_S5_PySG_SI_NS1_21lower_bound_search_opENS9_16wrapped_functionI11custom_lessbEEEE10hipError_tPvRmT1_T2_T3_mmT4_T5_P12ihipStream_tbEUlRKyE_EESP_ST_SU_mSV_SY_bEUlT_E_NS1_11comp_targetILNS1_3genE0ELNS1_11target_archE4294967295ELNS1_3gpuE0ELNS1_3repE0EEENS1_30default_config_static_selectorELNS0_4arch9wavefront6targetE1EEEvSS_.has_dyn_sized_stack, 0
	.set _ZN7rocprim17ROCPRIM_400000_NS6detail17trampoline_kernelINS0_14default_configENS1_27lower_bound_config_selectorIylEEZNS1_14transform_implILb0ES3_S5_N6thrust23THRUST_200600_302600_NS6detail15normal_iteratorINS8_7pointerIyNS8_11hip_rocprim5par_tENS8_11use_defaultESE_EEEENSA_INSB_IlSD_SE_SE_EEEEZNS1_13binary_searchIS3_S5_PySG_SI_NS1_21lower_bound_search_opENS9_16wrapped_functionI11custom_lessbEEEE10hipError_tPvRmT1_T2_T3_mmT4_T5_P12ihipStream_tbEUlRKyE_EESP_ST_SU_mSV_SY_bEUlT_E_NS1_11comp_targetILNS1_3genE0ELNS1_11target_archE4294967295ELNS1_3gpuE0ELNS1_3repE0EEENS1_30default_config_static_selectorELNS0_4arch9wavefront6targetE1EEEvSS_.has_recursion, 0
	.set _ZN7rocprim17ROCPRIM_400000_NS6detail17trampoline_kernelINS0_14default_configENS1_27lower_bound_config_selectorIylEEZNS1_14transform_implILb0ES3_S5_N6thrust23THRUST_200600_302600_NS6detail15normal_iteratorINS8_7pointerIyNS8_11hip_rocprim5par_tENS8_11use_defaultESE_EEEENSA_INSB_IlSD_SE_SE_EEEEZNS1_13binary_searchIS3_S5_PySG_SI_NS1_21lower_bound_search_opENS9_16wrapped_functionI11custom_lessbEEEE10hipError_tPvRmT1_T2_T3_mmT4_T5_P12ihipStream_tbEUlRKyE_EESP_ST_SU_mSV_SY_bEUlT_E_NS1_11comp_targetILNS1_3genE0ELNS1_11target_archE4294967295ELNS1_3gpuE0ELNS1_3repE0EEENS1_30default_config_static_selectorELNS0_4arch9wavefront6targetE1EEEvSS_.has_indirect_call, 0
	.section	.AMDGPU.csdata,"",@progbits
; Kernel info:
; codeLenInByte = 0
; TotalNumSgprs: 4
; NumVgprs: 0
; ScratchSize: 0
; MemoryBound: 0
; FloatMode: 240
; IeeeMode: 1
; LDSByteSize: 0 bytes/workgroup (compile time only)
; SGPRBlocks: 0
; VGPRBlocks: 0
; NumSGPRsForWavesPerEU: 4
; NumVGPRsForWavesPerEU: 1
; Occupancy: 10
; WaveLimiterHint : 0
; COMPUTE_PGM_RSRC2:SCRATCH_EN: 0
; COMPUTE_PGM_RSRC2:USER_SGPR: 6
; COMPUTE_PGM_RSRC2:TRAP_HANDLER: 0
; COMPUTE_PGM_RSRC2:TGID_X_EN: 1
; COMPUTE_PGM_RSRC2:TGID_Y_EN: 0
; COMPUTE_PGM_RSRC2:TGID_Z_EN: 0
; COMPUTE_PGM_RSRC2:TIDIG_COMP_CNT: 0
	.section	.text._ZN7rocprim17ROCPRIM_400000_NS6detail17trampoline_kernelINS0_14default_configENS1_27lower_bound_config_selectorIylEEZNS1_14transform_implILb0ES3_S5_N6thrust23THRUST_200600_302600_NS6detail15normal_iteratorINS8_7pointerIyNS8_11hip_rocprim5par_tENS8_11use_defaultESE_EEEENSA_INSB_IlSD_SE_SE_EEEEZNS1_13binary_searchIS3_S5_PySG_SI_NS1_21lower_bound_search_opENS9_16wrapped_functionI11custom_lessbEEEE10hipError_tPvRmT1_T2_T3_mmT4_T5_P12ihipStream_tbEUlRKyE_EESP_ST_SU_mSV_SY_bEUlT_E_NS1_11comp_targetILNS1_3genE5ELNS1_11target_archE942ELNS1_3gpuE9ELNS1_3repE0EEENS1_30default_config_static_selectorELNS0_4arch9wavefront6targetE1EEEvSS_,"axG",@progbits,_ZN7rocprim17ROCPRIM_400000_NS6detail17trampoline_kernelINS0_14default_configENS1_27lower_bound_config_selectorIylEEZNS1_14transform_implILb0ES3_S5_N6thrust23THRUST_200600_302600_NS6detail15normal_iteratorINS8_7pointerIyNS8_11hip_rocprim5par_tENS8_11use_defaultESE_EEEENSA_INSB_IlSD_SE_SE_EEEEZNS1_13binary_searchIS3_S5_PySG_SI_NS1_21lower_bound_search_opENS9_16wrapped_functionI11custom_lessbEEEE10hipError_tPvRmT1_T2_T3_mmT4_T5_P12ihipStream_tbEUlRKyE_EESP_ST_SU_mSV_SY_bEUlT_E_NS1_11comp_targetILNS1_3genE5ELNS1_11target_archE942ELNS1_3gpuE9ELNS1_3repE0EEENS1_30default_config_static_selectorELNS0_4arch9wavefront6targetE1EEEvSS_,comdat
	.protected	_ZN7rocprim17ROCPRIM_400000_NS6detail17trampoline_kernelINS0_14default_configENS1_27lower_bound_config_selectorIylEEZNS1_14transform_implILb0ES3_S5_N6thrust23THRUST_200600_302600_NS6detail15normal_iteratorINS8_7pointerIyNS8_11hip_rocprim5par_tENS8_11use_defaultESE_EEEENSA_INSB_IlSD_SE_SE_EEEEZNS1_13binary_searchIS3_S5_PySG_SI_NS1_21lower_bound_search_opENS9_16wrapped_functionI11custom_lessbEEEE10hipError_tPvRmT1_T2_T3_mmT4_T5_P12ihipStream_tbEUlRKyE_EESP_ST_SU_mSV_SY_bEUlT_E_NS1_11comp_targetILNS1_3genE5ELNS1_11target_archE942ELNS1_3gpuE9ELNS1_3repE0EEENS1_30default_config_static_selectorELNS0_4arch9wavefront6targetE1EEEvSS_ ; -- Begin function _ZN7rocprim17ROCPRIM_400000_NS6detail17trampoline_kernelINS0_14default_configENS1_27lower_bound_config_selectorIylEEZNS1_14transform_implILb0ES3_S5_N6thrust23THRUST_200600_302600_NS6detail15normal_iteratorINS8_7pointerIyNS8_11hip_rocprim5par_tENS8_11use_defaultESE_EEEENSA_INSB_IlSD_SE_SE_EEEEZNS1_13binary_searchIS3_S5_PySG_SI_NS1_21lower_bound_search_opENS9_16wrapped_functionI11custom_lessbEEEE10hipError_tPvRmT1_T2_T3_mmT4_T5_P12ihipStream_tbEUlRKyE_EESP_ST_SU_mSV_SY_bEUlT_E_NS1_11comp_targetILNS1_3genE5ELNS1_11target_archE942ELNS1_3gpuE9ELNS1_3repE0EEENS1_30default_config_static_selectorELNS0_4arch9wavefront6targetE1EEEvSS_
	.globl	_ZN7rocprim17ROCPRIM_400000_NS6detail17trampoline_kernelINS0_14default_configENS1_27lower_bound_config_selectorIylEEZNS1_14transform_implILb0ES3_S5_N6thrust23THRUST_200600_302600_NS6detail15normal_iteratorINS8_7pointerIyNS8_11hip_rocprim5par_tENS8_11use_defaultESE_EEEENSA_INSB_IlSD_SE_SE_EEEEZNS1_13binary_searchIS3_S5_PySG_SI_NS1_21lower_bound_search_opENS9_16wrapped_functionI11custom_lessbEEEE10hipError_tPvRmT1_T2_T3_mmT4_T5_P12ihipStream_tbEUlRKyE_EESP_ST_SU_mSV_SY_bEUlT_E_NS1_11comp_targetILNS1_3genE5ELNS1_11target_archE942ELNS1_3gpuE9ELNS1_3repE0EEENS1_30default_config_static_selectorELNS0_4arch9wavefront6targetE1EEEvSS_
	.p2align	8
	.type	_ZN7rocprim17ROCPRIM_400000_NS6detail17trampoline_kernelINS0_14default_configENS1_27lower_bound_config_selectorIylEEZNS1_14transform_implILb0ES3_S5_N6thrust23THRUST_200600_302600_NS6detail15normal_iteratorINS8_7pointerIyNS8_11hip_rocprim5par_tENS8_11use_defaultESE_EEEENSA_INSB_IlSD_SE_SE_EEEEZNS1_13binary_searchIS3_S5_PySG_SI_NS1_21lower_bound_search_opENS9_16wrapped_functionI11custom_lessbEEEE10hipError_tPvRmT1_T2_T3_mmT4_T5_P12ihipStream_tbEUlRKyE_EESP_ST_SU_mSV_SY_bEUlT_E_NS1_11comp_targetILNS1_3genE5ELNS1_11target_archE942ELNS1_3gpuE9ELNS1_3repE0EEENS1_30default_config_static_selectorELNS0_4arch9wavefront6targetE1EEEvSS_,@function
_ZN7rocprim17ROCPRIM_400000_NS6detail17trampoline_kernelINS0_14default_configENS1_27lower_bound_config_selectorIylEEZNS1_14transform_implILb0ES3_S5_N6thrust23THRUST_200600_302600_NS6detail15normal_iteratorINS8_7pointerIyNS8_11hip_rocprim5par_tENS8_11use_defaultESE_EEEENSA_INSB_IlSD_SE_SE_EEEEZNS1_13binary_searchIS3_S5_PySG_SI_NS1_21lower_bound_search_opENS9_16wrapped_functionI11custom_lessbEEEE10hipError_tPvRmT1_T2_T3_mmT4_T5_P12ihipStream_tbEUlRKyE_EESP_ST_SU_mSV_SY_bEUlT_E_NS1_11comp_targetILNS1_3genE5ELNS1_11target_archE942ELNS1_3gpuE9ELNS1_3repE0EEENS1_30default_config_static_selectorELNS0_4arch9wavefront6targetE1EEEvSS_: ; @_ZN7rocprim17ROCPRIM_400000_NS6detail17trampoline_kernelINS0_14default_configENS1_27lower_bound_config_selectorIylEEZNS1_14transform_implILb0ES3_S5_N6thrust23THRUST_200600_302600_NS6detail15normal_iteratorINS8_7pointerIyNS8_11hip_rocprim5par_tENS8_11use_defaultESE_EEEENSA_INSB_IlSD_SE_SE_EEEEZNS1_13binary_searchIS3_S5_PySG_SI_NS1_21lower_bound_search_opENS9_16wrapped_functionI11custom_lessbEEEE10hipError_tPvRmT1_T2_T3_mmT4_T5_P12ihipStream_tbEUlRKyE_EESP_ST_SU_mSV_SY_bEUlT_E_NS1_11comp_targetILNS1_3genE5ELNS1_11target_archE942ELNS1_3gpuE9ELNS1_3repE0EEENS1_30default_config_static_selectorELNS0_4arch9wavefront6targetE1EEEvSS_
; %bb.0:
	.section	.rodata,"a",@progbits
	.p2align	6, 0x0
	.amdhsa_kernel _ZN7rocprim17ROCPRIM_400000_NS6detail17trampoline_kernelINS0_14default_configENS1_27lower_bound_config_selectorIylEEZNS1_14transform_implILb0ES3_S5_N6thrust23THRUST_200600_302600_NS6detail15normal_iteratorINS8_7pointerIyNS8_11hip_rocprim5par_tENS8_11use_defaultESE_EEEENSA_INSB_IlSD_SE_SE_EEEEZNS1_13binary_searchIS3_S5_PySG_SI_NS1_21lower_bound_search_opENS9_16wrapped_functionI11custom_lessbEEEE10hipError_tPvRmT1_T2_T3_mmT4_T5_P12ihipStream_tbEUlRKyE_EESP_ST_SU_mSV_SY_bEUlT_E_NS1_11comp_targetILNS1_3genE5ELNS1_11target_archE942ELNS1_3gpuE9ELNS1_3repE0EEENS1_30default_config_static_selectorELNS0_4arch9wavefront6targetE1EEEvSS_
		.amdhsa_group_segment_fixed_size 0
		.amdhsa_private_segment_fixed_size 0
		.amdhsa_kernarg_size 56
		.amdhsa_user_sgpr_count 6
		.amdhsa_user_sgpr_private_segment_buffer 1
		.amdhsa_user_sgpr_dispatch_ptr 0
		.amdhsa_user_sgpr_queue_ptr 0
		.amdhsa_user_sgpr_kernarg_segment_ptr 1
		.amdhsa_user_sgpr_dispatch_id 0
		.amdhsa_user_sgpr_flat_scratch_init 0
		.amdhsa_user_sgpr_private_segment_size 0
		.amdhsa_uses_dynamic_stack 0
		.amdhsa_system_sgpr_private_segment_wavefront_offset 0
		.amdhsa_system_sgpr_workgroup_id_x 1
		.amdhsa_system_sgpr_workgroup_id_y 0
		.amdhsa_system_sgpr_workgroup_id_z 0
		.amdhsa_system_sgpr_workgroup_info 0
		.amdhsa_system_vgpr_workitem_id 0
		.amdhsa_next_free_vgpr 1
		.amdhsa_next_free_sgpr 0
		.amdhsa_reserve_vcc 0
		.amdhsa_reserve_flat_scratch 0
		.amdhsa_float_round_mode_32 0
		.amdhsa_float_round_mode_16_64 0
		.amdhsa_float_denorm_mode_32 3
		.amdhsa_float_denorm_mode_16_64 3
		.amdhsa_dx10_clamp 1
		.amdhsa_ieee_mode 1
		.amdhsa_fp16_overflow 0
		.amdhsa_exception_fp_ieee_invalid_op 0
		.amdhsa_exception_fp_denorm_src 0
		.amdhsa_exception_fp_ieee_div_zero 0
		.amdhsa_exception_fp_ieee_overflow 0
		.amdhsa_exception_fp_ieee_underflow 0
		.amdhsa_exception_fp_ieee_inexact 0
		.amdhsa_exception_int_div_zero 0
	.end_amdhsa_kernel
	.section	.text._ZN7rocprim17ROCPRIM_400000_NS6detail17trampoline_kernelINS0_14default_configENS1_27lower_bound_config_selectorIylEEZNS1_14transform_implILb0ES3_S5_N6thrust23THRUST_200600_302600_NS6detail15normal_iteratorINS8_7pointerIyNS8_11hip_rocprim5par_tENS8_11use_defaultESE_EEEENSA_INSB_IlSD_SE_SE_EEEEZNS1_13binary_searchIS3_S5_PySG_SI_NS1_21lower_bound_search_opENS9_16wrapped_functionI11custom_lessbEEEE10hipError_tPvRmT1_T2_T3_mmT4_T5_P12ihipStream_tbEUlRKyE_EESP_ST_SU_mSV_SY_bEUlT_E_NS1_11comp_targetILNS1_3genE5ELNS1_11target_archE942ELNS1_3gpuE9ELNS1_3repE0EEENS1_30default_config_static_selectorELNS0_4arch9wavefront6targetE1EEEvSS_,"axG",@progbits,_ZN7rocprim17ROCPRIM_400000_NS6detail17trampoline_kernelINS0_14default_configENS1_27lower_bound_config_selectorIylEEZNS1_14transform_implILb0ES3_S5_N6thrust23THRUST_200600_302600_NS6detail15normal_iteratorINS8_7pointerIyNS8_11hip_rocprim5par_tENS8_11use_defaultESE_EEEENSA_INSB_IlSD_SE_SE_EEEEZNS1_13binary_searchIS3_S5_PySG_SI_NS1_21lower_bound_search_opENS9_16wrapped_functionI11custom_lessbEEEE10hipError_tPvRmT1_T2_T3_mmT4_T5_P12ihipStream_tbEUlRKyE_EESP_ST_SU_mSV_SY_bEUlT_E_NS1_11comp_targetILNS1_3genE5ELNS1_11target_archE942ELNS1_3gpuE9ELNS1_3repE0EEENS1_30default_config_static_selectorELNS0_4arch9wavefront6targetE1EEEvSS_,comdat
.Lfunc_end45:
	.size	_ZN7rocprim17ROCPRIM_400000_NS6detail17trampoline_kernelINS0_14default_configENS1_27lower_bound_config_selectorIylEEZNS1_14transform_implILb0ES3_S5_N6thrust23THRUST_200600_302600_NS6detail15normal_iteratorINS8_7pointerIyNS8_11hip_rocprim5par_tENS8_11use_defaultESE_EEEENSA_INSB_IlSD_SE_SE_EEEEZNS1_13binary_searchIS3_S5_PySG_SI_NS1_21lower_bound_search_opENS9_16wrapped_functionI11custom_lessbEEEE10hipError_tPvRmT1_T2_T3_mmT4_T5_P12ihipStream_tbEUlRKyE_EESP_ST_SU_mSV_SY_bEUlT_E_NS1_11comp_targetILNS1_3genE5ELNS1_11target_archE942ELNS1_3gpuE9ELNS1_3repE0EEENS1_30default_config_static_selectorELNS0_4arch9wavefront6targetE1EEEvSS_, .Lfunc_end45-_ZN7rocprim17ROCPRIM_400000_NS6detail17trampoline_kernelINS0_14default_configENS1_27lower_bound_config_selectorIylEEZNS1_14transform_implILb0ES3_S5_N6thrust23THRUST_200600_302600_NS6detail15normal_iteratorINS8_7pointerIyNS8_11hip_rocprim5par_tENS8_11use_defaultESE_EEEENSA_INSB_IlSD_SE_SE_EEEEZNS1_13binary_searchIS3_S5_PySG_SI_NS1_21lower_bound_search_opENS9_16wrapped_functionI11custom_lessbEEEE10hipError_tPvRmT1_T2_T3_mmT4_T5_P12ihipStream_tbEUlRKyE_EESP_ST_SU_mSV_SY_bEUlT_E_NS1_11comp_targetILNS1_3genE5ELNS1_11target_archE942ELNS1_3gpuE9ELNS1_3repE0EEENS1_30default_config_static_selectorELNS0_4arch9wavefront6targetE1EEEvSS_
                                        ; -- End function
	.set _ZN7rocprim17ROCPRIM_400000_NS6detail17trampoline_kernelINS0_14default_configENS1_27lower_bound_config_selectorIylEEZNS1_14transform_implILb0ES3_S5_N6thrust23THRUST_200600_302600_NS6detail15normal_iteratorINS8_7pointerIyNS8_11hip_rocprim5par_tENS8_11use_defaultESE_EEEENSA_INSB_IlSD_SE_SE_EEEEZNS1_13binary_searchIS3_S5_PySG_SI_NS1_21lower_bound_search_opENS9_16wrapped_functionI11custom_lessbEEEE10hipError_tPvRmT1_T2_T3_mmT4_T5_P12ihipStream_tbEUlRKyE_EESP_ST_SU_mSV_SY_bEUlT_E_NS1_11comp_targetILNS1_3genE5ELNS1_11target_archE942ELNS1_3gpuE9ELNS1_3repE0EEENS1_30default_config_static_selectorELNS0_4arch9wavefront6targetE1EEEvSS_.num_vgpr, 0
	.set _ZN7rocprim17ROCPRIM_400000_NS6detail17trampoline_kernelINS0_14default_configENS1_27lower_bound_config_selectorIylEEZNS1_14transform_implILb0ES3_S5_N6thrust23THRUST_200600_302600_NS6detail15normal_iteratorINS8_7pointerIyNS8_11hip_rocprim5par_tENS8_11use_defaultESE_EEEENSA_INSB_IlSD_SE_SE_EEEEZNS1_13binary_searchIS3_S5_PySG_SI_NS1_21lower_bound_search_opENS9_16wrapped_functionI11custom_lessbEEEE10hipError_tPvRmT1_T2_T3_mmT4_T5_P12ihipStream_tbEUlRKyE_EESP_ST_SU_mSV_SY_bEUlT_E_NS1_11comp_targetILNS1_3genE5ELNS1_11target_archE942ELNS1_3gpuE9ELNS1_3repE0EEENS1_30default_config_static_selectorELNS0_4arch9wavefront6targetE1EEEvSS_.num_agpr, 0
	.set _ZN7rocprim17ROCPRIM_400000_NS6detail17trampoline_kernelINS0_14default_configENS1_27lower_bound_config_selectorIylEEZNS1_14transform_implILb0ES3_S5_N6thrust23THRUST_200600_302600_NS6detail15normal_iteratorINS8_7pointerIyNS8_11hip_rocprim5par_tENS8_11use_defaultESE_EEEENSA_INSB_IlSD_SE_SE_EEEEZNS1_13binary_searchIS3_S5_PySG_SI_NS1_21lower_bound_search_opENS9_16wrapped_functionI11custom_lessbEEEE10hipError_tPvRmT1_T2_T3_mmT4_T5_P12ihipStream_tbEUlRKyE_EESP_ST_SU_mSV_SY_bEUlT_E_NS1_11comp_targetILNS1_3genE5ELNS1_11target_archE942ELNS1_3gpuE9ELNS1_3repE0EEENS1_30default_config_static_selectorELNS0_4arch9wavefront6targetE1EEEvSS_.numbered_sgpr, 0
	.set _ZN7rocprim17ROCPRIM_400000_NS6detail17trampoline_kernelINS0_14default_configENS1_27lower_bound_config_selectorIylEEZNS1_14transform_implILb0ES3_S5_N6thrust23THRUST_200600_302600_NS6detail15normal_iteratorINS8_7pointerIyNS8_11hip_rocprim5par_tENS8_11use_defaultESE_EEEENSA_INSB_IlSD_SE_SE_EEEEZNS1_13binary_searchIS3_S5_PySG_SI_NS1_21lower_bound_search_opENS9_16wrapped_functionI11custom_lessbEEEE10hipError_tPvRmT1_T2_T3_mmT4_T5_P12ihipStream_tbEUlRKyE_EESP_ST_SU_mSV_SY_bEUlT_E_NS1_11comp_targetILNS1_3genE5ELNS1_11target_archE942ELNS1_3gpuE9ELNS1_3repE0EEENS1_30default_config_static_selectorELNS0_4arch9wavefront6targetE1EEEvSS_.num_named_barrier, 0
	.set _ZN7rocprim17ROCPRIM_400000_NS6detail17trampoline_kernelINS0_14default_configENS1_27lower_bound_config_selectorIylEEZNS1_14transform_implILb0ES3_S5_N6thrust23THRUST_200600_302600_NS6detail15normal_iteratorINS8_7pointerIyNS8_11hip_rocprim5par_tENS8_11use_defaultESE_EEEENSA_INSB_IlSD_SE_SE_EEEEZNS1_13binary_searchIS3_S5_PySG_SI_NS1_21lower_bound_search_opENS9_16wrapped_functionI11custom_lessbEEEE10hipError_tPvRmT1_T2_T3_mmT4_T5_P12ihipStream_tbEUlRKyE_EESP_ST_SU_mSV_SY_bEUlT_E_NS1_11comp_targetILNS1_3genE5ELNS1_11target_archE942ELNS1_3gpuE9ELNS1_3repE0EEENS1_30default_config_static_selectorELNS0_4arch9wavefront6targetE1EEEvSS_.private_seg_size, 0
	.set _ZN7rocprim17ROCPRIM_400000_NS6detail17trampoline_kernelINS0_14default_configENS1_27lower_bound_config_selectorIylEEZNS1_14transform_implILb0ES3_S5_N6thrust23THRUST_200600_302600_NS6detail15normal_iteratorINS8_7pointerIyNS8_11hip_rocprim5par_tENS8_11use_defaultESE_EEEENSA_INSB_IlSD_SE_SE_EEEEZNS1_13binary_searchIS3_S5_PySG_SI_NS1_21lower_bound_search_opENS9_16wrapped_functionI11custom_lessbEEEE10hipError_tPvRmT1_T2_T3_mmT4_T5_P12ihipStream_tbEUlRKyE_EESP_ST_SU_mSV_SY_bEUlT_E_NS1_11comp_targetILNS1_3genE5ELNS1_11target_archE942ELNS1_3gpuE9ELNS1_3repE0EEENS1_30default_config_static_selectorELNS0_4arch9wavefront6targetE1EEEvSS_.uses_vcc, 0
	.set _ZN7rocprim17ROCPRIM_400000_NS6detail17trampoline_kernelINS0_14default_configENS1_27lower_bound_config_selectorIylEEZNS1_14transform_implILb0ES3_S5_N6thrust23THRUST_200600_302600_NS6detail15normal_iteratorINS8_7pointerIyNS8_11hip_rocprim5par_tENS8_11use_defaultESE_EEEENSA_INSB_IlSD_SE_SE_EEEEZNS1_13binary_searchIS3_S5_PySG_SI_NS1_21lower_bound_search_opENS9_16wrapped_functionI11custom_lessbEEEE10hipError_tPvRmT1_T2_T3_mmT4_T5_P12ihipStream_tbEUlRKyE_EESP_ST_SU_mSV_SY_bEUlT_E_NS1_11comp_targetILNS1_3genE5ELNS1_11target_archE942ELNS1_3gpuE9ELNS1_3repE0EEENS1_30default_config_static_selectorELNS0_4arch9wavefront6targetE1EEEvSS_.uses_flat_scratch, 0
	.set _ZN7rocprim17ROCPRIM_400000_NS6detail17trampoline_kernelINS0_14default_configENS1_27lower_bound_config_selectorIylEEZNS1_14transform_implILb0ES3_S5_N6thrust23THRUST_200600_302600_NS6detail15normal_iteratorINS8_7pointerIyNS8_11hip_rocprim5par_tENS8_11use_defaultESE_EEEENSA_INSB_IlSD_SE_SE_EEEEZNS1_13binary_searchIS3_S5_PySG_SI_NS1_21lower_bound_search_opENS9_16wrapped_functionI11custom_lessbEEEE10hipError_tPvRmT1_T2_T3_mmT4_T5_P12ihipStream_tbEUlRKyE_EESP_ST_SU_mSV_SY_bEUlT_E_NS1_11comp_targetILNS1_3genE5ELNS1_11target_archE942ELNS1_3gpuE9ELNS1_3repE0EEENS1_30default_config_static_selectorELNS0_4arch9wavefront6targetE1EEEvSS_.has_dyn_sized_stack, 0
	.set _ZN7rocprim17ROCPRIM_400000_NS6detail17trampoline_kernelINS0_14default_configENS1_27lower_bound_config_selectorIylEEZNS1_14transform_implILb0ES3_S5_N6thrust23THRUST_200600_302600_NS6detail15normal_iteratorINS8_7pointerIyNS8_11hip_rocprim5par_tENS8_11use_defaultESE_EEEENSA_INSB_IlSD_SE_SE_EEEEZNS1_13binary_searchIS3_S5_PySG_SI_NS1_21lower_bound_search_opENS9_16wrapped_functionI11custom_lessbEEEE10hipError_tPvRmT1_T2_T3_mmT4_T5_P12ihipStream_tbEUlRKyE_EESP_ST_SU_mSV_SY_bEUlT_E_NS1_11comp_targetILNS1_3genE5ELNS1_11target_archE942ELNS1_3gpuE9ELNS1_3repE0EEENS1_30default_config_static_selectorELNS0_4arch9wavefront6targetE1EEEvSS_.has_recursion, 0
	.set _ZN7rocprim17ROCPRIM_400000_NS6detail17trampoline_kernelINS0_14default_configENS1_27lower_bound_config_selectorIylEEZNS1_14transform_implILb0ES3_S5_N6thrust23THRUST_200600_302600_NS6detail15normal_iteratorINS8_7pointerIyNS8_11hip_rocprim5par_tENS8_11use_defaultESE_EEEENSA_INSB_IlSD_SE_SE_EEEEZNS1_13binary_searchIS3_S5_PySG_SI_NS1_21lower_bound_search_opENS9_16wrapped_functionI11custom_lessbEEEE10hipError_tPvRmT1_T2_T3_mmT4_T5_P12ihipStream_tbEUlRKyE_EESP_ST_SU_mSV_SY_bEUlT_E_NS1_11comp_targetILNS1_3genE5ELNS1_11target_archE942ELNS1_3gpuE9ELNS1_3repE0EEENS1_30default_config_static_selectorELNS0_4arch9wavefront6targetE1EEEvSS_.has_indirect_call, 0
	.section	.AMDGPU.csdata,"",@progbits
; Kernel info:
; codeLenInByte = 0
; TotalNumSgprs: 4
; NumVgprs: 0
; ScratchSize: 0
; MemoryBound: 0
; FloatMode: 240
; IeeeMode: 1
; LDSByteSize: 0 bytes/workgroup (compile time only)
; SGPRBlocks: 0
; VGPRBlocks: 0
; NumSGPRsForWavesPerEU: 4
; NumVGPRsForWavesPerEU: 1
; Occupancy: 10
; WaveLimiterHint : 0
; COMPUTE_PGM_RSRC2:SCRATCH_EN: 0
; COMPUTE_PGM_RSRC2:USER_SGPR: 6
; COMPUTE_PGM_RSRC2:TRAP_HANDLER: 0
; COMPUTE_PGM_RSRC2:TGID_X_EN: 1
; COMPUTE_PGM_RSRC2:TGID_Y_EN: 0
; COMPUTE_PGM_RSRC2:TGID_Z_EN: 0
; COMPUTE_PGM_RSRC2:TIDIG_COMP_CNT: 0
	.section	.text._ZN7rocprim17ROCPRIM_400000_NS6detail17trampoline_kernelINS0_14default_configENS1_27lower_bound_config_selectorIylEEZNS1_14transform_implILb0ES3_S5_N6thrust23THRUST_200600_302600_NS6detail15normal_iteratorINS8_7pointerIyNS8_11hip_rocprim5par_tENS8_11use_defaultESE_EEEENSA_INSB_IlSD_SE_SE_EEEEZNS1_13binary_searchIS3_S5_PySG_SI_NS1_21lower_bound_search_opENS9_16wrapped_functionI11custom_lessbEEEE10hipError_tPvRmT1_T2_T3_mmT4_T5_P12ihipStream_tbEUlRKyE_EESP_ST_SU_mSV_SY_bEUlT_E_NS1_11comp_targetILNS1_3genE4ELNS1_11target_archE910ELNS1_3gpuE8ELNS1_3repE0EEENS1_30default_config_static_selectorELNS0_4arch9wavefront6targetE1EEEvSS_,"axG",@progbits,_ZN7rocprim17ROCPRIM_400000_NS6detail17trampoline_kernelINS0_14default_configENS1_27lower_bound_config_selectorIylEEZNS1_14transform_implILb0ES3_S5_N6thrust23THRUST_200600_302600_NS6detail15normal_iteratorINS8_7pointerIyNS8_11hip_rocprim5par_tENS8_11use_defaultESE_EEEENSA_INSB_IlSD_SE_SE_EEEEZNS1_13binary_searchIS3_S5_PySG_SI_NS1_21lower_bound_search_opENS9_16wrapped_functionI11custom_lessbEEEE10hipError_tPvRmT1_T2_T3_mmT4_T5_P12ihipStream_tbEUlRKyE_EESP_ST_SU_mSV_SY_bEUlT_E_NS1_11comp_targetILNS1_3genE4ELNS1_11target_archE910ELNS1_3gpuE8ELNS1_3repE0EEENS1_30default_config_static_selectorELNS0_4arch9wavefront6targetE1EEEvSS_,comdat
	.protected	_ZN7rocprim17ROCPRIM_400000_NS6detail17trampoline_kernelINS0_14default_configENS1_27lower_bound_config_selectorIylEEZNS1_14transform_implILb0ES3_S5_N6thrust23THRUST_200600_302600_NS6detail15normal_iteratorINS8_7pointerIyNS8_11hip_rocprim5par_tENS8_11use_defaultESE_EEEENSA_INSB_IlSD_SE_SE_EEEEZNS1_13binary_searchIS3_S5_PySG_SI_NS1_21lower_bound_search_opENS9_16wrapped_functionI11custom_lessbEEEE10hipError_tPvRmT1_T2_T3_mmT4_T5_P12ihipStream_tbEUlRKyE_EESP_ST_SU_mSV_SY_bEUlT_E_NS1_11comp_targetILNS1_3genE4ELNS1_11target_archE910ELNS1_3gpuE8ELNS1_3repE0EEENS1_30default_config_static_selectorELNS0_4arch9wavefront6targetE1EEEvSS_ ; -- Begin function _ZN7rocprim17ROCPRIM_400000_NS6detail17trampoline_kernelINS0_14default_configENS1_27lower_bound_config_selectorIylEEZNS1_14transform_implILb0ES3_S5_N6thrust23THRUST_200600_302600_NS6detail15normal_iteratorINS8_7pointerIyNS8_11hip_rocprim5par_tENS8_11use_defaultESE_EEEENSA_INSB_IlSD_SE_SE_EEEEZNS1_13binary_searchIS3_S5_PySG_SI_NS1_21lower_bound_search_opENS9_16wrapped_functionI11custom_lessbEEEE10hipError_tPvRmT1_T2_T3_mmT4_T5_P12ihipStream_tbEUlRKyE_EESP_ST_SU_mSV_SY_bEUlT_E_NS1_11comp_targetILNS1_3genE4ELNS1_11target_archE910ELNS1_3gpuE8ELNS1_3repE0EEENS1_30default_config_static_selectorELNS0_4arch9wavefront6targetE1EEEvSS_
	.globl	_ZN7rocprim17ROCPRIM_400000_NS6detail17trampoline_kernelINS0_14default_configENS1_27lower_bound_config_selectorIylEEZNS1_14transform_implILb0ES3_S5_N6thrust23THRUST_200600_302600_NS6detail15normal_iteratorINS8_7pointerIyNS8_11hip_rocprim5par_tENS8_11use_defaultESE_EEEENSA_INSB_IlSD_SE_SE_EEEEZNS1_13binary_searchIS3_S5_PySG_SI_NS1_21lower_bound_search_opENS9_16wrapped_functionI11custom_lessbEEEE10hipError_tPvRmT1_T2_T3_mmT4_T5_P12ihipStream_tbEUlRKyE_EESP_ST_SU_mSV_SY_bEUlT_E_NS1_11comp_targetILNS1_3genE4ELNS1_11target_archE910ELNS1_3gpuE8ELNS1_3repE0EEENS1_30default_config_static_selectorELNS0_4arch9wavefront6targetE1EEEvSS_
	.p2align	8
	.type	_ZN7rocprim17ROCPRIM_400000_NS6detail17trampoline_kernelINS0_14default_configENS1_27lower_bound_config_selectorIylEEZNS1_14transform_implILb0ES3_S5_N6thrust23THRUST_200600_302600_NS6detail15normal_iteratorINS8_7pointerIyNS8_11hip_rocprim5par_tENS8_11use_defaultESE_EEEENSA_INSB_IlSD_SE_SE_EEEEZNS1_13binary_searchIS3_S5_PySG_SI_NS1_21lower_bound_search_opENS9_16wrapped_functionI11custom_lessbEEEE10hipError_tPvRmT1_T2_T3_mmT4_T5_P12ihipStream_tbEUlRKyE_EESP_ST_SU_mSV_SY_bEUlT_E_NS1_11comp_targetILNS1_3genE4ELNS1_11target_archE910ELNS1_3gpuE8ELNS1_3repE0EEENS1_30default_config_static_selectorELNS0_4arch9wavefront6targetE1EEEvSS_,@function
_ZN7rocprim17ROCPRIM_400000_NS6detail17trampoline_kernelINS0_14default_configENS1_27lower_bound_config_selectorIylEEZNS1_14transform_implILb0ES3_S5_N6thrust23THRUST_200600_302600_NS6detail15normal_iteratorINS8_7pointerIyNS8_11hip_rocprim5par_tENS8_11use_defaultESE_EEEENSA_INSB_IlSD_SE_SE_EEEEZNS1_13binary_searchIS3_S5_PySG_SI_NS1_21lower_bound_search_opENS9_16wrapped_functionI11custom_lessbEEEE10hipError_tPvRmT1_T2_T3_mmT4_T5_P12ihipStream_tbEUlRKyE_EESP_ST_SU_mSV_SY_bEUlT_E_NS1_11comp_targetILNS1_3genE4ELNS1_11target_archE910ELNS1_3gpuE8ELNS1_3repE0EEENS1_30default_config_static_selectorELNS0_4arch9wavefront6targetE1EEEvSS_: ; @_ZN7rocprim17ROCPRIM_400000_NS6detail17trampoline_kernelINS0_14default_configENS1_27lower_bound_config_selectorIylEEZNS1_14transform_implILb0ES3_S5_N6thrust23THRUST_200600_302600_NS6detail15normal_iteratorINS8_7pointerIyNS8_11hip_rocprim5par_tENS8_11use_defaultESE_EEEENSA_INSB_IlSD_SE_SE_EEEEZNS1_13binary_searchIS3_S5_PySG_SI_NS1_21lower_bound_search_opENS9_16wrapped_functionI11custom_lessbEEEE10hipError_tPvRmT1_T2_T3_mmT4_T5_P12ihipStream_tbEUlRKyE_EESP_ST_SU_mSV_SY_bEUlT_E_NS1_11comp_targetILNS1_3genE4ELNS1_11target_archE910ELNS1_3gpuE8ELNS1_3repE0EEENS1_30default_config_static_selectorELNS0_4arch9wavefront6targetE1EEEvSS_
; %bb.0:
	.section	.rodata,"a",@progbits
	.p2align	6, 0x0
	.amdhsa_kernel _ZN7rocprim17ROCPRIM_400000_NS6detail17trampoline_kernelINS0_14default_configENS1_27lower_bound_config_selectorIylEEZNS1_14transform_implILb0ES3_S5_N6thrust23THRUST_200600_302600_NS6detail15normal_iteratorINS8_7pointerIyNS8_11hip_rocprim5par_tENS8_11use_defaultESE_EEEENSA_INSB_IlSD_SE_SE_EEEEZNS1_13binary_searchIS3_S5_PySG_SI_NS1_21lower_bound_search_opENS9_16wrapped_functionI11custom_lessbEEEE10hipError_tPvRmT1_T2_T3_mmT4_T5_P12ihipStream_tbEUlRKyE_EESP_ST_SU_mSV_SY_bEUlT_E_NS1_11comp_targetILNS1_3genE4ELNS1_11target_archE910ELNS1_3gpuE8ELNS1_3repE0EEENS1_30default_config_static_selectorELNS0_4arch9wavefront6targetE1EEEvSS_
		.amdhsa_group_segment_fixed_size 0
		.amdhsa_private_segment_fixed_size 0
		.amdhsa_kernarg_size 56
		.amdhsa_user_sgpr_count 6
		.amdhsa_user_sgpr_private_segment_buffer 1
		.amdhsa_user_sgpr_dispatch_ptr 0
		.amdhsa_user_sgpr_queue_ptr 0
		.amdhsa_user_sgpr_kernarg_segment_ptr 1
		.amdhsa_user_sgpr_dispatch_id 0
		.amdhsa_user_sgpr_flat_scratch_init 0
		.amdhsa_user_sgpr_private_segment_size 0
		.amdhsa_uses_dynamic_stack 0
		.amdhsa_system_sgpr_private_segment_wavefront_offset 0
		.amdhsa_system_sgpr_workgroup_id_x 1
		.amdhsa_system_sgpr_workgroup_id_y 0
		.amdhsa_system_sgpr_workgroup_id_z 0
		.amdhsa_system_sgpr_workgroup_info 0
		.amdhsa_system_vgpr_workitem_id 0
		.amdhsa_next_free_vgpr 1
		.amdhsa_next_free_sgpr 0
		.amdhsa_reserve_vcc 0
		.amdhsa_reserve_flat_scratch 0
		.amdhsa_float_round_mode_32 0
		.amdhsa_float_round_mode_16_64 0
		.amdhsa_float_denorm_mode_32 3
		.amdhsa_float_denorm_mode_16_64 3
		.amdhsa_dx10_clamp 1
		.amdhsa_ieee_mode 1
		.amdhsa_fp16_overflow 0
		.amdhsa_exception_fp_ieee_invalid_op 0
		.amdhsa_exception_fp_denorm_src 0
		.amdhsa_exception_fp_ieee_div_zero 0
		.amdhsa_exception_fp_ieee_overflow 0
		.amdhsa_exception_fp_ieee_underflow 0
		.amdhsa_exception_fp_ieee_inexact 0
		.amdhsa_exception_int_div_zero 0
	.end_amdhsa_kernel
	.section	.text._ZN7rocprim17ROCPRIM_400000_NS6detail17trampoline_kernelINS0_14default_configENS1_27lower_bound_config_selectorIylEEZNS1_14transform_implILb0ES3_S5_N6thrust23THRUST_200600_302600_NS6detail15normal_iteratorINS8_7pointerIyNS8_11hip_rocprim5par_tENS8_11use_defaultESE_EEEENSA_INSB_IlSD_SE_SE_EEEEZNS1_13binary_searchIS3_S5_PySG_SI_NS1_21lower_bound_search_opENS9_16wrapped_functionI11custom_lessbEEEE10hipError_tPvRmT1_T2_T3_mmT4_T5_P12ihipStream_tbEUlRKyE_EESP_ST_SU_mSV_SY_bEUlT_E_NS1_11comp_targetILNS1_3genE4ELNS1_11target_archE910ELNS1_3gpuE8ELNS1_3repE0EEENS1_30default_config_static_selectorELNS0_4arch9wavefront6targetE1EEEvSS_,"axG",@progbits,_ZN7rocprim17ROCPRIM_400000_NS6detail17trampoline_kernelINS0_14default_configENS1_27lower_bound_config_selectorIylEEZNS1_14transform_implILb0ES3_S5_N6thrust23THRUST_200600_302600_NS6detail15normal_iteratorINS8_7pointerIyNS8_11hip_rocprim5par_tENS8_11use_defaultESE_EEEENSA_INSB_IlSD_SE_SE_EEEEZNS1_13binary_searchIS3_S5_PySG_SI_NS1_21lower_bound_search_opENS9_16wrapped_functionI11custom_lessbEEEE10hipError_tPvRmT1_T2_T3_mmT4_T5_P12ihipStream_tbEUlRKyE_EESP_ST_SU_mSV_SY_bEUlT_E_NS1_11comp_targetILNS1_3genE4ELNS1_11target_archE910ELNS1_3gpuE8ELNS1_3repE0EEENS1_30default_config_static_selectorELNS0_4arch9wavefront6targetE1EEEvSS_,comdat
.Lfunc_end46:
	.size	_ZN7rocprim17ROCPRIM_400000_NS6detail17trampoline_kernelINS0_14default_configENS1_27lower_bound_config_selectorIylEEZNS1_14transform_implILb0ES3_S5_N6thrust23THRUST_200600_302600_NS6detail15normal_iteratorINS8_7pointerIyNS8_11hip_rocprim5par_tENS8_11use_defaultESE_EEEENSA_INSB_IlSD_SE_SE_EEEEZNS1_13binary_searchIS3_S5_PySG_SI_NS1_21lower_bound_search_opENS9_16wrapped_functionI11custom_lessbEEEE10hipError_tPvRmT1_T2_T3_mmT4_T5_P12ihipStream_tbEUlRKyE_EESP_ST_SU_mSV_SY_bEUlT_E_NS1_11comp_targetILNS1_3genE4ELNS1_11target_archE910ELNS1_3gpuE8ELNS1_3repE0EEENS1_30default_config_static_selectorELNS0_4arch9wavefront6targetE1EEEvSS_, .Lfunc_end46-_ZN7rocprim17ROCPRIM_400000_NS6detail17trampoline_kernelINS0_14default_configENS1_27lower_bound_config_selectorIylEEZNS1_14transform_implILb0ES3_S5_N6thrust23THRUST_200600_302600_NS6detail15normal_iteratorINS8_7pointerIyNS8_11hip_rocprim5par_tENS8_11use_defaultESE_EEEENSA_INSB_IlSD_SE_SE_EEEEZNS1_13binary_searchIS3_S5_PySG_SI_NS1_21lower_bound_search_opENS9_16wrapped_functionI11custom_lessbEEEE10hipError_tPvRmT1_T2_T3_mmT4_T5_P12ihipStream_tbEUlRKyE_EESP_ST_SU_mSV_SY_bEUlT_E_NS1_11comp_targetILNS1_3genE4ELNS1_11target_archE910ELNS1_3gpuE8ELNS1_3repE0EEENS1_30default_config_static_selectorELNS0_4arch9wavefront6targetE1EEEvSS_
                                        ; -- End function
	.set _ZN7rocprim17ROCPRIM_400000_NS6detail17trampoline_kernelINS0_14default_configENS1_27lower_bound_config_selectorIylEEZNS1_14transform_implILb0ES3_S5_N6thrust23THRUST_200600_302600_NS6detail15normal_iteratorINS8_7pointerIyNS8_11hip_rocprim5par_tENS8_11use_defaultESE_EEEENSA_INSB_IlSD_SE_SE_EEEEZNS1_13binary_searchIS3_S5_PySG_SI_NS1_21lower_bound_search_opENS9_16wrapped_functionI11custom_lessbEEEE10hipError_tPvRmT1_T2_T3_mmT4_T5_P12ihipStream_tbEUlRKyE_EESP_ST_SU_mSV_SY_bEUlT_E_NS1_11comp_targetILNS1_3genE4ELNS1_11target_archE910ELNS1_3gpuE8ELNS1_3repE0EEENS1_30default_config_static_selectorELNS0_4arch9wavefront6targetE1EEEvSS_.num_vgpr, 0
	.set _ZN7rocprim17ROCPRIM_400000_NS6detail17trampoline_kernelINS0_14default_configENS1_27lower_bound_config_selectorIylEEZNS1_14transform_implILb0ES3_S5_N6thrust23THRUST_200600_302600_NS6detail15normal_iteratorINS8_7pointerIyNS8_11hip_rocprim5par_tENS8_11use_defaultESE_EEEENSA_INSB_IlSD_SE_SE_EEEEZNS1_13binary_searchIS3_S5_PySG_SI_NS1_21lower_bound_search_opENS9_16wrapped_functionI11custom_lessbEEEE10hipError_tPvRmT1_T2_T3_mmT4_T5_P12ihipStream_tbEUlRKyE_EESP_ST_SU_mSV_SY_bEUlT_E_NS1_11comp_targetILNS1_3genE4ELNS1_11target_archE910ELNS1_3gpuE8ELNS1_3repE0EEENS1_30default_config_static_selectorELNS0_4arch9wavefront6targetE1EEEvSS_.num_agpr, 0
	.set _ZN7rocprim17ROCPRIM_400000_NS6detail17trampoline_kernelINS0_14default_configENS1_27lower_bound_config_selectorIylEEZNS1_14transform_implILb0ES3_S5_N6thrust23THRUST_200600_302600_NS6detail15normal_iteratorINS8_7pointerIyNS8_11hip_rocprim5par_tENS8_11use_defaultESE_EEEENSA_INSB_IlSD_SE_SE_EEEEZNS1_13binary_searchIS3_S5_PySG_SI_NS1_21lower_bound_search_opENS9_16wrapped_functionI11custom_lessbEEEE10hipError_tPvRmT1_T2_T3_mmT4_T5_P12ihipStream_tbEUlRKyE_EESP_ST_SU_mSV_SY_bEUlT_E_NS1_11comp_targetILNS1_3genE4ELNS1_11target_archE910ELNS1_3gpuE8ELNS1_3repE0EEENS1_30default_config_static_selectorELNS0_4arch9wavefront6targetE1EEEvSS_.numbered_sgpr, 0
	.set _ZN7rocprim17ROCPRIM_400000_NS6detail17trampoline_kernelINS0_14default_configENS1_27lower_bound_config_selectorIylEEZNS1_14transform_implILb0ES3_S5_N6thrust23THRUST_200600_302600_NS6detail15normal_iteratorINS8_7pointerIyNS8_11hip_rocprim5par_tENS8_11use_defaultESE_EEEENSA_INSB_IlSD_SE_SE_EEEEZNS1_13binary_searchIS3_S5_PySG_SI_NS1_21lower_bound_search_opENS9_16wrapped_functionI11custom_lessbEEEE10hipError_tPvRmT1_T2_T3_mmT4_T5_P12ihipStream_tbEUlRKyE_EESP_ST_SU_mSV_SY_bEUlT_E_NS1_11comp_targetILNS1_3genE4ELNS1_11target_archE910ELNS1_3gpuE8ELNS1_3repE0EEENS1_30default_config_static_selectorELNS0_4arch9wavefront6targetE1EEEvSS_.num_named_barrier, 0
	.set _ZN7rocprim17ROCPRIM_400000_NS6detail17trampoline_kernelINS0_14default_configENS1_27lower_bound_config_selectorIylEEZNS1_14transform_implILb0ES3_S5_N6thrust23THRUST_200600_302600_NS6detail15normal_iteratorINS8_7pointerIyNS8_11hip_rocprim5par_tENS8_11use_defaultESE_EEEENSA_INSB_IlSD_SE_SE_EEEEZNS1_13binary_searchIS3_S5_PySG_SI_NS1_21lower_bound_search_opENS9_16wrapped_functionI11custom_lessbEEEE10hipError_tPvRmT1_T2_T3_mmT4_T5_P12ihipStream_tbEUlRKyE_EESP_ST_SU_mSV_SY_bEUlT_E_NS1_11comp_targetILNS1_3genE4ELNS1_11target_archE910ELNS1_3gpuE8ELNS1_3repE0EEENS1_30default_config_static_selectorELNS0_4arch9wavefront6targetE1EEEvSS_.private_seg_size, 0
	.set _ZN7rocprim17ROCPRIM_400000_NS6detail17trampoline_kernelINS0_14default_configENS1_27lower_bound_config_selectorIylEEZNS1_14transform_implILb0ES3_S5_N6thrust23THRUST_200600_302600_NS6detail15normal_iteratorINS8_7pointerIyNS8_11hip_rocprim5par_tENS8_11use_defaultESE_EEEENSA_INSB_IlSD_SE_SE_EEEEZNS1_13binary_searchIS3_S5_PySG_SI_NS1_21lower_bound_search_opENS9_16wrapped_functionI11custom_lessbEEEE10hipError_tPvRmT1_T2_T3_mmT4_T5_P12ihipStream_tbEUlRKyE_EESP_ST_SU_mSV_SY_bEUlT_E_NS1_11comp_targetILNS1_3genE4ELNS1_11target_archE910ELNS1_3gpuE8ELNS1_3repE0EEENS1_30default_config_static_selectorELNS0_4arch9wavefront6targetE1EEEvSS_.uses_vcc, 0
	.set _ZN7rocprim17ROCPRIM_400000_NS6detail17trampoline_kernelINS0_14default_configENS1_27lower_bound_config_selectorIylEEZNS1_14transform_implILb0ES3_S5_N6thrust23THRUST_200600_302600_NS6detail15normal_iteratorINS8_7pointerIyNS8_11hip_rocprim5par_tENS8_11use_defaultESE_EEEENSA_INSB_IlSD_SE_SE_EEEEZNS1_13binary_searchIS3_S5_PySG_SI_NS1_21lower_bound_search_opENS9_16wrapped_functionI11custom_lessbEEEE10hipError_tPvRmT1_T2_T3_mmT4_T5_P12ihipStream_tbEUlRKyE_EESP_ST_SU_mSV_SY_bEUlT_E_NS1_11comp_targetILNS1_3genE4ELNS1_11target_archE910ELNS1_3gpuE8ELNS1_3repE0EEENS1_30default_config_static_selectorELNS0_4arch9wavefront6targetE1EEEvSS_.uses_flat_scratch, 0
	.set _ZN7rocprim17ROCPRIM_400000_NS6detail17trampoline_kernelINS0_14default_configENS1_27lower_bound_config_selectorIylEEZNS1_14transform_implILb0ES3_S5_N6thrust23THRUST_200600_302600_NS6detail15normal_iteratorINS8_7pointerIyNS8_11hip_rocprim5par_tENS8_11use_defaultESE_EEEENSA_INSB_IlSD_SE_SE_EEEEZNS1_13binary_searchIS3_S5_PySG_SI_NS1_21lower_bound_search_opENS9_16wrapped_functionI11custom_lessbEEEE10hipError_tPvRmT1_T2_T3_mmT4_T5_P12ihipStream_tbEUlRKyE_EESP_ST_SU_mSV_SY_bEUlT_E_NS1_11comp_targetILNS1_3genE4ELNS1_11target_archE910ELNS1_3gpuE8ELNS1_3repE0EEENS1_30default_config_static_selectorELNS0_4arch9wavefront6targetE1EEEvSS_.has_dyn_sized_stack, 0
	.set _ZN7rocprim17ROCPRIM_400000_NS6detail17trampoline_kernelINS0_14default_configENS1_27lower_bound_config_selectorIylEEZNS1_14transform_implILb0ES3_S5_N6thrust23THRUST_200600_302600_NS6detail15normal_iteratorINS8_7pointerIyNS8_11hip_rocprim5par_tENS8_11use_defaultESE_EEEENSA_INSB_IlSD_SE_SE_EEEEZNS1_13binary_searchIS3_S5_PySG_SI_NS1_21lower_bound_search_opENS9_16wrapped_functionI11custom_lessbEEEE10hipError_tPvRmT1_T2_T3_mmT4_T5_P12ihipStream_tbEUlRKyE_EESP_ST_SU_mSV_SY_bEUlT_E_NS1_11comp_targetILNS1_3genE4ELNS1_11target_archE910ELNS1_3gpuE8ELNS1_3repE0EEENS1_30default_config_static_selectorELNS0_4arch9wavefront6targetE1EEEvSS_.has_recursion, 0
	.set _ZN7rocprim17ROCPRIM_400000_NS6detail17trampoline_kernelINS0_14default_configENS1_27lower_bound_config_selectorIylEEZNS1_14transform_implILb0ES3_S5_N6thrust23THRUST_200600_302600_NS6detail15normal_iteratorINS8_7pointerIyNS8_11hip_rocprim5par_tENS8_11use_defaultESE_EEEENSA_INSB_IlSD_SE_SE_EEEEZNS1_13binary_searchIS3_S5_PySG_SI_NS1_21lower_bound_search_opENS9_16wrapped_functionI11custom_lessbEEEE10hipError_tPvRmT1_T2_T3_mmT4_T5_P12ihipStream_tbEUlRKyE_EESP_ST_SU_mSV_SY_bEUlT_E_NS1_11comp_targetILNS1_3genE4ELNS1_11target_archE910ELNS1_3gpuE8ELNS1_3repE0EEENS1_30default_config_static_selectorELNS0_4arch9wavefront6targetE1EEEvSS_.has_indirect_call, 0
	.section	.AMDGPU.csdata,"",@progbits
; Kernel info:
; codeLenInByte = 0
; TotalNumSgprs: 4
; NumVgprs: 0
; ScratchSize: 0
; MemoryBound: 0
; FloatMode: 240
; IeeeMode: 1
; LDSByteSize: 0 bytes/workgroup (compile time only)
; SGPRBlocks: 0
; VGPRBlocks: 0
; NumSGPRsForWavesPerEU: 4
; NumVGPRsForWavesPerEU: 1
; Occupancy: 10
; WaveLimiterHint : 0
; COMPUTE_PGM_RSRC2:SCRATCH_EN: 0
; COMPUTE_PGM_RSRC2:USER_SGPR: 6
; COMPUTE_PGM_RSRC2:TRAP_HANDLER: 0
; COMPUTE_PGM_RSRC2:TGID_X_EN: 1
; COMPUTE_PGM_RSRC2:TGID_Y_EN: 0
; COMPUTE_PGM_RSRC2:TGID_Z_EN: 0
; COMPUTE_PGM_RSRC2:TIDIG_COMP_CNT: 0
	.section	.text._ZN7rocprim17ROCPRIM_400000_NS6detail17trampoline_kernelINS0_14default_configENS1_27lower_bound_config_selectorIylEEZNS1_14transform_implILb0ES3_S5_N6thrust23THRUST_200600_302600_NS6detail15normal_iteratorINS8_7pointerIyNS8_11hip_rocprim5par_tENS8_11use_defaultESE_EEEENSA_INSB_IlSD_SE_SE_EEEEZNS1_13binary_searchIS3_S5_PySG_SI_NS1_21lower_bound_search_opENS9_16wrapped_functionI11custom_lessbEEEE10hipError_tPvRmT1_T2_T3_mmT4_T5_P12ihipStream_tbEUlRKyE_EESP_ST_SU_mSV_SY_bEUlT_E_NS1_11comp_targetILNS1_3genE3ELNS1_11target_archE908ELNS1_3gpuE7ELNS1_3repE0EEENS1_30default_config_static_selectorELNS0_4arch9wavefront6targetE1EEEvSS_,"axG",@progbits,_ZN7rocprim17ROCPRIM_400000_NS6detail17trampoline_kernelINS0_14default_configENS1_27lower_bound_config_selectorIylEEZNS1_14transform_implILb0ES3_S5_N6thrust23THRUST_200600_302600_NS6detail15normal_iteratorINS8_7pointerIyNS8_11hip_rocprim5par_tENS8_11use_defaultESE_EEEENSA_INSB_IlSD_SE_SE_EEEEZNS1_13binary_searchIS3_S5_PySG_SI_NS1_21lower_bound_search_opENS9_16wrapped_functionI11custom_lessbEEEE10hipError_tPvRmT1_T2_T3_mmT4_T5_P12ihipStream_tbEUlRKyE_EESP_ST_SU_mSV_SY_bEUlT_E_NS1_11comp_targetILNS1_3genE3ELNS1_11target_archE908ELNS1_3gpuE7ELNS1_3repE0EEENS1_30default_config_static_selectorELNS0_4arch9wavefront6targetE1EEEvSS_,comdat
	.protected	_ZN7rocprim17ROCPRIM_400000_NS6detail17trampoline_kernelINS0_14default_configENS1_27lower_bound_config_selectorIylEEZNS1_14transform_implILb0ES3_S5_N6thrust23THRUST_200600_302600_NS6detail15normal_iteratorINS8_7pointerIyNS8_11hip_rocprim5par_tENS8_11use_defaultESE_EEEENSA_INSB_IlSD_SE_SE_EEEEZNS1_13binary_searchIS3_S5_PySG_SI_NS1_21lower_bound_search_opENS9_16wrapped_functionI11custom_lessbEEEE10hipError_tPvRmT1_T2_T3_mmT4_T5_P12ihipStream_tbEUlRKyE_EESP_ST_SU_mSV_SY_bEUlT_E_NS1_11comp_targetILNS1_3genE3ELNS1_11target_archE908ELNS1_3gpuE7ELNS1_3repE0EEENS1_30default_config_static_selectorELNS0_4arch9wavefront6targetE1EEEvSS_ ; -- Begin function _ZN7rocprim17ROCPRIM_400000_NS6detail17trampoline_kernelINS0_14default_configENS1_27lower_bound_config_selectorIylEEZNS1_14transform_implILb0ES3_S5_N6thrust23THRUST_200600_302600_NS6detail15normal_iteratorINS8_7pointerIyNS8_11hip_rocprim5par_tENS8_11use_defaultESE_EEEENSA_INSB_IlSD_SE_SE_EEEEZNS1_13binary_searchIS3_S5_PySG_SI_NS1_21lower_bound_search_opENS9_16wrapped_functionI11custom_lessbEEEE10hipError_tPvRmT1_T2_T3_mmT4_T5_P12ihipStream_tbEUlRKyE_EESP_ST_SU_mSV_SY_bEUlT_E_NS1_11comp_targetILNS1_3genE3ELNS1_11target_archE908ELNS1_3gpuE7ELNS1_3repE0EEENS1_30default_config_static_selectorELNS0_4arch9wavefront6targetE1EEEvSS_
	.globl	_ZN7rocprim17ROCPRIM_400000_NS6detail17trampoline_kernelINS0_14default_configENS1_27lower_bound_config_selectorIylEEZNS1_14transform_implILb0ES3_S5_N6thrust23THRUST_200600_302600_NS6detail15normal_iteratorINS8_7pointerIyNS8_11hip_rocprim5par_tENS8_11use_defaultESE_EEEENSA_INSB_IlSD_SE_SE_EEEEZNS1_13binary_searchIS3_S5_PySG_SI_NS1_21lower_bound_search_opENS9_16wrapped_functionI11custom_lessbEEEE10hipError_tPvRmT1_T2_T3_mmT4_T5_P12ihipStream_tbEUlRKyE_EESP_ST_SU_mSV_SY_bEUlT_E_NS1_11comp_targetILNS1_3genE3ELNS1_11target_archE908ELNS1_3gpuE7ELNS1_3repE0EEENS1_30default_config_static_selectorELNS0_4arch9wavefront6targetE1EEEvSS_
	.p2align	8
	.type	_ZN7rocprim17ROCPRIM_400000_NS6detail17trampoline_kernelINS0_14default_configENS1_27lower_bound_config_selectorIylEEZNS1_14transform_implILb0ES3_S5_N6thrust23THRUST_200600_302600_NS6detail15normal_iteratorINS8_7pointerIyNS8_11hip_rocprim5par_tENS8_11use_defaultESE_EEEENSA_INSB_IlSD_SE_SE_EEEEZNS1_13binary_searchIS3_S5_PySG_SI_NS1_21lower_bound_search_opENS9_16wrapped_functionI11custom_lessbEEEE10hipError_tPvRmT1_T2_T3_mmT4_T5_P12ihipStream_tbEUlRKyE_EESP_ST_SU_mSV_SY_bEUlT_E_NS1_11comp_targetILNS1_3genE3ELNS1_11target_archE908ELNS1_3gpuE7ELNS1_3repE0EEENS1_30default_config_static_selectorELNS0_4arch9wavefront6targetE1EEEvSS_,@function
_ZN7rocprim17ROCPRIM_400000_NS6detail17trampoline_kernelINS0_14default_configENS1_27lower_bound_config_selectorIylEEZNS1_14transform_implILb0ES3_S5_N6thrust23THRUST_200600_302600_NS6detail15normal_iteratorINS8_7pointerIyNS8_11hip_rocprim5par_tENS8_11use_defaultESE_EEEENSA_INSB_IlSD_SE_SE_EEEEZNS1_13binary_searchIS3_S5_PySG_SI_NS1_21lower_bound_search_opENS9_16wrapped_functionI11custom_lessbEEEE10hipError_tPvRmT1_T2_T3_mmT4_T5_P12ihipStream_tbEUlRKyE_EESP_ST_SU_mSV_SY_bEUlT_E_NS1_11comp_targetILNS1_3genE3ELNS1_11target_archE908ELNS1_3gpuE7ELNS1_3repE0EEENS1_30default_config_static_selectorELNS0_4arch9wavefront6targetE1EEEvSS_: ; @_ZN7rocprim17ROCPRIM_400000_NS6detail17trampoline_kernelINS0_14default_configENS1_27lower_bound_config_selectorIylEEZNS1_14transform_implILb0ES3_S5_N6thrust23THRUST_200600_302600_NS6detail15normal_iteratorINS8_7pointerIyNS8_11hip_rocprim5par_tENS8_11use_defaultESE_EEEENSA_INSB_IlSD_SE_SE_EEEEZNS1_13binary_searchIS3_S5_PySG_SI_NS1_21lower_bound_search_opENS9_16wrapped_functionI11custom_lessbEEEE10hipError_tPvRmT1_T2_T3_mmT4_T5_P12ihipStream_tbEUlRKyE_EESP_ST_SU_mSV_SY_bEUlT_E_NS1_11comp_targetILNS1_3genE3ELNS1_11target_archE908ELNS1_3gpuE7ELNS1_3repE0EEENS1_30default_config_static_selectorELNS0_4arch9wavefront6targetE1EEEvSS_
; %bb.0:
	.section	.rodata,"a",@progbits
	.p2align	6, 0x0
	.amdhsa_kernel _ZN7rocprim17ROCPRIM_400000_NS6detail17trampoline_kernelINS0_14default_configENS1_27lower_bound_config_selectorIylEEZNS1_14transform_implILb0ES3_S5_N6thrust23THRUST_200600_302600_NS6detail15normal_iteratorINS8_7pointerIyNS8_11hip_rocprim5par_tENS8_11use_defaultESE_EEEENSA_INSB_IlSD_SE_SE_EEEEZNS1_13binary_searchIS3_S5_PySG_SI_NS1_21lower_bound_search_opENS9_16wrapped_functionI11custom_lessbEEEE10hipError_tPvRmT1_T2_T3_mmT4_T5_P12ihipStream_tbEUlRKyE_EESP_ST_SU_mSV_SY_bEUlT_E_NS1_11comp_targetILNS1_3genE3ELNS1_11target_archE908ELNS1_3gpuE7ELNS1_3repE0EEENS1_30default_config_static_selectorELNS0_4arch9wavefront6targetE1EEEvSS_
		.amdhsa_group_segment_fixed_size 0
		.amdhsa_private_segment_fixed_size 0
		.amdhsa_kernarg_size 56
		.amdhsa_user_sgpr_count 6
		.amdhsa_user_sgpr_private_segment_buffer 1
		.amdhsa_user_sgpr_dispatch_ptr 0
		.amdhsa_user_sgpr_queue_ptr 0
		.amdhsa_user_sgpr_kernarg_segment_ptr 1
		.amdhsa_user_sgpr_dispatch_id 0
		.amdhsa_user_sgpr_flat_scratch_init 0
		.amdhsa_user_sgpr_private_segment_size 0
		.amdhsa_uses_dynamic_stack 0
		.amdhsa_system_sgpr_private_segment_wavefront_offset 0
		.amdhsa_system_sgpr_workgroup_id_x 1
		.amdhsa_system_sgpr_workgroup_id_y 0
		.amdhsa_system_sgpr_workgroup_id_z 0
		.amdhsa_system_sgpr_workgroup_info 0
		.amdhsa_system_vgpr_workitem_id 0
		.amdhsa_next_free_vgpr 1
		.amdhsa_next_free_sgpr 0
		.amdhsa_reserve_vcc 0
		.amdhsa_reserve_flat_scratch 0
		.amdhsa_float_round_mode_32 0
		.amdhsa_float_round_mode_16_64 0
		.amdhsa_float_denorm_mode_32 3
		.amdhsa_float_denorm_mode_16_64 3
		.amdhsa_dx10_clamp 1
		.amdhsa_ieee_mode 1
		.amdhsa_fp16_overflow 0
		.amdhsa_exception_fp_ieee_invalid_op 0
		.amdhsa_exception_fp_denorm_src 0
		.amdhsa_exception_fp_ieee_div_zero 0
		.amdhsa_exception_fp_ieee_overflow 0
		.amdhsa_exception_fp_ieee_underflow 0
		.amdhsa_exception_fp_ieee_inexact 0
		.amdhsa_exception_int_div_zero 0
	.end_amdhsa_kernel
	.section	.text._ZN7rocprim17ROCPRIM_400000_NS6detail17trampoline_kernelINS0_14default_configENS1_27lower_bound_config_selectorIylEEZNS1_14transform_implILb0ES3_S5_N6thrust23THRUST_200600_302600_NS6detail15normal_iteratorINS8_7pointerIyNS8_11hip_rocprim5par_tENS8_11use_defaultESE_EEEENSA_INSB_IlSD_SE_SE_EEEEZNS1_13binary_searchIS3_S5_PySG_SI_NS1_21lower_bound_search_opENS9_16wrapped_functionI11custom_lessbEEEE10hipError_tPvRmT1_T2_T3_mmT4_T5_P12ihipStream_tbEUlRKyE_EESP_ST_SU_mSV_SY_bEUlT_E_NS1_11comp_targetILNS1_3genE3ELNS1_11target_archE908ELNS1_3gpuE7ELNS1_3repE0EEENS1_30default_config_static_selectorELNS0_4arch9wavefront6targetE1EEEvSS_,"axG",@progbits,_ZN7rocprim17ROCPRIM_400000_NS6detail17trampoline_kernelINS0_14default_configENS1_27lower_bound_config_selectorIylEEZNS1_14transform_implILb0ES3_S5_N6thrust23THRUST_200600_302600_NS6detail15normal_iteratorINS8_7pointerIyNS8_11hip_rocprim5par_tENS8_11use_defaultESE_EEEENSA_INSB_IlSD_SE_SE_EEEEZNS1_13binary_searchIS3_S5_PySG_SI_NS1_21lower_bound_search_opENS9_16wrapped_functionI11custom_lessbEEEE10hipError_tPvRmT1_T2_T3_mmT4_T5_P12ihipStream_tbEUlRKyE_EESP_ST_SU_mSV_SY_bEUlT_E_NS1_11comp_targetILNS1_3genE3ELNS1_11target_archE908ELNS1_3gpuE7ELNS1_3repE0EEENS1_30default_config_static_selectorELNS0_4arch9wavefront6targetE1EEEvSS_,comdat
.Lfunc_end47:
	.size	_ZN7rocprim17ROCPRIM_400000_NS6detail17trampoline_kernelINS0_14default_configENS1_27lower_bound_config_selectorIylEEZNS1_14transform_implILb0ES3_S5_N6thrust23THRUST_200600_302600_NS6detail15normal_iteratorINS8_7pointerIyNS8_11hip_rocprim5par_tENS8_11use_defaultESE_EEEENSA_INSB_IlSD_SE_SE_EEEEZNS1_13binary_searchIS3_S5_PySG_SI_NS1_21lower_bound_search_opENS9_16wrapped_functionI11custom_lessbEEEE10hipError_tPvRmT1_T2_T3_mmT4_T5_P12ihipStream_tbEUlRKyE_EESP_ST_SU_mSV_SY_bEUlT_E_NS1_11comp_targetILNS1_3genE3ELNS1_11target_archE908ELNS1_3gpuE7ELNS1_3repE0EEENS1_30default_config_static_selectorELNS0_4arch9wavefront6targetE1EEEvSS_, .Lfunc_end47-_ZN7rocprim17ROCPRIM_400000_NS6detail17trampoline_kernelINS0_14default_configENS1_27lower_bound_config_selectorIylEEZNS1_14transform_implILb0ES3_S5_N6thrust23THRUST_200600_302600_NS6detail15normal_iteratorINS8_7pointerIyNS8_11hip_rocprim5par_tENS8_11use_defaultESE_EEEENSA_INSB_IlSD_SE_SE_EEEEZNS1_13binary_searchIS3_S5_PySG_SI_NS1_21lower_bound_search_opENS9_16wrapped_functionI11custom_lessbEEEE10hipError_tPvRmT1_T2_T3_mmT4_T5_P12ihipStream_tbEUlRKyE_EESP_ST_SU_mSV_SY_bEUlT_E_NS1_11comp_targetILNS1_3genE3ELNS1_11target_archE908ELNS1_3gpuE7ELNS1_3repE0EEENS1_30default_config_static_selectorELNS0_4arch9wavefront6targetE1EEEvSS_
                                        ; -- End function
	.set _ZN7rocprim17ROCPRIM_400000_NS6detail17trampoline_kernelINS0_14default_configENS1_27lower_bound_config_selectorIylEEZNS1_14transform_implILb0ES3_S5_N6thrust23THRUST_200600_302600_NS6detail15normal_iteratorINS8_7pointerIyNS8_11hip_rocprim5par_tENS8_11use_defaultESE_EEEENSA_INSB_IlSD_SE_SE_EEEEZNS1_13binary_searchIS3_S5_PySG_SI_NS1_21lower_bound_search_opENS9_16wrapped_functionI11custom_lessbEEEE10hipError_tPvRmT1_T2_T3_mmT4_T5_P12ihipStream_tbEUlRKyE_EESP_ST_SU_mSV_SY_bEUlT_E_NS1_11comp_targetILNS1_3genE3ELNS1_11target_archE908ELNS1_3gpuE7ELNS1_3repE0EEENS1_30default_config_static_selectorELNS0_4arch9wavefront6targetE1EEEvSS_.num_vgpr, 0
	.set _ZN7rocprim17ROCPRIM_400000_NS6detail17trampoline_kernelINS0_14default_configENS1_27lower_bound_config_selectorIylEEZNS1_14transform_implILb0ES3_S5_N6thrust23THRUST_200600_302600_NS6detail15normal_iteratorINS8_7pointerIyNS8_11hip_rocprim5par_tENS8_11use_defaultESE_EEEENSA_INSB_IlSD_SE_SE_EEEEZNS1_13binary_searchIS3_S5_PySG_SI_NS1_21lower_bound_search_opENS9_16wrapped_functionI11custom_lessbEEEE10hipError_tPvRmT1_T2_T3_mmT4_T5_P12ihipStream_tbEUlRKyE_EESP_ST_SU_mSV_SY_bEUlT_E_NS1_11comp_targetILNS1_3genE3ELNS1_11target_archE908ELNS1_3gpuE7ELNS1_3repE0EEENS1_30default_config_static_selectorELNS0_4arch9wavefront6targetE1EEEvSS_.num_agpr, 0
	.set _ZN7rocprim17ROCPRIM_400000_NS6detail17trampoline_kernelINS0_14default_configENS1_27lower_bound_config_selectorIylEEZNS1_14transform_implILb0ES3_S5_N6thrust23THRUST_200600_302600_NS6detail15normal_iteratorINS8_7pointerIyNS8_11hip_rocprim5par_tENS8_11use_defaultESE_EEEENSA_INSB_IlSD_SE_SE_EEEEZNS1_13binary_searchIS3_S5_PySG_SI_NS1_21lower_bound_search_opENS9_16wrapped_functionI11custom_lessbEEEE10hipError_tPvRmT1_T2_T3_mmT4_T5_P12ihipStream_tbEUlRKyE_EESP_ST_SU_mSV_SY_bEUlT_E_NS1_11comp_targetILNS1_3genE3ELNS1_11target_archE908ELNS1_3gpuE7ELNS1_3repE0EEENS1_30default_config_static_selectorELNS0_4arch9wavefront6targetE1EEEvSS_.numbered_sgpr, 0
	.set _ZN7rocprim17ROCPRIM_400000_NS6detail17trampoline_kernelINS0_14default_configENS1_27lower_bound_config_selectorIylEEZNS1_14transform_implILb0ES3_S5_N6thrust23THRUST_200600_302600_NS6detail15normal_iteratorINS8_7pointerIyNS8_11hip_rocprim5par_tENS8_11use_defaultESE_EEEENSA_INSB_IlSD_SE_SE_EEEEZNS1_13binary_searchIS3_S5_PySG_SI_NS1_21lower_bound_search_opENS9_16wrapped_functionI11custom_lessbEEEE10hipError_tPvRmT1_T2_T3_mmT4_T5_P12ihipStream_tbEUlRKyE_EESP_ST_SU_mSV_SY_bEUlT_E_NS1_11comp_targetILNS1_3genE3ELNS1_11target_archE908ELNS1_3gpuE7ELNS1_3repE0EEENS1_30default_config_static_selectorELNS0_4arch9wavefront6targetE1EEEvSS_.num_named_barrier, 0
	.set _ZN7rocprim17ROCPRIM_400000_NS6detail17trampoline_kernelINS0_14default_configENS1_27lower_bound_config_selectorIylEEZNS1_14transform_implILb0ES3_S5_N6thrust23THRUST_200600_302600_NS6detail15normal_iteratorINS8_7pointerIyNS8_11hip_rocprim5par_tENS8_11use_defaultESE_EEEENSA_INSB_IlSD_SE_SE_EEEEZNS1_13binary_searchIS3_S5_PySG_SI_NS1_21lower_bound_search_opENS9_16wrapped_functionI11custom_lessbEEEE10hipError_tPvRmT1_T2_T3_mmT4_T5_P12ihipStream_tbEUlRKyE_EESP_ST_SU_mSV_SY_bEUlT_E_NS1_11comp_targetILNS1_3genE3ELNS1_11target_archE908ELNS1_3gpuE7ELNS1_3repE0EEENS1_30default_config_static_selectorELNS0_4arch9wavefront6targetE1EEEvSS_.private_seg_size, 0
	.set _ZN7rocprim17ROCPRIM_400000_NS6detail17trampoline_kernelINS0_14default_configENS1_27lower_bound_config_selectorIylEEZNS1_14transform_implILb0ES3_S5_N6thrust23THRUST_200600_302600_NS6detail15normal_iteratorINS8_7pointerIyNS8_11hip_rocprim5par_tENS8_11use_defaultESE_EEEENSA_INSB_IlSD_SE_SE_EEEEZNS1_13binary_searchIS3_S5_PySG_SI_NS1_21lower_bound_search_opENS9_16wrapped_functionI11custom_lessbEEEE10hipError_tPvRmT1_T2_T3_mmT4_T5_P12ihipStream_tbEUlRKyE_EESP_ST_SU_mSV_SY_bEUlT_E_NS1_11comp_targetILNS1_3genE3ELNS1_11target_archE908ELNS1_3gpuE7ELNS1_3repE0EEENS1_30default_config_static_selectorELNS0_4arch9wavefront6targetE1EEEvSS_.uses_vcc, 0
	.set _ZN7rocprim17ROCPRIM_400000_NS6detail17trampoline_kernelINS0_14default_configENS1_27lower_bound_config_selectorIylEEZNS1_14transform_implILb0ES3_S5_N6thrust23THRUST_200600_302600_NS6detail15normal_iteratorINS8_7pointerIyNS8_11hip_rocprim5par_tENS8_11use_defaultESE_EEEENSA_INSB_IlSD_SE_SE_EEEEZNS1_13binary_searchIS3_S5_PySG_SI_NS1_21lower_bound_search_opENS9_16wrapped_functionI11custom_lessbEEEE10hipError_tPvRmT1_T2_T3_mmT4_T5_P12ihipStream_tbEUlRKyE_EESP_ST_SU_mSV_SY_bEUlT_E_NS1_11comp_targetILNS1_3genE3ELNS1_11target_archE908ELNS1_3gpuE7ELNS1_3repE0EEENS1_30default_config_static_selectorELNS0_4arch9wavefront6targetE1EEEvSS_.uses_flat_scratch, 0
	.set _ZN7rocprim17ROCPRIM_400000_NS6detail17trampoline_kernelINS0_14default_configENS1_27lower_bound_config_selectorIylEEZNS1_14transform_implILb0ES3_S5_N6thrust23THRUST_200600_302600_NS6detail15normal_iteratorINS8_7pointerIyNS8_11hip_rocprim5par_tENS8_11use_defaultESE_EEEENSA_INSB_IlSD_SE_SE_EEEEZNS1_13binary_searchIS3_S5_PySG_SI_NS1_21lower_bound_search_opENS9_16wrapped_functionI11custom_lessbEEEE10hipError_tPvRmT1_T2_T3_mmT4_T5_P12ihipStream_tbEUlRKyE_EESP_ST_SU_mSV_SY_bEUlT_E_NS1_11comp_targetILNS1_3genE3ELNS1_11target_archE908ELNS1_3gpuE7ELNS1_3repE0EEENS1_30default_config_static_selectorELNS0_4arch9wavefront6targetE1EEEvSS_.has_dyn_sized_stack, 0
	.set _ZN7rocprim17ROCPRIM_400000_NS6detail17trampoline_kernelINS0_14default_configENS1_27lower_bound_config_selectorIylEEZNS1_14transform_implILb0ES3_S5_N6thrust23THRUST_200600_302600_NS6detail15normal_iteratorINS8_7pointerIyNS8_11hip_rocprim5par_tENS8_11use_defaultESE_EEEENSA_INSB_IlSD_SE_SE_EEEEZNS1_13binary_searchIS3_S5_PySG_SI_NS1_21lower_bound_search_opENS9_16wrapped_functionI11custom_lessbEEEE10hipError_tPvRmT1_T2_T3_mmT4_T5_P12ihipStream_tbEUlRKyE_EESP_ST_SU_mSV_SY_bEUlT_E_NS1_11comp_targetILNS1_3genE3ELNS1_11target_archE908ELNS1_3gpuE7ELNS1_3repE0EEENS1_30default_config_static_selectorELNS0_4arch9wavefront6targetE1EEEvSS_.has_recursion, 0
	.set _ZN7rocprim17ROCPRIM_400000_NS6detail17trampoline_kernelINS0_14default_configENS1_27lower_bound_config_selectorIylEEZNS1_14transform_implILb0ES3_S5_N6thrust23THRUST_200600_302600_NS6detail15normal_iteratorINS8_7pointerIyNS8_11hip_rocprim5par_tENS8_11use_defaultESE_EEEENSA_INSB_IlSD_SE_SE_EEEEZNS1_13binary_searchIS3_S5_PySG_SI_NS1_21lower_bound_search_opENS9_16wrapped_functionI11custom_lessbEEEE10hipError_tPvRmT1_T2_T3_mmT4_T5_P12ihipStream_tbEUlRKyE_EESP_ST_SU_mSV_SY_bEUlT_E_NS1_11comp_targetILNS1_3genE3ELNS1_11target_archE908ELNS1_3gpuE7ELNS1_3repE0EEENS1_30default_config_static_selectorELNS0_4arch9wavefront6targetE1EEEvSS_.has_indirect_call, 0
	.section	.AMDGPU.csdata,"",@progbits
; Kernel info:
; codeLenInByte = 0
; TotalNumSgprs: 4
; NumVgprs: 0
; ScratchSize: 0
; MemoryBound: 0
; FloatMode: 240
; IeeeMode: 1
; LDSByteSize: 0 bytes/workgroup (compile time only)
; SGPRBlocks: 0
; VGPRBlocks: 0
; NumSGPRsForWavesPerEU: 4
; NumVGPRsForWavesPerEU: 1
; Occupancy: 10
; WaveLimiterHint : 0
; COMPUTE_PGM_RSRC2:SCRATCH_EN: 0
; COMPUTE_PGM_RSRC2:USER_SGPR: 6
; COMPUTE_PGM_RSRC2:TRAP_HANDLER: 0
; COMPUTE_PGM_RSRC2:TGID_X_EN: 1
; COMPUTE_PGM_RSRC2:TGID_Y_EN: 0
; COMPUTE_PGM_RSRC2:TGID_Z_EN: 0
; COMPUTE_PGM_RSRC2:TIDIG_COMP_CNT: 0
	.section	.text._ZN7rocprim17ROCPRIM_400000_NS6detail17trampoline_kernelINS0_14default_configENS1_27lower_bound_config_selectorIylEEZNS1_14transform_implILb0ES3_S5_N6thrust23THRUST_200600_302600_NS6detail15normal_iteratorINS8_7pointerIyNS8_11hip_rocprim5par_tENS8_11use_defaultESE_EEEENSA_INSB_IlSD_SE_SE_EEEEZNS1_13binary_searchIS3_S5_PySG_SI_NS1_21lower_bound_search_opENS9_16wrapped_functionI11custom_lessbEEEE10hipError_tPvRmT1_T2_T3_mmT4_T5_P12ihipStream_tbEUlRKyE_EESP_ST_SU_mSV_SY_bEUlT_E_NS1_11comp_targetILNS1_3genE2ELNS1_11target_archE906ELNS1_3gpuE6ELNS1_3repE0EEENS1_30default_config_static_selectorELNS0_4arch9wavefront6targetE1EEEvSS_,"axG",@progbits,_ZN7rocprim17ROCPRIM_400000_NS6detail17trampoline_kernelINS0_14default_configENS1_27lower_bound_config_selectorIylEEZNS1_14transform_implILb0ES3_S5_N6thrust23THRUST_200600_302600_NS6detail15normal_iteratorINS8_7pointerIyNS8_11hip_rocprim5par_tENS8_11use_defaultESE_EEEENSA_INSB_IlSD_SE_SE_EEEEZNS1_13binary_searchIS3_S5_PySG_SI_NS1_21lower_bound_search_opENS9_16wrapped_functionI11custom_lessbEEEE10hipError_tPvRmT1_T2_T3_mmT4_T5_P12ihipStream_tbEUlRKyE_EESP_ST_SU_mSV_SY_bEUlT_E_NS1_11comp_targetILNS1_3genE2ELNS1_11target_archE906ELNS1_3gpuE6ELNS1_3repE0EEENS1_30default_config_static_selectorELNS0_4arch9wavefront6targetE1EEEvSS_,comdat
	.protected	_ZN7rocprim17ROCPRIM_400000_NS6detail17trampoline_kernelINS0_14default_configENS1_27lower_bound_config_selectorIylEEZNS1_14transform_implILb0ES3_S5_N6thrust23THRUST_200600_302600_NS6detail15normal_iteratorINS8_7pointerIyNS8_11hip_rocprim5par_tENS8_11use_defaultESE_EEEENSA_INSB_IlSD_SE_SE_EEEEZNS1_13binary_searchIS3_S5_PySG_SI_NS1_21lower_bound_search_opENS9_16wrapped_functionI11custom_lessbEEEE10hipError_tPvRmT1_T2_T3_mmT4_T5_P12ihipStream_tbEUlRKyE_EESP_ST_SU_mSV_SY_bEUlT_E_NS1_11comp_targetILNS1_3genE2ELNS1_11target_archE906ELNS1_3gpuE6ELNS1_3repE0EEENS1_30default_config_static_selectorELNS0_4arch9wavefront6targetE1EEEvSS_ ; -- Begin function _ZN7rocprim17ROCPRIM_400000_NS6detail17trampoline_kernelINS0_14default_configENS1_27lower_bound_config_selectorIylEEZNS1_14transform_implILb0ES3_S5_N6thrust23THRUST_200600_302600_NS6detail15normal_iteratorINS8_7pointerIyNS8_11hip_rocprim5par_tENS8_11use_defaultESE_EEEENSA_INSB_IlSD_SE_SE_EEEEZNS1_13binary_searchIS3_S5_PySG_SI_NS1_21lower_bound_search_opENS9_16wrapped_functionI11custom_lessbEEEE10hipError_tPvRmT1_T2_T3_mmT4_T5_P12ihipStream_tbEUlRKyE_EESP_ST_SU_mSV_SY_bEUlT_E_NS1_11comp_targetILNS1_3genE2ELNS1_11target_archE906ELNS1_3gpuE6ELNS1_3repE0EEENS1_30default_config_static_selectorELNS0_4arch9wavefront6targetE1EEEvSS_
	.globl	_ZN7rocprim17ROCPRIM_400000_NS6detail17trampoline_kernelINS0_14default_configENS1_27lower_bound_config_selectorIylEEZNS1_14transform_implILb0ES3_S5_N6thrust23THRUST_200600_302600_NS6detail15normal_iteratorINS8_7pointerIyNS8_11hip_rocprim5par_tENS8_11use_defaultESE_EEEENSA_INSB_IlSD_SE_SE_EEEEZNS1_13binary_searchIS3_S5_PySG_SI_NS1_21lower_bound_search_opENS9_16wrapped_functionI11custom_lessbEEEE10hipError_tPvRmT1_T2_T3_mmT4_T5_P12ihipStream_tbEUlRKyE_EESP_ST_SU_mSV_SY_bEUlT_E_NS1_11comp_targetILNS1_3genE2ELNS1_11target_archE906ELNS1_3gpuE6ELNS1_3repE0EEENS1_30default_config_static_selectorELNS0_4arch9wavefront6targetE1EEEvSS_
	.p2align	8
	.type	_ZN7rocprim17ROCPRIM_400000_NS6detail17trampoline_kernelINS0_14default_configENS1_27lower_bound_config_selectorIylEEZNS1_14transform_implILb0ES3_S5_N6thrust23THRUST_200600_302600_NS6detail15normal_iteratorINS8_7pointerIyNS8_11hip_rocprim5par_tENS8_11use_defaultESE_EEEENSA_INSB_IlSD_SE_SE_EEEEZNS1_13binary_searchIS3_S5_PySG_SI_NS1_21lower_bound_search_opENS9_16wrapped_functionI11custom_lessbEEEE10hipError_tPvRmT1_T2_T3_mmT4_T5_P12ihipStream_tbEUlRKyE_EESP_ST_SU_mSV_SY_bEUlT_E_NS1_11comp_targetILNS1_3genE2ELNS1_11target_archE906ELNS1_3gpuE6ELNS1_3repE0EEENS1_30default_config_static_selectorELNS0_4arch9wavefront6targetE1EEEvSS_,@function
_ZN7rocprim17ROCPRIM_400000_NS6detail17trampoline_kernelINS0_14default_configENS1_27lower_bound_config_selectorIylEEZNS1_14transform_implILb0ES3_S5_N6thrust23THRUST_200600_302600_NS6detail15normal_iteratorINS8_7pointerIyNS8_11hip_rocprim5par_tENS8_11use_defaultESE_EEEENSA_INSB_IlSD_SE_SE_EEEEZNS1_13binary_searchIS3_S5_PySG_SI_NS1_21lower_bound_search_opENS9_16wrapped_functionI11custom_lessbEEEE10hipError_tPvRmT1_T2_T3_mmT4_T5_P12ihipStream_tbEUlRKyE_EESP_ST_SU_mSV_SY_bEUlT_E_NS1_11comp_targetILNS1_3genE2ELNS1_11target_archE906ELNS1_3gpuE6ELNS1_3repE0EEENS1_30default_config_static_selectorELNS0_4arch9wavefront6targetE1EEEvSS_: ; @_ZN7rocprim17ROCPRIM_400000_NS6detail17trampoline_kernelINS0_14default_configENS1_27lower_bound_config_selectorIylEEZNS1_14transform_implILb0ES3_S5_N6thrust23THRUST_200600_302600_NS6detail15normal_iteratorINS8_7pointerIyNS8_11hip_rocprim5par_tENS8_11use_defaultESE_EEEENSA_INSB_IlSD_SE_SE_EEEEZNS1_13binary_searchIS3_S5_PySG_SI_NS1_21lower_bound_search_opENS9_16wrapped_functionI11custom_lessbEEEE10hipError_tPvRmT1_T2_T3_mmT4_T5_P12ihipStream_tbEUlRKyE_EESP_ST_SU_mSV_SY_bEUlT_E_NS1_11comp_targetILNS1_3genE2ELNS1_11target_archE906ELNS1_3gpuE6ELNS1_3repE0EEENS1_30default_config_static_selectorELNS0_4arch9wavefront6targetE1EEEvSS_
; %bb.0:
	s_load_dwordx4 s[0:3], s[4:5], 0x0
	s_load_dwordx4 s[8:11], s[4:5], 0x18
	s_load_dwordx2 s[12:13], s[4:5], 0x28
	s_load_dword s16, s[4:5], 0x38
	s_waitcnt lgkmcnt(0)
	s_lshl_b64 s[14:15], s[2:3], 3
	s_add_u32 s2, s0, s14
	s_addc_u32 s3, s1, s15
	s_add_u32 s7, s8, s14
	s_addc_u32 s14, s9, s15
	s_lshl_b32 s8, s6, 8
	s_add_i32 s16, s16, -1
	s_mov_b32 s9, 0
	s_cmp_lg_u32 s6, s16
	s_mov_b64 s[0:1], -1
	s_cbranch_scc0 .LBB48_7
; %bb.1:
	s_cmp_eq_u64 s[12:13], 0
	s_mov_b64 s[0:1], 0
	s_cbranch_scc1 .LBB48_5
; %bb.2:
	s_lshl_b64 s[16:17], s[8:9], 3
	s_add_u32 s6, s2, s16
	s_addc_u32 s15, s3, s17
	v_lshlrev_b32_e32 v1, 3, v0
	v_mov_b32_e32 v2, s15
	v_add_co_u32_e32 v1, vcc, s6, v1
	v_addc_co_u32_e32 v2, vcc, 0, v2, vcc
	flat_load_dwordx2 v[3:4], v[1:2]
	v_mov_b32_e32 v1, 0
	v_mov_b32_e32 v5, s12
	;; [unrolled: 1-line block ×5, first 2 shown]
.LBB48_3:                               ; =>This Inner Loop Header: Depth=1
	v_sub_co_u32_e32 v8, vcc, v5, v1
	v_subb_co_u32_e32 v9, vcc, v6, v2, vcc
	v_lshrrev_b64 v[10:11], 1, v[8:9]
	v_lshrrev_b64 v[8:9], 6, v[8:9]
	v_add_co_u32_e32 v10, vcc, v10, v1
	v_addc_co_u32_e32 v11, vcc, v11, v2, vcc
	v_add_co_u32_e32 v8, vcc, v10, v8
	v_addc_co_u32_e32 v9, vcc, v11, v9, vcc
	v_lshlrev_b64 v[10:11], 3, v[8:9]
	v_add_co_u32_e32 v10, vcc, s10, v10
	v_addc_co_u32_e32 v11, vcc, v7, v11, vcc
	global_load_dwordx2 v[10:11], v[10:11], off
	v_add_co_u32_e32 v12, vcc, 1, v8
	v_addc_co_u32_e32 v13, vcc, 0, v9, vcc
	s_waitcnt vmcnt(0) lgkmcnt(0)
	v_cmp_lt_u64_e32 vcc, v[10:11], v[3:4]
	v_cndmask_b32_e32 v6, v9, v6, vcc
	v_cndmask_b32_e32 v5, v8, v5, vcc
	;; [unrolled: 1-line block ×4, first 2 shown]
	v_cmp_ge_u64_e32 vcc, v[1:2], v[5:6]
	s_or_b64 s[0:1], vcc, s[0:1]
	s_andn2_b64 exec, exec, s[0:1]
	s_cbranch_execnz .LBB48_3
; %bb.4:
	s_or_b64 exec, exec, s[0:1]
	s_branch .LBB48_6
.LBB48_5:
	v_mov_b32_e32 v1, 0
	v_mov_b32_e32 v2, 0
.LBB48_6:
	s_lshl_b64 s[0:1], s[8:9], 3
	s_add_u32 s0, s7, s0
	s_addc_u32 s1, s14, s1
	v_lshlrev_b32_e32 v3, 3, v0
	v_mov_b32_e32 v4, s1
	v_add_co_u32_e32 v3, vcc, s0, v3
	v_addc_co_u32_e32 v4, vcc, 0, v4, vcc
	s_mov_b64 s[0:1], 0
	flat_store_dwordx2 v[3:4], v[1:2]
.LBB48_7:
	s_and_b64 vcc, exec, s[0:1]
	s_cbranch_vccz .LBB48_16
; %bb.8:
	s_load_dword s0, s[4:5], 0x10
                                        ; implicit-def: $vgpr3_vgpr4
	s_waitcnt lgkmcnt(0)
	s_sub_i32 s4, s0, s8
	v_cmp_le_u32_e64 s[0:1], s4, v0
	v_cmp_gt_u32_e32 vcc, s4, v0
	s_and_saveexec_b64 s[4:5], vcc
	s_cbranch_execz .LBB48_10
; %bb.9:
	s_lshl_b64 s[16:17], s[8:9], 3
	s_add_u32 s2, s2, s16
	s_addc_u32 s3, s3, s17
	v_lshlrev_b32_e32 v1, 3, v0
	v_mov_b32_e32 v2, s3
	v_add_co_u32_e64 v1, s[2:3], s2, v1
	v_addc_co_u32_e64 v2, s[2:3], 0, v2, s[2:3]
	flat_load_dwordx2 v[3:4], v[1:2]
.LBB48_10:
	s_or_b64 exec, exec, s[4:5]
	s_cmp_lg_u64 s[12:13], 0
	s_cselect_b64 s[4:5], -1, 0
	s_xor_b64 s[0:1], s[0:1], -1
	v_mov_b32_e32 v1, 0
	s_mov_b64 s[2:3], 0
	v_mov_b32_e32 v2, 0
	s_and_b64 s[0:1], s[0:1], s[4:5]
	s_and_saveexec_b64 s[4:5], s[0:1]
	s_cbranch_execz .LBB48_14
; %bb.11:
	v_mov_b32_e32 v1, 0
	v_mov_b32_e32 v5, s12
	;; [unrolled: 1-line block ×5, first 2 shown]
.LBB48_12:                              ; =>This Inner Loop Header: Depth=1
	v_sub_co_u32_e64 v8, s[0:1], v5, v1
	v_subb_co_u32_e64 v9, s[0:1], v6, v2, s[0:1]
	v_lshrrev_b64 v[10:11], 1, v[8:9]
	v_lshrrev_b64 v[8:9], 6, v[8:9]
	v_add_co_u32_e64 v10, s[0:1], v10, v1
	v_addc_co_u32_e64 v11, s[0:1], v11, v2, s[0:1]
	v_add_co_u32_e64 v8, s[0:1], v10, v8
	v_addc_co_u32_e64 v9, s[0:1], v11, v9, s[0:1]
	v_lshlrev_b64 v[10:11], 3, v[8:9]
	v_add_co_u32_e64 v10, s[0:1], s10, v10
	v_addc_co_u32_e64 v11, s[0:1], v7, v11, s[0:1]
	global_load_dwordx2 v[10:11], v[10:11], off
	v_add_co_u32_e64 v12, s[0:1], 1, v8
	v_addc_co_u32_e64 v13, s[0:1], 0, v9, s[0:1]
	s_waitcnt vmcnt(0) lgkmcnt(0)
	v_cmp_lt_u64_e64 s[0:1], v[10:11], v[3:4]
	v_cndmask_b32_e64 v6, v9, v6, s[0:1]
	v_cndmask_b32_e64 v5, v8, v5, s[0:1]
	;; [unrolled: 1-line block ×4, first 2 shown]
	v_cmp_ge_u64_e64 s[0:1], v[1:2], v[5:6]
	s_or_b64 s[2:3], s[0:1], s[2:3]
	s_andn2_b64 exec, exec, s[2:3]
	s_cbranch_execnz .LBB48_12
; %bb.13:
	s_or_b64 exec, exec, s[2:3]
.LBB48_14:
	s_or_b64 exec, exec, s[4:5]
	s_and_saveexec_b64 s[0:1], vcc
	s_cbranch_execz .LBB48_16
; %bb.15:
	s_lshl_b64 s[0:1], s[8:9], 3
	s_add_u32 s0, s7, s0
	s_addc_u32 s1, s14, s1
	v_lshlrev_b32_e32 v0, 3, v0
	s_waitcnt vmcnt(0) lgkmcnt(0)
	v_mov_b32_e32 v4, s1
	v_add_co_u32_e32 v3, vcc, s0, v0
	v_addc_co_u32_e32 v4, vcc, 0, v4, vcc
	flat_store_dwordx2 v[3:4], v[1:2]
.LBB48_16:
	s_endpgm
	.section	.rodata,"a",@progbits
	.p2align	6, 0x0
	.amdhsa_kernel _ZN7rocprim17ROCPRIM_400000_NS6detail17trampoline_kernelINS0_14default_configENS1_27lower_bound_config_selectorIylEEZNS1_14transform_implILb0ES3_S5_N6thrust23THRUST_200600_302600_NS6detail15normal_iteratorINS8_7pointerIyNS8_11hip_rocprim5par_tENS8_11use_defaultESE_EEEENSA_INSB_IlSD_SE_SE_EEEEZNS1_13binary_searchIS3_S5_PySG_SI_NS1_21lower_bound_search_opENS9_16wrapped_functionI11custom_lessbEEEE10hipError_tPvRmT1_T2_T3_mmT4_T5_P12ihipStream_tbEUlRKyE_EESP_ST_SU_mSV_SY_bEUlT_E_NS1_11comp_targetILNS1_3genE2ELNS1_11target_archE906ELNS1_3gpuE6ELNS1_3repE0EEENS1_30default_config_static_selectorELNS0_4arch9wavefront6targetE1EEEvSS_
		.amdhsa_group_segment_fixed_size 0
		.amdhsa_private_segment_fixed_size 0
		.amdhsa_kernarg_size 312
		.amdhsa_user_sgpr_count 6
		.amdhsa_user_sgpr_private_segment_buffer 1
		.amdhsa_user_sgpr_dispatch_ptr 0
		.amdhsa_user_sgpr_queue_ptr 0
		.amdhsa_user_sgpr_kernarg_segment_ptr 1
		.amdhsa_user_sgpr_dispatch_id 0
		.amdhsa_user_sgpr_flat_scratch_init 0
		.amdhsa_user_sgpr_private_segment_size 0
		.amdhsa_uses_dynamic_stack 0
		.amdhsa_system_sgpr_private_segment_wavefront_offset 0
		.amdhsa_system_sgpr_workgroup_id_x 1
		.amdhsa_system_sgpr_workgroup_id_y 0
		.amdhsa_system_sgpr_workgroup_id_z 0
		.amdhsa_system_sgpr_workgroup_info 0
		.amdhsa_system_vgpr_workitem_id 0
		.amdhsa_next_free_vgpr 14
		.amdhsa_next_free_sgpr 18
		.amdhsa_reserve_vcc 1
		.amdhsa_reserve_flat_scratch 0
		.amdhsa_float_round_mode_32 0
		.amdhsa_float_round_mode_16_64 0
		.amdhsa_float_denorm_mode_32 3
		.amdhsa_float_denorm_mode_16_64 3
		.amdhsa_dx10_clamp 1
		.amdhsa_ieee_mode 1
		.amdhsa_fp16_overflow 0
		.amdhsa_exception_fp_ieee_invalid_op 0
		.amdhsa_exception_fp_denorm_src 0
		.amdhsa_exception_fp_ieee_div_zero 0
		.amdhsa_exception_fp_ieee_overflow 0
		.amdhsa_exception_fp_ieee_underflow 0
		.amdhsa_exception_fp_ieee_inexact 0
		.amdhsa_exception_int_div_zero 0
	.end_amdhsa_kernel
	.section	.text._ZN7rocprim17ROCPRIM_400000_NS6detail17trampoline_kernelINS0_14default_configENS1_27lower_bound_config_selectorIylEEZNS1_14transform_implILb0ES3_S5_N6thrust23THRUST_200600_302600_NS6detail15normal_iteratorINS8_7pointerIyNS8_11hip_rocprim5par_tENS8_11use_defaultESE_EEEENSA_INSB_IlSD_SE_SE_EEEEZNS1_13binary_searchIS3_S5_PySG_SI_NS1_21lower_bound_search_opENS9_16wrapped_functionI11custom_lessbEEEE10hipError_tPvRmT1_T2_T3_mmT4_T5_P12ihipStream_tbEUlRKyE_EESP_ST_SU_mSV_SY_bEUlT_E_NS1_11comp_targetILNS1_3genE2ELNS1_11target_archE906ELNS1_3gpuE6ELNS1_3repE0EEENS1_30default_config_static_selectorELNS0_4arch9wavefront6targetE1EEEvSS_,"axG",@progbits,_ZN7rocprim17ROCPRIM_400000_NS6detail17trampoline_kernelINS0_14default_configENS1_27lower_bound_config_selectorIylEEZNS1_14transform_implILb0ES3_S5_N6thrust23THRUST_200600_302600_NS6detail15normal_iteratorINS8_7pointerIyNS8_11hip_rocprim5par_tENS8_11use_defaultESE_EEEENSA_INSB_IlSD_SE_SE_EEEEZNS1_13binary_searchIS3_S5_PySG_SI_NS1_21lower_bound_search_opENS9_16wrapped_functionI11custom_lessbEEEE10hipError_tPvRmT1_T2_T3_mmT4_T5_P12ihipStream_tbEUlRKyE_EESP_ST_SU_mSV_SY_bEUlT_E_NS1_11comp_targetILNS1_3genE2ELNS1_11target_archE906ELNS1_3gpuE6ELNS1_3repE0EEENS1_30default_config_static_selectorELNS0_4arch9wavefront6targetE1EEEvSS_,comdat
.Lfunc_end48:
	.size	_ZN7rocprim17ROCPRIM_400000_NS6detail17trampoline_kernelINS0_14default_configENS1_27lower_bound_config_selectorIylEEZNS1_14transform_implILb0ES3_S5_N6thrust23THRUST_200600_302600_NS6detail15normal_iteratorINS8_7pointerIyNS8_11hip_rocprim5par_tENS8_11use_defaultESE_EEEENSA_INSB_IlSD_SE_SE_EEEEZNS1_13binary_searchIS3_S5_PySG_SI_NS1_21lower_bound_search_opENS9_16wrapped_functionI11custom_lessbEEEE10hipError_tPvRmT1_T2_T3_mmT4_T5_P12ihipStream_tbEUlRKyE_EESP_ST_SU_mSV_SY_bEUlT_E_NS1_11comp_targetILNS1_3genE2ELNS1_11target_archE906ELNS1_3gpuE6ELNS1_3repE0EEENS1_30default_config_static_selectorELNS0_4arch9wavefront6targetE1EEEvSS_, .Lfunc_end48-_ZN7rocprim17ROCPRIM_400000_NS6detail17trampoline_kernelINS0_14default_configENS1_27lower_bound_config_selectorIylEEZNS1_14transform_implILb0ES3_S5_N6thrust23THRUST_200600_302600_NS6detail15normal_iteratorINS8_7pointerIyNS8_11hip_rocprim5par_tENS8_11use_defaultESE_EEEENSA_INSB_IlSD_SE_SE_EEEEZNS1_13binary_searchIS3_S5_PySG_SI_NS1_21lower_bound_search_opENS9_16wrapped_functionI11custom_lessbEEEE10hipError_tPvRmT1_T2_T3_mmT4_T5_P12ihipStream_tbEUlRKyE_EESP_ST_SU_mSV_SY_bEUlT_E_NS1_11comp_targetILNS1_3genE2ELNS1_11target_archE906ELNS1_3gpuE6ELNS1_3repE0EEENS1_30default_config_static_selectorELNS0_4arch9wavefront6targetE1EEEvSS_
                                        ; -- End function
	.set _ZN7rocprim17ROCPRIM_400000_NS6detail17trampoline_kernelINS0_14default_configENS1_27lower_bound_config_selectorIylEEZNS1_14transform_implILb0ES3_S5_N6thrust23THRUST_200600_302600_NS6detail15normal_iteratorINS8_7pointerIyNS8_11hip_rocprim5par_tENS8_11use_defaultESE_EEEENSA_INSB_IlSD_SE_SE_EEEEZNS1_13binary_searchIS3_S5_PySG_SI_NS1_21lower_bound_search_opENS9_16wrapped_functionI11custom_lessbEEEE10hipError_tPvRmT1_T2_T3_mmT4_T5_P12ihipStream_tbEUlRKyE_EESP_ST_SU_mSV_SY_bEUlT_E_NS1_11comp_targetILNS1_3genE2ELNS1_11target_archE906ELNS1_3gpuE6ELNS1_3repE0EEENS1_30default_config_static_selectorELNS0_4arch9wavefront6targetE1EEEvSS_.num_vgpr, 14
	.set _ZN7rocprim17ROCPRIM_400000_NS6detail17trampoline_kernelINS0_14default_configENS1_27lower_bound_config_selectorIylEEZNS1_14transform_implILb0ES3_S5_N6thrust23THRUST_200600_302600_NS6detail15normal_iteratorINS8_7pointerIyNS8_11hip_rocprim5par_tENS8_11use_defaultESE_EEEENSA_INSB_IlSD_SE_SE_EEEEZNS1_13binary_searchIS3_S5_PySG_SI_NS1_21lower_bound_search_opENS9_16wrapped_functionI11custom_lessbEEEE10hipError_tPvRmT1_T2_T3_mmT4_T5_P12ihipStream_tbEUlRKyE_EESP_ST_SU_mSV_SY_bEUlT_E_NS1_11comp_targetILNS1_3genE2ELNS1_11target_archE906ELNS1_3gpuE6ELNS1_3repE0EEENS1_30default_config_static_selectorELNS0_4arch9wavefront6targetE1EEEvSS_.num_agpr, 0
	.set _ZN7rocprim17ROCPRIM_400000_NS6detail17trampoline_kernelINS0_14default_configENS1_27lower_bound_config_selectorIylEEZNS1_14transform_implILb0ES3_S5_N6thrust23THRUST_200600_302600_NS6detail15normal_iteratorINS8_7pointerIyNS8_11hip_rocprim5par_tENS8_11use_defaultESE_EEEENSA_INSB_IlSD_SE_SE_EEEEZNS1_13binary_searchIS3_S5_PySG_SI_NS1_21lower_bound_search_opENS9_16wrapped_functionI11custom_lessbEEEE10hipError_tPvRmT1_T2_T3_mmT4_T5_P12ihipStream_tbEUlRKyE_EESP_ST_SU_mSV_SY_bEUlT_E_NS1_11comp_targetILNS1_3genE2ELNS1_11target_archE906ELNS1_3gpuE6ELNS1_3repE0EEENS1_30default_config_static_selectorELNS0_4arch9wavefront6targetE1EEEvSS_.numbered_sgpr, 18
	.set _ZN7rocprim17ROCPRIM_400000_NS6detail17trampoline_kernelINS0_14default_configENS1_27lower_bound_config_selectorIylEEZNS1_14transform_implILb0ES3_S5_N6thrust23THRUST_200600_302600_NS6detail15normal_iteratorINS8_7pointerIyNS8_11hip_rocprim5par_tENS8_11use_defaultESE_EEEENSA_INSB_IlSD_SE_SE_EEEEZNS1_13binary_searchIS3_S5_PySG_SI_NS1_21lower_bound_search_opENS9_16wrapped_functionI11custom_lessbEEEE10hipError_tPvRmT1_T2_T3_mmT4_T5_P12ihipStream_tbEUlRKyE_EESP_ST_SU_mSV_SY_bEUlT_E_NS1_11comp_targetILNS1_3genE2ELNS1_11target_archE906ELNS1_3gpuE6ELNS1_3repE0EEENS1_30default_config_static_selectorELNS0_4arch9wavefront6targetE1EEEvSS_.num_named_barrier, 0
	.set _ZN7rocprim17ROCPRIM_400000_NS6detail17trampoline_kernelINS0_14default_configENS1_27lower_bound_config_selectorIylEEZNS1_14transform_implILb0ES3_S5_N6thrust23THRUST_200600_302600_NS6detail15normal_iteratorINS8_7pointerIyNS8_11hip_rocprim5par_tENS8_11use_defaultESE_EEEENSA_INSB_IlSD_SE_SE_EEEEZNS1_13binary_searchIS3_S5_PySG_SI_NS1_21lower_bound_search_opENS9_16wrapped_functionI11custom_lessbEEEE10hipError_tPvRmT1_T2_T3_mmT4_T5_P12ihipStream_tbEUlRKyE_EESP_ST_SU_mSV_SY_bEUlT_E_NS1_11comp_targetILNS1_3genE2ELNS1_11target_archE906ELNS1_3gpuE6ELNS1_3repE0EEENS1_30default_config_static_selectorELNS0_4arch9wavefront6targetE1EEEvSS_.private_seg_size, 0
	.set _ZN7rocprim17ROCPRIM_400000_NS6detail17trampoline_kernelINS0_14default_configENS1_27lower_bound_config_selectorIylEEZNS1_14transform_implILb0ES3_S5_N6thrust23THRUST_200600_302600_NS6detail15normal_iteratorINS8_7pointerIyNS8_11hip_rocprim5par_tENS8_11use_defaultESE_EEEENSA_INSB_IlSD_SE_SE_EEEEZNS1_13binary_searchIS3_S5_PySG_SI_NS1_21lower_bound_search_opENS9_16wrapped_functionI11custom_lessbEEEE10hipError_tPvRmT1_T2_T3_mmT4_T5_P12ihipStream_tbEUlRKyE_EESP_ST_SU_mSV_SY_bEUlT_E_NS1_11comp_targetILNS1_3genE2ELNS1_11target_archE906ELNS1_3gpuE6ELNS1_3repE0EEENS1_30default_config_static_selectorELNS0_4arch9wavefront6targetE1EEEvSS_.uses_vcc, 1
	.set _ZN7rocprim17ROCPRIM_400000_NS6detail17trampoline_kernelINS0_14default_configENS1_27lower_bound_config_selectorIylEEZNS1_14transform_implILb0ES3_S5_N6thrust23THRUST_200600_302600_NS6detail15normal_iteratorINS8_7pointerIyNS8_11hip_rocprim5par_tENS8_11use_defaultESE_EEEENSA_INSB_IlSD_SE_SE_EEEEZNS1_13binary_searchIS3_S5_PySG_SI_NS1_21lower_bound_search_opENS9_16wrapped_functionI11custom_lessbEEEE10hipError_tPvRmT1_T2_T3_mmT4_T5_P12ihipStream_tbEUlRKyE_EESP_ST_SU_mSV_SY_bEUlT_E_NS1_11comp_targetILNS1_3genE2ELNS1_11target_archE906ELNS1_3gpuE6ELNS1_3repE0EEENS1_30default_config_static_selectorELNS0_4arch9wavefront6targetE1EEEvSS_.uses_flat_scratch, 0
	.set _ZN7rocprim17ROCPRIM_400000_NS6detail17trampoline_kernelINS0_14default_configENS1_27lower_bound_config_selectorIylEEZNS1_14transform_implILb0ES3_S5_N6thrust23THRUST_200600_302600_NS6detail15normal_iteratorINS8_7pointerIyNS8_11hip_rocprim5par_tENS8_11use_defaultESE_EEEENSA_INSB_IlSD_SE_SE_EEEEZNS1_13binary_searchIS3_S5_PySG_SI_NS1_21lower_bound_search_opENS9_16wrapped_functionI11custom_lessbEEEE10hipError_tPvRmT1_T2_T3_mmT4_T5_P12ihipStream_tbEUlRKyE_EESP_ST_SU_mSV_SY_bEUlT_E_NS1_11comp_targetILNS1_3genE2ELNS1_11target_archE906ELNS1_3gpuE6ELNS1_3repE0EEENS1_30default_config_static_selectorELNS0_4arch9wavefront6targetE1EEEvSS_.has_dyn_sized_stack, 0
	.set _ZN7rocprim17ROCPRIM_400000_NS6detail17trampoline_kernelINS0_14default_configENS1_27lower_bound_config_selectorIylEEZNS1_14transform_implILb0ES3_S5_N6thrust23THRUST_200600_302600_NS6detail15normal_iteratorINS8_7pointerIyNS8_11hip_rocprim5par_tENS8_11use_defaultESE_EEEENSA_INSB_IlSD_SE_SE_EEEEZNS1_13binary_searchIS3_S5_PySG_SI_NS1_21lower_bound_search_opENS9_16wrapped_functionI11custom_lessbEEEE10hipError_tPvRmT1_T2_T3_mmT4_T5_P12ihipStream_tbEUlRKyE_EESP_ST_SU_mSV_SY_bEUlT_E_NS1_11comp_targetILNS1_3genE2ELNS1_11target_archE906ELNS1_3gpuE6ELNS1_3repE0EEENS1_30default_config_static_selectorELNS0_4arch9wavefront6targetE1EEEvSS_.has_recursion, 0
	.set _ZN7rocprim17ROCPRIM_400000_NS6detail17trampoline_kernelINS0_14default_configENS1_27lower_bound_config_selectorIylEEZNS1_14transform_implILb0ES3_S5_N6thrust23THRUST_200600_302600_NS6detail15normal_iteratorINS8_7pointerIyNS8_11hip_rocprim5par_tENS8_11use_defaultESE_EEEENSA_INSB_IlSD_SE_SE_EEEEZNS1_13binary_searchIS3_S5_PySG_SI_NS1_21lower_bound_search_opENS9_16wrapped_functionI11custom_lessbEEEE10hipError_tPvRmT1_T2_T3_mmT4_T5_P12ihipStream_tbEUlRKyE_EESP_ST_SU_mSV_SY_bEUlT_E_NS1_11comp_targetILNS1_3genE2ELNS1_11target_archE906ELNS1_3gpuE6ELNS1_3repE0EEENS1_30default_config_static_selectorELNS0_4arch9wavefront6targetE1EEEvSS_.has_indirect_call, 0
	.section	.AMDGPU.csdata,"",@progbits
; Kernel info:
; codeLenInByte = 700
; TotalNumSgprs: 22
; NumVgprs: 14
; ScratchSize: 0
; MemoryBound: 0
; FloatMode: 240
; IeeeMode: 1
; LDSByteSize: 0 bytes/workgroup (compile time only)
; SGPRBlocks: 2
; VGPRBlocks: 3
; NumSGPRsForWavesPerEU: 22
; NumVGPRsForWavesPerEU: 14
; Occupancy: 10
; WaveLimiterHint : 0
; COMPUTE_PGM_RSRC2:SCRATCH_EN: 0
; COMPUTE_PGM_RSRC2:USER_SGPR: 6
; COMPUTE_PGM_RSRC2:TRAP_HANDLER: 0
; COMPUTE_PGM_RSRC2:TGID_X_EN: 1
; COMPUTE_PGM_RSRC2:TGID_Y_EN: 0
; COMPUTE_PGM_RSRC2:TGID_Z_EN: 0
; COMPUTE_PGM_RSRC2:TIDIG_COMP_CNT: 0
	.section	.text._ZN7rocprim17ROCPRIM_400000_NS6detail17trampoline_kernelINS0_14default_configENS1_27lower_bound_config_selectorIylEEZNS1_14transform_implILb0ES3_S5_N6thrust23THRUST_200600_302600_NS6detail15normal_iteratorINS8_7pointerIyNS8_11hip_rocprim5par_tENS8_11use_defaultESE_EEEENSA_INSB_IlSD_SE_SE_EEEEZNS1_13binary_searchIS3_S5_PySG_SI_NS1_21lower_bound_search_opENS9_16wrapped_functionI11custom_lessbEEEE10hipError_tPvRmT1_T2_T3_mmT4_T5_P12ihipStream_tbEUlRKyE_EESP_ST_SU_mSV_SY_bEUlT_E_NS1_11comp_targetILNS1_3genE10ELNS1_11target_archE1201ELNS1_3gpuE5ELNS1_3repE0EEENS1_30default_config_static_selectorELNS0_4arch9wavefront6targetE1EEEvSS_,"axG",@progbits,_ZN7rocprim17ROCPRIM_400000_NS6detail17trampoline_kernelINS0_14default_configENS1_27lower_bound_config_selectorIylEEZNS1_14transform_implILb0ES3_S5_N6thrust23THRUST_200600_302600_NS6detail15normal_iteratorINS8_7pointerIyNS8_11hip_rocprim5par_tENS8_11use_defaultESE_EEEENSA_INSB_IlSD_SE_SE_EEEEZNS1_13binary_searchIS3_S5_PySG_SI_NS1_21lower_bound_search_opENS9_16wrapped_functionI11custom_lessbEEEE10hipError_tPvRmT1_T2_T3_mmT4_T5_P12ihipStream_tbEUlRKyE_EESP_ST_SU_mSV_SY_bEUlT_E_NS1_11comp_targetILNS1_3genE10ELNS1_11target_archE1201ELNS1_3gpuE5ELNS1_3repE0EEENS1_30default_config_static_selectorELNS0_4arch9wavefront6targetE1EEEvSS_,comdat
	.protected	_ZN7rocprim17ROCPRIM_400000_NS6detail17trampoline_kernelINS0_14default_configENS1_27lower_bound_config_selectorIylEEZNS1_14transform_implILb0ES3_S5_N6thrust23THRUST_200600_302600_NS6detail15normal_iteratorINS8_7pointerIyNS8_11hip_rocprim5par_tENS8_11use_defaultESE_EEEENSA_INSB_IlSD_SE_SE_EEEEZNS1_13binary_searchIS3_S5_PySG_SI_NS1_21lower_bound_search_opENS9_16wrapped_functionI11custom_lessbEEEE10hipError_tPvRmT1_T2_T3_mmT4_T5_P12ihipStream_tbEUlRKyE_EESP_ST_SU_mSV_SY_bEUlT_E_NS1_11comp_targetILNS1_3genE10ELNS1_11target_archE1201ELNS1_3gpuE5ELNS1_3repE0EEENS1_30default_config_static_selectorELNS0_4arch9wavefront6targetE1EEEvSS_ ; -- Begin function _ZN7rocprim17ROCPRIM_400000_NS6detail17trampoline_kernelINS0_14default_configENS1_27lower_bound_config_selectorIylEEZNS1_14transform_implILb0ES3_S5_N6thrust23THRUST_200600_302600_NS6detail15normal_iteratorINS8_7pointerIyNS8_11hip_rocprim5par_tENS8_11use_defaultESE_EEEENSA_INSB_IlSD_SE_SE_EEEEZNS1_13binary_searchIS3_S5_PySG_SI_NS1_21lower_bound_search_opENS9_16wrapped_functionI11custom_lessbEEEE10hipError_tPvRmT1_T2_T3_mmT4_T5_P12ihipStream_tbEUlRKyE_EESP_ST_SU_mSV_SY_bEUlT_E_NS1_11comp_targetILNS1_3genE10ELNS1_11target_archE1201ELNS1_3gpuE5ELNS1_3repE0EEENS1_30default_config_static_selectorELNS0_4arch9wavefront6targetE1EEEvSS_
	.globl	_ZN7rocprim17ROCPRIM_400000_NS6detail17trampoline_kernelINS0_14default_configENS1_27lower_bound_config_selectorIylEEZNS1_14transform_implILb0ES3_S5_N6thrust23THRUST_200600_302600_NS6detail15normal_iteratorINS8_7pointerIyNS8_11hip_rocprim5par_tENS8_11use_defaultESE_EEEENSA_INSB_IlSD_SE_SE_EEEEZNS1_13binary_searchIS3_S5_PySG_SI_NS1_21lower_bound_search_opENS9_16wrapped_functionI11custom_lessbEEEE10hipError_tPvRmT1_T2_T3_mmT4_T5_P12ihipStream_tbEUlRKyE_EESP_ST_SU_mSV_SY_bEUlT_E_NS1_11comp_targetILNS1_3genE10ELNS1_11target_archE1201ELNS1_3gpuE5ELNS1_3repE0EEENS1_30default_config_static_selectorELNS0_4arch9wavefront6targetE1EEEvSS_
	.p2align	8
	.type	_ZN7rocprim17ROCPRIM_400000_NS6detail17trampoline_kernelINS0_14default_configENS1_27lower_bound_config_selectorIylEEZNS1_14transform_implILb0ES3_S5_N6thrust23THRUST_200600_302600_NS6detail15normal_iteratorINS8_7pointerIyNS8_11hip_rocprim5par_tENS8_11use_defaultESE_EEEENSA_INSB_IlSD_SE_SE_EEEEZNS1_13binary_searchIS3_S5_PySG_SI_NS1_21lower_bound_search_opENS9_16wrapped_functionI11custom_lessbEEEE10hipError_tPvRmT1_T2_T3_mmT4_T5_P12ihipStream_tbEUlRKyE_EESP_ST_SU_mSV_SY_bEUlT_E_NS1_11comp_targetILNS1_3genE10ELNS1_11target_archE1201ELNS1_3gpuE5ELNS1_3repE0EEENS1_30default_config_static_selectorELNS0_4arch9wavefront6targetE1EEEvSS_,@function
_ZN7rocprim17ROCPRIM_400000_NS6detail17trampoline_kernelINS0_14default_configENS1_27lower_bound_config_selectorIylEEZNS1_14transform_implILb0ES3_S5_N6thrust23THRUST_200600_302600_NS6detail15normal_iteratorINS8_7pointerIyNS8_11hip_rocprim5par_tENS8_11use_defaultESE_EEEENSA_INSB_IlSD_SE_SE_EEEEZNS1_13binary_searchIS3_S5_PySG_SI_NS1_21lower_bound_search_opENS9_16wrapped_functionI11custom_lessbEEEE10hipError_tPvRmT1_T2_T3_mmT4_T5_P12ihipStream_tbEUlRKyE_EESP_ST_SU_mSV_SY_bEUlT_E_NS1_11comp_targetILNS1_3genE10ELNS1_11target_archE1201ELNS1_3gpuE5ELNS1_3repE0EEENS1_30default_config_static_selectorELNS0_4arch9wavefront6targetE1EEEvSS_: ; @_ZN7rocprim17ROCPRIM_400000_NS6detail17trampoline_kernelINS0_14default_configENS1_27lower_bound_config_selectorIylEEZNS1_14transform_implILb0ES3_S5_N6thrust23THRUST_200600_302600_NS6detail15normal_iteratorINS8_7pointerIyNS8_11hip_rocprim5par_tENS8_11use_defaultESE_EEEENSA_INSB_IlSD_SE_SE_EEEEZNS1_13binary_searchIS3_S5_PySG_SI_NS1_21lower_bound_search_opENS9_16wrapped_functionI11custom_lessbEEEE10hipError_tPvRmT1_T2_T3_mmT4_T5_P12ihipStream_tbEUlRKyE_EESP_ST_SU_mSV_SY_bEUlT_E_NS1_11comp_targetILNS1_3genE10ELNS1_11target_archE1201ELNS1_3gpuE5ELNS1_3repE0EEENS1_30default_config_static_selectorELNS0_4arch9wavefront6targetE1EEEvSS_
; %bb.0:
	.section	.rodata,"a",@progbits
	.p2align	6, 0x0
	.amdhsa_kernel _ZN7rocprim17ROCPRIM_400000_NS6detail17trampoline_kernelINS0_14default_configENS1_27lower_bound_config_selectorIylEEZNS1_14transform_implILb0ES3_S5_N6thrust23THRUST_200600_302600_NS6detail15normal_iteratorINS8_7pointerIyNS8_11hip_rocprim5par_tENS8_11use_defaultESE_EEEENSA_INSB_IlSD_SE_SE_EEEEZNS1_13binary_searchIS3_S5_PySG_SI_NS1_21lower_bound_search_opENS9_16wrapped_functionI11custom_lessbEEEE10hipError_tPvRmT1_T2_T3_mmT4_T5_P12ihipStream_tbEUlRKyE_EESP_ST_SU_mSV_SY_bEUlT_E_NS1_11comp_targetILNS1_3genE10ELNS1_11target_archE1201ELNS1_3gpuE5ELNS1_3repE0EEENS1_30default_config_static_selectorELNS0_4arch9wavefront6targetE1EEEvSS_
		.amdhsa_group_segment_fixed_size 0
		.amdhsa_private_segment_fixed_size 0
		.amdhsa_kernarg_size 56
		.amdhsa_user_sgpr_count 6
		.amdhsa_user_sgpr_private_segment_buffer 1
		.amdhsa_user_sgpr_dispatch_ptr 0
		.amdhsa_user_sgpr_queue_ptr 0
		.amdhsa_user_sgpr_kernarg_segment_ptr 1
		.amdhsa_user_sgpr_dispatch_id 0
		.amdhsa_user_sgpr_flat_scratch_init 0
		.amdhsa_user_sgpr_private_segment_size 0
		.amdhsa_uses_dynamic_stack 0
		.amdhsa_system_sgpr_private_segment_wavefront_offset 0
		.amdhsa_system_sgpr_workgroup_id_x 1
		.amdhsa_system_sgpr_workgroup_id_y 0
		.amdhsa_system_sgpr_workgroup_id_z 0
		.amdhsa_system_sgpr_workgroup_info 0
		.amdhsa_system_vgpr_workitem_id 0
		.amdhsa_next_free_vgpr 1
		.amdhsa_next_free_sgpr 0
		.amdhsa_reserve_vcc 0
		.amdhsa_reserve_flat_scratch 0
		.amdhsa_float_round_mode_32 0
		.amdhsa_float_round_mode_16_64 0
		.amdhsa_float_denorm_mode_32 3
		.amdhsa_float_denorm_mode_16_64 3
		.amdhsa_dx10_clamp 1
		.amdhsa_ieee_mode 1
		.amdhsa_fp16_overflow 0
		.amdhsa_exception_fp_ieee_invalid_op 0
		.amdhsa_exception_fp_denorm_src 0
		.amdhsa_exception_fp_ieee_div_zero 0
		.amdhsa_exception_fp_ieee_overflow 0
		.amdhsa_exception_fp_ieee_underflow 0
		.amdhsa_exception_fp_ieee_inexact 0
		.amdhsa_exception_int_div_zero 0
	.end_amdhsa_kernel
	.section	.text._ZN7rocprim17ROCPRIM_400000_NS6detail17trampoline_kernelINS0_14default_configENS1_27lower_bound_config_selectorIylEEZNS1_14transform_implILb0ES3_S5_N6thrust23THRUST_200600_302600_NS6detail15normal_iteratorINS8_7pointerIyNS8_11hip_rocprim5par_tENS8_11use_defaultESE_EEEENSA_INSB_IlSD_SE_SE_EEEEZNS1_13binary_searchIS3_S5_PySG_SI_NS1_21lower_bound_search_opENS9_16wrapped_functionI11custom_lessbEEEE10hipError_tPvRmT1_T2_T3_mmT4_T5_P12ihipStream_tbEUlRKyE_EESP_ST_SU_mSV_SY_bEUlT_E_NS1_11comp_targetILNS1_3genE10ELNS1_11target_archE1201ELNS1_3gpuE5ELNS1_3repE0EEENS1_30default_config_static_selectorELNS0_4arch9wavefront6targetE1EEEvSS_,"axG",@progbits,_ZN7rocprim17ROCPRIM_400000_NS6detail17trampoline_kernelINS0_14default_configENS1_27lower_bound_config_selectorIylEEZNS1_14transform_implILb0ES3_S5_N6thrust23THRUST_200600_302600_NS6detail15normal_iteratorINS8_7pointerIyNS8_11hip_rocprim5par_tENS8_11use_defaultESE_EEEENSA_INSB_IlSD_SE_SE_EEEEZNS1_13binary_searchIS3_S5_PySG_SI_NS1_21lower_bound_search_opENS9_16wrapped_functionI11custom_lessbEEEE10hipError_tPvRmT1_T2_T3_mmT4_T5_P12ihipStream_tbEUlRKyE_EESP_ST_SU_mSV_SY_bEUlT_E_NS1_11comp_targetILNS1_3genE10ELNS1_11target_archE1201ELNS1_3gpuE5ELNS1_3repE0EEENS1_30default_config_static_selectorELNS0_4arch9wavefront6targetE1EEEvSS_,comdat
.Lfunc_end49:
	.size	_ZN7rocprim17ROCPRIM_400000_NS6detail17trampoline_kernelINS0_14default_configENS1_27lower_bound_config_selectorIylEEZNS1_14transform_implILb0ES3_S5_N6thrust23THRUST_200600_302600_NS6detail15normal_iteratorINS8_7pointerIyNS8_11hip_rocprim5par_tENS8_11use_defaultESE_EEEENSA_INSB_IlSD_SE_SE_EEEEZNS1_13binary_searchIS3_S5_PySG_SI_NS1_21lower_bound_search_opENS9_16wrapped_functionI11custom_lessbEEEE10hipError_tPvRmT1_T2_T3_mmT4_T5_P12ihipStream_tbEUlRKyE_EESP_ST_SU_mSV_SY_bEUlT_E_NS1_11comp_targetILNS1_3genE10ELNS1_11target_archE1201ELNS1_3gpuE5ELNS1_3repE0EEENS1_30default_config_static_selectorELNS0_4arch9wavefront6targetE1EEEvSS_, .Lfunc_end49-_ZN7rocprim17ROCPRIM_400000_NS6detail17trampoline_kernelINS0_14default_configENS1_27lower_bound_config_selectorIylEEZNS1_14transform_implILb0ES3_S5_N6thrust23THRUST_200600_302600_NS6detail15normal_iteratorINS8_7pointerIyNS8_11hip_rocprim5par_tENS8_11use_defaultESE_EEEENSA_INSB_IlSD_SE_SE_EEEEZNS1_13binary_searchIS3_S5_PySG_SI_NS1_21lower_bound_search_opENS9_16wrapped_functionI11custom_lessbEEEE10hipError_tPvRmT1_T2_T3_mmT4_T5_P12ihipStream_tbEUlRKyE_EESP_ST_SU_mSV_SY_bEUlT_E_NS1_11comp_targetILNS1_3genE10ELNS1_11target_archE1201ELNS1_3gpuE5ELNS1_3repE0EEENS1_30default_config_static_selectorELNS0_4arch9wavefront6targetE1EEEvSS_
                                        ; -- End function
	.set _ZN7rocprim17ROCPRIM_400000_NS6detail17trampoline_kernelINS0_14default_configENS1_27lower_bound_config_selectorIylEEZNS1_14transform_implILb0ES3_S5_N6thrust23THRUST_200600_302600_NS6detail15normal_iteratorINS8_7pointerIyNS8_11hip_rocprim5par_tENS8_11use_defaultESE_EEEENSA_INSB_IlSD_SE_SE_EEEEZNS1_13binary_searchIS3_S5_PySG_SI_NS1_21lower_bound_search_opENS9_16wrapped_functionI11custom_lessbEEEE10hipError_tPvRmT1_T2_T3_mmT4_T5_P12ihipStream_tbEUlRKyE_EESP_ST_SU_mSV_SY_bEUlT_E_NS1_11comp_targetILNS1_3genE10ELNS1_11target_archE1201ELNS1_3gpuE5ELNS1_3repE0EEENS1_30default_config_static_selectorELNS0_4arch9wavefront6targetE1EEEvSS_.num_vgpr, 0
	.set _ZN7rocprim17ROCPRIM_400000_NS6detail17trampoline_kernelINS0_14default_configENS1_27lower_bound_config_selectorIylEEZNS1_14transform_implILb0ES3_S5_N6thrust23THRUST_200600_302600_NS6detail15normal_iteratorINS8_7pointerIyNS8_11hip_rocprim5par_tENS8_11use_defaultESE_EEEENSA_INSB_IlSD_SE_SE_EEEEZNS1_13binary_searchIS3_S5_PySG_SI_NS1_21lower_bound_search_opENS9_16wrapped_functionI11custom_lessbEEEE10hipError_tPvRmT1_T2_T3_mmT4_T5_P12ihipStream_tbEUlRKyE_EESP_ST_SU_mSV_SY_bEUlT_E_NS1_11comp_targetILNS1_3genE10ELNS1_11target_archE1201ELNS1_3gpuE5ELNS1_3repE0EEENS1_30default_config_static_selectorELNS0_4arch9wavefront6targetE1EEEvSS_.num_agpr, 0
	.set _ZN7rocprim17ROCPRIM_400000_NS6detail17trampoline_kernelINS0_14default_configENS1_27lower_bound_config_selectorIylEEZNS1_14transform_implILb0ES3_S5_N6thrust23THRUST_200600_302600_NS6detail15normal_iteratorINS8_7pointerIyNS8_11hip_rocprim5par_tENS8_11use_defaultESE_EEEENSA_INSB_IlSD_SE_SE_EEEEZNS1_13binary_searchIS3_S5_PySG_SI_NS1_21lower_bound_search_opENS9_16wrapped_functionI11custom_lessbEEEE10hipError_tPvRmT1_T2_T3_mmT4_T5_P12ihipStream_tbEUlRKyE_EESP_ST_SU_mSV_SY_bEUlT_E_NS1_11comp_targetILNS1_3genE10ELNS1_11target_archE1201ELNS1_3gpuE5ELNS1_3repE0EEENS1_30default_config_static_selectorELNS0_4arch9wavefront6targetE1EEEvSS_.numbered_sgpr, 0
	.set _ZN7rocprim17ROCPRIM_400000_NS6detail17trampoline_kernelINS0_14default_configENS1_27lower_bound_config_selectorIylEEZNS1_14transform_implILb0ES3_S5_N6thrust23THRUST_200600_302600_NS6detail15normal_iteratorINS8_7pointerIyNS8_11hip_rocprim5par_tENS8_11use_defaultESE_EEEENSA_INSB_IlSD_SE_SE_EEEEZNS1_13binary_searchIS3_S5_PySG_SI_NS1_21lower_bound_search_opENS9_16wrapped_functionI11custom_lessbEEEE10hipError_tPvRmT1_T2_T3_mmT4_T5_P12ihipStream_tbEUlRKyE_EESP_ST_SU_mSV_SY_bEUlT_E_NS1_11comp_targetILNS1_3genE10ELNS1_11target_archE1201ELNS1_3gpuE5ELNS1_3repE0EEENS1_30default_config_static_selectorELNS0_4arch9wavefront6targetE1EEEvSS_.num_named_barrier, 0
	.set _ZN7rocprim17ROCPRIM_400000_NS6detail17trampoline_kernelINS0_14default_configENS1_27lower_bound_config_selectorIylEEZNS1_14transform_implILb0ES3_S5_N6thrust23THRUST_200600_302600_NS6detail15normal_iteratorINS8_7pointerIyNS8_11hip_rocprim5par_tENS8_11use_defaultESE_EEEENSA_INSB_IlSD_SE_SE_EEEEZNS1_13binary_searchIS3_S5_PySG_SI_NS1_21lower_bound_search_opENS9_16wrapped_functionI11custom_lessbEEEE10hipError_tPvRmT1_T2_T3_mmT4_T5_P12ihipStream_tbEUlRKyE_EESP_ST_SU_mSV_SY_bEUlT_E_NS1_11comp_targetILNS1_3genE10ELNS1_11target_archE1201ELNS1_3gpuE5ELNS1_3repE0EEENS1_30default_config_static_selectorELNS0_4arch9wavefront6targetE1EEEvSS_.private_seg_size, 0
	.set _ZN7rocprim17ROCPRIM_400000_NS6detail17trampoline_kernelINS0_14default_configENS1_27lower_bound_config_selectorIylEEZNS1_14transform_implILb0ES3_S5_N6thrust23THRUST_200600_302600_NS6detail15normal_iteratorINS8_7pointerIyNS8_11hip_rocprim5par_tENS8_11use_defaultESE_EEEENSA_INSB_IlSD_SE_SE_EEEEZNS1_13binary_searchIS3_S5_PySG_SI_NS1_21lower_bound_search_opENS9_16wrapped_functionI11custom_lessbEEEE10hipError_tPvRmT1_T2_T3_mmT4_T5_P12ihipStream_tbEUlRKyE_EESP_ST_SU_mSV_SY_bEUlT_E_NS1_11comp_targetILNS1_3genE10ELNS1_11target_archE1201ELNS1_3gpuE5ELNS1_3repE0EEENS1_30default_config_static_selectorELNS0_4arch9wavefront6targetE1EEEvSS_.uses_vcc, 0
	.set _ZN7rocprim17ROCPRIM_400000_NS6detail17trampoline_kernelINS0_14default_configENS1_27lower_bound_config_selectorIylEEZNS1_14transform_implILb0ES3_S5_N6thrust23THRUST_200600_302600_NS6detail15normal_iteratorINS8_7pointerIyNS8_11hip_rocprim5par_tENS8_11use_defaultESE_EEEENSA_INSB_IlSD_SE_SE_EEEEZNS1_13binary_searchIS3_S5_PySG_SI_NS1_21lower_bound_search_opENS9_16wrapped_functionI11custom_lessbEEEE10hipError_tPvRmT1_T2_T3_mmT4_T5_P12ihipStream_tbEUlRKyE_EESP_ST_SU_mSV_SY_bEUlT_E_NS1_11comp_targetILNS1_3genE10ELNS1_11target_archE1201ELNS1_3gpuE5ELNS1_3repE0EEENS1_30default_config_static_selectorELNS0_4arch9wavefront6targetE1EEEvSS_.uses_flat_scratch, 0
	.set _ZN7rocprim17ROCPRIM_400000_NS6detail17trampoline_kernelINS0_14default_configENS1_27lower_bound_config_selectorIylEEZNS1_14transform_implILb0ES3_S5_N6thrust23THRUST_200600_302600_NS6detail15normal_iteratorINS8_7pointerIyNS8_11hip_rocprim5par_tENS8_11use_defaultESE_EEEENSA_INSB_IlSD_SE_SE_EEEEZNS1_13binary_searchIS3_S5_PySG_SI_NS1_21lower_bound_search_opENS9_16wrapped_functionI11custom_lessbEEEE10hipError_tPvRmT1_T2_T3_mmT4_T5_P12ihipStream_tbEUlRKyE_EESP_ST_SU_mSV_SY_bEUlT_E_NS1_11comp_targetILNS1_3genE10ELNS1_11target_archE1201ELNS1_3gpuE5ELNS1_3repE0EEENS1_30default_config_static_selectorELNS0_4arch9wavefront6targetE1EEEvSS_.has_dyn_sized_stack, 0
	.set _ZN7rocprim17ROCPRIM_400000_NS6detail17trampoline_kernelINS0_14default_configENS1_27lower_bound_config_selectorIylEEZNS1_14transform_implILb0ES3_S5_N6thrust23THRUST_200600_302600_NS6detail15normal_iteratorINS8_7pointerIyNS8_11hip_rocprim5par_tENS8_11use_defaultESE_EEEENSA_INSB_IlSD_SE_SE_EEEEZNS1_13binary_searchIS3_S5_PySG_SI_NS1_21lower_bound_search_opENS9_16wrapped_functionI11custom_lessbEEEE10hipError_tPvRmT1_T2_T3_mmT4_T5_P12ihipStream_tbEUlRKyE_EESP_ST_SU_mSV_SY_bEUlT_E_NS1_11comp_targetILNS1_3genE10ELNS1_11target_archE1201ELNS1_3gpuE5ELNS1_3repE0EEENS1_30default_config_static_selectorELNS0_4arch9wavefront6targetE1EEEvSS_.has_recursion, 0
	.set _ZN7rocprim17ROCPRIM_400000_NS6detail17trampoline_kernelINS0_14default_configENS1_27lower_bound_config_selectorIylEEZNS1_14transform_implILb0ES3_S5_N6thrust23THRUST_200600_302600_NS6detail15normal_iteratorINS8_7pointerIyNS8_11hip_rocprim5par_tENS8_11use_defaultESE_EEEENSA_INSB_IlSD_SE_SE_EEEEZNS1_13binary_searchIS3_S5_PySG_SI_NS1_21lower_bound_search_opENS9_16wrapped_functionI11custom_lessbEEEE10hipError_tPvRmT1_T2_T3_mmT4_T5_P12ihipStream_tbEUlRKyE_EESP_ST_SU_mSV_SY_bEUlT_E_NS1_11comp_targetILNS1_3genE10ELNS1_11target_archE1201ELNS1_3gpuE5ELNS1_3repE0EEENS1_30default_config_static_selectorELNS0_4arch9wavefront6targetE1EEEvSS_.has_indirect_call, 0
	.section	.AMDGPU.csdata,"",@progbits
; Kernel info:
; codeLenInByte = 0
; TotalNumSgprs: 4
; NumVgprs: 0
; ScratchSize: 0
; MemoryBound: 0
; FloatMode: 240
; IeeeMode: 1
; LDSByteSize: 0 bytes/workgroup (compile time only)
; SGPRBlocks: 0
; VGPRBlocks: 0
; NumSGPRsForWavesPerEU: 4
; NumVGPRsForWavesPerEU: 1
; Occupancy: 10
; WaveLimiterHint : 0
; COMPUTE_PGM_RSRC2:SCRATCH_EN: 0
; COMPUTE_PGM_RSRC2:USER_SGPR: 6
; COMPUTE_PGM_RSRC2:TRAP_HANDLER: 0
; COMPUTE_PGM_RSRC2:TGID_X_EN: 1
; COMPUTE_PGM_RSRC2:TGID_Y_EN: 0
; COMPUTE_PGM_RSRC2:TGID_Z_EN: 0
; COMPUTE_PGM_RSRC2:TIDIG_COMP_CNT: 0
	.section	.text._ZN7rocprim17ROCPRIM_400000_NS6detail17trampoline_kernelINS0_14default_configENS1_27lower_bound_config_selectorIylEEZNS1_14transform_implILb0ES3_S5_N6thrust23THRUST_200600_302600_NS6detail15normal_iteratorINS8_7pointerIyNS8_11hip_rocprim5par_tENS8_11use_defaultESE_EEEENSA_INSB_IlSD_SE_SE_EEEEZNS1_13binary_searchIS3_S5_PySG_SI_NS1_21lower_bound_search_opENS9_16wrapped_functionI11custom_lessbEEEE10hipError_tPvRmT1_T2_T3_mmT4_T5_P12ihipStream_tbEUlRKyE_EESP_ST_SU_mSV_SY_bEUlT_E_NS1_11comp_targetILNS1_3genE10ELNS1_11target_archE1200ELNS1_3gpuE4ELNS1_3repE0EEENS1_30default_config_static_selectorELNS0_4arch9wavefront6targetE1EEEvSS_,"axG",@progbits,_ZN7rocprim17ROCPRIM_400000_NS6detail17trampoline_kernelINS0_14default_configENS1_27lower_bound_config_selectorIylEEZNS1_14transform_implILb0ES3_S5_N6thrust23THRUST_200600_302600_NS6detail15normal_iteratorINS8_7pointerIyNS8_11hip_rocprim5par_tENS8_11use_defaultESE_EEEENSA_INSB_IlSD_SE_SE_EEEEZNS1_13binary_searchIS3_S5_PySG_SI_NS1_21lower_bound_search_opENS9_16wrapped_functionI11custom_lessbEEEE10hipError_tPvRmT1_T2_T3_mmT4_T5_P12ihipStream_tbEUlRKyE_EESP_ST_SU_mSV_SY_bEUlT_E_NS1_11comp_targetILNS1_3genE10ELNS1_11target_archE1200ELNS1_3gpuE4ELNS1_3repE0EEENS1_30default_config_static_selectorELNS0_4arch9wavefront6targetE1EEEvSS_,comdat
	.protected	_ZN7rocprim17ROCPRIM_400000_NS6detail17trampoline_kernelINS0_14default_configENS1_27lower_bound_config_selectorIylEEZNS1_14transform_implILb0ES3_S5_N6thrust23THRUST_200600_302600_NS6detail15normal_iteratorINS8_7pointerIyNS8_11hip_rocprim5par_tENS8_11use_defaultESE_EEEENSA_INSB_IlSD_SE_SE_EEEEZNS1_13binary_searchIS3_S5_PySG_SI_NS1_21lower_bound_search_opENS9_16wrapped_functionI11custom_lessbEEEE10hipError_tPvRmT1_T2_T3_mmT4_T5_P12ihipStream_tbEUlRKyE_EESP_ST_SU_mSV_SY_bEUlT_E_NS1_11comp_targetILNS1_3genE10ELNS1_11target_archE1200ELNS1_3gpuE4ELNS1_3repE0EEENS1_30default_config_static_selectorELNS0_4arch9wavefront6targetE1EEEvSS_ ; -- Begin function _ZN7rocprim17ROCPRIM_400000_NS6detail17trampoline_kernelINS0_14default_configENS1_27lower_bound_config_selectorIylEEZNS1_14transform_implILb0ES3_S5_N6thrust23THRUST_200600_302600_NS6detail15normal_iteratorINS8_7pointerIyNS8_11hip_rocprim5par_tENS8_11use_defaultESE_EEEENSA_INSB_IlSD_SE_SE_EEEEZNS1_13binary_searchIS3_S5_PySG_SI_NS1_21lower_bound_search_opENS9_16wrapped_functionI11custom_lessbEEEE10hipError_tPvRmT1_T2_T3_mmT4_T5_P12ihipStream_tbEUlRKyE_EESP_ST_SU_mSV_SY_bEUlT_E_NS1_11comp_targetILNS1_3genE10ELNS1_11target_archE1200ELNS1_3gpuE4ELNS1_3repE0EEENS1_30default_config_static_selectorELNS0_4arch9wavefront6targetE1EEEvSS_
	.globl	_ZN7rocprim17ROCPRIM_400000_NS6detail17trampoline_kernelINS0_14default_configENS1_27lower_bound_config_selectorIylEEZNS1_14transform_implILb0ES3_S5_N6thrust23THRUST_200600_302600_NS6detail15normal_iteratorINS8_7pointerIyNS8_11hip_rocprim5par_tENS8_11use_defaultESE_EEEENSA_INSB_IlSD_SE_SE_EEEEZNS1_13binary_searchIS3_S5_PySG_SI_NS1_21lower_bound_search_opENS9_16wrapped_functionI11custom_lessbEEEE10hipError_tPvRmT1_T2_T3_mmT4_T5_P12ihipStream_tbEUlRKyE_EESP_ST_SU_mSV_SY_bEUlT_E_NS1_11comp_targetILNS1_3genE10ELNS1_11target_archE1200ELNS1_3gpuE4ELNS1_3repE0EEENS1_30default_config_static_selectorELNS0_4arch9wavefront6targetE1EEEvSS_
	.p2align	8
	.type	_ZN7rocprim17ROCPRIM_400000_NS6detail17trampoline_kernelINS0_14default_configENS1_27lower_bound_config_selectorIylEEZNS1_14transform_implILb0ES3_S5_N6thrust23THRUST_200600_302600_NS6detail15normal_iteratorINS8_7pointerIyNS8_11hip_rocprim5par_tENS8_11use_defaultESE_EEEENSA_INSB_IlSD_SE_SE_EEEEZNS1_13binary_searchIS3_S5_PySG_SI_NS1_21lower_bound_search_opENS9_16wrapped_functionI11custom_lessbEEEE10hipError_tPvRmT1_T2_T3_mmT4_T5_P12ihipStream_tbEUlRKyE_EESP_ST_SU_mSV_SY_bEUlT_E_NS1_11comp_targetILNS1_3genE10ELNS1_11target_archE1200ELNS1_3gpuE4ELNS1_3repE0EEENS1_30default_config_static_selectorELNS0_4arch9wavefront6targetE1EEEvSS_,@function
_ZN7rocprim17ROCPRIM_400000_NS6detail17trampoline_kernelINS0_14default_configENS1_27lower_bound_config_selectorIylEEZNS1_14transform_implILb0ES3_S5_N6thrust23THRUST_200600_302600_NS6detail15normal_iteratorINS8_7pointerIyNS8_11hip_rocprim5par_tENS8_11use_defaultESE_EEEENSA_INSB_IlSD_SE_SE_EEEEZNS1_13binary_searchIS3_S5_PySG_SI_NS1_21lower_bound_search_opENS9_16wrapped_functionI11custom_lessbEEEE10hipError_tPvRmT1_T2_T3_mmT4_T5_P12ihipStream_tbEUlRKyE_EESP_ST_SU_mSV_SY_bEUlT_E_NS1_11comp_targetILNS1_3genE10ELNS1_11target_archE1200ELNS1_3gpuE4ELNS1_3repE0EEENS1_30default_config_static_selectorELNS0_4arch9wavefront6targetE1EEEvSS_: ; @_ZN7rocprim17ROCPRIM_400000_NS6detail17trampoline_kernelINS0_14default_configENS1_27lower_bound_config_selectorIylEEZNS1_14transform_implILb0ES3_S5_N6thrust23THRUST_200600_302600_NS6detail15normal_iteratorINS8_7pointerIyNS8_11hip_rocprim5par_tENS8_11use_defaultESE_EEEENSA_INSB_IlSD_SE_SE_EEEEZNS1_13binary_searchIS3_S5_PySG_SI_NS1_21lower_bound_search_opENS9_16wrapped_functionI11custom_lessbEEEE10hipError_tPvRmT1_T2_T3_mmT4_T5_P12ihipStream_tbEUlRKyE_EESP_ST_SU_mSV_SY_bEUlT_E_NS1_11comp_targetILNS1_3genE10ELNS1_11target_archE1200ELNS1_3gpuE4ELNS1_3repE0EEENS1_30default_config_static_selectorELNS0_4arch9wavefront6targetE1EEEvSS_
; %bb.0:
	.section	.rodata,"a",@progbits
	.p2align	6, 0x0
	.amdhsa_kernel _ZN7rocprim17ROCPRIM_400000_NS6detail17trampoline_kernelINS0_14default_configENS1_27lower_bound_config_selectorIylEEZNS1_14transform_implILb0ES3_S5_N6thrust23THRUST_200600_302600_NS6detail15normal_iteratorINS8_7pointerIyNS8_11hip_rocprim5par_tENS8_11use_defaultESE_EEEENSA_INSB_IlSD_SE_SE_EEEEZNS1_13binary_searchIS3_S5_PySG_SI_NS1_21lower_bound_search_opENS9_16wrapped_functionI11custom_lessbEEEE10hipError_tPvRmT1_T2_T3_mmT4_T5_P12ihipStream_tbEUlRKyE_EESP_ST_SU_mSV_SY_bEUlT_E_NS1_11comp_targetILNS1_3genE10ELNS1_11target_archE1200ELNS1_3gpuE4ELNS1_3repE0EEENS1_30default_config_static_selectorELNS0_4arch9wavefront6targetE1EEEvSS_
		.amdhsa_group_segment_fixed_size 0
		.amdhsa_private_segment_fixed_size 0
		.amdhsa_kernarg_size 56
		.amdhsa_user_sgpr_count 6
		.amdhsa_user_sgpr_private_segment_buffer 1
		.amdhsa_user_sgpr_dispatch_ptr 0
		.amdhsa_user_sgpr_queue_ptr 0
		.amdhsa_user_sgpr_kernarg_segment_ptr 1
		.amdhsa_user_sgpr_dispatch_id 0
		.amdhsa_user_sgpr_flat_scratch_init 0
		.amdhsa_user_sgpr_private_segment_size 0
		.amdhsa_uses_dynamic_stack 0
		.amdhsa_system_sgpr_private_segment_wavefront_offset 0
		.amdhsa_system_sgpr_workgroup_id_x 1
		.amdhsa_system_sgpr_workgroup_id_y 0
		.amdhsa_system_sgpr_workgroup_id_z 0
		.amdhsa_system_sgpr_workgroup_info 0
		.amdhsa_system_vgpr_workitem_id 0
		.amdhsa_next_free_vgpr 1
		.amdhsa_next_free_sgpr 0
		.amdhsa_reserve_vcc 0
		.amdhsa_reserve_flat_scratch 0
		.amdhsa_float_round_mode_32 0
		.amdhsa_float_round_mode_16_64 0
		.amdhsa_float_denorm_mode_32 3
		.amdhsa_float_denorm_mode_16_64 3
		.amdhsa_dx10_clamp 1
		.amdhsa_ieee_mode 1
		.amdhsa_fp16_overflow 0
		.amdhsa_exception_fp_ieee_invalid_op 0
		.amdhsa_exception_fp_denorm_src 0
		.amdhsa_exception_fp_ieee_div_zero 0
		.amdhsa_exception_fp_ieee_overflow 0
		.amdhsa_exception_fp_ieee_underflow 0
		.amdhsa_exception_fp_ieee_inexact 0
		.amdhsa_exception_int_div_zero 0
	.end_amdhsa_kernel
	.section	.text._ZN7rocprim17ROCPRIM_400000_NS6detail17trampoline_kernelINS0_14default_configENS1_27lower_bound_config_selectorIylEEZNS1_14transform_implILb0ES3_S5_N6thrust23THRUST_200600_302600_NS6detail15normal_iteratorINS8_7pointerIyNS8_11hip_rocprim5par_tENS8_11use_defaultESE_EEEENSA_INSB_IlSD_SE_SE_EEEEZNS1_13binary_searchIS3_S5_PySG_SI_NS1_21lower_bound_search_opENS9_16wrapped_functionI11custom_lessbEEEE10hipError_tPvRmT1_T2_T3_mmT4_T5_P12ihipStream_tbEUlRKyE_EESP_ST_SU_mSV_SY_bEUlT_E_NS1_11comp_targetILNS1_3genE10ELNS1_11target_archE1200ELNS1_3gpuE4ELNS1_3repE0EEENS1_30default_config_static_selectorELNS0_4arch9wavefront6targetE1EEEvSS_,"axG",@progbits,_ZN7rocprim17ROCPRIM_400000_NS6detail17trampoline_kernelINS0_14default_configENS1_27lower_bound_config_selectorIylEEZNS1_14transform_implILb0ES3_S5_N6thrust23THRUST_200600_302600_NS6detail15normal_iteratorINS8_7pointerIyNS8_11hip_rocprim5par_tENS8_11use_defaultESE_EEEENSA_INSB_IlSD_SE_SE_EEEEZNS1_13binary_searchIS3_S5_PySG_SI_NS1_21lower_bound_search_opENS9_16wrapped_functionI11custom_lessbEEEE10hipError_tPvRmT1_T2_T3_mmT4_T5_P12ihipStream_tbEUlRKyE_EESP_ST_SU_mSV_SY_bEUlT_E_NS1_11comp_targetILNS1_3genE10ELNS1_11target_archE1200ELNS1_3gpuE4ELNS1_3repE0EEENS1_30default_config_static_selectorELNS0_4arch9wavefront6targetE1EEEvSS_,comdat
.Lfunc_end50:
	.size	_ZN7rocprim17ROCPRIM_400000_NS6detail17trampoline_kernelINS0_14default_configENS1_27lower_bound_config_selectorIylEEZNS1_14transform_implILb0ES3_S5_N6thrust23THRUST_200600_302600_NS6detail15normal_iteratorINS8_7pointerIyNS8_11hip_rocprim5par_tENS8_11use_defaultESE_EEEENSA_INSB_IlSD_SE_SE_EEEEZNS1_13binary_searchIS3_S5_PySG_SI_NS1_21lower_bound_search_opENS9_16wrapped_functionI11custom_lessbEEEE10hipError_tPvRmT1_T2_T3_mmT4_T5_P12ihipStream_tbEUlRKyE_EESP_ST_SU_mSV_SY_bEUlT_E_NS1_11comp_targetILNS1_3genE10ELNS1_11target_archE1200ELNS1_3gpuE4ELNS1_3repE0EEENS1_30default_config_static_selectorELNS0_4arch9wavefront6targetE1EEEvSS_, .Lfunc_end50-_ZN7rocprim17ROCPRIM_400000_NS6detail17trampoline_kernelINS0_14default_configENS1_27lower_bound_config_selectorIylEEZNS1_14transform_implILb0ES3_S5_N6thrust23THRUST_200600_302600_NS6detail15normal_iteratorINS8_7pointerIyNS8_11hip_rocprim5par_tENS8_11use_defaultESE_EEEENSA_INSB_IlSD_SE_SE_EEEEZNS1_13binary_searchIS3_S5_PySG_SI_NS1_21lower_bound_search_opENS9_16wrapped_functionI11custom_lessbEEEE10hipError_tPvRmT1_T2_T3_mmT4_T5_P12ihipStream_tbEUlRKyE_EESP_ST_SU_mSV_SY_bEUlT_E_NS1_11comp_targetILNS1_3genE10ELNS1_11target_archE1200ELNS1_3gpuE4ELNS1_3repE0EEENS1_30default_config_static_selectorELNS0_4arch9wavefront6targetE1EEEvSS_
                                        ; -- End function
	.set _ZN7rocprim17ROCPRIM_400000_NS6detail17trampoline_kernelINS0_14default_configENS1_27lower_bound_config_selectorIylEEZNS1_14transform_implILb0ES3_S5_N6thrust23THRUST_200600_302600_NS6detail15normal_iteratorINS8_7pointerIyNS8_11hip_rocprim5par_tENS8_11use_defaultESE_EEEENSA_INSB_IlSD_SE_SE_EEEEZNS1_13binary_searchIS3_S5_PySG_SI_NS1_21lower_bound_search_opENS9_16wrapped_functionI11custom_lessbEEEE10hipError_tPvRmT1_T2_T3_mmT4_T5_P12ihipStream_tbEUlRKyE_EESP_ST_SU_mSV_SY_bEUlT_E_NS1_11comp_targetILNS1_3genE10ELNS1_11target_archE1200ELNS1_3gpuE4ELNS1_3repE0EEENS1_30default_config_static_selectorELNS0_4arch9wavefront6targetE1EEEvSS_.num_vgpr, 0
	.set _ZN7rocprim17ROCPRIM_400000_NS6detail17trampoline_kernelINS0_14default_configENS1_27lower_bound_config_selectorIylEEZNS1_14transform_implILb0ES3_S5_N6thrust23THRUST_200600_302600_NS6detail15normal_iteratorINS8_7pointerIyNS8_11hip_rocprim5par_tENS8_11use_defaultESE_EEEENSA_INSB_IlSD_SE_SE_EEEEZNS1_13binary_searchIS3_S5_PySG_SI_NS1_21lower_bound_search_opENS9_16wrapped_functionI11custom_lessbEEEE10hipError_tPvRmT1_T2_T3_mmT4_T5_P12ihipStream_tbEUlRKyE_EESP_ST_SU_mSV_SY_bEUlT_E_NS1_11comp_targetILNS1_3genE10ELNS1_11target_archE1200ELNS1_3gpuE4ELNS1_3repE0EEENS1_30default_config_static_selectorELNS0_4arch9wavefront6targetE1EEEvSS_.num_agpr, 0
	.set _ZN7rocprim17ROCPRIM_400000_NS6detail17trampoline_kernelINS0_14default_configENS1_27lower_bound_config_selectorIylEEZNS1_14transform_implILb0ES3_S5_N6thrust23THRUST_200600_302600_NS6detail15normal_iteratorINS8_7pointerIyNS8_11hip_rocprim5par_tENS8_11use_defaultESE_EEEENSA_INSB_IlSD_SE_SE_EEEEZNS1_13binary_searchIS3_S5_PySG_SI_NS1_21lower_bound_search_opENS9_16wrapped_functionI11custom_lessbEEEE10hipError_tPvRmT1_T2_T3_mmT4_T5_P12ihipStream_tbEUlRKyE_EESP_ST_SU_mSV_SY_bEUlT_E_NS1_11comp_targetILNS1_3genE10ELNS1_11target_archE1200ELNS1_3gpuE4ELNS1_3repE0EEENS1_30default_config_static_selectorELNS0_4arch9wavefront6targetE1EEEvSS_.numbered_sgpr, 0
	.set _ZN7rocprim17ROCPRIM_400000_NS6detail17trampoline_kernelINS0_14default_configENS1_27lower_bound_config_selectorIylEEZNS1_14transform_implILb0ES3_S5_N6thrust23THRUST_200600_302600_NS6detail15normal_iteratorINS8_7pointerIyNS8_11hip_rocprim5par_tENS8_11use_defaultESE_EEEENSA_INSB_IlSD_SE_SE_EEEEZNS1_13binary_searchIS3_S5_PySG_SI_NS1_21lower_bound_search_opENS9_16wrapped_functionI11custom_lessbEEEE10hipError_tPvRmT1_T2_T3_mmT4_T5_P12ihipStream_tbEUlRKyE_EESP_ST_SU_mSV_SY_bEUlT_E_NS1_11comp_targetILNS1_3genE10ELNS1_11target_archE1200ELNS1_3gpuE4ELNS1_3repE0EEENS1_30default_config_static_selectorELNS0_4arch9wavefront6targetE1EEEvSS_.num_named_barrier, 0
	.set _ZN7rocprim17ROCPRIM_400000_NS6detail17trampoline_kernelINS0_14default_configENS1_27lower_bound_config_selectorIylEEZNS1_14transform_implILb0ES3_S5_N6thrust23THRUST_200600_302600_NS6detail15normal_iteratorINS8_7pointerIyNS8_11hip_rocprim5par_tENS8_11use_defaultESE_EEEENSA_INSB_IlSD_SE_SE_EEEEZNS1_13binary_searchIS3_S5_PySG_SI_NS1_21lower_bound_search_opENS9_16wrapped_functionI11custom_lessbEEEE10hipError_tPvRmT1_T2_T3_mmT4_T5_P12ihipStream_tbEUlRKyE_EESP_ST_SU_mSV_SY_bEUlT_E_NS1_11comp_targetILNS1_3genE10ELNS1_11target_archE1200ELNS1_3gpuE4ELNS1_3repE0EEENS1_30default_config_static_selectorELNS0_4arch9wavefront6targetE1EEEvSS_.private_seg_size, 0
	.set _ZN7rocprim17ROCPRIM_400000_NS6detail17trampoline_kernelINS0_14default_configENS1_27lower_bound_config_selectorIylEEZNS1_14transform_implILb0ES3_S5_N6thrust23THRUST_200600_302600_NS6detail15normal_iteratorINS8_7pointerIyNS8_11hip_rocprim5par_tENS8_11use_defaultESE_EEEENSA_INSB_IlSD_SE_SE_EEEEZNS1_13binary_searchIS3_S5_PySG_SI_NS1_21lower_bound_search_opENS9_16wrapped_functionI11custom_lessbEEEE10hipError_tPvRmT1_T2_T3_mmT4_T5_P12ihipStream_tbEUlRKyE_EESP_ST_SU_mSV_SY_bEUlT_E_NS1_11comp_targetILNS1_3genE10ELNS1_11target_archE1200ELNS1_3gpuE4ELNS1_3repE0EEENS1_30default_config_static_selectorELNS0_4arch9wavefront6targetE1EEEvSS_.uses_vcc, 0
	.set _ZN7rocprim17ROCPRIM_400000_NS6detail17trampoline_kernelINS0_14default_configENS1_27lower_bound_config_selectorIylEEZNS1_14transform_implILb0ES3_S5_N6thrust23THRUST_200600_302600_NS6detail15normal_iteratorINS8_7pointerIyNS8_11hip_rocprim5par_tENS8_11use_defaultESE_EEEENSA_INSB_IlSD_SE_SE_EEEEZNS1_13binary_searchIS3_S5_PySG_SI_NS1_21lower_bound_search_opENS9_16wrapped_functionI11custom_lessbEEEE10hipError_tPvRmT1_T2_T3_mmT4_T5_P12ihipStream_tbEUlRKyE_EESP_ST_SU_mSV_SY_bEUlT_E_NS1_11comp_targetILNS1_3genE10ELNS1_11target_archE1200ELNS1_3gpuE4ELNS1_3repE0EEENS1_30default_config_static_selectorELNS0_4arch9wavefront6targetE1EEEvSS_.uses_flat_scratch, 0
	.set _ZN7rocprim17ROCPRIM_400000_NS6detail17trampoline_kernelINS0_14default_configENS1_27lower_bound_config_selectorIylEEZNS1_14transform_implILb0ES3_S5_N6thrust23THRUST_200600_302600_NS6detail15normal_iteratorINS8_7pointerIyNS8_11hip_rocprim5par_tENS8_11use_defaultESE_EEEENSA_INSB_IlSD_SE_SE_EEEEZNS1_13binary_searchIS3_S5_PySG_SI_NS1_21lower_bound_search_opENS9_16wrapped_functionI11custom_lessbEEEE10hipError_tPvRmT1_T2_T3_mmT4_T5_P12ihipStream_tbEUlRKyE_EESP_ST_SU_mSV_SY_bEUlT_E_NS1_11comp_targetILNS1_3genE10ELNS1_11target_archE1200ELNS1_3gpuE4ELNS1_3repE0EEENS1_30default_config_static_selectorELNS0_4arch9wavefront6targetE1EEEvSS_.has_dyn_sized_stack, 0
	.set _ZN7rocprim17ROCPRIM_400000_NS6detail17trampoline_kernelINS0_14default_configENS1_27lower_bound_config_selectorIylEEZNS1_14transform_implILb0ES3_S5_N6thrust23THRUST_200600_302600_NS6detail15normal_iteratorINS8_7pointerIyNS8_11hip_rocprim5par_tENS8_11use_defaultESE_EEEENSA_INSB_IlSD_SE_SE_EEEEZNS1_13binary_searchIS3_S5_PySG_SI_NS1_21lower_bound_search_opENS9_16wrapped_functionI11custom_lessbEEEE10hipError_tPvRmT1_T2_T3_mmT4_T5_P12ihipStream_tbEUlRKyE_EESP_ST_SU_mSV_SY_bEUlT_E_NS1_11comp_targetILNS1_3genE10ELNS1_11target_archE1200ELNS1_3gpuE4ELNS1_3repE0EEENS1_30default_config_static_selectorELNS0_4arch9wavefront6targetE1EEEvSS_.has_recursion, 0
	.set _ZN7rocprim17ROCPRIM_400000_NS6detail17trampoline_kernelINS0_14default_configENS1_27lower_bound_config_selectorIylEEZNS1_14transform_implILb0ES3_S5_N6thrust23THRUST_200600_302600_NS6detail15normal_iteratorINS8_7pointerIyNS8_11hip_rocprim5par_tENS8_11use_defaultESE_EEEENSA_INSB_IlSD_SE_SE_EEEEZNS1_13binary_searchIS3_S5_PySG_SI_NS1_21lower_bound_search_opENS9_16wrapped_functionI11custom_lessbEEEE10hipError_tPvRmT1_T2_T3_mmT4_T5_P12ihipStream_tbEUlRKyE_EESP_ST_SU_mSV_SY_bEUlT_E_NS1_11comp_targetILNS1_3genE10ELNS1_11target_archE1200ELNS1_3gpuE4ELNS1_3repE0EEENS1_30default_config_static_selectorELNS0_4arch9wavefront6targetE1EEEvSS_.has_indirect_call, 0
	.section	.AMDGPU.csdata,"",@progbits
; Kernel info:
; codeLenInByte = 0
; TotalNumSgprs: 4
; NumVgprs: 0
; ScratchSize: 0
; MemoryBound: 0
; FloatMode: 240
; IeeeMode: 1
; LDSByteSize: 0 bytes/workgroup (compile time only)
; SGPRBlocks: 0
; VGPRBlocks: 0
; NumSGPRsForWavesPerEU: 4
; NumVGPRsForWavesPerEU: 1
; Occupancy: 10
; WaveLimiterHint : 0
; COMPUTE_PGM_RSRC2:SCRATCH_EN: 0
; COMPUTE_PGM_RSRC2:USER_SGPR: 6
; COMPUTE_PGM_RSRC2:TRAP_HANDLER: 0
; COMPUTE_PGM_RSRC2:TGID_X_EN: 1
; COMPUTE_PGM_RSRC2:TGID_Y_EN: 0
; COMPUTE_PGM_RSRC2:TGID_Z_EN: 0
; COMPUTE_PGM_RSRC2:TIDIG_COMP_CNT: 0
	.section	.text._ZN7rocprim17ROCPRIM_400000_NS6detail17trampoline_kernelINS0_14default_configENS1_27lower_bound_config_selectorIylEEZNS1_14transform_implILb0ES3_S5_N6thrust23THRUST_200600_302600_NS6detail15normal_iteratorINS8_7pointerIyNS8_11hip_rocprim5par_tENS8_11use_defaultESE_EEEENSA_INSB_IlSD_SE_SE_EEEEZNS1_13binary_searchIS3_S5_PySG_SI_NS1_21lower_bound_search_opENS9_16wrapped_functionI11custom_lessbEEEE10hipError_tPvRmT1_T2_T3_mmT4_T5_P12ihipStream_tbEUlRKyE_EESP_ST_SU_mSV_SY_bEUlT_E_NS1_11comp_targetILNS1_3genE9ELNS1_11target_archE1100ELNS1_3gpuE3ELNS1_3repE0EEENS1_30default_config_static_selectorELNS0_4arch9wavefront6targetE1EEEvSS_,"axG",@progbits,_ZN7rocprim17ROCPRIM_400000_NS6detail17trampoline_kernelINS0_14default_configENS1_27lower_bound_config_selectorIylEEZNS1_14transform_implILb0ES3_S5_N6thrust23THRUST_200600_302600_NS6detail15normal_iteratorINS8_7pointerIyNS8_11hip_rocprim5par_tENS8_11use_defaultESE_EEEENSA_INSB_IlSD_SE_SE_EEEEZNS1_13binary_searchIS3_S5_PySG_SI_NS1_21lower_bound_search_opENS9_16wrapped_functionI11custom_lessbEEEE10hipError_tPvRmT1_T2_T3_mmT4_T5_P12ihipStream_tbEUlRKyE_EESP_ST_SU_mSV_SY_bEUlT_E_NS1_11comp_targetILNS1_3genE9ELNS1_11target_archE1100ELNS1_3gpuE3ELNS1_3repE0EEENS1_30default_config_static_selectorELNS0_4arch9wavefront6targetE1EEEvSS_,comdat
	.protected	_ZN7rocprim17ROCPRIM_400000_NS6detail17trampoline_kernelINS0_14default_configENS1_27lower_bound_config_selectorIylEEZNS1_14transform_implILb0ES3_S5_N6thrust23THRUST_200600_302600_NS6detail15normal_iteratorINS8_7pointerIyNS8_11hip_rocprim5par_tENS8_11use_defaultESE_EEEENSA_INSB_IlSD_SE_SE_EEEEZNS1_13binary_searchIS3_S5_PySG_SI_NS1_21lower_bound_search_opENS9_16wrapped_functionI11custom_lessbEEEE10hipError_tPvRmT1_T2_T3_mmT4_T5_P12ihipStream_tbEUlRKyE_EESP_ST_SU_mSV_SY_bEUlT_E_NS1_11comp_targetILNS1_3genE9ELNS1_11target_archE1100ELNS1_3gpuE3ELNS1_3repE0EEENS1_30default_config_static_selectorELNS0_4arch9wavefront6targetE1EEEvSS_ ; -- Begin function _ZN7rocprim17ROCPRIM_400000_NS6detail17trampoline_kernelINS0_14default_configENS1_27lower_bound_config_selectorIylEEZNS1_14transform_implILb0ES3_S5_N6thrust23THRUST_200600_302600_NS6detail15normal_iteratorINS8_7pointerIyNS8_11hip_rocprim5par_tENS8_11use_defaultESE_EEEENSA_INSB_IlSD_SE_SE_EEEEZNS1_13binary_searchIS3_S5_PySG_SI_NS1_21lower_bound_search_opENS9_16wrapped_functionI11custom_lessbEEEE10hipError_tPvRmT1_T2_T3_mmT4_T5_P12ihipStream_tbEUlRKyE_EESP_ST_SU_mSV_SY_bEUlT_E_NS1_11comp_targetILNS1_3genE9ELNS1_11target_archE1100ELNS1_3gpuE3ELNS1_3repE0EEENS1_30default_config_static_selectorELNS0_4arch9wavefront6targetE1EEEvSS_
	.globl	_ZN7rocprim17ROCPRIM_400000_NS6detail17trampoline_kernelINS0_14default_configENS1_27lower_bound_config_selectorIylEEZNS1_14transform_implILb0ES3_S5_N6thrust23THRUST_200600_302600_NS6detail15normal_iteratorINS8_7pointerIyNS8_11hip_rocprim5par_tENS8_11use_defaultESE_EEEENSA_INSB_IlSD_SE_SE_EEEEZNS1_13binary_searchIS3_S5_PySG_SI_NS1_21lower_bound_search_opENS9_16wrapped_functionI11custom_lessbEEEE10hipError_tPvRmT1_T2_T3_mmT4_T5_P12ihipStream_tbEUlRKyE_EESP_ST_SU_mSV_SY_bEUlT_E_NS1_11comp_targetILNS1_3genE9ELNS1_11target_archE1100ELNS1_3gpuE3ELNS1_3repE0EEENS1_30default_config_static_selectorELNS0_4arch9wavefront6targetE1EEEvSS_
	.p2align	8
	.type	_ZN7rocprim17ROCPRIM_400000_NS6detail17trampoline_kernelINS0_14default_configENS1_27lower_bound_config_selectorIylEEZNS1_14transform_implILb0ES3_S5_N6thrust23THRUST_200600_302600_NS6detail15normal_iteratorINS8_7pointerIyNS8_11hip_rocprim5par_tENS8_11use_defaultESE_EEEENSA_INSB_IlSD_SE_SE_EEEEZNS1_13binary_searchIS3_S5_PySG_SI_NS1_21lower_bound_search_opENS9_16wrapped_functionI11custom_lessbEEEE10hipError_tPvRmT1_T2_T3_mmT4_T5_P12ihipStream_tbEUlRKyE_EESP_ST_SU_mSV_SY_bEUlT_E_NS1_11comp_targetILNS1_3genE9ELNS1_11target_archE1100ELNS1_3gpuE3ELNS1_3repE0EEENS1_30default_config_static_selectorELNS0_4arch9wavefront6targetE1EEEvSS_,@function
_ZN7rocprim17ROCPRIM_400000_NS6detail17trampoline_kernelINS0_14default_configENS1_27lower_bound_config_selectorIylEEZNS1_14transform_implILb0ES3_S5_N6thrust23THRUST_200600_302600_NS6detail15normal_iteratorINS8_7pointerIyNS8_11hip_rocprim5par_tENS8_11use_defaultESE_EEEENSA_INSB_IlSD_SE_SE_EEEEZNS1_13binary_searchIS3_S5_PySG_SI_NS1_21lower_bound_search_opENS9_16wrapped_functionI11custom_lessbEEEE10hipError_tPvRmT1_T2_T3_mmT4_T5_P12ihipStream_tbEUlRKyE_EESP_ST_SU_mSV_SY_bEUlT_E_NS1_11comp_targetILNS1_3genE9ELNS1_11target_archE1100ELNS1_3gpuE3ELNS1_3repE0EEENS1_30default_config_static_selectorELNS0_4arch9wavefront6targetE1EEEvSS_: ; @_ZN7rocprim17ROCPRIM_400000_NS6detail17trampoline_kernelINS0_14default_configENS1_27lower_bound_config_selectorIylEEZNS1_14transform_implILb0ES3_S5_N6thrust23THRUST_200600_302600_NS6detail15normal_iteratorINS8_7pointerIyNS8_11hip_rocprim5par_tENS8_11use_defaultESE_EEEENSA_INSB_IlSD_SE_SE_EEEEZNS1_13binary_searchIS3_S5_PySG_SI_NS1_21lower_bound_search_opENS9_16wrapped_functionI11custom_lessbEEEE10hipError_tPvRmT1_T2_T3_mmT4_T5_P12ihipStream_tbEUlRKyE_EESP_ST_SU_mSV_SY_bEUlT_E_NS1_11comp_targetILNS1_3genE9ELNS1_11target_archE1100ELNS1_3gpuE3ELNS1_3repE0EEENS1_30default_config_static_selectorELNS0_4arch9wavefront6targetE1EEEvSS_
; %bb.0:
	.section	.rodata,"a",@progbits
	.p2align	6, 0x0
	.amdhsa_kernel _ZN7rocprim17ROCPRIM_400000_NS6detail17trampoline_kernelINS0_14default_configENS1_27lower_bound_config_selectorIylEEZNS1_14transform_implILb0ES3_S5_N6thrust23THRUST_200600_302600_NS6detail15normal_iteratorINS8_7pointerIyNS8_11hip_rocprim5par_tENS8_11use_defaultESE_EEEENSA_INSB_IlSD_SE_SE_EEEEZNS1_13binary_searchIS3_S5_PySG_SI_NS1_21lower_bound_search_opENS9_16wrapped_functionI11custom_lessbEEEE10hipError_tPvRmT1_T2_T3_mmT4_T5_P12ihipStream_tbEUlRKyE_EESP_ST_SU_mSV_SY_bEUlT_E_NS1_11comp_targetILNS1_3genE9ELNS1_11target_archE1100ELNS1_3gpuE3ELNS1_3repE0EEENS1_30default_config_static_selectorELNS0_4arch9wavefront6targetE1EEEvSS_
		.amdhsa_group_segment_fixed_size 0
		.amdhsa_private_segment_fixed_size 0
		.amdhsa_kernarg_size 56
		.amdhsa_user_sgpr_count 6
		.amdhsa_user_sgpr_private_segment_buffer 1
		.amdhsa_user_sgpr_dispatch_ptr 0
		.amdhsa_user_sgpr_queue_ptr 0
		.amdhsa_user_sgpr_kernarg_segment_ptr 1
		.amdhsa_user_sgpr_dispatch_id 0
		.amdhsa_user_sgpr_flat_scratch_init 0
		.amdhsa_user_sgpr_private_segment_size 0
		.amdhsa_uses_dynamic_stack 0
		.amdhsa_system_sgpr_private_segment_wavefront_offset 0
		.amdhsa_system_sgpr_workgroup_id_x 1
		.amdhsa_system_sgpr_workgroup_id_y 0
		.amdhsa_system_sgpr_workgroup_id_z 0
		.amdhsa_system_sgpr_workgroup_info 0
		.amdhsa_system_vgpr_workitem_id 0
		.amdhsa_next_free_vgpr 1
		.amdhsa_next_free_sgpr 0
		.amdhsa_reserve_vcc 0
		.amdhsa_reserve_flat_scratch 0
		.amdhsa_float_round_mode_32 0
		.amdhsa_float_round_mode_16_64 0
		.amdhsa_float_denorm_mode_32 3
		.amdhsa_float_denorm_mode_16_64 3
		.amdhsa_dx10_clamp 1
		.amdhsa_ieee_mode 1
		.amdhsa_fp16_overflow 0
		.amdhsa_exception_fp_ieee_invalid_op 0
		.amdhsa_exception_fp_denorm_src 0
		.amdhsa_exception_fp_ieee_div_zero 0
		.amdhsa_exception_fp_ieee_overflow 0
		.amdhsa_exception_fp_ieee_underflow 0
		.amdhsa_exception_fp_ieee_inexact 0
		.amdhsa_exception_int_div_zero 0
	.end_amdhsa_kernel
	.section	.text._ZN7rocprim17ROCPRIM_400000_NS6detail17trampoline_kernelINS0_14default_configENS1_27lower_bound_config_selectorIylEEZNS1_14transform_implILb0ES3_S5_N6thrust23THRUST_200600_302600_NS6detail15normal_iteratorINS8_7pointerIyNS8_11hip_rocprim5par_tENS8_11use_defaultESE_EEEENSA_INSB_IlSD_SE_SE_EEEEZNS1_13binary_searchIS3_S5_PySG_SI_NS1_21lower_bound_search_opENS9_16wrapped_functionI11custom_lessbEEEE10hipError_tPvRmT1_T2_T3_mmT4_T5_P12ihipStream_tbEUlRKyE_EESP_ST_SU_mSV_SY_bEUlT_E_NS1_11comp_targetILNS1_3genE9ELNS1_11target_archE1100ELNS1_3gpuE3ELNS1_3repE0EEENS1_30default_config_static_selectorELNS0_4arch9wavefront6targetE1EEEvSS_,"axG",@progbits,_ZN7rocprim17ROCPRIM_400000_NS6detail17trampoline_kernelINS0_14default_configENS1_27lower_bound_config_selectorIylEEZNS1_14transform_implILb0ES3_S5_N6thrust23THRUST_200600_302600_NS6detail15normal_iteratorINS8_7pointerIyNS8_11hip_rocprim5par_tENS8_11use_defaultESE_EEEENSA_INSB_IlSD_SE_SE_EEEEZNS1_13binary_searchIS3_S5_PySG_SI_NS1_21lower_bound_search_opENS9_16wrapped_functionI11custom_lessbEEEE10hipError_tPvRmT1_T2_T3_mmT4_T5_P12ihipStream_tbEUlRKyE_EESP_ST_SU_mSV_SY_bEUlT_E_NS1_11comp_targetILNS1_3genE9ELNS1_11target_archE1100ELNS1_3gpuE3ELNS1_3repE0EEENS1_30default_config_static_selectorELNS0_4arch9wavefront6targetE1EEEvSS_,comdat
.Lfunc_end51:
	.size	_ZN7rocprim17ROCPRIM_400000_NS6detail17trampoline_kernelINS0_14default_configENS1_27lower_bound_config_selectorIylEEZNS1_14transform_implILb0ES3_S5_N6thrust23THRUST_200600_302600_NS6detail15normal_iteratorINS8_7pointerIyNS8_11hip_rocprim5par_tENS8_11use_defaultESE_EEEENSA_INSB_IlSD_SE_SE_EEEEZNS1_13binary_searchIS3_S5_PySG_SI_NS1_21lower_bound_search_opENS9_16wrapped_functionI11custom_lessbEEEE10hipError_tPvRmT1_T2_T3_mmT4_T5_P12ihipStream_tbEUlRKyE_EESP_ST_SU_mSV_SY_bEUlT_E_NS1_11comp_targetILNS1_3genE9ELNS1_11target_archE1100ELNS1_3gpuE3ELNS1_3repE0EEENS1_30default_config_static_selectorELNS0_4arch9wavefront6targetE1EEEvSS_, .Lfunc_end51-_ZN7rocprim17ROCPRIM_400000_NS6detail17trampoline_kernelINS0_14default_configENS1_27lower_bound_config_selectorIylEEZNS1_14transform_implILb0ES3_S5_N6thrust23THRUST_200600_302600_NS6detail15normal_iteratorINS8_7pointerIyNS8_11hip_rocprim5par_tENS8_11use_defaultESE_EEEENSA_INSB_IlSD_SE_SE_EEEEZNS1_13binary_searchIS3_S5_PySG_SI_NS1_21lower_bound_search_opENS9_16wrapped_functionI11custom_lessbEEEE10hipError_tPvRmT1_T2_T3_mmT4_T5_P12ihipStream_tbEUlRKyE_EESP_ST_SU_mSV_SY_bEUlT_E_NS1_11comp_targetILNS1_3genE9ELNS1_11target_archE1100ELNS1_3gpuE3ELNS1_3repE0EEENS1_30default_config_static_selectorELNS0_4arch9wavefront6targetE1EEEvSS_
                                        ; -- End function
	.set _ZN7rocprim17ROCPRIM_400000_NS6detail17trampoline_kernelINS0_14default_configENS1_27lower_bound_config_selectorIylEEZNS1_14transform_implILb0ES3_S5_N6thrust23THRUST_200600_302600_NS6detail15normal_iteratorINS8_7pointerIyNS8_11hip_rocprim5par_tENS8_11use_defaultESE_EEEENSA_INSB_IlSD_SE_SE_EEEEZNS1_13binary_searchIS3_S5_PySG_SI_NS1_21lower_bound_search_opENS9_16wrapped_functionI11custom_lessbEEEE10hipError_tPvRmT1_T2_T3_mmT4_T5_P12ihipStream_tbEUlRKyE_EESP_ST_SU_mSV_SY_bEUlT_E_NS1_11comp_targetILNS1_3genE9ELNS1_11target_archE1100ELNS1_3gpuE3ELNS1_3repE0EEENS1_30default_config_static_selectorELNS0_4arch9wavefront6targetE1EEEvSS_.num_vgpr, 0
	.set _ZN7rocprim17ROCPRIM_400000_NS6detail17trampoline_kernelINS0_14default_configENS1_27lower_bound_config_selectorIylEEZNS1_14transform_implILb0ES3_S5_N6thrust23THRUST_200600_302600_NS6detail15normal_iteratorINS8_7pointerIyNS8_11hip_rocprim5par_tENS8_11use_defaultESE_EEEENSA_INSB_IlSD_SE_SE_EEEEZNS1_13binary_searchIS3_S5_PySG_SI_NS1_21lower_bound_search_opENS9_16wrapped_functionI11custom_lessbEEEE10hipError_tPvRmT1_T2_T3_mmT4_T5_P12ihipStream_tbEUlRKyE_EESP_ST_SU_mSV_SY_bEUlT_E_NS1_11comp_targetILNS1_3genE9ELNS1_11target_archE1100ELNS1_3gpuE3ELNS1_3repE0EEENS1_30default_config_static_selectorELNS0_4arch9wavefront6targetE1EEEvSS_.num_agpr, 0
	.set _ZN7rocprim17ROCPRIM_400000_NS6detail17trampoline_kernelINS0_14default_configENS1_27lower_bound_config_selectorIylEEZNS1_14transform_implILb0ES3_S5_N6thrust23THRUST_200600_302600_NS6detail15normal_iteratorINS8_7pointerIyNS8_11hip_rocprim5par_tENS8_11use_defaultESE_EEEENSA_INSB_IlSD_SE_SE_EEEEZNS1_13binary_searchIS3_S5_PySG_SI_NS1_21lower_bound_search_opENS9_16wrapped_functionI11custom_lessbEEEE10hipError_tPvRmT1_T2_T3_mmT4_T5_P12ihipStream_tbEUlRKyE_EESP_ST_SU_mSV_SY_bEUlT_E_NS1_11comp_targetILNS1_3genE9ELNS1_11target_archE1100ELNS1_3gpuE3ELNS1_3repE0EEENS1_30default_config_static_selectorELNS0_4arch9wavefront6targetE1EEEvSS_.numbered_sgpr, 0
	.set _ZN7rocprim17ROCPRIM_400000_NS6detail17trampoline_kernelINS0_14default_configENS1_27lower_bound_config_selectorIylEEZNS1_14transform_implILb0ES3_S5_N6thrust23THRUST_200600_302600_NS6detail15normal_iteratorINS8_7pointerIyNS8_11hip_rocprim5par_tENS8_11use_defaultESE_EEEENSA_INSB_IlSD_SE_SE_EEEEZNS1_13binary_searchIS3_S5_PySG_SI_NS1_21lower_bound_search_opENS9_16wrapped_functionI11custom_lessbEEEE10hipError_tPvRmT1_T2_T3_mmT4_T5_P12ihipStream_tbEUlRKyE_EESP_ST_SU_mSV_SY_bEUlT_E_NS1_11comp_targetILNS1_3genE9ELNS1_11target_archE1100ELNS1_3gpuE3ELNS1_3repE0EEENS1_30default_config_static_selectorELNS0_4arch9wavefront6targetE1EEEvSS_.num_named_barrier, 0
	.set _ZN7rocprim17ROCPRIM_400000_NS6detail17trampoline_kernelINS0_14default_configENS1_27lower_bound_config_selectorIylEEZNS1_14transform_implILb0ES3_S5_N6thrust23THRUST_200600_302600_NS6detail15normal_iteratorINS8_7pointerIyNS8_11hip_rocprim5par_tENS8_11use_defaultESE_EEEENSA_INSB_IlSD_SE_SE_EEEEZNS1_13binary_searchIS3_S5_PySG_SI_NS1_21lower_bound_search_opENS9_16wrapped_functionI11custom_lessbEEEE10hipError_tPvRmT1_T2_T3_mmT4_T5_P12ihipStream_tbEUlRKyE_EESP_ST_SU_mSV_SY_bEUlT_E_NS1_11comp_targetILNS1_3genE9ELNS1_11target_archE1100ELNS1_3gpuE3ELNS1_3repE0EEENS1_30default_config_static_selectorELNS0_4arch9wavefront6targetE1EEEvSS_.private_seg_size, 0
	.set _ZN7rocprim17ROCPRIM_400000_NS6detail17trampoline_kernelINS0_14default_configENS1_27lower_bound_config_selectorIylEEZNS1_14transform_implILb0ES3_S5_N6thrust23THRUST_200600_302600_NS6detail15normal_iteratorINS8_7pointerIyNS8_11hip_rocprim5par_tENS8_11use_defaultESE_EEEENSA_INSB_IlSD_SE_SE_EEEEZNS1_13binary_searchIS3_S5_PySG_SI_NS1_21lower_bound_search_opENS9_16wrapped_functionI11custom_lessbEEEE10hipError_tPvRmT1_T2_T3_mmT4_T5_P12ihipStream_tbEUlRKyE_EESP_ST_SU_mSV_SY_bEUlT_E_NS1_11comp_targetILNS1_3genE9ELNS1_11target_archE1100ELNS1_3gpuE3ELNS1_3repE0EEENS1_30default_config_static_selectorELNS0_4arch9wavefront6targetE1EEEvSS_.uses_vcc, 0
	.set _ZN7rocprim17ROCPRIM_400000_NS6detail17trampoline_kernelINS0_14default_configENS1_27lower_bound_config_selectorIylEEZNS1_14transform_implILb0ES3_S5_N6thrust23THRUST_200600_302600_NS6detail15normal_iteratorINS8_7pointerIyNS8_11hip_rocprim5par_tENS8_11use_defaultESE_EEEENSA_INSB_IlSD_SE_SE_EEEEZNS1_13binary_searchIS3_S5_PySG_SI_NS1_21lower_bound_search_opENS9_16wrapped_functionI11custom_lessbEEEE10hipError_tPvRmT1_T2_T3_mmT4_T5_P12ihipStream_tbEUlRKyE_EESP_ST_SU_mSV_SY_bEUlT_E_NS1_11comp_targetILNS1_3genE9ELNS1_11target_archE1100ELNS1_3gpuE3ELNS1_3repE0EEENS1_30default_config_static_selectorELNS0_4arch9wavefront6targetE1EEEvSS_.uses_flat_scratch, 0
	.set _ZN7rocprim17ROCPRIM_400000_NS6detail17trampoline_kernelINS0_14default_configENS1_27lower_bound_config_selectorIylEEZNS1_14transform_implILb0ES3_S5_N6thrust23THRUST_200600_302600_NS6detail15normal_iteratorINS8_7pointerIyNS8_11hip_rocprim5par_tENS8_11use_defaultESE_EEEENSA_INSB_IlSD_SE_SE_EEEEZNS1_13binary_searchIS3_S5_PySG_SI_NS1_21lower_bound_search_opENS9_16wrapped_functionI11custom_lessbEEEE10hipError_tPvRmT1_T2_T3_mmT4_T5_P12ihipStream_tbEUlRKyE_EESP_ST_SU_mSV_SY_bEUlT_E_NS1_11comp_targetILNS1_3genE9ELNS1_11target_archE1100ELNS1_3gpuE3ELNS1_3repE0EEENS1_30default_config_static_selectorELNS0_4arch9wavefront6targetE1EEEvSS_.has_dyn_sized_stack, 0
	.set _ZN7rocprim17ROCPRIM_400000_NS6detail17trampoline_kernelINS0_14default_configENS1_27lower_bound_config_selectorIylEEZNS1_14transform_implILb0ES3_S5_N6thrust23THRUST_200600_302600_NS6detail15normal_iteratorINS8_7pointerIyNS8_11hip_rocprim5par_tENS8_11use_defaultESE_EEEENSA_INSB_IlSD_SE_SE_EEEEZNS1_13binary_searchIS3_S5_PySG_SI_NS1_21lower_bound_search_opENS9_16wrapped_functionI11custom_lessbEEEE10hipError_tPvRmT1_T2_T3_mmT4_T5_P12ihipStream_tbEUlRKyE_EESP_ST_SU_mSV_SY_bEUlT_E_NS1_11comp_targetILNS1_3genE9ELNS1_11target_archE1100ELNS1_3gpuE3ELNS1_3repE0EEENS1_30default_config_static_selectorELNS0_4arch9wavefront6targetE1EEEvSS_.has_recursion, 0
	.set _ZN7rocprim17ROCPRIM_400000_NS6detail17trampoline_kernelINS0_14default_configENS1_27lower_bound_config_selectorIylEEZNS1_14transform_implILb0ES3_S5_N6thrust23THRUST_200600_302600_NS6detail15normal_iteratorINS8_7pointerIyNS8_11hip_rocprim5par_tENS8_11use_defaultESE_EEEENSA_INSB_IlSD_SE_SE_EEEEZNS1_13binary_searchIS3_S5_PySG_SI_NS1_21lower_bound_search_opENS9_16wrapped_functionI11custom_lessbEEEE10hipError_tPvRmT1_T2_T3_mmT4_T5_P12ihipStream_tbEUlRKyE_EESP_ST_SU_mSV_SY_bEUlT_E_NS1_11comp_targetILNS1_3genE9ELNS1_11target_archE1100ELNS1_3gpuE3ELNS1_3repE0EEENS1_30default_config_static_selectorELNS0_4arch9wavefront6targetE1EEEvSS_.has_indirect_call, 0
	.section	.AMDGPU.csdata,"",@progbits
; Kernel info:
; codeLenInByte = 0
; TotalNumSgprs: 4
; NumVgprs: 0
; ScratchSize: 0
; MemoryBound: 0
; FloatMode: 240
; IeeeMode: 1
; LDSByteSize: 0 bytes/workgroup (compile time only)
; SGPRBlocks: 0
; VGPRBlocks: 0
; NumSGPRsForWavesPerEU: 4
; NumVGPRsForWavesPerEU: 1
; Occupancy: 10
; WaveLimiterHint : 0
; COMPUTE_PGM_RSRC2:SCRATCH_EN: 0
; COMPUTE_PGM_RSRC2:USER_SGPR: 6
; COMPUTE_PGM_RSRC2:TRAP_HANDLER: 0
; COMPUTE_PGM_RSRC2:TGID_X_EN: 1
; COMPUTE_PGM_RSRC2:TGID_Y_EN: 0
; COMPUTE_PGM_RSRC2:TGID_Z_EN: 0
; COMPUTE_PGM_RSRC2:TIDIG_COMP_CNT: 0
	.section	.text._ZN7rocprim17ROCPRIM_400000_NS6detail17trampoline_kernelINS0_14default_configENS1_27lower_bound_config_selectorIylEEZNS1_14transform_implILb0ES3_S5_N6thrust23THRUST_200600_302600_NS6detail15normal_iteratorINS8_7pointerIyNS8_11hip_rocprim5par_tENS8_11use_defaultESE_EEEENSA_INSB_IlSD_SE_SE_EEEEZNS1_13binary_searchIS3_S5_PySG_SI_NS1_21lower_bound_search_opENS9_16wrapped_functionI11custom_lessbEEEE10hipError_tPvRmT1_T2_T3_mmT4_T5_P12ihipStream_tbEUlRKyE_EESP_ST_SU_mSV_SY_bEUlT_E_NS1_11comp_targetILNS1_3genE8ELNS1_11target_archE1030ELNS1_3gpuE2ELNS1_3repE0EEENS1_30default_config_static_selectorELNS0_4arch9wavefront6targetE1EEEvSS_,"axG",@progbits,_ZN7rocprim17ROCPRIM_400000_NS6detail17trampoline_kernelINS0_14default_configENS1_27lower_bound_config_selectorIylEEZNS1_14transform_implILb0ES3_S5_N6thrust23THRUST_200600_302600_NS6detail15normal_iteratorINS8_7pointerIyNS8_11hip_rocprim5par_tENS8_11use_defaultESE_EEEENSA_INSB_IlSD_SE_SE_EEEEZNS1_13binary_searchIS3_S5_PySG_SI_NS1_21lower_bound_search_opENS9_16wrapped_functionI11custom_lessbEEEE10hipError_tPvRmT1_T2_T3_mmT4_T5_P12ihipStream_tbEUlRKyE_EESP_ST_SU_mSV_SY_bEUlT_E_NS1_11comp_targetILNS1_3genE8ELNS1_11target_archE1030ELNS1_3gpuE2ELNS1_3repE0EEENS1_30default_config_static_selectorELNS0_4arch9wavefront6targetE1EEEvSS_,comdat
	.protected	_ZN7rocprim17ROCPRIM_400000_NS6detail17trampoline_kernelINS0_14default_configENS1_27lower_bound_config_selectorIylEEZNS1_14transform_implILb0ES3_S5_N6thrust23THRUST_200600_302600_NS6detail15normal_iteratorINS8_7pointerIyNS8_11hip_rocprim5par_tENS8_11use_defaultESE_EEEENSA_INSB_IlSD_SE_SE_EEEEZNS1_13binary_searchIS3_S5_PySG_SI_NS1_21lower_bound_search_opENS9_16wrapped_functionI11custom_lessbEEEE10hipError_tPvRmT1_T2_T3_mmT4_T5_P12ihipStream_tbEUlRKyE_EESP_ST_SU_mSV_SY_bEUlT_E_NS1_11comp_targetILNS1_3genE8ELNS1_11target_archE1030ELNS1_3gpuE2ELNS1_3repE0EEENS1_30default_config_static_selectorELNS0_4arch9wavefront6targetE1EEEvSS_ ; -- Begin function _ZN7rocprim17ROCPRIM_400000_NS6detail17trampoline_kernelINS0_14default_configENS1_27lower_bound_config_selectorIylEEZNS1_14transform_implILb0ES3_S5_N6thrust23THRUST_200600_302600_NS6detail15normal_iteratorINS8_7pointerIyNS8_11hip_rocprim5par_tENS8_11use_defaultESE_EEEENSA_INSB_IlSD_SE_SE_EEEEZNS1_13binary_searchIS3_S5_PySG_SI_NS1_21lower_bound_search_opENS9_16wrapped_functionI11custom_lessbEEEE10hipError_tPvRmT1_T2_T3_mmT4_T5_P12ihipStream_tbEUlRKyE_EESP_ST_SU_mSV_SY_bEUlT_E_NS1_11comp_targetILNS1_3genE8ELNS1_11target_archE1030ELNS1_3gpuE2ELNS1_3repE0EEENS1_30default_config_static_selectorELNS0_4arch9wavefront6targetE1EEEvSS_
	.globl	_ZN7rocprim17ROCPRIM_400000_NS6detail17trampoline_kernelINS0_14default_configENS1_27lower_bound_config_selectorIylEEZNS1_14transform_implILb0ES3_S5_N6thrust23THRUST_200600_302600_NS6detail15normal_iteratorINS8_7pointerIyNS8_11hip_rocprim5par_tENS8_11use_defaultESE_EEEENSA_INSB_IlSD_SE_SE_EEEEZNS1_13binary_searchIS3_S5_PySG_SI_NS1_21lower_bound_search_opENS9_16wrapped_functionI11custom_lessbEEEE10hipError_tPvRmT1_T2_T3_mmT4_T5_P12ihipStream_tbEUlRKyE_EESP_ST_SU_mSV_SY_bEUlT_E_NS1_11comp_targetILNS1_3genE8ELNS1_11target_archE1030ELNS1_3gpuE2ELNS1_3repE0EEENS1_30default_config_static_selectorELNS0_4arch9wavefront6targetE1EEEvSS_
	.p2align	8
	.type	_ZN7rocprim17ROCPRIM_400000_NS6detail17trampoline_kernelINS0_14default_configENS1_27lower_bound_config_selectorIylEEZNS1_14transform_implILb0ES3_S5_N6thrust23THRUST_200600_302600_NS6detail15normal_iteratorINS8_7pointerIyNS8_11hip_rocprim5par_tENS8_11use_defaultESE_EEEENSA_INSB_IlSD_SE_SE_EEEEZNS1_13binary_searchIS3_S5_PySG_SI_NS1_21lower_bound_search_opENS9_16wrapped_functionI11custom_lessbEEEE10hipError_tPvRmT1_T2_T3_mmT4_T5_P12ihipStream_tbEUlRKyE_EESP_ST_SU_mSV_SY_bEUlT_E_NS1_11comp_targetILNS1_3genE8ELNS1_11target_archE1030ELNS1_3gpuE2ELNS1_3repE0EEENS1_30default_config_static_selectorELNS0_4arch9wavefront6targetE1EEEvSS_,@function
_ZN7rocprim17ROCPRIM_400000_NS6detail17trampoline_kernelINS0_14default_configENS1_27lower_bound_config_selectorIylEEZNS1_14transform_implILb0ES3_S5_N6thrust23THRUST_200600_302600_NS6detail15normal_iteratorINS8_7pointerIyNS8_11hip_rocprim5par_tENS8_11use_defaultESE_EEEENSA_INSB_IlSD_SE_SE_EEEEZNS1_13binary_searchIS3_S5_PySG_SI_NS1_21lower_bound_search_opENS9_16wrapped_functionI11custom_lessbEEEE10hipError_tPvRmT1_T2_T3_mmT4_T5_P12ihipStream_tbEUlRKyE_EESP_ST_SU_mSV_SY_bEUlT_E_NS1_11comp_targetILNS1_3genE8ELNS1_11target_archE1030ELNS1_3gpuE2ELNS1_3repE0EEENS1_30default_config_static_selectorELNS0_4arch9wavefront6targetE1EEEvSS_: ; @_ZN7rocprim17ROCPRIM_400000_NS6detail17trampoline_kernelINS0_14default_configENS1_27lower_bound_config_selectorIylEEZNS1_14transform_implILb0ES3_S5_N6thrust23THRUST_200600_302600_NS6detail15normal_iteratorINS8_7pointerIyNS8_11hip_rocprim5par_tENS8_11use_defaultESE_EEEENSA_INSB_IlSD_SE_SE_EEEEZNS1_13binary_searchIS3_S5_PySG_SI_NS1_21lower_bound_search_opENS9_16wrapped_functionI11custom_lessbEEEE10hipError_tPvRmT1_T2_T3_mmT4_T5_P12ihipStream_tbEUlRKyE_EESP_ST_SU_mSV_SY_bEUlT_E_NS1_11comp_targetILNS1_3genE8ELNS1_11target_archE1030ELNS1_3gpuE2ELNS1_3repE0EEENS1_30default_config_static_selectorELNS0_4arch9wavefront6targetE1EEEvSS_
; %bb.0:
	.section	.rodata,"a",@progbits
	.p2align	6, 0x0
	.amdhsa_kernel _ZN7rocprim17ROCPRIM_400000_NS6detail17trampoline_kernelINS0_14default_configENS1_27lower_bound_config_selectorIylEEZNS1_14transform_implILb0ES3_S5_N6thrust23THRUST_200600_302600_NS6detail15normal_iteratorINS8_7pointerIyNS8_11hip_rocprim5par_tENS8_11use_defaultESE_EEEENSA_INSB_IlSD_SE_SE_EEEEZNS1_13binary_searchIS3_S5_PySG_SI_NS1_21lower_bound_search_opENS9_16wrapped_functionI11custom_lessbEEEE10hipError_tPvRmT1_T2_T3_mmT4_T5_P12ihipStream_tbEUlRKyE_EESP_ST_SU_mSV_SY_bEUlT_E_NS1_11comp_targetILNS1_3genE8ELNS1_11target_archE1030ELNS1_3gpuE2ELNS1_3repE0EEENS1_30default_config_static_selectorELNS0_4arch9wavefront6targetE1EEEvSS_
		.amdhsa_group_segment_fixed_size 0
		.amdhsa_private_segment_fixed_size 0
		.amdhsa_kernarg_size 56
		.amdhsa_user_sgpr_count 6
		.amdhsa_user_sgpr_private_segment_buffer 1
		.amdhsa_user_sgpr_dispatch_ptr 0
		.amdhsa_user_sgpr_queue_ptr 0
		.amdhsa_user_sgpr_kernarg_segment_ptr 1
		.amdhsa_user_sgpr_dispatch_id 0
		.amdhsa_user_sgpr_flat_scratch_init 0
		.amdhsa_user_sgpr_private_segment_size 0
		.amdhsa_uses_dynamic_stack 0
		.amdhsa_system_sgpr_private_segment_wavefront_offset 0
		.amdhsa_system_sgpr_workgroup_id_x 1
		.amdhsa_system_sgpr_workgroup_id_y 0
		.amdhsa_system_sgpr_workgroup_id_z 0
		.amdhsa_system_sgpr_workgroup_info 0
		.amdhsa_system_vgpr_workitem_id 0
		.amdhsa_next_free_vgpr 1
		.amdhsa_next_free_sgpr 0
		.amdhsa_reserve_vcc 0
		.amdhsa_reserve_flat_scratch 0
		.amdhsa_float_round_mode_32 0
		.amdhsa_float_round_mode_16_64 0
		.amdhsa_float_denorm_mode_32 3
		.amdhsa_float_denorm_mode_16_64 3
		.amdhsa_dx10_clamp 1
		.amdhsa_ieee_mode 1
		.amdhsa_fp16_overflow 0
		.amdhsa_exception_fp_ieee_invalid_op 0
		.amdhsa_exception_fp_denorm_src 0
		.amdhsa_exception_fp_ieee_div_zero 0
		.amdhsa_exception_fp_ieee_overflow 0
		.amdhsa_exception_fp_ieee_underflow 0
		.amdhsa_exception_fp_ieee_inexact 0
		.amdhsa_exception_int_div_zero 0
	.end_amdhsa_kernel
	.section	.text._ZN7rocprim17ROCPRIM_400000_NS6detail17trampoline_kernelINS0_14default_configENS1_27lower_bound_config_selectorIylEEZNS1_14transform_implILb0ES3_S5_N6thrust23THRUST_200600_302600_NS6detail15normal_iteratorINS8_7pointerIyNS8_11hip_rocprim5par_tENS8_11use_defaultESE_EEEENSA_INSB_IlSD_SE_SE_EEEEZNS1_13binary_searchIS3_S5_PySG_SI_NS1_21lower_bound_search_opENS9_16wrapped_functionI11custom_lessbEEEE10hipError_tPvRmT1_T2_T3_mmT4_T5_P12ihipStream_tbEUlRKyE_EESP_ST_SU_mSV_SY_bEUlT_E_NS1_11comp_targetILNS1_3genE8ELNS1_11target_archE1030ELNS1_3gpuE2ELNS1_3repE0EEENS1_30default_config_static_selectorELNS0_4arch9wavefront6targetE1EEEvSS_,"axG",@progbits,_ZN7rocprim17ROCPRIM_400000_NS6detail17trampoline_kernelINS0_14default_configENS1_27lower_bound_config_selectorIylEEZNS1_14transform_implILb0ES3_S5_N6thrust23THRUST_200600_302600_NS6detail15normal_iteratorINS8_7pointerIyNS8_11hip_rocprim5par_tENS8_11use_defaultESE_EEEENSA_INSB_IlSD_SE_SE_EEEEZNS1_13binary_searchIS3_S5_PySG_SI_NS1_21lower_bound_search_opENS9_16wrapped_functionI11custom_lessbEEEE10hipError_tPvRmT1_T2_T3_mmT4_T5_P12ihipStream_tbEUlRKyE_EESP_ST_SU_mSV_SY_bEUlT_E_NS1_11comp_targetILNS1_3genE8ELNS1_11target_archE1030ELNS1_3gpuE2ELNS1_3repE0EEENS1_30default_config_static_selectorELNS0_4arch9wavefront6targetE1EEEvSS_,comdat
.Lfunc_end52:
	.size	_ZN7rocprim17ROCPRIM_400000_NS6detail17trampoline_kernelINS0_14default_configENS1_27lower_bound_config_selectorIylEEZNS1_14transform_implILb0ES3_S5_N6thrust23THRUST_200600_302600_NS6detail15normal_iteratorINS8_7pointerIyNS8_11hip_rocprim5par_tENS8_11use_defaultESE_EEEENSA_INSB_IlSD_SE_SE_EEEEZNS1_13binary_searchIS3_S5_PySG_SI_NS1_21lower_bound_search_opENS9_16wrapped_functionI11custom_lessbEEEE10hipError_tPvRmT1_T2_T3_mmT4_T5_P12ihipStream_tbEUlRKyE_EESP_ST_SU_mSV_SY_bEUlT_E_NS1_11comp_targetILNS1_3genE8ELNS1_11target_archE1030ELNS1_3gpuE2ELNS1_3repE0EEENS1_30default_config_static_selectorELNS0_4arch9wavefront6targetE1EEEvSS_, .Lfunc_end52-_ZN7rocprim17ROCPRIM_400000_NS6detail17trampoline_kernelINS0_14default_configENS1_27lower_bound_config_selectorIylEEZNS1_14transform_implILb0ES3_S5_N6thrust23THRUST_200600_302600_NS6detail15normal_iteratorINS8_7pointerIyNS8_11hip_rocprim5par_tENS8_11use_defaultESE_EEEENSA_INSB_IlSD_SE_SE_EEEEZNS1_13binary_searchIS3_S5_PySG_SI_NS1_21lower_bound_search_opENS9_16wrapped_functionI11custom_lessbEEEE10hipError_tPvRmT1_T2_T3_mmT4_T5_P12ihipStream_tbEUlRKyE_EESP_ST_SU_mSV_SY_bEUlT_E_NS1_11comp_targetILNS1_3genE8ELNS1_11target_archE1030ELNS1_3gpuE2ELNS1_3repE0EEENS1_30default_config_static_selectorELNS0_4arch9wavefront6targetE1EEEvSS_
                                        ; -- End function
	.set _ZN7rocprim17ROCPRIM_400000_NS6detail17trampoline_kernelINS0_14default_configENS1_27lower_bound_config_selectorIylEEZNS1_14transform_implILb0ES3_S5_N6thrust23THRUST_200600_302600_NS6detail15normal_iteratorINS8_7pointerIyNS8_11hip_rocprim5par_tENS8_11use_defaultESE_EEEENSA_INSB_IlSD_SE_SE_EEEEZNS1_13binary_searchIS3_S5_PySG_SI_NS1_21lower_bound_search_opENS9_16wrapped_functionI11custom_lessbEEEE10hipError_tPvRmT1_T2_T3_mmT4_T5_P12ihipStream_tbEUlRKyE_EESP_ST_SU_mSV_SY_bEUlT_E_NS1_11comp_targetILNS1_3genE8ELNS1_11target_archE1030ELNS1_3gpuE2ELNS1_3repE0EEENS1_30default_config_static_selectorELNS0_4arch9wavefront6targetE1EEEvSS_.num_vgpr, 0
	.set _ZN7rocprim17ROCPRIM_400000_NS6detail17trampoline_kernelINS0_14default_configENS1_27lower_bound_config_selectorIylEEZNS1_14transform_implILb0ES3_S5_N6thrust23THRUST_200600_302600_NS6detail15normal_iteratorINS8_7pointerIyNS8_11hip_rocprim5par_tENS8_11use_defaultESE_EEEENSA_INSB_IlSD_SE_SE_EEEEZNS1_13binary_searchIS3_S5_PySG_SI_NS1_21lower_bound_search_opENS9_16wrapped_functionI11custom_lessbEEEE10hipError_tPvRmT1_T2_T3_mmT4_T5_P12ihipStream_tbEUlRKyE_EESP_ST_SU_mSV_SY_bEUlT_E_NS1_11comp_targetILNS1_3genE8ELNS1_11target_archE1030ELNS1_3gpuE2ELNS1_3repE0EEENS1_30default_config_static_selectorELNS0_4arch9wavefront6targetE1EEEvSS_.num_agpr, 0
	.set _ZN7rocprim17ROCPRIM_400000_NS6detail17trampoline_kernelINS0_14default_configENS1_27lower_bound_config_selectorIylEEZNS1_14transform_implILb0ES3_S5_N6thrust23THRUST_200600_302600_NS6detail15normal_iteratorINS8_7pointerIyNS8_11hip_rocprim5par_tENS8_11use_defaultESE_EEEENSA_INSB_IlSD_SE_SE_EEEEZNS1_13binary_searchIS3_S5_PySG_SI_NS1_21lower_bound_search_opENS9_16wrapped_functionI11custom_lessbEEEE10hipError_tPvRmT1_T2_T3_mmT4_T5_P12ihipStream_tbEUlRKyE_EESP_ST_SU_mSV_SY_bEUlT_E_NS1_11comp_targetILNS1_3genE8ELNS1_11target_archE1030ELNS1_3gpuE2ELNS1_3repE0EEENS1_30default_config_static_selectorELNS0_4arch9wavefront6targetE1EEEvSS_.numbered_sgpr, 0
	.set _ZN7rocprim17ROCPRIM_400000_NS6detail17trampoline_kernelINS0_14default_configENS1_27lower_bound_config_selectorIylEEZNS1_14transform_implILb0ES3_S5_N6thrust23THRUST_200600_302600_NS6detail15normal_iteratorINS8_7pointerIyNS8_11hip_rocprim5par_tENS8_11use_defaultESE_EEEENSA_INSB_IlSD_SE_SE_EEEEZNS1_13binary_searchIS3_S5_PySG_SI_NS1_21lower_bound_search_opENS9_16wrapped_functionI11custom_lessbEEEE10hipError_tPvRmT1_T2_T3_mmT4_T5_P12ihipStream_tbEUlRKyE_EESP_ST_SU_mSV_SY_bEUlT_E_NS1_11comp_targetILNS1_3genE8ELNS1_11target_archE1030ELNS1_3gpuE2ELNS1_3repE0EEENS1_30default_config_static_selectorELNS0_4arch9wavefront6targetE1EEEvSS_.num_named_barrier, 0
	.set _ZN7rocprim17ROCPRIM_400000_NS6detail17trampoline_kernelINS0_14default_configENS1_27lower_bound_config_selectorIylEEZNS1_14transform_implILb0ES3_S5_N6thrust23THRUST_200600_302600_NS6detail15normal_iteratorINS8_7pointerIyNS8_11hip_rocprim5par_tENS8_11use_defaultESE_EEEENSA_INSB_IlSD_SE_SE_EEEEZNS1_13binary_searchIS3_S5_PySG_SI_NS1_21lower_bound_search_opENS9_16wrapped_functionI11custom_lessbEEEE10hipError_tPvRmT1_T2_T3_mmT4_T5_P12ihipStream_tbEUlRKyE_EESP_ST_SU_mSV_SY_bEUlT_E_NS1_11comp_targetILNS1_3genE8ELNS1_11target_archE1030ELNS1_3gpuE2ELNS1_3repE0EEENS1_30default_config_static_selectorELNS0_4arch9wavefront6targetE1EEEvSS_.private_seg_size, 0
	.set _ZN7rocprim17ROCPRIM_400000_NS6detail17trampoline_kernelINS0_14default_configENS1_27lower_bound_config_selectorIylEEZNS1_14transform_implILb0ES3_S5_N6thrust23THRUST_200600_302600_NS6detail15normal_iteratorINS8_7pointerIyNS8_11hip_rocprim5par_tENS8_11use_defaultESE_EEEENSA_INSB_IlSD_SE_SE_EEEEZNS1_13binary_searchIS3_S5_PySG_SI_NS1_21lower_bound_search_opENS9_16wrapped_functionI11custom_lessbEEEE10hipError_tPvRmT1_T2_T3_mmT4_T5_P12ihipStream_tbEUlRKyE_EESP_ST_SU_mSV_SY_bEUlT_E_NS1_11comp_targetILNS1_3genE8ELNS1_11target_archE1030ELNS1_3gpuE2ELNS1_3repE0EEENS1_30default_config_static_selectorELNS0_4arch9wavefront6targetE1EEEvSS_.uses_vcc, 0
	.set _ZN7rocprim17ROCPRIM_400000_NS6detail17trampoline_kernelINS0_14default_configENS1_27lower_bound_config_selectorIylEEZNS1_14transform_implILb0ES3_S5_N6thrust23THRUST_200600_302600_NS6detail15normal_iteratorINS8_7pointerIyNS8_11hip_rocprim5par_tENS8_11use_defaultESE_EEEENSA_INSB_IlSD_SE_SE_EEEEZNS1_13binary_searchIS3_S5_PySG_SI_NS1_21lower_bound_search_opENS9_16wrapped_functionI11custom_lessbEEEE10hipError_tPvRmT1_T2_T3_mmT4_T5_P12ihipStream_tbEUlRKyE_EESP_ST_SU_mSV_SY_bEUlT_E_NS1_11comp_targetILNS1_3genE8ELNS1_11target_archE1030ELNS1_3gpuE2ELNS1_3repE0EEENS1_30default_config_static_selectorELNS0_4arch9wavefront6targetE1EEEvSS_.uses_flat_scratch, 0
	.set _ZN7rocprim17ROCPRIM_400000_NS6detail17trampoline_kernelINS0_14default_configENS1_27lower_bound_config_selectorIylEEZNS1_14transform_implILb0ES3_S5_N6thrust23THRUST_200600_302600_NS6detail15normal_iteratorINS8_7pointerIyNS8_11hip_rocprim5par_tENS8_11use_defaultESE_EEEENSA_INSB_IlSD_SE_SE_EEEEZNS1_13binary_searchIS3_S5_PySG_SI_NS1_21lower_bound_search_opENS9_16wrapped_functionI11custom_lessbEEEE10hipError_tPvRmT1_T2_T3_mmT4_T5_P12ihipStream_tbEUlRKyE_EESP_ST_SU_mSV_SY_bEUlT_E_NS1_11comp_targetILNS1_3genE8ELNS1_11target_archE1030ELNS1_3gpuE2ELNS1_3repE0EEENS1_30default_config_static_selectorELNS0_4arch9wavefront6targetE1EEEvSS_.has_dyn_sized_stack, 0
	.set _ZN7rocprim17ROCPRIM_400000_NS6detail17trampoline_kernelINS0_14default_configENS1_27lower_bound_config_selectorIylEEZNS1_14transform_implILb0ES3_S5_N6thrust23THRUST_200600_302600_NS6detail15normal_iteratorINS8_7pointerIyNS8_11hip_rocprim5par_tENS8_11use_defaultESE_EEEENSA_INSB_IlSD_SE_SE_EEEEZNS1_13binary_searchIS3_S5_PySG_SI_NS1_21lower_bound_search_opENS9_16wrapped_functionI11custom_lessbEEEE10hipError_tPvRmT1_T2_T3_mmT4_T5_P12ihipStream_tbEUlRKyE_EESP_ST_SU_mSV_SY_bEUlT_E_NS1_11comp_targetILNS1_3genE8ELNS1_11target_archE1030ELNS1_3gpuE2ELNS1_3repE0EEENS1_30default_config_static_selectorELNS0_4arch9wavefront6targetE1EEEvSS_.has_recursion, 0
	.set _ZN7rocprim17ROCPRIM_400000_NS6detail17trampoline_kernelINS0_14default_configENS1_27lower_bound_config_selectorIylEEZNS1_14transform_implILb0ES3_S5_N6thrust23THRUST_200600_302600_NS6detail15normal_iteratorINS8_7pointerIyNS8_11hip_rocprim5par_tENS8_11use_defaultESE_EEEENSA_INSB_IlSD_SE_SE_EEEEZNS1_13binary_searchIS3_S5_PySG_SI_NS1_21lower_bound_search_opENS9_16wrapped_functionI11custom_lessbEEEE10hipError_tPvRmT1_T2_T3_mmT4_T5_P12ihipStream_tbEUlRKyE_EESP_ST_SU_mSV_SY_bEUlT_E_NS1_11comp_targetILNS1_3genE8ELNS1_11target_archE1030ELNS1_3gpuE2ELNS1_3repE0EEENS1_30default_config_static_selectorELNS0_4arch9wavefront6targetE1EEEvSS_.has_indirect_call, 0
	.section	.AMDGPU.csdata,"",@progbits
; Kernel info:
; codeLenInByte = 0
; TotalNumSgprs: 4
; NumVgprs: 0
; ScratchSize: 0
; MemoryBound: 0
; FloatMode: 240
; IeeeMode: 1
; LDSByteSize: 0 bytes/workgroup (compile time only)
; SGPRBlocks: 0
; VGPRBlocks: 0
; NumSGPRsForWavesPerEU: 4
; NumVGPRsForWavesPerEU: 1
; Occupancy: 10
; WaveLimiterHint : 0
; COMPUTE_PGM_RSRC2:SCRATCH_EN: 0
; COMPUTE_PGM_RSRC2:USER_SGPR: 6
; COMPUTE_PGM_RSRC2:TRAP_HANDLER: 0
; COMPUTE_PGM_RSRC2:TGID_X_EN: 1
; COMPUTE_PGM_RSRC2:TGID_Y_EN: 0
; COMPUTE_PGM_RSRC2:TGID_Z_EN: 0
; COMPUTE_PGM_RSRC2:TIDIG_COMP_CNT: 0
	.section	.text._ZN7rocprim17ROCPRIM_400000_NS6detail17trampoline_kernelINS0_14default_configENS1_27lower_bound_config_selectorIylEEZNS1_14transform_implILb0ES3_S5_N6thrust23THRUST_200600_302600_NS6detail15normal_iteratorINS8_7pointerIyNS8_11hip_rocprim5par_tENS8_11use_defaultESE_EEEENSA_INSB_IlSD_SE_SE_EEEEZNS1_13binary_searchIS3_S5_PySG_SI_NS1_21lower_bound_search_opENS9_16wrapped_functionINS8_6system6detail7generic6detail18binary_search_lessEbEEEE10hipError_tPvRmT1_T2_T3_mmT4_T5_P12ihipStream_tbEUlRKyE_EEST_SX_SY_mSZ_S12_bEUlT_E_NS1_11comp_targetILNS1_3genE0ELNS1_11target_archE4294967295ELNS1_3gpuE0ELNS1_3repE0EEENS1_30default_config_static_selectorELNS0_4arch9wavefront6targetE1EEEvSW_,"axG",@progbits,_ZN7rocprim17ROCPRIM_400000_NS6detail17trampoline_kernelINS0_14default_configENS1_27lower_bound_config_selectorIylEEZNS1_14transform_implILb0ES3_S5_N6thrust23THRUST_200600_302600_NS6detail15normal_iteratorINS8_7pointerIyNS8_11hip_rocprim5par_tENS8_11use_defaultESE_EEEENSA_INSB_IlSD_SE_SE_EEEEZNS1_13binary_searchIS3_S5_PySG_SI_NS1_21lower_bound_search_opENS9_16wrapped_functionINS8_6system6detail7generic6detail18binary_search_lessEbEEEE10hipError_tPvRmT1_T2_T3_mmT4_T5_P12ihipStream_tbEUlRKyE_EEST_SX_SY_mSZ_S12_bEUlT_E_NS1_11comp_targetILNS1_3genE0ELNS1_11target_archE4294967295ELNS1_3gpuE0ELNS1_3repE0EEENS1_30default_config_static_selectorELNS0_4arch9wavefront6targetE1EEEvSW_,comdat
	.protected	_ZN7rocprim17ROCPRIM_400000_NS6detail17trampoline_kernelINS0_14default_configENS1_27lower_bound_config_selectorIylEEZNS1_14transform_implILb0ES3_S5_N6thrust23THRUST_200600_302600_NS6detail15normal_iteratorINS8_7pointerIyNS8_11hip_rocprim5par_tENS8_11use_defaultESE_EEEENSA_INSB_IlSD_SE_SE_EEEEZNS1_13binary_searchIS3_S5_PySG_SI_NS1_21lower_bound_search_opENS9_16wrapped_functionINS8_6system6detail7generic6detail18binary_search_lessEbEEEE10hipError_tPvRmT1_T2_T3_mmT4_T5_P12ihipStream_tbEUlRKyE_EEST_SX_SY_mSZ_S12_bEUlT_E_NS1_11comp_targetILNS1_3genE0ELNS1_11target_archE4294967295ELNS1_3gpuE0ELNS1_3repE0EEENS1_30default_config_static_selectorELNS0_4arch9wavefront6targetE1EEEvSW_ ; -- Begin function _ZN7rocprim17ROCPRIM_400000_NS6detail17trampoline_kernelINS0_14default_configENS1_27lower_bound_config_selectorIylEEZNS1_14transform_implILb0ES3_S5_N6thrust23THRUST_200600_302600_NS6detail15normal_iteratorINS8_7pointerIyNS8_11hip_rocprim5par_tENS8_11use_defaultESE_EEEENSA_INSB_IlSD_SE_SE_EEEEZNS1_13binary_searchIS3_S5_PySG_SI_NS1_21lower_bound_search_opENS9_16wrapped_functionINS8_6system6detail7generic6detail18binary_search_lessEbEEEE10hipError_tPvRmT1_T2_T3_mmT4_T5_P12ihipStream_tbEUlRKyE_EEST_SX_SY_mSZ_S12_bEUlT_E_NS1_11comp_targetILNS1_3genE0ELNS1_11target_archE4294967295ELNS1_3gpuE0ELNS1_3repE0EEENS1_30default_config_static_selectorELNS0_4arch9wavefront6targetE1EEEvSW_
	.globl	_ZN7rocprim17ROCPRIM_400000_NS6detail17trampoline_kernelINS0_14default_configENS1_27lower_bound_config_selectorIylEEZNS1_14transform_implILb0ES3_S5_N6thrust23THRUST_200600_302600_NS6detail15normal_iteratorINS8_7pointerIyNS8_11hip_rocprim5par_tENS8_11use_defaultESE_EEEENSA_INSB_IlSD_SE_SE_EEEEZNS1_13binary_searchIS3_S5_PySG_SI_NS1_21lower_bound_search_opENS9_16wrapped_functionINS8_6system6detail7generic6detail18binary_search_lessEbEEEE10hipError_tPvRmT1_T2_T3_mmT4_T5_P12ihipStream_tbEUlRKyE_EEST_SX_SY_mSZ_S12_bEUlT_E_NS1_11comp_targetILNS1_3genE0ELNS1_11target_archE4294967295ELNS1_3gpuE0ELNS1_3repE0EEENS1_30default_config_static_selectorELNS0_4arch9wavefront6targetE1EEEvSW_
	.p2align	8
	.type	_ZN7rocprim17ROCPRIM_400000_NS6detail17trampoline_kernelINS0_14default_configENS1_27lower_bound_config_selectorIylEEZNS1_14transform_implILb0ES3_S5_N6thrust23THRUST_200600_302600_NS6detail15normal_iteratorINS8_7pointerIyNS8_11hip_rocprim5par_tENS8_11use_defaultESE_EEEENSA_INSB_IlSD_SE_SE_EEEEZNS1_13binary_searchIS3_S5_PySG_SI_NS1_21lower_bound_search_opENS9_16wrapped_functionINS8_6system6detail7generic6detail18binary_search_lessEbEEEE10hipError_tPvRmT1_T2_T3_mmT4_T5_P12ihipStream_tbEUlRKyE_EEST_SX_SY_mSZ_S12_bEUlT_E_NS1_11comp_targetILNS1_3genE0ELNS1_11target_archE4294967295ELNS1_3gpuE0ELNS1_3repE0EEENS1_30default_config_static_selectorELNS0_4arch9wavefront6targetE1EEEvSW_,@function
_ZN7rocprim17ROCPRIM_400000_NS6detail17trampoline_kernelINS0_14default_configENS1_27lower_bound_config_selectorIylEEZNS1_14transform_implILb0ES3_S5_N6thrust23THRUST_200600_302600_NS6detail15normal_iteratorINS8_7pointerIyNS8_11hip_rocprim5par_tENS8_11use_defaultESE_EEEENSA_INSB_IlSD_SE_SE_EEEEZNS1_13binary_searchIS3_S5_PySG_SI_NS1_21lower_bound_search_opENS9_16wrapped_functionINS8_6system6detail7generic6detail18binary_search_lessEbEEEE10hipError_tPvRmT1_T2_T3_mmT4_T5_P12ihipStream_tbEUlRKyE_EEST_SX_SY_mSZ_S12_bEUlT_E_NS1_11comp_targetILNS1_3genE0ELNS1_11target_archE4294967295ELNS1_3gpuE0ELNS1_3repE0EEENS1_30default_config_static_selectorELNS0_4arch9wavefront6targetE1EEEvSW_: ; @_ZN7rocprim17ROCPRIM_400000_NS6detail17trampoline_kernelINS0_14default_configENS1_27lower_bound_config_selectorIylEEZNS1_14transform_implILb0ES3_S5_N6thrust23THRUST_200600_302600_NS6detail15normal_iteratorINS8_7pointerIyNS8_11hip_rocprim5par_tENS8_11use_defaultESE_EEEENSA_INSB_IlSD_SE_SE_EEEEZNS1_13binary_searchIS3_S5_PySG_SI_NS1_21lower_bound_search_opENS9_16wrapped_functionINS8_6system6detail7generic6detail18binary_search_lessEbEEEE10hipError_tPvRmT1_T2_T3_mmT4_T5_P12ihipStream_tbEUlRKyE_EEST_SX_SY_mSZ_S12_bEUlT_E_NS1_11comp_targetILNS1_3genE0ELNS1_11target_archE4294967295ELNS1_3gpuE0ELNS1_3repE0EEENS1_30default_config_static_selectorELNS0_4arch9wavefront6targetE1EEEvSW_
; %bb.0:
	.section	.rodata,"a",@progbits
	.p2align	6, 0x0
	.amdhsa_kernel _ZN7rocprim17ROCPRIM_400000_NS6detail17trampoline_kernelINS0_14default_configENS1_27lower_bound_config_selectorIylEEZNS1_14transform_implILb0ES3_S5_N6thrust23THRUST_200600_302600_NS6detail15normal_iteratorINS8_7pointerIyNS8_11hip_rocprim5par_tENS8_11use_defaultESE_EEEENSA_INSB_IlSD_SE_SE_EEEEZNS1_13binary_searchIS3_S5_PySG_SI_NS1_21lower_bound_search_opENS9_16wrapped_functionINS8_6system6detail7generic6detail18binary_search_lessEbEEEE10hipError_tPvRmT1_T2_T3_mmT4_T5_P12ihipStream_tbEUlRKyE_EEST_SX_SY_mSZ_S12_bEUlT_E_NS1_11comp_targetILNS1_3genE0ELNS1_11target_archE4294967295ELNS1_3gpuE0ELNS1_3repE0EEENS1_30default_config_static_selectorELNS0_4arch9wavefront6targetE1EEEvSW_
		.amdhsa_group_segment_fixed_size 0
		.amdhsa_private_segment_fixed_size 0
		.amdhsa_kernarg_size 56
		.amdhsa_user_sgpr_count 6
		.amdhsa_user_sgpr_private_segment_buffer 1
		.amdhsa_user_sgpr_dispatch_ptr 0
		.amdhsa_user_sgpr_queue_ptr 0
		.amdhsa_user_sgpr_kernarg_segment_ptr 1
		.amdhsa_user_sgpr_dispatch_id 0
		.amdhsa_user_sgpr_flat_scratch_init 0
		.amdhsa_user_sgpr_private_segment_size 0
		.amdhsa_uses_dynamic_stack 0
		.amdhsa_system_sgpr_private_segment_wavefront_offset 0
		.amdhsa_system_sgpr_workgroup_id_x 1
		.amdhsa_system_sgpr_workgroup_id_y 0
		.amdhsa_system_sgpr_workgroup_id_z 0
		.amdhsa_system_sgpr_workgroup_info 0
		.amdhsa_system_vgpr_workitem_id 0
		.amdhsa_next_free_vgpr 1
		.amdhsa_next_free_sgpr 0
		.amdhsa_reserve_vcc 0
		.amdhsa_reserve_flat_scratch 0
		.amdhsa_float_round_mode_32 0
		.amdhsa_float_round_mode_16_64 0
		.amdhsa_float_denorm_mode_32 3
		.amdhsa_float_denorm_mode_16_64 3
		.amdhsa_dx10_clamp 1
		.amdhsa_ieee_mode 1
		.amdhsa_fp16_overflow 0
		.amdhsa_exception_fp_ieee_invalid_op 0
		.amdhsa_exception_fp_denorm_src 0
		.amdhsa_exception_fp_ieee_div_zero 0
		.amdhsa_exception_fp_ieee_overflow 0
		.amdhsa_exception_fp_ieee_underflow 0
		.amdhsa_exception_fp_ieee_inexact 0
		.amdhsa_exception_int_div_zero 0
	.end_amdhsa_kernel
	.section	.text._ZN7rocprim17ROCPRIM_400000_NS6detail17trampoline_kernelINS0_14default_configENS1_27lower_bound_config_selectorIylEEZNS1_14transform_implILb0ES3_S5_N6thrust23THRUST_200600_302600_NS6detail15normal_iteratorINS8_7pointerIyNS8_11hip_rocprim5par_tENS8_11use_defaultESE_EEEENSA_INSB_IlSD_SE_SE_EEEEZNS1_13binary_searchIS3_S5_PySG_SI_NS1_21lower_bound_search_opENS9_16wrapped_functionINS8_6system6detail7generic6detail18binary_search_lessEbEEEE10hipError_tPvRmT1_T2_T3_mmT4_T5_P12ihipStream_tbEUlRKyE_EEST_SX_SY_mSZ_S12_bEUlT_E_NS1_11comp_targetILNS1_3genE0ELNS1_11target_archE4294967295ELNS1_3gpuE0ELNS1_3repE0EEENS1_30default_config_static_selectorELNS0_4arch9wavefront6targetE1EEEvSW_,"axG",@progbits,_ZN7rocprim17ROCPRIM_400000_NS6detail17trampoline_kernelINS0_14default_configENS1_27lower_bound_config_selectorIylEEZNS1_14transform_implILb0ES3_S5_N6thrust23THRUST_200600_302600_NS6detail15normal_iteratorINS8_7pointerIyNS8_11hip_rocprim5par_tENS8_11use_defaultESE_EEEENSA_INSB_IlSD_SE_SE_EEEEZNS1_13binary_searchIS3_S5_PySG_SI_NS1_21lower_bound_search_opENS9_16wrapped_functionINS8_6system6detail7generic6detail18binary_search_lessEbEEEE10hipError_tPvRmT1_T2_T3_mmT4_T5_P12ihipStream_tbEUlRKyE_EEST_SX_SY_mSZ_S12_bEUlT_E_NS1_11comp_targetILNS1_3genE0ELNS1_11target_archE4294967295ELNS1_3gpuE0ELNS1_3repE0EEENS1_30default_config_static_selectorELNS0_4arch9wavefront6targetE1EEEvSW_,comdat
.Lfunc_end53:
	.size	_ZN7rocprim17ROCPRIM_400000_NS6detail17trampoline_kernelINS0_14default_configENS1_27lower_bound_config_selectorIylEEZNS1_14transform_implILb0ES3_S5_N6thrust23THRUST_200600_302600_NS6detail15normal_iteratorINS8_7pointerIyNS8_11hip_rocprim5par_tENS8_11use_defaultESE_EEEENSA_INSB_IlSD_SE_SE_EEEEZNS1_13binary_searchIS3_S5_PySG_SI_NS1_21lower_bound_search_opENS9_16wrapped_functionINS8_6system6detail7generic6detail18binary_search_lessEbEEEE10hipError_tPvRmT1_T2_T3_mmT4_T5_P12ihipStream_tbEUlRKyE_EEST_SX_SY_mSZ_S12_bEUlT_E_NS1_11comp_targetILNS1_3genE0ELNS1_11target_archE4294967295ELNS1_3gpuE0ELNS1_3repE0EEENS1_30default_config_static_selectorELNS0_4arch9wavefront6targetE1EEEvSW_, .Lfunc_end53-_ZN7rocprim17ROCPRIM_400000_NS6detail17trampoline_kernelINS0_14default_configENS1_27lower_bound_config_selectorIylEEZNS1_14transform_implILb0ES3_S5_N6thrust23THRUST_200600_302600_NS6detail15normal_iteratorINS8_7pointerIyNS8_11hip_rocprim5par_tENS8_11use_defaultESE_EEEENSA_INSB_IlSD_SE_SE_EEEEZNS1_13binary_searchIS3_S5_PySG_SI_NS1_21lower_bound_search_opENS9_16wrapped_functionINS8_6system6detail7generic6detail18binary_search_lessEbEEEE10hipError_tPvRmT1_T2_T3_mmT4_T5_P12ihipStream_tbEUlRKyE_EEST_SX_SY_mSZ_S12_bEUlT_E_NS1_11comp_targetILNS1_3genE0ELNS1_11target_archE4294967295ELNS1_3gpuE0ELNS1_3repE0EEENS1_30default_config_static_selectorELNS0_4arch9wavefront6targetE1EEEvSW_
                                        ; -- End function
	.set _ZN7rocprim17ROCPRIM_400000_NS6detail17trampoline_kernelINS0_14default_configENS1_27lower_bound_config_selectorIylEEZNS1_14transform_implILb0ES3_S5_N6thrust23THRUST_200600_302600_NS6detail15normal_iteratorINS8_7pointerIyNS8_11hip_rocprim5par_tENS8_11use_defaultESE_EEEENSA_INSB_IlSD_SE_SE_EEEEZNS1_13binary_searchIS3_S5_PySG_SI_NS1_21lower_bound_search_opENS9_16wrapped_functionINS8_6system6detail7generic6detail18binary_search_lessEbEEEE10hipError_tPvRmT1_T2_T3_mmT4_T5_P12ihipStream_tbEUlRKyE_EEST_SX_SY_mSZ_S12_bEUlT_E_NS1_11comp_targetILNS1_3genE0ELNS1_11target_archE4294967295ELNS1_3gpuE0ELNS1_3repE0EEENS1_30default_config_static_selectorELNS0_4arch9wavefront6targetE1EEEvSW_.num_vgpr, 0
	.set _ZN7rocprim17ROCPRIM_400000_NS6detail17trampoline_kernelINS0_14default_configENS1_27lower_bound_config_selectorIylEEZNS1_14transform_implILb0ES3_S5_N6thrust23THRUST_200600_302600_NS6detail15normal_iteratorINS8_7pointerIyNS8_11hip_rocprim5par_tENS8_11use_defaultESE_EEEENSA_INSB_IlSD_SE_SE_EEEEZNS1_13binary_searchIS3_S5_PySG_SI_NS1_21lower_bound_search_opENS9_16wrapped_functionINS8_6system6detail7generic6detail18binary_search_lessEbEEEE10hipError_tPvRmT1_T2_T3_mmT4_T5_P12ihipStream_tbEUlRKyE_EEST_SX_SY_mSZ_S12_bEUlT_E_NS1_11comp_targetILNS1_3genE0ELNS1_11target_archE4294967295ELNS1_3gpuE0ELNS1_3repE0EEENS1_30default_config_static_selectorELNS0_4arch9wavefront6targetE1EEEvSW_.num_agpr, 0
	.set _ZN7rocprim17ROCPRIM_400000_NS6detail17trampoline_kernelINS0_14default_configENS1_27lower_bound_config_selectorIylEEZNS1_14transform_implILb0ES3_S5_N6thrust23THRUST_200600_302600_NS6detail15normal_iteratorINS8_7pointerIyNS8_11hip_rocprim5par_tENS8_11use_defaultESE_EEEENSA_INSB_IlSD_SE_SE_EEEEZNS1_13binary_searchIS3_S5_PySG_SI_NS1_21lower_bound_search_opENS9_16wrapped_functionINS8_6system6detail7generic6detail18binary_search_lessEbEEEE10hipError_tPvRmT1_T2_T3_mmT4_T5_P12ihipStream_tbEUlRKyE_EEST_SX_SY_mSZ_S12_bEUlT_E_NS1_11comp_targetILNS1_3genE0ELNS1_11target_archE4294967295ELNS1_3gpuE0ELNS1_3repE0EEENS1_30default_config_static_selectorELNS0_4arch9wavefront6targetE1EEEvSW_.numbered_sgpr, 0
	.set _ZN7rocprim17ROCPRIM_400000_NS6detail17trampoline_kernelINS0_14default_configENS1_27lower_bound_config_selectorIylEEZNS1_14transform_implILb0ES3_S5_N6thrust23THRUST_200600_302600_NS6detail15normal_iteratorINS8_7pointerIyNS8_11hip_rocprim5par_tENS8_11use_defaultESE_EEEENSA_INSB_IlSD_SE_SE_EEEEZNS1_13binary_searchIS3_S5_PySG_SI_NS1_21lower_bound_search_opENS9_16wrapped_functionINS8_6system6detail7generic6detail18binary_search_lessEbEEEE10hipError_tPvRmT1_T2_T3_mmT4_T5_P12ihipStream_tbEUlRKyE_EEST_SX_SY_mSZ_S12_bEUlT_E_NS1_11comp_targetILNS1_3genE0ELNS1_11target_archE4294967295ELNS1_3gpuE0ELNS1_3repE0EEENS1_30default_config_static_selectorELNS0_4arch9wavefront6targetE1EEEvSW_.num_named_barrier, 0
	.set _ZN7rocprim17ROCPRIM_400000_NS6detail17trampoline_kernelINS0_14default_configENS1_27lower_bound_config_selectorIylEEZNS1_14transform_implILb0ES3_S5_N6thrust23THRUST_200600_302600_NS6detail15normal_iteratorINS8_7pointerIyNS8_11hip_rocprim5par_tENS8_11use_defaultESE_EEEENSA_INSB_IlSD_SE_SE_EEEEZNS1_13binary_searchIS3_S5_PySG_SI_NS1_21lower_bound_search_opENS9_16wrapped_functionINS8_6system6detail7generic6detail18binary_search_lessEbEEEE10hipError_tPvRmT1_T2_T3_mmT4_T5_P12ihipStream_tbEUlRKyE_EEST_SX_SY_mSZ_S12_bEUlT_E_NS1_11comp_targetILNS1_3genE0ELNS1_11target_archE4294967295ELNS1_3gpuE0ELNS1_3repE0EEENS1_30default_config_static_selectorELNS0_4arch9wavefront6targetE1EEEvSW_.private_seg_size, 0
	.set _ZN7rocprim17ROCPRIM_400000_NS6detail17trampoline_kernelINS0_14default_configENS1_27lower_bound_config_selectorIylEEZNS1_14transform_implILb0ES3_S5_N6thrust23THRUST_200600_302600_NS6detail15normal_iteratorINS8_7pointerIyNS8_11hip_rocprim5par_tENS8_11use_defaultESE_EEEENSA_INSB_IlSD_SE_SE_EEEEZNS1_13binary_searchIS3_S5_PySG_SI_NS1_21lower_bound_search_opENS9_16wrapped_functionINS8_6system6detail7generic6detail18binary_search_lessEbEEEE10hipError_tPvRmT1_T2_T3_mmT4_T5_P12ihipStream_tbEUlRKyE_EEST_SX_SY_mSZ_S12_bEUlT_E_NS1_11comp_targetILNS1_3genE0ELNS1_11target_archE4294967295ELNS1_3gpuE0ELNS1_3repE0EEENS1_30default_config_static_selectorELNS0_4arch9wavefront6targetE1EEEvSW_.uses_vcc, 0
	.set _ZN7rocprim17ROCPRIM_400000_NS6detail17trampoline_kernelINS0_14default_configENS1_27lower_bound_config_selectorIylEEZNS1_14transform_implILb0ES3_S5_N6thrust23THRUST_200600_302600_NS6detail15normal_iteratorINS8_7pointerIyNS8_11hip_rocprim5par_tENS8_11use_defaultESE_EEEENSA_INSB_IlSD_SE_SE_EEEEZNS1_13binary_searchIS3_S5_PySG_SI_NS1_21lower_bound_search_opENS9_16wrapped_functionINS8_6system6detail7generic6detail18binary_search_lessEbEEEE10hipError_tPvRmT1_T2_T3_mmT4_T5_P12ihipStream_tbEUlRKyE_EEST_SX_SY_mSZ_S12_bEUlT_E_NS1_11comp_targetILNS1_3genE0ELNS1_11target_archE4294967295ELNS1_3gpuE0ELNS1_3repE0EEENS1_30default_config_static_selectorELNS0_4arch9wavefront6targetE1EEEvSW_.uses_flat_scratch, 0
	.set _ZN7rocprim17ROCPRIM_400000_NS6detail17trampoline_kernelINS0_14default_configENS1_27lower_bound_config_selectorIylEEZNS1_14transform_implILb0ES3_S5_N6thrust23THRUST_200600_302600_NS6detail15normal_iteratorINS8_7pointerIyNS8_11hip_rocprim5par_tENS8_11use_defaultESE_EEEENSA_INSB_IlSD_SE_SE_EEEEZNS1_13binary_searchIS3_S5_PySG_SI_NS1_21lower_bound_search_opENS9_16wrapped_functionINS8_6system6detail7generic6detail18binary_search_lessEbEEEE10hipError_tPvRmT1_T2_T3_mmT4_T5_P12ihipStream_tbEUlRKyE_EEST_SX_SY_mSZ_S12_bEUlT_E_NS1_11comp_targetILNS1_3genE0ELNS1_11target_archE4294967295ELNS1_3gpuE0ELNS1_3repE0EEENS1_30default_config_static_selectorELNS0_4arch9wavefront6targetE1EEEvSW_.has_dyn_sized_stack, 0
	.set _ZN7rocprim17ROCPRIM_400000_NS6detail17trampoline_kernelINS0_14default_configENS1_27lower_bound_config_selectorIylEEZNS1_14transform_implILb0ES3_S5_N6thrust23THRUST_200600_302600_NS6detail15normal_iteratorINS8_7pointerIyNS8_11hip_rocprim5par_tENS8_11use_defaultESE_EEEENSA_INSB_IlSD_SE_SE_EEEEZNS1_13binary_searchIS3_S5_PySG_SI_NS1_21lower_bound_search_opENS9_16wrapped_functionINS8_6system6detail7generic6detail18binary_search_lessEbEEEE10hipError_tPvRmT1_T2_T3_mmT4_T5_P12ihipStream_tbEUlRKyE_EEST_SX_SY_mSZ_S12_bEUlT_E_NS1_11comp_targetILNS1_3genE0ELNS1_11target_archE4294967295ELNS1_3gpuE0ELNS1_3repE0EEENS1_30default_config_static_selectorELNS0_4arch9wavefront6targetE1EEEvSW_.has_recursion, 0
	.set _ZN7rocprim17ROCPRIM_400000_NS6detail17trampoline_kernelINS0_14default_configENS1_27lower_bound_config_selectorIylEEZNS1_14transform_implILb0ES3_S5_N6thrust23THRUST_200600_302600_NS6detail15normal_iteratorINS8_7pointerIyNS8_11hip_rocprim5par_tENS8_11use_defaultESE_EEEENSA_INSB_IlSD_SE_SE_EEEEZNS1_13binary_searchIS3_S5_PySG_SI_NS1_21lower_bound_search_opENS9_16wrapped_functionINS8_6system6detail7generic6detail18binary_search_lessEbEEEE10hipError_tPvRmT1_T2_T3_mmT4_T5_P12ihipStream_tbEUlRKyE_EEST_SX_SY_mSZ_S12_bEUlT_E_NS1_11comp_targetILNS1_3genE0ELNS1_11target_archE4294967295ELNS1_3gpuE0ELNS1_3repE0EEENS1_30default_config_static_selectorELNS0_4arch9wavefront6targetE1EEEvSW_.has_indirect_call, 0
	.section	.AMDGPU.csdata,"",@progbits
; Kernel info:
; codeLenInByte = 0
; TotalNumSgprs: 4
; NumVgprs: 0
; ScratchSize: 0
; MemoryBound: 0
; FloatMode: 240
; IeeeMode: 1
; LDSByteSize: 0 bytes/workgroup (compile time only)
; SGPRBlocks: 0
; VGPRBlocks: 0
; NumSGPRsForWavesPerEU: 4
; NumVGPRsForWavesPerEU: 1
; Occupancy: 10
; WaveLimiterHint : 0
; COMPUTE_PGM_RSRC2:SCRATCH_EN: 0
; COMPUTE_PGM_RSRC2:USER_SGPR: 6
; COMPUTE_PGM_RSRC2:TRAP_HANDLER: 0
; COMPUTE_PGM_RSRC2:TGID_X_EN: 1
; COMPUTE_PGM_RSRC2:TGID_Y_EN: 0
; COMPUTE_PGM_RSRC2:TGID_Z_EN: 0
; COMPUTE_PGM_RSRC2:TIDIG_COMP_CNT: 0
	.section	.text._ZN7rocprim17ROCPRIM_400000_NS6detail17trampoline_kernelINS0_14default_configENS1_27lower_bound_config_selectorIylEEZNS1_14transform_implILb0ES3_S5_N6thrust23THRUST_200600_302600_NS6detail15normal_iteratorINS8_7pointerIyNS8_11hip_rocprim5par_tENS8_11use_defaultESE_EEEENSA_INSB_IlSD_SE_SE_EEEEZNS1_13binary_searchIS3_S5_PySG_SI_NS1_21lower_bound_search_opENS9_16wrapped_functionINS8_6system6detail7generic6detail18binary_search_lessEbEEEE10hipError_tPvRmT1_T2_T3_mmT4_T5_P12ihipStream_tbEUlRKyE_EEST_SX_SY_mSZ_S12_bEUlT_E_NS1_11comp_targetILNS1_3genE5ELNS1_11target_archE942ELNS1_3gpuE9ELNS1_3repE0EEENS1_30default_config_static_selectorELNS0_4arch9wavefront6targetE1EEEvSW_,"axG",@progbits,_ZN7rocprim17ROCPRIM_400000_NS6detail17trampoline_kernelINS0_14default_configENS1_27lower_bound_config_selectorIylEEZNS1_14transform_implILb0ES3_S5_N6thrust23THRUST_200600_302600_NS6detail15normal_iteratorINS8_7pointerIyNS8_11hip_rocprim5par_tENS8_11use_defaultESE_EEEENSA_INSB_IlSD_SE_SE_EEEEZNS1_13binary_searchIS3_S5_PySG_SI_NS1_21lower_bound_search_opENS9_16wrapped_functionINS8_6system6detail7generic6detail18binary_search_lessEbEEEE10hipError_tPvRmT1_T2_T3_mmT4_T5_P12ihipStream_tbEUlRKyE_EEST_SX_SY_mSZ_S12_bEUlT_E_NS1_11comp_targetILNS1_3genE5ELNS1_11target_archE942ELNS1_3gpuE9ELNS1_3repE0EEENS1_30default_config_static_selectorELNS0_4arch9wavefront6targetE1EEEvSW_,comdat
	.protected	_ZN7rocprim17ROCPRIM_400000_NS6detail17trampoline_kernelINS0_14default_configENS1_27lower_bound_config_selectorIylEEZNS1_14transform_implILb0ES3_S5_N6thrust23THRUST_200600_302600_NS6detail15normal_iteratorINS8_7pointerIyNS8_11hip_rocprim5par_tENS8_11use_defaultESE_EEEENSA_INSB_IlSD_SE_SE_EEEEZNS1_13binary_searchIS3_S5_PySG_SI_NS1_21lower_bound_search_opENS9_16wrapped_functionINS8_6system6detail7generic6detail18binary_search_lessEbEEEE10hipError_tPvRmT1_T2_T3_mmT4_T5_P12ihipStream_tbEUlRKyE_EEST_SX_SY_mSZ_S12_bEUlT_E_NS1_11comp_targetILNS1_3genE5ELNS1_11target_archE942ELNS1_3gpuE9ELNS1_3repE0EEENS1_30default_config_static_selectorELNS0_4arch9wavefront6targetE1EEEvSW_ ; -- Begin function _ZN7rocprim17ROCPRIM_400000_NS6detail17trampoline_kernelINS0_14default_configENS1_27lower_bound_config_selectorIylEEZNS1_14transform_implILb0ES3_S5_N6thrust23THRUST_200600_302600_NS6detail15normal_iteratorINS8_7pointerIyNS8_11hip_rocprim5par_tENS8_11use_defaultESE_EEEENSA_INSB_IlSD_SE_SE_EEEEZNS1_13binary_searchIS3_S5_PySG_SI_NS1_21lower_bound_search_opENS9_16wrapped_functionINS8_6system6detail7generic6detail18binary_search_lessEbEEEE10hipError_tPvRmT1_T2_T3_mmT4_T5_P12ihipStream_tbEUlRKyE_EEST_SX_SY_mSZ_S12_bEUlT_E_NS1_11comp_targetILNS1_3genE5ELNS1_11target_archE942ELNS1_3gpuE9ELNS1_3repE0EEENS1_30default_config_static_selectorELNS0_4arch9wavefront6targetE1EEEvSW_
	.globl	_ZN7rocprim17ROCPRIM_400000_NS6detail17trampoline_kernelINS0_14default_configENS1_27lower_bound_config_selectorIylEEZNS1_14transform_implILb0ES3_S5_N6thrust23THRUST_200600_302600_NS6detail15normal_iteratorINS8_7pointerIyNS8_11hip_rocprim5par_tENS8_11use_defaultESE_EEEENSA_INSB_IlSD_SE_SE_EEEEZNS1_13binary_searchIS3_S5_PySG_SI_NS1_21lower_bound_search_opENS9_16wrapped_functionINS8_6system6detail7generic6detail18binary_search_lessEbEEEE10hipError_tPvRmT1_T2_T3_mmT4_T5_P12ihipStream_tbEUlRKyE_EEST_SX_SY_mSZ_S12_bEUlT_E_NS1_11comp_targetILNS1_3genE5ELNS1_11target_archE942ELNS1_3gpuE9ELNS1_3repE0EEENS1_30default_config_static_selectorELNS0_4arch9wavefront6targetE1EEEvSW_
	.p2align	8
	.type	_ZN7rocprim17ROCPRIM_400000_NS6detail17trampoline_kernelINS0_14default_configENS1_27lower_bound_config_selectorIylEEZNS1_14transform_implILb0ES3_S5_N6thrust23THRUST_200600_302600_NS6detail15normal_iteratorINS8_7pointerIyNS8_11hip_rocprim5par_tENS8_11use_defaultESE_EEEENSA_INSB_IlSD_SE_SE_EEEEZNS1_13binary_searchIS3_S5_PySG_SI_NS1_21lower_bound_search_opENS9_16wrapped_functionINS8_6system6detail7generic6detail18binary_search_lessEbEEEE10hipError_tPvRmT1_T2_T3_mmT4_T5_P12ihipStream_tbEUlRKyE_EEST_SX_SY_mSZ_S12_bEUlT_E_NS1_11comp_targetILNS1_3genE5ELNS1_11target_archE942ELNS1_3gpuE9ELNS1_3repE0EEENS1_30default_config_static_selectorELNS0_4arch9wavefront6targetE1EEEvSW_,@function
_ZN7rocprim17ROCPRIM_400000_NS6detail17trampoline_kernelINS0_14default_configENS1_27lower_bound_config_selectorIylEEZNS1_14transform_implILb0ES3_S5_N6thrust23THRUST_200600_302600_NS6detail15normal_iteratorINS8_7pointerIyNS8_11hip_rocprim5par_tENS8_11use_defaultESE_EEEENSA_INSB_IlSD_SE_SE_EEEEZNS1_13binary_searchIS3_S5_PySG_SI_NS1_21lower_bound_search_opENS9_16wrapped_functionINS8_6system6detail7generic6detail18binary_search_lessEbEEEE10hipError_tPvRmT1_T2_T3_mmT4_T5_P12ihipStream_tbEUlRKyE_EEST_SX_SY_mSZ_S12_bEUlT_E_NS1_11comp_targetILNS1_3genE5ELNS1_11target_archE942ELNS1_3gpuE9ELNS1_3repE0EEENS1_30default_config_static_selectorELNS0_4arch9wavefront6targetE1EEEvSW_: ; @_ZN7rocprim17ROCPRIM_400000_NS6detail17trampoline_kernelINS0_14default_configENS1_27lower_bound_config_selectorIylEEZNS1_14transform_implILb0ES3_S5_N6thrust23THRUST_200600_302600_NS6detail15normal_iteratorINS8_7pointerIyNS8_11hip_rocprim5par_tENS8_11use_defaultESE_EEEENSA_INSB_IlSD_SE_SE_EEEEZNS1_13binary_searchIS3_S5_PySG_SI_NS1_21lower_bound_search_opENS9_16wrapped_functionINS8_6system6detail7generic6detail18binary_search_lessEbEEEE10hipError_tPvRmT1_T2_T3_mmT4_T5_P12ihipStream_tbEUlRKyE_EEST_SX_SY_mSZ_S12_bEUlT_E_NS1_11comp_targetILNS1_3genE5ELNS1_11target_archE942ELNS1_3gpuE9ELNS1_3repE0EEENS1_30default_config_static_selectorELNS0_4arch9wavefront6targetE1EEEvSW_
; %bb.0:
	.section	.rodata,"a",@progbits
	.p2align	6, 0x0
	.amdhsa_kernel _ZN7rocprim17ROCPRIM_400000_NS6detail17trampoline_kernelINS0_14default_configENS1_27lower_bound_config_selectorIylEEZNS1_14transform_implILb0ES3_S5_N6thrust23THRUST_200600_302600_NS6detail15normal_iteratorINS8_7pointerIyNS8_11hip_rocprim5par_tENS8_11use_defaultESE_EEEENSA_INSB_IlSD_SE_SE_EEEEZNS1_13binary_searchIS3_S5_PySG_SI_NS1_21lower_bound_search_opENS9_16wrapped_functionINS8_6system6detail7generic6detail18binary_search_lessEbEEEE10hipError_tPvRmT1_T2_T3_mmT4_T5_P12ihipStream_tbEUlRKyE_EEST_SX_SY_mSZ_S12_bEUlT_E_NS1_11comp_targetILNS1_3genE5ELNS1_11target_archE942ELNS1_3gpuE9ELNS1_3repE0EEENS1_30default_config_static_selectorELNS0_4arch9wavefront6targetE1EEEvSW_
		.amdhsa_group_segment_fixed_size 0
		.amdhsa_private_segment_fixed_size 0
		.amdhsa_kernarg_size 56
		.amdhsa_user_sgpr_count 6
		.amdhsa_user_sgpr_private_segment_buffer 1
		.amdhsa_user_sgpr_dispatch_ptr 0
		.amdhsa_user_sgpr_queue_ptr 0
		.amdhsa_user_sgpr_kernarg_segment_ptr 1
		.amdhsa_user_sgpr_dispatch_id 0
		.amdhsa_user_sgpr_flat_scratch_init 0
		.amdhsa_user_sgpr_private_segment_size 0
		.amdhsa_uses_dynamic_stack 0
		.amdhsa_system_sgpr_private_segment_wavefront_offset 0
		.amdhsa_system_sgpr_workgroup_id_x 1
		.amdhsa_system_sgpr_workgroup_id_y 0
		.amdhsa_system_sgpr_workgroup_id_z 0
		.amdhsa_system_sgpr_workgroup_info 0
		.amdhsa_system_vgpr_workitem_id 0
		.amdhsa_next_free_vgpr 1
		.amdhsa_next_free_sgpr 0
		.amdhsa_reserve_vcc 0
		.amdhsa_reserve_flat_scratch 0
		.amdhsa_float_round_mode_32 0
		.amdhsa_float_round_mode_16_64 0
		.amdhsa_float_denorm_mode_32 3
		.amdhsa_float_denorm_mode_16_64 3
		.amdhsa_dx10_clamp 1
		.amdhsa_ieee_mode 1
		.amdhsa_fp16_overflow 0
		.amdhsa_exception_fp_ieee_invalid_op 0
		.amdhsa_exception_fp_denorm_src 0
		.amdhsa_exception_fp_ieee_div_zero 0
		.amdhsa_exception_fp_ieee_overflow 0
		.amdhsa_exception_fp_ieee_underflow 0
		.amdhsa_exception_fp_ieee_inexact 0
		.amdhsa_exception_int_div_zero 0
	.end_amdhsa_kernel
	.section	.text._ZN7rocprim17ROCPRIM_400000_NS6detail17trampoline_kernelINS0_14default_configENS1_27lower_bound_config_selectorIylEEZNS1_14transform_implILb0ES3_S5_N6thrust23THRUST_200600_302600_NS6detail15normal_iteratorINS8_7pointerIyNS8_11hip_rocprim5par_tENS8_11use_defaultESE_EEEENSA_INSB_IlSD_SE_SE_EEEEZNS1_13binary_searchIS3_S5_PySG_SI_NS1_21lower_bound_search_opENS9_16wrapped_functionINS8_6system6detail7generic6detail18binary_search_lessEbEEEE10hipError_tPvRmT1_T2_T3_mmT4_T5_P12ihipStream_tbEUlRKyE_EEST_SX_SY_mSZ_S12_bEUlT_E_NS1_11comp_targetILNS1_3genE5ELNS1_11target_archE942ELNS1_3gpuE9ELNS1_3repE0EEENS1_30default_config_static_selectorELNS0_4arch9wavefront6targetE1EEEvSW_,"axG",@progbits,_ZN7rocprim17ROCPRIM_400000_NS6detail17trampoline_kernelINS0_14default_configENS1_27lower_bound_config_selectorIylEEZNS1_14transform_implILb0ES3_S5_N6thrust23THRUST_200600_302600_NS6detail15normal_iteratorINS8_7pointerIyNS8_11hip_rocprim5par_tENS8_11use_defaultESE_EEEENSA_INSB_IlSD_SE_SE_EEEEZNS1_13binary_searchIS3_S5_PySG_SI_NS1_21lower_bound_search_opENS9_16wrapped_functionINS8_6system6detail7generic6detail18binary_search_lessEbEEEE10hipError_tPvRmT1_T2_T3_mmT4_T5_P12ihipStream_tbEUlRKyE_EEST_SX_SY_mSZ_S12_bEUlT_E_NS1_11comp_targetILNS1_3genE5ELNS1_11target_archE942ELNS1_3gpuE9ELNS1_3repE0EEENS1_30default_config_static_selectorELNS0_4arch9wavefront6targetE1EEEvSW_,comdat
.Lfunc_end54:
	.size	_ZN7rocprim17ROCPRIM_400000_NS6detail17trampoline_kernelINS0_14default_configENS1_27lower_bound_config_selectorIylEEZNS1_14transform_implILb0ES3_S5_N6thrust23THRUST_200600_302600_NS6detail15normal_iteratorINS8_7pointerIyNS8_11hip_rocprim5par_tENS8_11use_defaultESE_EEEENSA_INSB_IlSD_SE_SE_EEEEZNS1_13binary_searchIS3_S5_PySG_SI_NS1_21lower_bound_search_opENS9_16wrapped_functionINS8_6system6detail7generic6detail18binary_search_lessEbEEEE10hipError_tPvRmT1_T2_T3_mmT4_T5_P12ihipStream_tbEUlRKyE_EEST_SX_SY_mSZ_S12_bEUlT_E_NS1_11comp_targetILNS1_3genE5ELNS1_11target_archE942ELNS1_3gpuE9ELNS1_3repE0EEENS1_30default_config_static_selectorELNS0_4arch9wavefront6targetE1EEEvSW_, .Lfunc_end54-_ZN7rocprim17ROCPRIM_400000_NS6detail17trampoline_kernelINS0_14default_configENS1_27lower_bound_config_selectorIylEEZNS1_14transform_implILb0ES3_S5_N6thrust23THRUST_200600_302600_NS6detail15normal_iteratorINS8_7pointerIyNS8_11hip_rocprim5par_tENS8_11use_defaultESE_EEEENSA_INSB_IlSD_SE_SE_EEEEZNS1_13binary_searchIS3_S5_PySG_SI_NS1_21lower_bound_search_opENS9_16wrapped_functionINS8_6system6detail7generic6detail18binary_search_lessEbEEEE10hipError_tPvRmT1_T2_T3_mmT4_T5_P12ihipStream_tbEUlRKyE_EEST_SX_SY_mSZ_S12_bEUlT_E_NS1_11comp_targetILNS1_3genE5ELNS1_11target_archE942ELNS1_3gpuE9ELNS1_3repE0EEENS1_30default_config_static_selectorELNS0_4arch9wavefront6targetE1EEEvSW_
                                        ; -- End function
	.set _ZN7rocprim17ROCPRIM_400000_NS6detail17trampoline_kernelINS0_14default_configENS1_27lower_bound_config_selectorIylEEZNS1_14transform_implILb0ES3_S5_N6thrust23THRUST_200600_302600_NS6detail15normal_iteratorINS8_7pointerIyNS8_11hip_rocprim5par_tENS8_11use_defaultESE_EEEENSA_INSB_IlSD_SE_SE_EEEEZNS1_13binary_searchIS3_S5_PySG_SI_NS1_21lower_bound_search_opENS9_16wrapped_functionINS8_6system6detail7generic6detail18binary_search_lessEbEEEE10hipError_tPvRmT1_T2_T3_mmT4_T5_P12ihipStream_tbEUlRKyE_EEST_SX_SY_mSZ_S12_bEUlT_E_NS1_11comp_targetILNS1_3genE5ELNS1_11target_archE942ELNS1_3gpuE9ELNS1_3repE0EEENS1_30default_config_static_selectorELNS0_4arch9wavefront6targetE1EEEvSW_.num_vgpr, 0
	.set _ZN7rocprim17ROCPRIM_400000_NS6detail17trampoline_kernelINS0_14default_configENS1_27lower_bound_config_selectorIylEEZNS1_14transform_implILb0ES3_S5_N6thrust23THRUST_200600_302600_NS6detail15normal_iteratorINS8_7pointerIyNS8_11hip_rocprim5par_tENS8_11use_defaultESE_EEEENSA_INSB_IlSD_SE_SE_EEEEZNS1_13binary_searchIS3_S5_PySG_SI_NS1_21lower_bound_search_opENS9_16wrapped_functionINS8_6system6detail7generic6detail18binary_search_lessEbEEEE10hipError_tPvRmT1_T2_T3_mmT4_T5_P12ihipStream_tbEUlRKyE_EEST_SX_SY_mSZ_S12_bEUlT_E_NS1_11comp_targetILNS1_3genE5ELNS1_11target_archE942ELNS1_3gpuE9ELNS1_3repE0EEENS1_30default_config_static_selectorELNS0_4arch9wavefront6targetE1EEEvSW_.num_agpr, 0
	.set _ZN7rocprim17ROCPRIM_400000_NS6detail17trampoline_kernelINS0_14default_configENS1_27lower_bound_config_selectorIylEEZNS1_14transform_implILb0ES3_S5_N6thrust23THRUST_200600_302600_NS6detail15normal_iteratorINS8_7pointerIyNS8_11hip_rocprim5par_tENS8_11use_defaultESE_EEEENSA_INSB_IlSD_SE_SE_EEEEZNS1_13binary_searchIS3_S5_PySG_SI_NS1_21lower_bound_search_opENS9_16wrapped_functionINS8_6system6detail7generic6detail18binary_search_lessEbEEEE10hipError_tPvRmT1_T2_T3_mmT4_T5_P12ihipStream_tbEUlRKyE_EEST_SX_SY_mSZ_S12_bEUlT_E_NS1_11comp_targetILNS1_3genE5ELNS1_11target_archE942ELNS1_3gpuE9ELNS1_3repE0EEENS1_30default_config_static_selectorELNS0_4arch9wavefront6targetE1EEEvSW_.numbered_sgpr, 0
	.set _ZN7rocprim17ROCPRIM_400000_NS6detail17trampoline_kernelINS0_14default_configENS1_27lower_bound_config_selectorIylEEZNS1_14transform_implILb0ES3_S5_N6thrust23THRUST_200600_302600_NS6detail15normal_iteratorINS8_7pointerIyNS8_11hip_rocprim5par_tENS8_11use_defaultESE_EEEENSA_INSB_IlSD_SE_SE_EEEEZNS1_13binary_searchIS3_S5_PySG_SI_NS1_21lower_bound_search_opENS9_16wrapped_functionINS8_6system6detail7generic6detail18binary_search_lessEbEEEE10hipError_tPvRmT1_T2_T3_mmT4_T5_P12ihipStream_tbEUlRKyE_EEST_SX_SY_mSZ_S12_bEUlT_E_NS1_11comp_targetILNS1_3genE5ELNS1_11target_archE942ELNS1_3gpuE9ELNS1_3repE0EEENS1_30default_config_static_selectorELNS0_4arch9wavefront6targetE1EEEvSW_.num_named_barrier, 0
	.set _ZN7rocprim17ROCPRIM_400000_NS6detail17trampoline_kernelINS0_14default_configENS1_27lower_bound_config_selectorIylEEZNS1_14transform_implILb0ES3_S5_N6thrust23THRUST_200600_302600_NS6detail15normal_iteratorINS8_7pointerIyNS8_11hip_rocprim5par_tENS8_11use_defaultESE_EEEENSA_INSB_IlSD_SE_SE_EEEEZNS1_13binary_searchIS3_S5_PySG_SI_NS1_21lower_bound_search_opENS9_16wrapped_functionINS8_6system6detail7generic6detail18binary_search_lessEbEEEE10hipError_tPvRmT1_T2_T3_mmT4_T5_P12ihipStream_tbEUlRKyE_EEST_SX_SY_mSZ_S12_bEUlT_E_NS1_11comp_targetILNS1_3genE5ELNS1_11target_archE942ELNS1_3gpuE9ELNS1_3repE0EEENS1_30default_config_static_selectorELNS0_4arch9wavefront6targetE1EEEvSW_.private_seg_size, 0
	.set _ZN7rocprim17ROCPRIM_400000_NS6detail17trampoline_kernelINS0_14default_configENS1_27lower_bound_config_selectorIylEEZNS1_14transform_implILb0ES3_S5_N6thrust23THRUST_200600_302600_NS6detail15normal_iteratorINS8_7pointerIyNS8_11hip_rocprim5par_tENS8_11use_defaultESE_EEEENSA_INSB_IlSD_SE_SE_EEEEZNS1_13binary_searchIS3_S5_PySG_SI_NS1_21lower_bound_search_opENS9_16wrapped_functionINS8_6system6detail7generic6detail18binary_search_lessEbEEEE10hipError_tPvRmT1_T2_T3_mmT4_T5_P12ihipStream_tbEUlRKyE_EEST_SX_SY_mSZ_S12_bEUlT_E_NS1_11comp_targetILNS1_3genE5ELNS1_11target_archE942ELNS1_3gpuE9ELNS1_3repE0EEENS1_30default_config_static_selectorELNS0_4arch9wavefront6targetE1EEEvSW_.uses_vcc, 0
	.set _ZN7rocprim17ROCPRIM_400000_NS6detail17trampoline_kernelINS0_14default_configENS1_27lower_bound_config_selectorIylEEZNS1_14transform_implILb0ES3_S5_N6thrust23THRUST_200600_302600_NS6detail15normal_iteratorINS8_7pointerIyNS8_11hip_rocprim5par_tENS8_11use_defaultESE_EEEENSA_INSB_IlSD_SE_SE_EEEEZNS1_13binary_searchIS3_S5_PySG_SI_NS1_21lower_bound_search_opENS9_16wrapped_functionINS8_6system6detail7generic6detail18binary_search_lessEbEEEE10hipError_tPvRmT1_T2_T3_mmT4_T5_P12ihipStream_tbEUlRKyE_EEST_SX_SY_mSZ_S12_bEUlT_E_NS1_11comp_targetILNS1_3genE5ELNS1_11target_archE942ELNS1_3gpuE9ELNS1_3repE0EEENS1_30default_config_static_selectorELNS0_4arch9wavefront6targetE1EEEvSW_.uses_flat_scratch, 0
	.set _ZN7rocprim17ROCPRIM_400000_NS6detail17trampoline_kernelINS0_14default_configENS1_27lower_bound_config_selectorIylEEZNS1_14transform_implILb0ES3_S5_N6thrust23THRUST_200600_302600_NS6detail15normal_iteratorINS8_7pointerIyNS8_11hip_rocprim5par_tENS8_11use_defaultESE_EEEENSA_INSB_IlSD_SE_SE_EEEEZNS1_13binary_searchIS3_S5_PySG_SI_NS1_21lower_bound_search_opENS9_16wrapped_functionINS8_6system6detail7generic6detail18binary_search_lessEbEEEE10hipError_tPvRmT1_T2_T3_mmT4_T5_P12ihipStream_tbEUlRKyE_EEST_SX_SY_mSZ_S12_bEUlT_E_NS1_11comp_targetILNS1_3genE5ELNS1_11target_archE942ELNS1_3gpuE9ELNS1_3repE0EEENS1_30default_config_static_selectorELNS0_4arch9wavefront6targetE1EEEvSW_.has_dyn_sized_stack, 0
	.set _ZN7rocprim17ROCPRIM_400000_NS6detail17trampoline_kernelINS0_14default_configENS1_27lower_bound_config_selectorIylEEZNS1_14transform_implILb0ES3_S5_N6thrust23THRUST_200600_302600_NS6detail15normal_iteratorINS8_7pointerIyNS8_11hip_rocprim5par_tENS8_11use_defaultESE_EEEENSA_INSB_IlSD_SE_SE_EEEEZNS1_13binary_searchIS3_S5_PySG_SI_NS1_21lower_bound_search_opENS9_16wrapped_functionINS8_6system6detail7generic6detail18binary_search_lessEbEEEE10hipError_tPvRmT1_T2_T3_mmT4_T5_P12ihipStream_tbEUlRKyE_EEST_SX_SY_mSZ_S12_bEUlT_E_NS1_11comp_targetILNS1_3genE5ELNS1_11target_archE942ELNS1_3gpuE9ELNS1_3repE0EEENS1_30default_config_static_selectorELNS0_4arch9wavefront6targetE1EEEvSW_.has_recursion, 0
	.set _ZN7rocprim17ROCPRIM_400000_NS6detail17trampoline_kernelINS0_14default_configENS1_27lower_bound_config_selectorIylEEZNS1_14transform_implILb0ES3_S5_N6thrust23THRUST_200600_302600_NS6detail15normal_iteratorINS8_7pointerIyNS8_11hip_rocprim5par_tENS8_11use_defaultESE_EEEENSA_INSB_IlSD_SE_SE_EEEEZNS1_13binary_searchIS3_S5_PySG_SI_NS1_21lower_bound_search_opENS9_16wrapped_functionINS8_6system6detail7generic6detail18binary_search_lessEbEEEE10hipError_tPvRmT1_T2_T3_mmT4_T5_P12ihipStream_tbEUlRKyE_EEST_SX_SY_mSZ_S12_bEUlT_E_NS1_11comp_targetILNS1_3genE5ELNS1_11target_archE942ELNS1_3gpuE9ELNS1_3repE0EEENS1_30default_config_static_selectorELNS0_4arch9wavefront6targetE1EEEvSW_.has_indirect_call, 0
	.section	.AMDGPU.csdata,"",@progbits
; Kernel info:
; codeLenInByte = 0
; TotalNumSgprs: 4
; NumVgprs: 0
; ScratchSize: 0
; MemoryBound: 0
; FloatMode: 240
; IeeeMode: 1
; LDSByteSize: 0 bytes/workgroup (compile time only)
; SGPRBlocks: 0
; VGPRBlocks: 0
; NumSGPRsForWavesPerEU: 4
; NumVGPRsForWavesPerEU: 1
; Occupancy: 10
; WaveLimiterHint : 0
; COMPUTE_PGM_RSRC2:SCRATCH_EN: 0
; COMPUTE_PGM_RSRC2:USER_SGPR: 6
; COMPUTE_PGM_RSRC2:TRAP_HANDLER: 0
; COMPUTE_PGM_RSRC2:TGID_X_EN: 1
; COMPUTE_PGM_RSRC2:TGID_Y_EN: 0
; COMPUTE_PGM_RSRC2:TGID_Z_EN: 0
; COMPUTE_PGM_RSRC2:TIDIG_COMP_CNT: 0
	.section	.text._ZN7rocprim17ROCPRIM_400000_NS6detail17trampoline_kernelINS0_14default_configENS1_27lower_bound_config_selectorIylEEZNS1_14transform_implILb0ES3_S5_N6thrust23THRUST_200600_302600_NS6detail15normal_iteratorINS8_7pointerIyNS8_11hip_rocprim5par_tENS8_11use_defaultESE_EEEENSA_INSB_IlSD_SE_SE_EEEEZNS1_13binary_searchIS3_S5_PySG_SI_NS1_21lower_bound_search_opENS9_16wrapped_functionINS8_6system6detail7generic6detail18binary_search_lessEbEEEE10hipError_tPvRmT1_T2_T3_mmT4_T5_P12ihipStream_tbEUlRKyE_EEST_SX_SY_mSZ_S12_bEUlT_E_NS1_11comp_targetILNS1_3genE4ELNS1_11target_archE910ELNS1_3gpuE8ELNS1_3repE0EEENS1_30default_config_static_selectorELNS0_4arch9wavefront6targetE1EEEvSW_,"axG",@progbits,_ZN7rocprim17ROCPRIM_400000_NS6detail17trampoline_kernelINS0_14default_configENS1_27lower_bound_config_selectorIylEEZNS1_14transform_implILb0ES3_S5_N6thrust23THRUST_200600_302600_NS6detail15normal_iteratorINS8_7pointerIyNS8_11hip_rocprim5par_tENS8_11use_defaultESE_EEEENSA_INSB_IlSD_SE_SE_EEEEZNS1_13binary_searchIS3_S5_PySG_SI_NS1_21lower_bound_search_opENS9_16wrapped_functionINS8_6system6detail7generic6detail18binary_search_lessEbEEEE10hipError_tPvRmT1_T2_T3_mmT4_T5_P12ihipStream_tbEUlRKyE_EEST_SX_SY_mSZ_S12_bEUlT_E_NS1_11comp_targetILNS1_3genE4ELNS1_11target_archE910ELNS1_3gpuE8ELNS1_3repE0EEENS1_30default_config_static_selectorELNS0_4arch9wavefront6targetE1EEEvSW_,comdat
	.protected	_ZN7rocprim17ROCPRIM_400000_NS6detail17trampoline_kernelINS0_14default_configENS1_27lower_bound_config_selectorIylEEZNS1_14transform_implILb0ES3_S5_N6thrust23THRUST_200600_302600_NS6detail15normal_iteratorINS8_7pointerIyNS8_11hip_rocprim5par_tENS8_11use_defaultESE_EEEENSA_INSB_IlSD_SE_SE_EEEEZNS1_13binary_searchIS3_S5_PySG_SI_NS1_21lower_bound_search_opENS9_16wrapped_functionINS8_6system6detail7generic6detail18binary_search_lessEbEEEE10hipError_tPvRmT1_T2_T3_mmT4_T5_P12ihipStream_tbEUlRKyE_EEST_SX_SY_mSZ_S12_bEUlT_E_NS1_11comp_targetILNS1_3genE4ELNS1_11target_archE910ELNS1_3gpuE8ELNS1_3repE0EEENS1_30default_config_static_selectorELNS0_4arch9wavefront6targetE1EEEvSW_ ; -- Begin function _ZN7rocprim17ROCPRIM_400000_NS6detail17trampoline_kernelINS0_14default_configENS1_27lower_bound_config_selectorIylEEZNS1_14transform_implILb0ES3_S5_N6thrust23THRUST_200600_302600_NS6detail15normal_iteratorINS8_7pointerIyNS8_11hip_rocprim5par_tENS8_11use_defaultESE_EEEENSA_INSB_IlSD_SE_SE_EEEEZNS1_13binary_searchIS3_S5_PySG_SI_NS1_21lower_bound_search_opENS9_16wrapped_functionINS8_6system6detail7generic6detail18binary_search_lessEbEEEE10hipError_tPvRmT1_T2_T3_mmT4_T5_P12ihipStream_tbEUlRKyE_EEST_SX_SY_mSZ_S12_bEUlT_E_NS1_11comp_targetILNS1_3genE4ELNS1_11target_archE910ELNS1_3gpuE8ELNS1_3repE0EEENS1_30default_config_static_selectorELNS0_4arch9wavefront6targetE1EEEvSW_
	.globl	_ZN7rocprim17ROCPRIM_400000_NS6detail17trampoline_kernelINS0_14default_configENS1_27lower_bound_config_selectorIylEEZNS1_14transform_implILb0ES3_S5_N6thrust23THRUST_200600_302600_NS6detail15normal_iteratorINS8_7pointerIyNS8_11hip_rocprim5par_tENS8_11use_defaultESE_EEEENSA_INSB_IlSD_SE_SE_EEEEZNS1_13binary_searchIS3_S5_PySG_SI_NS1_21lower_bound_search_opENS9_16wrapped_functionINS8_6system6detail7generic6detail18binary_search_lessEbEEEE10hipError_tPvRmT1_T2_T3_mmT4_T5_P12ihipStream_tbEUlRKyE_EEST_SX_SY_mSZ_S12_bEUlT_E_NS1_11comp_targetILNS1_3genE4ELNS1_11target_archE910ELNS1_3gpuE8ELNS1_3repE0EEENS1_30default_config_static_selectorELNS0_4arch9wavefront6targetE1EEEvSW_
	.p2align	8
	.type	_ZN7rocprim17ROCPRIM_400000_NS6detail17trampoline_kernelINS0_14default_configENS1_27lower_bound_config_selectorIylEEZNS1_14transform_implILb0ES3_S5_N6thrust23THRUST_200600_302600_NS6detail15normal_iteratorINS8_7pointerIyNS8_11hip_rocprim5par_tENS8_11use_defaultESE_EEEENSA_INSB_IlSD_SE_SE_EEEEZNS1_13binary_searchIS3_S5_PySG_SI_NS1_21lower_bound_search_opENS9_16wrapped_functionINS8_6system6detail7generic6detail18binary_search_lessEbEEEE10hipError_tPvRmT1_T2_T3_mmT4_T5_P12ihipStream_tbEUlRKyE_EEST_SX_SY_mSZ_S12_bEUlT_E_NS1_11comp_targetILNS1_3genE4ELNS1_11target_archE910ELNS1_3gpuE8ELNS1_3repE0EEENS1_30default_config_static_selectorELNS0_4arch9wavefront6targetE1EEEvSW_,@function
_ZN7rocprim17ROCPRIM_400000_NS6detail17trampoline_kernelINS0_14default_configENS1_27lower_bound_config_selectorIylEEZNS1_14transform_implILb0ES3_S5_N6thrust23THRUST_200600_302600_NS6detail15normal_iteratorINS8_7pointerIyNS8_11hip_rocprim5par_tENS8_11use_defaultESE_EEEENSA_INSB_IlSD_SE_SE_EEEEZNS1_13binary_searchIS3_S5_PySG_SI_NS1_21lower_bound_search_opENS9_16wrapped_functionINS8_6system6detail7generic6detail18binary_search_lessEbEEEE10hipError_tPvRmT1_T2_T3_mmT4_T5_P12ihipStream_tbEUlRKyE_EEST_SX_SY_mSZ_S12_bEUlT_E_NS1_11comp_targetILNS1_3genE4ELNS1_11target_archE910ELNS1_3gpuE8ELNS1_3repE0EEENS1_30default_config_static_selectorELNS0_4arch9wavefront6targetE1EEEvSW_: ; @_ZN7rocprim17ROCPRIM_400000_NS6detail17trampoline_kernelINS0_14default_configENS1_27lower_bound_config_selectorIylEEZNS1_14transform_implILb0ES3_S5_N6thrust23THRUST_200600_302600_NS6detail15normal_iteratorINS8_7pointerIyNS8_11hip_rocprim5par_tENS8_11use_defaultESE_EEEENSA_INSB_IlSD_SE_SE_EEEEZNS1_13binary_searchIS3_S5_PySG_SI_NS1_21lower_bound_search_opENS9_16wrapped_functionINS8_6system6detail7generic6detail18binary_search_lessEbEEEE10hipError_tPvRmT1_T2_T3_mmT4_T5_P12ihipStream_tbEUlRKyE_EEST_SX_SY_mSZ_S12_bEUlT_E_NS1_11comp_targetILNS1_3genE4ELNS1_11target_archE910ELNS1_3gpuE8ELNS1_3repE0EEENS1_30default_config_static_selectorELNS0_4arch9wavefront6targetE1EEEvSW_
; %bb.0:
	.section	.rodata,"a",@progbits
	.p2align	6, 0x0
	.amdhsa_kernel _ZN7rocprim17ROCPRIM_400000_NS6detail17trampoline_kernelINS0_14default_configENS1_27lower_bound_config_selectorIylEEZNS1_14transform_implILb0ES3_S5_N6thrust23THRUST_200600_302600_NS6detail15normal_iteratorINS8_7pointerIyNS8_11hip_rocprim5par_tENS8_11use_defaultESE_EEEENSA_INSB_IlSD_SE_SE_EEEEZNS1_13binary_searchIS3_S5_PySG_SI_NS1_21lower_bound_search_opENS9_16wrapped_functionINS8_6system6detail7generic6detail18binary_search_lessEbEEEE10hipError_tPvRmT1_T2_T3_mmT4_T5_P12ihipStream_tbEUlRKyE_EEST_SX_SY_mSZ_S12_bEUlT_E_NS1_11comp_targetILNS1_3genE4ELNS1_11target_archE910ELNS1_3gpuE8ELNS1_3repE0EEENS1_30default_config_static_selectorELNS0_4arch9wavefront6targetE1EEEvSW_
		.amdhsa_group_segment_fixed_size 0
		.amdhsa_private_segment_fixed_size 0
		.amdhsa_kernarg_size 56
		.amdhsa_user_sgpr_count 6
		.amdhsa_user_sgpr_private_segment_buffer 1
		.amdhsa_user_sgpr_dispatch_ptr 0
		.amdhsa_user_sgpr_queue_ptr 0
		.amdhsa_user_sgpr_kernarg_segment_ptr 1
		.amdhsa_user_sgpr_dispatch_id 0
		.amdhsa_user_sgpr_flat_scratch_init 0
		.amdhsa_user_sgpr_private_segment_size 0
		.amdhsa_uses_dynamic_stack 0
		.amdhsa_system_sgpr_private_segment_wavefront_offset 0
		.amdhsa_system_sgpr_workgroup_id_x 1
		.amdhsa_system_sgpr_workgroup_id_y 0
		.amdhsa_system_sgpr_workgroup_id_z 0
		.amdhsa_system_sgpr_workgroup_info 0
		.amdhsa_system_vgpr_workitem_id 0
		.amdhsa_next_free_vgpr 1
		.amdhsa_next_free_sgpr 0
		.amdhsa_reserve_vcc 0
		.amdhsa_reserve_flat_scratch 0
		.amdhsa_float_round_mode_32 0
		.amdhsa_float_round_mode_16_64 0
		.amdhsa_float_denorm_mode_32 3
		.amdhsa_float_denorm_mode_16_64 3
		.amdhsa_dx10_clamp 1
		.amdhsa_ieee_mode 1
		.amdhsa_fp16_overflow 0
		.amdhsa_exception_fp_ieee_invalid_op 0
		.amdhsa_exception_fp_denorm_src 0
		.amdhsa_exception_fp_ieee_div_zero 0
		.amdhsa_exception_fp_ieee_overflow 0
		.amdhsa_exception_fp_ieee_underflow 0
		.amdhsa_exception_fp_ieee_inexact 0
		.amdhsa_exception_int_div_zero 0
	.end_amdhsa_kernel
	.section	.text._ZN7rocprim17ROCPRIM_400000_NS6detail17trampoline_kernelINS0_14default_configENS1_27lower_bound_config_selectorIylEEZNS1_14transform_implILb0ES3_S5_N6thrust23THRUST_200600_302600_NS6detail15normal_iteratorINS8_7pointerIyNS8_11hip_rocprim5par_tENS8_11use_defaultESE_EEEENSA_INSB_IlSD_SE_SE_EEEEZNS1_13binary_searchIS3_S5_PySG_SI_NS1_21lower_bound_search_opENS9_16wrapped_functionINS8_6system6detail7generic6detail18binary_search_lessEbEEEE10hipError_tPvRmT1_T2_T3_mmT4_T5_P12ihipStream_tbEUlRKyE_EEST_SX_SY_mSZ_S12_bEUlT_E_NS1_11comp_targetILNS1_3genE4ELNS1_11target_archE910ELNS1_3gpuE8ELNS1_3repE0EEENS1_30default_config_static_selectorELNS0_4arch9wavefront6targetE1EEEvSW_,"axG",@progbits,_ZN7rocprim17ROCPRIM_400000_NS6detail17trampoline_kernelINS0_14default_configENS1_27lower_bound_config_selectorIylEEZNS1_14transform_implILb0ES3_S5_N6thrust23THRUST_200600_302600_NS6detail15normal_iteratorINS8_7pointerIyNS8_11hip_rocprim5par_tENS8_11use_defaultESE_EEEENSA_INSB_IlSD_SE_SE_EEEEZNS1_13binary_searchIS3_S5_PySG_SI_NS1_21lower_bound_search_opENS9_16wrapped_functionINS8_6system6detail7generic6detail18binary_search_lessEbEEEE10hipError_tPvRmT1_T2_T3_mmT4_T5_P12ihipStream_tbEUlRKyE_EEST_SX_SY_mSZ_S12_bEUlT_E_NS1_11comp_targetILNS1_3genE4ELNS1_11target_archE910ELNS1_3gpuE8ELNS1_3repE0EEENS1_30default_config_static_selectorELNS0_4arch9wavefront6targetE1EEEvSW_,comdat
.Lfunc_end55:
	.size	_ZN7rocprim17ROCPRIM_400000_NS6detail17trampoline_kernelINS0_14default_configENS1_27lower_bound_config_selectorIylEEZNS1_14transform_implILb0ES3_S5_N6thrust23THRUST_200600_302600_NS6detail15normal_iteratorINS8_7pointerIyNS8_11hip_rocprim5par_tENS8_11use_defaultESE_EEEENSA_INSB_IlSD_SE_SE_EEEEZNS1_13binary_searchIS3_S5_PySG_SI_NS1_21lower_bound_search_opENS9_16wrapped_functionINS8_6system6detail7generic6detail18binary_search_lessEbEEEE10hipError_tPvRmT1_T2_T3_mmT4_T5_P12ihipStream_tbEUlRKyE_EEST_SX_SY_mSZ_S12_bEUlT_E_NS1_11comp_targetILNS1_3genE4ELNS1_11target_archE910ELNS1_3gpuE8ELNS1_3repE0EEENS1_30default_config_static_selectorELNS0_4arch9wavefront6targetE1EEEvSW_, .Lfunc_end55-_ZN7rocprim17ROCPRIM_400000_NS6detail17trampoline_kernelINS0_14default_configENS1_27lower_bound_config_selectorIylEEZNS1_14transform_implILb0ES3_S5_N6thrust23THRUST_200600_302600_NS6detail15normal_iteratorINS8_7pointerIyNS8_11hip_rocprim5par_tENS8_11use_defaultESE_EEEENSA_INSB_IlSD_SE_SE_EEEEZNS1_13binary_searchIS3_S5_PySG_SI_NS1_21lower_bound_search_opENS9_16wrapped_functionINS8_6system6detail7generic6detail18binary_search_lessEbEEEE10hipError_tPvRmT1_T2_T3_mmT4_T5_P12ihipStream_tbEUlRKyE_EEST_SX_SY_mSZ_S12_bEUlT_E_NS1_11comp_targetILNS1_3genE4ELNS1_11target_archE910ELNS1_3gpuE8ELNS1_3repE0EEENS1_30default_config_static_selectorELNS0_4arch9wavefront6targetE1EEEvSW_
                                        ; -- End function
	.set _ZN7rocprim17ROCPRIM_400000_NS6detail17trampoline_kernelINS0_14default_configENS1_27lower_bound_config_selectorIylEEZNS1_14transform_implILb0ES3_S5_N6thrust23THRUST_200600_302600_NS6detail15normal_iteratorINS8_7pointerIyNS8_11hip_rocprim5par_tENS8_11use_defaultESE_EEEENSA_INSB_IlSD_SE_SE_EEEEZNS1_13binary_searchIS3_S5_PySG_SI_NS1_21lower_bound_search_opENS9_16wrapped_functionINS8_6system6detail7generic6detail18binary_search_lessEbEEEE10hipError_tPvRmT1_T2_T3_mmT4_T5_P12ihipStream_tbEUlRKyE_EEST_SX_SY_mSZ_S12_bEUlT_E_NS1_11comp_targetILNS1_3genE4ELNS1_11target_archE910ELNS1_3gpuE8ELNS1_3repE0EEENS1_30default_config_static_selectorELNS0_4arch9wavefront6targetE1EEEvSW_.num_vgpr, 0
	.set _ZN7rocprim17ROCPRIM_400000_NS6detail17trampoline_kernelINS0_14default_configENS1_27lower_bound_config_selectorIylEEZNS1_14transform_implILb0ES3_S5_N6thrust23THRUST_200600_302600_NS6detail15normal_iteratorINS8_7pointerIyNS8_11hip_rocprim5par_tENS8_11use_defaultESE_EEEENSA_INSB_IlSD_SE_SE_EEEEZNS1_13binary_searchIS3_S5_PySG_SI_NS1_21lower_bound_search_opENS9_16wrapped_functionINS8_6system6detail7generic6detail18binary_search_lessEbEEEE10hipError_tPvRmT1_T2_T3_mmT4_T5_P12ihipStream_tbEUlRKyE_EEST_SX_SY_mSZ_S12_bEUlT_E_NS1_11comp_targetILNS1_3genE4ELNS1_11target_archE910ELNS1_3gpuE8ELNS1_3repE0EEENS1_30default_config_static_selectorELNS0_4arch9wavefront6targetE1EEEvSW_.num_agpr, 0
	.set _ZN7rocprim17ROCPRIM_400000_NS6detail17trampoline_kernelINS0_14default_configENS1_27lower_bound_config_selectorIylEEZNS1_14transform_implILb0ES3_S5_N6thrust23THRUST_200600_302600_NS6detail15normal_iteratorINS8_7pointerIyNS8_11hip_rocprim5par_tENS8_11use_defaultESE_EEEENSA_INSB_IlSD_SE_SE_EEEEZNS1_13binary_searchIS3_S5_PySG_SI_NS1_21lower_bound_search_opENS9_16wrapped_functionINS8_6system6detail7generic6detail18binary_search_lessEbEEEE10hipError_tPvRmT1_T2_T3_mmT4_T5_P12ihipStream_tbEUlRKyE_EEST_SX_SY_mSZ_S12_bEUlT_E_NS1_11comp_targetILNS1_3genE4ELNS1_11target_archE910ELNS1_3gpuE8ELNS1_3repE0EEENS1_30default_config_static_selectorELNS0_4arch9wavefront6targetE1EEEvSW_.numbered_sgpr, 0
	.set _ZN7rocprim17ROCPRIM_400000_NS6detail17trampoline_kernelINS0_14default_configENS1_27lower_bound_config_selectorIylEEZNS1_14transform_implILb0ES3_S5_N6thrust23THRUST_200600_302600_NS6detail15normal_iteratorINS8_7pointerIyNS8_11hip_rocprim5par_tENS8_11use_defaultESE_EEEENSA_INSB_IlSD_SE_SE_EEEEZNS1_13binary_searchIS3_S5_PySG_SI_NS1_21lower_bound_search_opENS9_16wrapped_functionINS8_6system6detail7generic6detail18binary_search_lessEbEEEE10hipError_tPvRmT1_T2_T3_mmT4_T5_P12ihipStream_tbEUlRKyE_EEST_SX_SY_mSZ_S12_bEUlT_E_NS1_11comp_targetILNS1_3genE4ELNS1_11target_archE910ELNS1_3gpuE8ELNS1_3repE0EEENS1_30default_config_static_selectorELNS0_4arch9wavefront6targetE1EEEvSW_.num_named_barrier, 0
	.set _ZN7rocprim17ROCPRIM_400000_NS6detail17trampoline_kernelINS0_14default_configENS1_27lower_bound_config_selectorIylEEZNS1_14transform_implILb0ES3_S5_N6thrust23THRUST_200600_302600_NS6detail15normal_iteratorINS8_7pointerIyNS8_11hip_rocprim5par_tENS8_11use_defaultESE_EEEENSA_INSB_IlSD_SE_SE_EEEEZNS1_13binary_searchIS3_S5_PySG_SI_NS1_21lower_bound_search_opENS9_16wrapped_functionINS8_6system6detail7generic6detail18binary_search_lessEbEEEE10hipError_tPvRmT1_T2_T3_mmT4_T5_P12ihipStream_tbEUlRKyE_EEST_SX_SY_mSZ_S12_bEUlT_E_NS1_11comp_targetILNS1_3genE4ELNS1_11target_archE910ELNS1_3gpuE8ELNS1_3repE0EEENS1_30default_config_static_selectorELNS0_4arch9wavefront6targetE1EEEvSW_.private_seg_size, 0
	.set _ZN7rocprim17ROCPRIM_400000_NS6detail17trampoline_kernelINS0_14default_configENS1_27lower_bound_config_selectorIylEEZNS1_14transform_implILb0ES3_S5_N6thrust23THRUST_200600_302600_NS6detail15normal_iteratorINS8_7pointerIyNS8_11hip_rocprim5par_tENS8_11use_defaultESE_EEEENSA_INSB_IlSD_SE_SE_EEEEZNS1_13binary_searchIS3_S5_PySG_SI_NS1_21lower_bound_search_opENS9_16wrapped_functionINS8_6system6detail7generic6detail18binary_search_lessEbEEEE10hipError_tPvRmT1_T2_T3_mmT4_T5_P12ihipStream_tbEUlRKyE_EEST_SX_SY_mSZ_S12_bEUlT_E_NS1_11comp_targetILNS1_3genE4ELNS1_11target_archE910ELNS1_3gpuE8ELNS1_3repE0EEENS1_30default_config_static_selectorELNS0_4arch9wavefront6targetE1EEEvSW_.uses_vcc, 0
	.set _ZN7rocprim17ROCPRIM_400000_NS6detail17trampoline_kernelINS0_14default_configENS1_27lower_bound_config_selectorIylEEZNS1_14transform_implILb0ES3_S5_N6thrust23THRUST_200600_302600_NS6detail15normal_iteratorINS8_7pointerIyNS8_11hip_rocprim5par_tENS8_11use_defaultESE_EEEENSA_INSB_IlSD_SE_SE_EEEEZNS1_13binary_searchIS3_S5_PySG_SI_NS1_21lower_bound_search_opENS9_16wrapped_functionINS8_6system6detail7generic6detail18binary_search_lessEbEEEE10hipError_tPvRmT1_T2_T3_mmT4_T5_P12ihipStream_tbEUlRKyE_EEST_SX_SY_mSZ_S12_bEUlT_E_NS1_11comp_targetILNS1_3genE4ELNS1_11target_archE910ELNS1_3gpuE8ELNS1_3repE0EEENS1_30default_config_static_selectorELNS0_4arch9wavefront6targetE1EEEvSW_.uses_flat_scratch, 0
	.set _ZN7rocprim17ROCPRIM_400000_NS6detail17trampoline_kernelINS0_14default_configENS1_27lower_bound_config_selectorIylEEZNS1_14transform_implILb0ES3_S5_N6thrust23THRUST_200600_302600_NS6detail15normal_iteratorINS8_7pointerIyNS8_11hip_rocprim5par_tENS8_11use_defaultESE_EEEENSA_INSB_IlSD_SE_SE_EEEEZNS1_13binary_searchIS3_S5_PySG_SI_NS1_21lower_bound_search_opENS9_16wrapped_functionINS8_6system6detail7generic6detail18binary_search_lessEbEEEE10hipError_tPvRmT1_T2_T3_mmT4_T5_P12ihipStream_tbEUlRKyE_EEST_SX_SY_mSZ_S12_bEUlT_E_NS1_11comp_targetILNS1_3genE4ELNS1_11target_archE910ELNS1_3gpuE8ELNS1_3repE0EEENS1_30default_config_static_selectorELNS0_4arch9wavefront6targetE1EEEvSW_.has_dyn_sized_stack, 0
	.set _ZN7rocprim17ROCPRIM_400000_NS6detail17trampoline_kernelINS0_14default_configENS1_27lower_bound_config_selectorIylEEZNS1_14transform_implILb0ES3_S5_N6thrust23THRUST_200600_302600_NS6detail15normal_iteratorINS8_7pointerIyNS8_11hip_rocprim5par_tENS8_11use_defaultESE_EEEENSA_INSB_IlSD_SE_SE_EEEEZNS1_13binary_searchIS3_S5_PySG_SI_NS1_21lower_bound_search_opENS9_16wrapped_functionINS8_6system6detail7generic6detail18binary_search_lessEbEEEE10hipError_tPvRmT1_T2_T3_mmT4_T5_P12ihipStream_tbEUlRKyE_EEST_SX_SY_mSZ_S12_bEUlT_E_NS1_11comp_targetILNS1_3genE4ELNS1_11target_archE910ELNS1_3gpuE8ELNS1_3repE0EEENS1_30default_config_static_selectorELNS0_4arch9wavefront6targetE1EEEvSW_.has_recursion, 0
	.set _ZN7rocprim17ROCPRIM_400000_NS6detail17trampoline_kernelINS0_14default_configENS1_27lower_bound_config_selectorIylEEZNS1_14transform_implILb0ES3_S5_N6thrust23THRUST_200600_302600_NS6detail15normal_iteratorINS8_7pointerIyNS8_11hip_rocprim5par_tENS8_11use_defaultESE_EEEENSA_INSB_IlSD_SE_SE_EEEEZNS1_13binary_searchIS3_S5_PySG_SI_NS1_21lower_bound_search_opENS9_16wrapped_functionINS8_6system6detail7generic6detail18binary_search_lessEbEEEE10hipError_tPvRmT1_T2_T3_mmT4_T5_P12ihipStream_tbEUlRKyE_EEST_SX_SY_mSZ_S12_bEUlT_E_NS1_11comp_targetILNS1_3genE4ELNS1_11target_archE910ELNS1_3gpuE8ELNS1_3repE0EEENS1_30default_config_static_selectorELNS0_4arch9wavefront6targetE1EEEvSW_.has_indirect_call, 0
	.section	.AMDGPU.csdata,"",@progbits
; Kernel info:
; codeLenInByte = 0
; TotalNumSgprs: 4
; NumVgprs: 0
; ScratchSize: 0
; MemoryBound: 0
; FloatMode: 240
; IeeeMode: 1
; LDSByteSize: 0 bytes/workgroup (compile time only)
; SGPRBlocks: 0
; VGPRBlocks: 0
; NumSGPRsForWavesPerEU: 4
; NumVGPRsForWavesPerEU: 1
; Occupancy: 10
; WaveLimiterHint : 0
; COMPUTE_PGM_RSRC2:SCRATCH_EN: 0
; COMPUTE_PGM_RSRC2:USER_SGPR: 6
; COMPUTE_PGM_RSRC2:TRAP_HANDLER: 0
; COMPUTE_PGM_RSRC2:TGID_X_EN: 1
; COMPUTE_PGM_RSRC2:TGID_Y_EN: 0
; COMPUTE_PGM_RSRC2:TGID_Z_EN: 0
; COMPUTE_PGM_RSRC2:TIDIG_COMP_CNT: 0
	.section	.text._ZN7rocprim17ROCPRIM_400000_NS6detail17trampoline_kernelINS0_14default_configENS1_27lower_bound_config_selectorIylEEZNS1_14transform_implILb0ES3_S5_N6thrust23THRUST_200600_302600_NS6detail15normal_iteratorINS8_7pointerIyNS8_11hip_rocprim5par_tENS8_11use_defaultESE_EEEENSA_INSB_IlSD_SE_SE_EEEEZNS1_13binary_searchIS3_S5_PySG_SI_NS1_21lower_bound_search_opENS9_16wrapped_functionINS8_6system6detail7generic6detail18binary_search_lessEbEEEE10hipError_tPvRmT1_T2_T3_mmT4_T5_P12ihipStream_tbEUlRKyE_EEST_SX_SY_mSZ_S12_bEUlT_E_NS1_11comp_targetILNS1_3genE3ELNS1_11target_archE908ELNS1_3gpuE7ELNS1_3repE0EEENS1_30default_config_static_selectorELNS0_4arch9wavefront6targetE1EEEvSW_,"axG",@progbits,_ZN7rocprim17ROCPRIM_400000_NS6detail17trampoline_kernelINS0_14default_configENS1_27lower_bound_config_selectorIylEEZNS1_14transform_implILb0ES3_S5_N6thrust23THRUST_200600_302600_NS6detail15normal_iteratorINS8_7pointerIyNS8_11hip_rocprim5par_tENS8_11use_defaultESE_EEEENSA_INSB_IlSD_SE_SE_EEEEZNS1_13binary_searchIS3_S5_PySG_SI_NS1_21lower_bound_search_opENS9_16wrapped_functionINS8_6system6detail7generic6detail18binary_search_lessEbEEEE10hipError_tPvRmT1_T2_T3_mmT4_T5_P12ihipStream_tbEUlRKyE_EEST_SX_SY_mSZ_S12_bEUlT_E_NS1_11comp_targetILNS1_3genE3ELNS1_11target_archE908ELNS1_3gpuE7ELNS1_3repE0EEENS1_30default_config_static_selectorELNS0_4arch9wavefront6targetE1EEEvSW_,comdat
	.protected	_ZN7rocprim17ROCPRIM_400000_NS6detail17trampoline_kernelINS0_14default_configENS1_27lower_bound_config_selectorIylEEZNS1_14transform_implILb0ES3_S5_N6thrust23THRUST_200600_302600_NS6detail15normal_iteratorINS8_7pointerIyNS8_11hip_rocprim5par_tENS8_11use_defaultESE_EEEENSA_INSB_IlSD_SE_SE_EEEEZNS1_13binary_searchIS3_S5_PySG_SI_NS1_21lower_bound_search_opENS9_16wrapped_functionINS8_6system6detail7generic6detail18binary_search_lessEbEEEE10hipError_tPvRmT1_T2_T3_mmT4_T5_P12ihipStream_tbEUlRKyE_EEST_SX_SY_mSZ_S12_bEUlT_E_NS1_11comp_targetILNS1_3genE3ELNS1_11target_archE908ELNS1_3gpuE7ELNS1_3repE0EEENS1_30default_config_static_selectorELNS0_4arch9wavefront6targetE1EEEvSW_ ; -- Begin function _ZN7rocprim17ROCPRIM_400000_NS6detail17trampoline_kernelINS0_14default_configENS1_27lower_bound_config_selectorIylEEZNS1_14transform_implILb0ES3_S5_N6thrust23THRUST_200600_302600_NS6detail15normal_iteratorINS8_7pointerIyNS8_11hip_rocprim5par_tENS8_11use_defaultESE_EEEENSA_INSB_IlSD_SE_SE_EEEEZNS1_13binary_searchIS3_S5_PySG_SI_NS1_21lower_bound_search_opENS9_16wrapped_functionINS8_6system6detail7generic6detail18binary_search_lessEbEEEE10hipError_tPvRmT1_T2_T3_mmT4_T5_P12ihipStream_tbEUlRKyE_EEST_SX_SY_mSZ_S12_bEUlT_E_NS1_11comp_targetILNS1_3genE3ELNS1_11target_archE908ELNS1_3gpuE7ELNS1_3repE0EEENS1_30default_config_static_selectorELNS0_4arch9wavefront6targetE1EEEvSW_
	.globl	_ZN7rocprim17ROCPRIM_400000_NS6detail17trampoline_kernelINS0_14default_configENS1_27lower_bound_config_selectorIylEEZNS1_14transform_implILb0ES3_S5_N6thrust23THRUST_200600_302600_NS6detail15normal_iteratorINS8_7pointerIyNS8_11hip_rocprim5par_tENS8_11use_defaultESE_EEEENSA_INSB_IlSD_SE_SE_EEEEZNS1_13binary_searchIS3_S5_PySG_SI_NS1_21lower_bound_search_opENS9_16wrapped_functionINS8_6system6detail7generic6detail18binary_search_lessEbEEEE10hipError_tPvRmT1_T2_T3_mmT4_T5_P12ihipStream_tbEUlRKyE_EEST_SX_SY_mSZ_S12_bEUlT_E_NS1_11comp_targetILNS1_3genE3ELNS1_11target_archE908ELNS1_3gpuE7ELNS1_3repE0EEENS1_30default_config_static_selectorELNS0_4arch9wavefront6targetE1EEEvSW_
	.p2align	8
	.type	_ZN7rocprim17ROCPRIM_400000_NS6detail17trampoline_kernelINS0_14default_configENS1_27lower_bound_config_selectorIylEEZNS1_14transform_implILb0ES3_S5_N6thrust23THRUST_200600_302600_NS6detail15normal_iteratorINS8_7pointerIyNS8_11hip_rocprim5par_tENS8_11use_defaultESE_EEEENSA_INSB_IlSD_SE_SE_EEEEZNS1_13binary_searchIS3_S5_PySG_SI_NS1_21lower_bound_search_opENS9_16wrapped_functionINS8_6system6detail7generic6detail18binary_search_lessEbEEEE10hipError_tPvRmT1_T2_T3_mmT4_T5_P12ihipStream_tbEUlRKyE_EEST_SX_SY_mSZ_S12_bEUlT_E_NS1_11comp_targetILNS1_3genE3ELNS1_11target_archE908ELNS1_3gpuE7ELNS1_3repE0EEENS1_30default_config_static_selectorELNS0_4arch9wavefront6targetE1EEEvSW_,@function
_ZN7rocprim17ROCPRIM_400000_NS6detail17trampoline_kernelINS0_14default_configENS1_27lower_bound_config_selectorIylEEZNS1_14transform_implILb0ES3_S5_N6thrust23THRUST_200600_302600_NS6detail15normal_iteratorINS8_7pointerIyNS8_11hip_rocprim5par_tENS8_11use_defaultESE_EEEENSA_INSB_IlSD_SE_SE_EEEEZNS1_13binary_searchIS3_S5_PySG_SI_NS1_21lower_bound_search_opENS9_16wrapped_functionINS8_6system6detail7generic6detail18binary_search_lessEbEEEE10hipError_tPvRmT1_T2_T3_mmT4_T5_P12ihipStream_tbEUlRKyE_EEST_SX_SY_mSZ_S12_bEUlT_E_NS1_11comp_targetILNS1_3genE3ELNS1_11target_archE908ELNS1_3gpuE7ELNS1_3repE0EEENS1_30default_config_static_selectorELNS0_4arch9wavefront6targetE1EEEvSW_: ; @_ZN7rocprim17ROCPRIM_400000_NS6detail17trampoline_kernelINS0_14default_configENS1_27lower_bound_config_selectorIylEEZNS1_14transform_implILb0ES3_S5_N6thrust23THRUST_200600_302600_NS6detail15normal_iteratorINS8_7pointerIyNS8_11hip_rocprim5par_tENS8_11use_defaultESE_EEEENSA_INSB_IlSD_SE_SE_EEEEZNS1_13binary_searchIS3_S5_PySG_SI_NS1_21lower_bound_search_opENS9_16wrapped_functionINS8_6system6detail7generic6detail18binary_search_lessEbEEEE10hipError_tPvRmT1_T2_T3_mmT4_T5_P12ihipStream_tbEUlRKyE_EEST_SX_SY_mSZ_S12_bEUlT_E_NS1_11comp_targetILNS1_3genE3ELNS1_11target_archE908ELNS1_3gpuE7ELNS1_3repE0EEENS1_30default_config_static_selectorELNS0_4arch9wavefront6targetE1EEEvSW_
; %bb.0:
	.section	.rodata,"a",@progbits
	.p2align	6, 0x0
	.amdhsa_kernel _ZN7rocprim17ROCPRIM_400000_NS6detail17trampoline_kernelINS0_14default_configENS1_27lower_bound_config_selectorIylEEZNS1_14transform_implILb0ES3_S5_N6thrust23THRUST_200600_302600_NS6detail15normal_iteratorINS8_7pointerIyNS8_11hip_rocprim5par_tENS8_11use_defaultESE_EEEENSA_INSB_IlSD_SE_SE_EEEEZNS1_13binary_searchIS3_S5_PySG_SI_NS1_21lower_bound_search_opENS9_16wrapped_functionINS8_6system6detail7generic6detail18binary_search_lessEbEEEE10hipError_tPvRmT1_T2_T3_mmT4_T5_P12ihipStream_tbEUlRKyE_EEST_SX_SY_mSZ_S12_bEUlT_E_NS1_11comp_targetILNS1_3genE3ELNS1_11target_archE908ELNS1_3gpuE7ELNS1_3repE0EEENS1_30default_config_static_selectorELNS0_4arch9wavefront6targetE1EEEvSW_
		.amdhsa_group_segment_fixed_size 0
		.amdhsa_private_segment_fixed_size 0
		.amdhsa_kernarg_size 56
		.amdhsa_user_sgpr_count 6
		.amdhsa_user_sgpr_private_segment_buffer 1
		.amdhsa_user_sgpr_dispatch_ptr 0
		.amdhsa_user_sgpr_queue_ptr 0
		.amdhsa_user_sgpr_kernarg_segment_ptr 1
		.amdhsa_user_sgpr_dispatch_id 0
		.amdhsa_user_sgpr_flat_scratch_init 0
		.amdhsa_user_sgpr_private_segment_size 0
		.amdhsa_uses_dynamic_stack 0
		.amdhsa_system_sgpr_private_segment_wavefront_offset 0
		.amdhsa_system_sgpr_workgroup_id_x 1
		.amdhsa_system_sgpr_workgroup_id_y 0
		.amdhsa_system_sgpr_workgroup_id_z 0
		.amdhsa_system_sgpr_workgroup_info 0
		.amdhsa_system_vgpr_workitem_id 0
		.amdhsa_next_free_vgpr 1
		.amdhsa_next_free_sgpr 0
		.amdhsa_reserve_vcc 0
		.amdhsa_reserve_flat_scratch 0
		.amdhsa_float_round_mode_32 0
		.amdhsa_float_round_mode_16_64 0
		.amdhsa_float_denorm_mode_32 3
		.amdhsa_float_denorm_mode_16_64 3
		.amdhsa_dx10_clamp 1
		.amdhsa_ieee_mode 1
		.amdhsa_fp16_overflow 0
		.amdhsa_exception_fp_ieee_invalid_op 0
		.amdhsa_exception_fp_denorm_src 0
		.amdhsa_exception_fp_ieee_div_zero 0
		.amdhsa_exception_fp_ieee_overflow 0
		.amdhsa_exception_fp_ieee_underflow 0
		.amdhsa_exception_fp_ieee_inexact 0
		.amdhsa_exception_int_div_zero 0
	.end_amdhsa_kernel
	.section	.text._ZN7rocprim17ROCPRIM_400000_NS6detail17trampoline_kernelINS0_14default_configENS1_27lower_bound_config_selectorIylEEZNS1_14transform_implILb0ES3_S5_N6thrust23THRUST_200600_302600_NS6detail15normal_iteratorINS8_7pointerIyNS8_11hip_rocprim5par_tENS8_11use_defaultESE_EEEENSA_INSB_IlSD_SE_SE_EEEEZNS1_13binary_searchIS3_S5_PySG_SI_NS1_21lower_bound_search_opENS9_16wrapped_functionINS8_6system6detail7generic6detail18binary_search_lessEbEEEE10hipError_tPvRmT1_T2_T3_mmT4_T5_P12ihipStream_tbEUlRKyE_EEST_SX_SY_mSZ_S12_bEUlT_E_NS1_11comp_targetILNS1_3genE3ELNS1_11target_archE908ELNS1_3gpuE7ELNS1_3repE0EEENS1_30default_config_static_selectorELNS0_4arch9wavefront6targetE1EEEvSW_,"axG",@progbits,_ZN7rocprim17ROCPRIM_400000_NS6detail17trampoline_kernelINS0_14default_configENS1_27lower_bound_config_selectorIylEEZNS1_14transform_implILb0ES3_S5_N6thrust23THRUST_200600_302600_NS6detail15normal_iteratorINS8_7pointerIyNS8_11hip_rocprim5par_tENS8_11use_defaultESE_EEEENSA_INSB_IlSD_SE_SE_EEEEZNS1_13binary_searchIS3_S5_PySG_SI_NS1_21lower_bound_search_opENS9_16wrapped_functionINS8_6system6detail7generic6detail18binary_search_lessEbEEEE10hipError_tPvRmT1_T2_T3_mmT4_T5_P12ihipStream_tbEUlRKyE_EEST_SX_SY_mSZ_S12_bEUlT_E_NS1_11comp_targetILNS1_3genE3ELNS1_11target_archE908ELNS1_3gpuE7ELNS1_3repE0EEENS1_30default_config_static_selectorELNS0_4arch9wavefront6targetE1EEEvSW_,comdat
.Lfunc_end56:
	.size	_ZN7rocprim17ROCPRIM_400000_NS6detail17trampoline_kernelINS0_14default_configENS1_27lower_bound_config_selectorIylEEZNS1_14transform_implILb0ES3_S5_N6thrust23THRUST_200600_302600_NS6detail15normal_iteratorINS8_7pointerIyNS8_11hip_rocprim5par_tENS8_11use_defaultESE_EEEENSA_INSB_IlSD_SE_SE_EEEEZNS1_13binary_searchIS3_S5_PySG_SI_NS1_21lower_bound_search_opENS9_16wrapped_functionINS8_6system6detail7generic6detail18binary_search_lessEbEEEE10hipError_tPvRmT1_T2_T3_mmT4_T5_P12ihipStream_tbEUlRKyE_EEST_SX_SY_mSZ_S12_bEUlT_E_NS1_11comp_targetILNS1_3genE3ELNS1_11target_archE908ELNS1_3gpuE7ELNS1_3repE0EEENS1_30default_config_static_selectorELNS0_4arch9wavefront6targetE1EEEvSW_, .Lfunc_end56-_ZN7rocprim17ROCPRIM_400000_NS6detail17trampoline_kernelINS0_14default_configENS1_27lower_bound_config_selectorIylEEZNS1_14transform_implILb0ES3_S5_N6thrust23THRUST_200600_302600_NS6detail15normal_iteratorINS8_7pointerIyNS8_11hip_rocprim5par_tENS8_11use_defaultESE_EEEENSA_INSB_IlSD_SE_SE_EEEEZNS1_13binary_searchIS3_S5_PySG_SI_NS1_21lower_bound_search_opENS9_16wrapped_functionINS8_6system6detail7generic6detail18binary_search_lessEbEEEE10hipError_tPvRmT1_T2_T3_mmT4_T5_P12ihipStream_tbEUlRKyE_EEST_SX_SY_mSZ_S12_bEUlT_E_NS1_11comp_targetILNS1_3genE3ELNS1_11target_archE908ELNS1_3gpuE7ELNS1_3repE0EEENS1_30default_config_static_selectorELNS0_4arch9wavefront6targetE1EEEvSW_
                                        ; -- End function
	.set _ZN7rocprim17ROCPRIM_400000_NS6detail17trampoline_kernelINS0_14default_configENS1_27lower_bound_config_selectorIylEEZNS1_14transform_implILb0ES3_S5_N6thrust23THRUST_200600_302600_NS6detail15normal_iteratorINS8_7pointerIyNS8_11hip_rocprim5par_tENS8_11use_defaultESE_EEEENSA_INSB_IlSD_SE_SE_EEEEZNS1_13binary_searchIS3_S5_PySG_SI_NS1_21lower_bound_search_opENS9_16wrapped_functionINS8_6system6detail7generic6detail18binary_search_lessEbEEEE10hipError_tPvRmT1_T2_T3_mmT4_T5_P12ihipStream_tbEUlRKyE_EEST_SX_SY_mSZ_S12_bEUlT_E_NS1_11comp_targetILNS1_3genE3ELNS1_11target_archE908ELNS1_3gpuE7ELNS1_3repE0EEENS1_30default_config_static_selectorELNS0_4arch9wavefront6targetE1EEEvSW_.num_vgpr, 0
	.set _ZN7rocprim17ROCPRIM_400000_NS6detail17trampoline_kernelINS0_14default_configENS1_27lower_bound_config_selectorIylEEZNS1_14transform_implILb0ES3_S5_N6thrust23THRUST_200600_302600_NS6detail15normal_iteratorINS8_7pointerIyNS8_11hip_rocprim5par_tENS8_11use_defaultESE_EEEENSA_INSB_IlSD_SE_SE_EEEEZNS1_13binary_searchIS3_S5_PySG_SI_NS1_21lower_bound_search_opENS9_16wrapped_functionINS8_6system6detail7generic6detail18binary_search_lessEbEEEE10hipError_tPvRmT1_T2_T3_mmT4_T5_P12ihipStream_tbEUlRKyE_EEST_SX_SY_mSZ_S12_bEUlT_E_NS1_11comp_targetILNS1_3genE3ELNS1_11target_archE908ELNS1_3gpuE7ELNS1_3repE0EEENS1_30default_config_static_selectorELNS0_4arch9wavefront6targetE1EEEvSW_.num_agpr, 0
	.set _ZN7rocprim17ROCPRIM_400000_NS6detail17trampoline_kernelINS0_14default_configENS1_27lower_bound_config_selectorIylEEZNS1_14transform_implILb0ES3_S5_N6thrust23THRUST_200600_302600_NS6detail15normal_iteratorINS8_7pointerIyNS8_11hip_rocprim5par_tENS8_11use_defaultESE_EEEENSA_INSB_IlSD_SE_SE_EEEEZNS1_13binary_searchIS3_S5_PySG_SI_NS1_21lower_bound_search_opENS9_16wrapped_functionINS8_6system6detail7generic6detail18binary_search_lessEbEEEE10hipError_tPvRmT1_T2_T3_mmT4_T5_P12ihipStream_tbEUlRKyE_EEST_SX_SY_mSZ_S12_bEUlT_E_NS1_11comp_targetILNS1_3genE3ELNS1_11target_archE908ELNS1_3gpuE7ELNS1_3repE0EEENS1_30default_config_static_selectorELNS0_4arch9wavefront6targetE1EEEvSW_.numbered_sgpr, 0
	.set _ZN7rocprim17ROCPRIM_400000_NS6detail17trampoline_kernelINS0_14default_configENS1_27lower_bound_config_selectorIylEEZNS1_14transform_implILb0ES3_S5_N6thrust23THRUST_200600_302600_NS6detail15normal_iteratorINS8_7pointerIyNS8_11hip_rocprim5par_tENS8_11use_defaultESE_EEEENSA_INSB_IlSD_SE_SE_EEEEZNS1_13binary_searchIS3_S5_PySG_SI_NS1_21lower_bound_search_opENS9_16wrapped_functionINS8_6system6detail7generic6detail18binary_search_lessEbEEEE10hipError_tPvRmT1_T2_T3_mmT4_T5_P12ihipStream_tbEUlRKyE_EEST_SX_SY_mSZ_S12_bEUlT_E_NS1_11comp_targetILNS1_3genE3ELNS1_11target_archE908ELNS1_3gpuE7ELNS1_3repE0EEENS1_30default_config_static_selectorELNS0_4arch9wavefront6targetE1EEEvSW_.num_named_barrier, 0
	.set _ZN7rocprim17ROCPRIM_400000_NS6detail17trampoline_kernelINS0_14default_configENS1_27lower_bound_config_selectorIylEEZNS1_14transform_implILb0ES3_S5_N6thrust23THRUST_200600_302600_NS6detail15normal_iteratorINS8_7pointerIyNS8_11hip_rocprim5par_tENS8_11use_defaultESE_EEEENSA_INSB_IlSD_SE_SE_EEEEZNS1_13binary_searchIS3_S5_PySG_SI_NS1_21lower_bound_search_opENS9_16wrapped_functionINS8_6system6detail7generic6detail18binary_search_lessEbEEEE10hipError_tPvRmT1_T2_T3_mmT4_T5_P12ihipStream_tbEUlRKyE_EEST_SX_SY_mSZ_S12_bEUlT_E_NS1_11comp_targetILNS1_3genE3ELNS1_11target_archE908ELNS1_3gpuE7ELNS1_3repE0EEENS1_30default_config_static_selectorELNS0_4arch9wavefront6targetE1EEEvSW_.private_seg_size, 0
	.set _ZN7rocprim17ROCPRIM_400000_NS6detail17trampoline_kernelINS0_14default_configENS1_27lower_bound_config_selectorIylEEZNS1_14transform_implILb0ES3_S5_N6thrust23THRUST_200600_302600_NS6detail15normal_iteratorINS8_7pointerIyNS8_11hip_rocprim5par_tENS8_11use_defaultESE_EEEENSA_INSB_IlSD_SE_SE_EEEEZNS1_13binary_searchIS3_S5_PySG_SI_NS1_21lower_bound_search_opENS9_16wrapped_functionINS8_6system6detail7generic6detail18binary_search_lessEbEEEE10hipError_tPvRmT1_T2_T3_mmT4_T5_P12ihipStream_tbEUlRKyE_EEST_SX_SY_mSZ_S12_bEUlT_E_NS1_11comp_targetILNS1_3genE3ELNS1_11target_archE908ELNS1_3gpuE7ELNS1_3repE0EEENS1_30default_config_static_selectorELNS0_4arch9wavefront6targetE1EEEvSW_.uses_vcc, 0
	.set _ZN7rocprim17ROCPRIM_400000_NS6detail17trampoline_kernelINS0_14default_configENS1_27lower_bound_config_selectorIylEEZNS1_14transform_implILb0ES3_S5_N6thrust23THRUST_200600_302600_NS6detail15normal_iteratorINS8_7pointerIyNS8_11hip_rocprim5par_tENS8_11use_defaultESE_EEEENSA_INSB_IlSD_SE_SE_EEEEZNS1_13binary_searchIS3_S5_PySG_SI_NS1_21lower_bound_search_opENS9_16wrapped_functionINS8_6system6detail7generic6detail18binary_search_lessEbEEEE10hipError_tPvRmT1_T2_T3_mmT4_T5_P12ihipStream_tbEUlRKyE_EEST_SX_SY_mSZ_S12_bEUlT_E_NS1_11comp_targetILNS1_3genE3ELNS1_11target_archE908ELNS1_3gpuE7ELNS1_3repE0EEENS1_30default_config_static_selectorELNS0_4arch9wavefront6targetE1EEEvSW_.uses_flat_scratch, 0
	.set _ZN7rocprim17ROCPRIM_400000_NS6detail17trampoline_kernelINS0_14default_configENS1_27lower_bound_config_selectorIylEEZNS1_14transform_implILb0ES3_S5_N6thrust23THRUST_200600_302600_NS6detail15normal_iteratorINS8_7pointerIyNS8_11hip_rocprim5par_tENS8_11use_defaultESE_EEEENSA_INSB_IlSD_SE_SE_EEEEZNS1_13binary_searchIS3_S5_PySG_SI_NS1_21lower_bound_search_opENS9_16wrapped_functionINS8_6system6detail7generic6detail18binary_search_lessEbEEEE10hipError_tPvRmT1_T2_T3_mmT4_T5_P12ihipStream_tbEUlRKyE_EEST_SX_SY_mSZ_S12_bEUlT_E_NS1_11comp_targetILNS1_3genE3ELNS1_11target_archE908ELNS1_3gpuE7ELNS1_3repE0EEENS1_30default_config_static_selectorELNS0_4arch9wavefront6targetE1EEEvSW_.has_dyn_sized_stack, 0
	.set _ZN7rocprim17ROCPRIM_400000_NS6detail17trampoline_kernelINS0_14default_configENS1_27lower_bound_config_selectorIylEEZNS1_14transform_implILb0ES3_S5_N6thrust23THRUST_200600_302600_NS6detail15normal_iteratorINS8_7pointerIyNS8_11hip_rocprim5par_tENS8_11use_defaultESE_EEEENSA_INSB_IlSD_SE_SE_EEEEZNS1_13binary_searchIS3_S5_PySG_SI_NS1_21lower_bound_search_opENS9_16wrapped_functionINS8_6system6detail7generic6detail18binary_search_lessEbEEEE10hipError_tPvRmT1_T2_T3_mmT4_T5_P12ihipStream_tbEUlRKyE_EEST_SX_SY_mSZ_S12_bEUlT_E_NS1_11comp_targetILNS1_3genE3ELNS1_11target_archE908ELNS1_3gpuE7ELNS1_3repE0EEENS1_30default_config_static_selectorELNS0_4arch9wavefront6targetE1EEEvSW_.has_recursion, 0
	.set _ZN7rocprim17ROCPRIM_400000_NS6detail17trampoline_kernelINS0_14default_configENS1_27lower_bound_config_selectorIylEEZNS1_14transform_implILb0ES3_S5_N6thrust23THRUST_200600_302600_NS6detail15normal_iteratorINS8_7pointerIyNS8_11hip_rocprim5par_tENS8_11use_defaultESE_EEEENSA_INSB_IlSD_SE_SE_EEEEZNS1_13binary_searchIS3_S5_PySG_SI_NS1_21lower_bound_search_opENS9_16wrapped_functionINS8_6system6detail7generic6detail18binary_search_lessEbEEEE10hipError_tPvRmT1_T2_T3_mmT4_T5_P12ihipStream_tbEUlRKyE_EEST_SX_SY_mSZ_S12_bEUlT_E_NS1_11comp_targetILNS1_3genE3ELNS1_11target_archE908ELNS1_3gpuE7ELNS1_3repE0EEENS1_30default_config_static_selectorELNS0_4arch9wavefront6targetE1EEEvSW_.has_indirect_call, 0
	.section	.AMDGPU.csdata,"",@progbits
; Kernel info:
; codeLenInByte = 0
; TotalNumSgprs: 4
; NumVgprs: 0
; ScratchSize: 0
; MemoryBound: 0
; FloatMode: 240
; IeeeMode: 1
; LDSByteSize: 0 bytes/workgroup (compile time only)
; SGPRBlocks: 0
; VGPRBlocks: 0
; NumSGPRsForWavesPerEU: 4
; NumVGPRsForWavesPerEU: 1
; Occupancy: 10
; WaveLimiterHint : 0
; COMPUTE_PGM_RSRC2:SCRATCH_EN: 0
; COMPUTE_PGM_RSRC2:USER_SGPR: 6
; COMPUTE_PGM_RSRC2:TRAP_HANDLER: 0
; COMPUTE_PGM_RSRC2:TGID_X_EN: 1
; COMPUTE_PGM_RSRC2:TGID_Y_EN: 0
; COMPUTE_PGM_RSRC2:TGID_Z_EN: 0
; COMPUTE_PGM_RSRC2:TIDIG_COMP_CNT: 0
	.section	.text._ZN7rocprim17ROCPRIM_400000_NS6detail17trampoline_kernelINS0_14default_configENS1_27lower_bound_config_selectorIylEEZNS1_14transform_implILb0ES3_S5_N6thrust23THRUST_200600_302600_NS6detail15normal_iteratorINS8_7pointerIyNS8_11hip_rocprim5par_tENS8_11use_defaultESE_EEEENSA_INSB_IlSD_SE_SE_EEEEZNS1_13binary_searchIS3_S5_PySG_SI_NS1_21lower_bound_search_opENS9_16wrapped_functionINS8_6system6detail7generic6detail18binary_search_lessEbEEEE10hipError_tPvRmT1_T2_T3_mmT4_T5_P12ihipStream_tbEUlRKyE_EEST_SX_SY_mSZ_S12_bEUlT_E_NS1_11comp_targetILNS1_3genE2ELNS1_11target_archE906ELNS1_3gpuE6ELNS1_3repE0EEENS1_30default_config_static_selectorELNS0_4arch9wavefront6targetE1EEEvSW_,"axG",@progbits,_ZN7rocprim17ROCPRIM_400000_NS6detail17trampoline_kernelINS0_14default_configENS1_27lower_bound_config_selectorIylEEZNS1_14transform_implILb0ES3_S5_N6thrust23THRUST_200600_302600_NS6detail15normal_iteratorINS8_7pointerIyNS8_11hip_rocprim5par_tENS8_11use_defaultESE_EEEENSA_INSB_IlSD_SE_SE_EEEEZNS1_13binary_searchIS3_S5_PySG_SI_NS1_21lower_bound_search_opENS9_16wrapped_functionINS8_6system6detail7generic6detail18binary_search_lessEbEEEE10hipError_tPvRmT1_T2_T3_mmT4_T5_P12ihipStream_tbEUlRKyE_EEST_SX_SY_mSZ_S12_bEUlT_E_NS1_11comp_targetILNS1_3genE2ELNS1_11target_archE906ELNS1_3gpuE6ELNS1_3repE0EEENS1_30default_config_static_selectorELNS0_4arch9wavefront6targetE1EEEvSW_,comdat
	.protected	_ZN7rocprim17ROCPRIM_400000_NS6detail17trampoline_kernelINS0_14default_configENS1_27lower_bound_config_selectorIylEEZNS1_14transform_implILb0ES3_S5_N6thrust23THRUST_200600_302600_NS6detail15normal_iteratorINS8_7pointerIyNS8_11hip_rocprim5par_tENS8_11use_defaultESE_EEEENSA_INSB_IlSD_SE_SE_EEEEZNS1_13binary_searchIS3_S5_PySG_SI_NS1_21lower_bound_search_opENS9_16wrapped_functionINS8_6system6detail7generic6detail18binary_search_lessEbEEEE10hipError_tPvRmT1_T2_T3_mmT4_T5_P12ihipStream_tbEUlRKyE_EEST_SX_SY_mSZ_S12_bEUlT_E_NS1_11comp_targetILNS1_3genE2ELNS1_11target_archE906ELNS1_3gpuE6ELNS1_3repE0EEENS1_30default_config_static_selectorELNS0_4arch9wavefront6targetE1EEEvSW_ ; -- Begin function _ZN7rocprim17ROCPRIM_400000_NS6detail17trampoline_kernelINS0_14default_configENS1_27lower_bound_config_selectorIylEEZNS1_14transform_implILb0ES3_S5_N6thrust23THRUST_200600_302600_NS6detail15normal_iteratorINS8_7pointerIyNS8_11hip_rocprim5par_tENS8_11use_defaultESE_EEEENSA_INSB_IlSD_SE_SE_EEEEZNS1_13binary_searchIS3_S5_PySG_SI_NS1_21lower_bound_search_opENS9_16wrapped_functionINS8_6system6detail7generic6detail18binary_search_lessEbEEEE10hipError_tPvRmT1_T2_T3_mmT4_T5_P12ihipStream_tbEUlRKyE_EEST_SX_SY_mSZ_S12_bEUlT_E_NS1_11comp_targetILNS1_3genE2ELNS1_11target_archE906ELNS1_3gpuE6ELNS1_3repE0EEENS1_30default_config_static_selectorELNS0_4arch9wavefront6targetE1EEEvSW_
	.globl	_ZN7rocprim17ROCPRIM_400000_NS6detail17trampoline_kernelINS0_14default_configENS1_27lower_bound_config_selectorIylEEZNS1_14transform_implILb0ES3_S5_N6thrust23THRUST_200600_302600_NS6detail15normal_iteratorINS8_7pointerIyNS8_11hip_rocprim5par_tENS8_11use_defaultESE_EEEENSA_INSB_IlSD_SE_SE_EEEEZNS1_13binary_searchIS3_S5_PySG_SI_NS1_21lower_bound_search_opENS9_16wrapped_functionINS8_6system6detail7generic6detail18binary_search_lessEbEEEE10hipError_tPvRmT1_T2_T3_mmT4_T5_P12ihipStream_tbEUlRKyE_EEST_SX_SY_mSZ_S12_bEUlT_E_NS1_11comp_targetILNS1_3genE2ELNS1_11target_archE906ELNS1_3gpuE6ELNS1_3repE0EEENS1_30default_config_static_selectorELNS0_4arch9wavefront6targetE1EEEvSW_
	.p2align	8
	.type	_ZN7rocprim17ROCPRIM_400000_NS6detail17trampoline_kernelINS0_14default_configENS1_27lower_bound_config_selectorIylEEZNS1_14transform_implILb0ES3_S5_N6thrust23THRUST_200600_302600_NS6detail15normal_iteratorINS8_7pointerIyNS8_11hip_rocprim5par_tENS8_11use_defaultESE_EEEENSA_INSB_IlSD_SE_SE_EEEEZNS1_13binary_searchIS3_S5_PySG_SI_NS1_21lower_bound_search_opENS9_16wrapped_functionINS8_6system6detail7generic6detail18binary_search_lessEbEEEE10hipError_tPvRmT1_T2_T3_mmT4_T5_P12ihipStream_tbEUlRKyE_EEST_SX_SY_mSZ_S12_bEUlT_E_NS1_11comp_targetILNS1_3genE2ELNS1_11target_archE906ELNS1_3gpuE6ELNS1_3repE0EEENS1_30default_config_static_selectorELNS0_4arch9wavefront6targetE1EEEvSW_,@function
_ZN7rocprim17ROCPRIM_400000_NS6detail17trampoline_kernelINS0_14default_configENS1_27lower_bound_config_selectorIylEEZNS1_14transform_implILb0ES3_S5_N6thrust23THRUST_200600_302600_NS6detail15normal_iteratorINS8_7pointerIyNS8_11hip_rocprim5par_tENS8_11use_defaultESE_EEEENSA_INSB_IlSD_SE_SE_EEEEZNS1_13binary_searchIS3_S5_PySG_SI_NS1_21lower_bound_search_opENS9_16wrapped_functionINS8_6system6detail7generic6detail18binary_search_lessEbEEEE10hipError_tPvRmT1_T2_T3_mmT4_T5_P12ihipStream_tbEUlRKyE_EEST_SX_SY_mSZ_S12_bEUlT_E_NS1_11comp_targetILNS1_3genE2ELNS1_11target_archE906ELNS1_3gpuE6ELNS1_3repE0EEENS1_30default_config_static_selectorELNS0_4arch9wavefront6targetE1EEEvSW_: ; @_ZN7rocprim17ROCPRIM_400000_NS6detail17trampoline_kernelINS0_14default_configENS1_27lower_bound_config_selectorIylEEZNS1_14transform_implILb0ES3_S5_N6thrust23THRUST_200600_302600_NS6detail15normal_iteratorINS8_7pointerIyNS8_11hip_rocprim5par_tENS8_11use_defaultESE_EEEENSA_INSB_IlSD_SE_SE_EEEEZNS1_13binary_searchIS3_S5_PySG_SI_NS1_21lower_bound_search_opENS9_16wrapped_functionINS8_6system6detail7generic6detail18binary_search_lessEbEEEE10hipError_tPvRmT1_T2_T3_mmT4_T5_P12ihipStream_tbEUlRKyE_EEST_SX_SY_mSZ_S12_bEUlT_E_NS1_11comp_targetILNS1_3genE2ELNS1_11target_archE906ELNS1_3gpuE6ELNS1_3repE0EEENS1_30default_config_static_selectorELNS0_4arch9wavefront6targetE1EEEvSW_
; %bb.0:
	s_load_dwordx4 s[0:3], s[4:5], 0x0
	s_load_dwordx4 s[8:11], s[4:5], 0x18
	s_load_dwordx2 s[12:13], s[4:5], 0x28
	s_load_dword s16, s[4:5], 0x38
	s_waitcnt lgkmcnt(0)
	s_lshl_b64 s[14:15], s[2:3], 3
	s_add_u32 s2, s0, s14
	s_addc_u32 s3, s1, s15
	s_add_u32 s7, s8, s14
	s_addc_u32 s14, s9, s15
	s_lshl_b32 s8, s6, 8
	s_add_i32 s16, s16, -1
	s_mov_b32 s9, 0
	s_cmp_lg_u32 s6, s16
	s_mov_b64 s[0:1], -1
	s_cbranch_scc0 .LBB57_7
; %bb.1:
	s_cmp_eq_u64 s[12:13], 0
	s_mov_b64 s[0:1], 0
	s_cbranch_scc1 .LBB57_5
; %bb.2:
	s_lshl_b64 s[16:17], s[8:9], 3
	s_add_u32 s6, s2, s16
	s_addc_u32 s15, s3, s17
	v_lshlrev_b32_e32 v1, 3, v0
	v_mov_b32_e32 v2, s15
	v_add_co_u32_e32 v1, vcc, s6, v1
	v_addc_co_u32_e32 v2, vcc, 0, v2, vcc
	flat_load_dwordx2 v[3:4], v[1:2]
	v_mov_b32_e32 v1, 0
	v_mov_b32_e32 v5, s12
	;; [unrolled: 1-line block ×5, first 2 shown]
.LBB57_3:                               ; =>This Inner Loop Header: Depth=1
	v_sub_co_u32_e32 v8, vcc, v5, v1
	v_subb_co_u32_e32 v9, vcc, v6, v2, vcc
	v_lshrrev_b64 v[10:11], 1, v[8:9]
	v_lshrrev_b64 v[8:9], 6, v[8:9]
	v_add_co_u32_e32 v10, vcc, v10, v1
	v_addc_co_u32_e32 v11, vcc, v11, v2, vcc
	v_add_co_u32_e32 v8, vcc, v10, v8
	v_addc_co_u32_e32 v9, vcc, v11, v9, vcc
	v_lshlrev_b64 v[10:11], 3, v[8:9]
	v_add_co_u32_e32 v10, vcc, s10, v10
	v_addc_co_u32_e32 v11, vcc, v7, v11, vcc
	global_load_dwordx2 v[10:11], v[10:11], off
	v_add_co_u32_e32 v12, vcc, 1, v8
	v_addc_co_u32_e32 v13, vcc, 0, v9, vcc
	s_waitcnt vmcnt(0) lgkmcnt(0)
	v_cmp_lt_u64_e32 vcc, v[10:11], v[3:4]
	v_cndmask_b32_e32 v6, v9, v6, vcc
	v_cndmask_b32_e32 v5, v8, v5, vcc
	v_cndmask_b32_e32 v2, v2, v13, vcc
	v_cndmask_b32_e32 v1, v1, v12, vcc
	v_cmp_ge_u64_e32 vcc, v[1:2], v[5:6]
	s_or_b64 s[0:1], vcc, s[0:1]
	s_andn2_b64 exec, exec, s[0:1]
	s_cbranch_execnz .LBB57_3
; %bb.4:
	s_or_b64 exec, exec, s[0:1]
	s_branch .LBB57_6
.LBB57_5:
	v_mov_b32_e32 v1, 0
	v_mov_b32_e32 v2, 0
.LBB57_6:
	s_lshl_b64 s[0:1], s[8:9], 3
	s_add_u32 s0, s7, s0
	s_addc_u32 s1, s14, s1
	v_lshlrev_b32_e32 v3, 3, v0
	v_mov_b32_e32 v4, s1
	v_add_co_u32_e32 v3, vcc, s0, v3
	v_addc_co_u32_e32 v4, vcc, 0, v4, vcc
	s_mov_b64 s[0:1], 0
	flat_store_dwordx2 v[3:4], v[1:2]
.LBB57_7:
	s_and_b64 vcc, exec, s[0:1]
	s_cbranch_vccz .LBB57_16
; %bb.8:
	s_load_dword s0, s[4:5], 0x10
                                        ; implicit-def: $vgpr3_vgpr4
	s_waitcnt lgkmcnt(0)
	s_sub_i32 s4, s0, s8
	v_cmp_le_u32_e64 s[0:1], s4, v0
	v_cmp_gt_u32_e32 vcc, s4, v0
	s_and_saveexec_b64 s[4:5], vcc
	s_cbranch_execz .LBB57_10
; %bb.9:
	s_lshl_b64 s[16:17], s[8:9], 3
	s_add_u32 s2, s2, s16
	s_addc_u32 s3, s3, s17
	v_lshlrev_b32_e32 v1, 3, v0
	v_mov_b32_e32 v2, s3
	v_add_co_u32_e64 v1, s[2:3], s2, v1
	v_addc_co_u32_e64 v2, s[2:3], 0, v2, s[2:3]
	flat_load_dwordx2 v[3:4], v[1:2]
.LBB57_10:
	s_or_b64 exec, exec, s[4:5]
	s_cmp_lg_u64 s[12:13], 0
	s_cselect_b64 s[4:5], -1, 0
	s_xor_b64 s[0:1], s[0:1], -1
	v_mov_b32_e32 v1, 0
	s_mov_b64 s[2:3], 0
	v_mov_b32_e32 v2, 0
	s_and_b64 s[0:1], s[0:1], s[4:5]
	s_and_saveexec_b64 s[4:5], s[0:1]
	s_cbranch_execz .LBB57_14
; %bb.11:
	v_mov_b32_e32 v1, 0
	v_mov_b32_e32 v5, s12
	;; [unrolled: 1-line block ×5, first 2 shown]
.LBB57_12:                              ; =>This Inner Loop Header: Depth=1
	v_sub_co_u32_e64 v8, s[0:1], v5, v1
	v_subb_co_u32_e64 v9, s[0:1], v6, v2, s[0:1]
	v_lshrrev_b64 v[10:11], 1, v[8:9]
	v_lshrrev_b64 v[8:9], 6, v[8:9]
	v_add_co_u32_e64 v10, s[0:1], v10, v1
	v_addc_co_u32_e64 v11, s[0:1], v11, v2, s[0:1]
	v_add_co_u32_e64 v8, s[0:1], v10, v8
	v_addc_co_u32_e64 v9, s[0:1], v11, v9, s[0:1]
	v_lshlrev_b64 v[10:11], 3, v[8:9]
	v_add_co_u32_e64 v10, s[0:1], s10, v10
	v_addc_co_u32_e64 v11, s[0:1], v7, v11, s[0:1]
	global_load_dwordx2 v[10:11], v[10:11], off
	v_add_co_u32_e64 v12, s[0:1], 1, v8
	v_addc_co_u32_e64 v13, s[0:1], 0, v9, s[0:1]
	s_waitcnt vmcnt(0) lgkmcnt(0)
	v_cmp_lt_u64_e64 s[0:1], v[10:11], v[3:4]
	v_cndmask_b32_e64 v6, v9, v6, s[0:1]
	v_cndmask_b32_e64 v5, v8, v5, s[0:1]
	v_cndmask_b32_e64 v2, v2, v13, s[0:1]
	v_cndmask_b32_e64 v1, v1, v12, s[0:1]
	v_cmp_ge_u64_e64 s[0:1], v[1:2], v[5:6]
	s_or_b64 s[2:3], s[0:1], s[2:3]
	s_andn2_b64 exec, exec, s[2:3]
	s_cbranch_execnz .LBB57_12
; %bb.13:
	s_or_b64 exec, exec, s[2:3]
.LBB57_14:
	s_or_b64 exec, exec, s[4:5]
	s_and_saveexec_b64 s[0:1], vcc
	s_cbranch_execz .LBB57_16
; %bb.15:
	s_lshl_b64 s[0:1], s[8:9], 3
	s_add_u32 s0, s7, s0
	s_addc_u32 s1, s14, s1
	v_lshlrev_b32_e32 v0, 3, v0
	s_waitcnt vmcnt(0) lgkmcnt(0)
	v_mov_b32_e32 v4, s1
	v_add_co_u32_e32 v3, vcc, s0, v0
	v_addc_co_u32_e32 v4, vcc, 0, v4, vcc
	flat_store_dwordx2 v[3:4], v[1:2]
.LBB57_16:
	s_endpgm
	.section	.rodata,"a",@progbits
	.p2align	6, 0x0
	.amdhsa_kernel _ZN7rocprim17ROCPRIM_400000_NS6detail17trampoline_kernelINS0_14default_configENS1_27lower_bound_config_selectorIylEEZNS1_14transform_implILb0ES3_S5_N6thrust23THRUST_200600_302600_NS6detail15normal_iteratorINS8_7pointerIyNS8_11hip_rocprim5par_tENS8_11use_defaultESE_EEEENSA_INSB_IlSD_SE_SE_EEEEZNS1_13binary_searchIS3_S5_PySG_SI_NS1_21lower_bound_search_opENS9_16wrapped_functionINS8_6system6detail7generic6detail18binary_search_lessEbEEEE10hipError_tPvRmT1_T2_T3_mmT4_T5_P12ihipStream_tbEUlRKyE_EEST_SX_SY_mSZ_S12_bEUlT_E_NS1_11comp_targetILNS1_3genE2ELNS1_11target_archE906ELNS1_3gpuE6ELNS1_3repE0EEENS1_30default_config_static_selectorELNS0_4arch9wavefront6targetE1EEEvSW_
		.amdhsa_group_segment_fixed_size 0
		.amdhsa_private_segment_fixed_size 0
		.amdhsa_kernarg_size 312
		.amdhsa_user_sgpr_count 6
		.amdhsa_user_sgpr_private_segment_buffer 1
		.amdhsa_user_sgpr_dispatch_ptr 0
		.amdhsa_user_sgpr_queue_ptr 0
		.amdhsa_user_sgpr_kernarg_segment_ptr 1
		.amdhsa_user_sgpr_dispatch_id 0
		.amdhsa_user_sgpr_flat_scratch_init 0
		.amdhsa_user_sgpr_private_segment_size 0
		.amdhsa_uses_dynamic_stack 0
		.amdhsa_system_sgpr_private_segment_wavefront_offset 0
		.amdhsa_system_sgpr_workgroup_id_x 1
		.amdhsa_system_sgpr_workgroup_id_y 0
		.amdhsa_system_sgpr_workgroup_id_z 0
		.amdhsa_system_sgpr_workgroup_info 0
		.amdhsa_system_vgpr_workitem_id 0
		.amdhsa_next_free_vgpr 14
		.amdhsa_next_free_sgpr 18
		.amdhsa_reserve_vcc 1
		.amdhsa_reserve_flat_scratch 0
		.amdhsa_float_round_mode_32 0
		.amdhsa_float_round_mode_16_64 0
		.amdhsa_float_denorm_mode_32 3
		.amdhsa_float_denorm_mode_16_64 3
		.amdhsa_dx10_clamp 1
		.amdhsa_ieee_mode 1
		.amdhsa_fp16_overflow 0
		.amdhsa_exception_fp_ieee_invalid_op 0
		.amdhsa_exception_fp_denorm_src 0
		.amdhsa_exception_fp_ieee_div_zero 0
		.amdhsa_exception_fp_ieee_overflow 0
		.amdhsa_exception_fp_ieee_underflow 0
		.amdhsa_exception_fp_ieee_inexact 0
		.amdhsa_exception_int_div_zero 0
	.end_amdhsa_kernel
	.section	.text._ZN7rocprim17ROCPRIM_400000_NS6detail17trampoline_kernelINS0_14default_configENS1_27lower_bound_config_selectorIylEEZNS1_14transform_implILb0ES3_S5_N6thrust23THRUST_200600_302600_NS6detail15normal_iteratorINS8_7pointerIyNS8_11hip_rocprim5par_tENS8_11use_defaultESE_EEEENSA_INSB_IlSD_SE_SE_EEEEZNS1_13binary_searchIS3_S5_PySG_SI_NS1_21lower_bound_search_opENS9_16wrapped_functionINS8_6system6detail7generic6detail18binary_search_lessEbEEEE10hipError_tPvRmT1_T2_T3_mmT4_T5_P12ihipStream_tbEUlRKyE_EEST_SX_SY_mSZ_S12_bEUlT_E_NS1_11comp_targetILNS1_3genE2ELNS1_11target_archE906ELNS1_3gpuE6ELNS1_3repE0EEENS1_30default_config_static_selectorELNS0_4arch9wavefront6targetE1EEEvSW_,"axG",@progbits,_ZN7rocprim17ROCPRIM_400000_NS6detail17trampoline_kernelINS0_14default_configENS1_27lower_bound_config_selectorIylEEZNS1_14transform_implILb0ES3_S5_N6thrust23THRUST_200600_302600_NS6detail15normal_iteratorINS8_7pointerIyNS8_11hip_rocprim5par_tENS8_11use_defaultESE_EEEENSA_INSB_IlSD_SE_SE_EEEEZNS1_13binary_searchIS3_S5_PySG_SI_NS1_21lower_bound_search_opENS9_16wrapped_functionINS8_6system6detail7generic6detail18binary_search_lessEbEEEE10hipError_tPvRmT1_T2_T3_mmT4_T5_P12ihipStream_tbEUlRKyE_EEST_SX_SY_mSZ_S12_bEUlT_E_NS1_11comp_targetILNS1_3genE2ELNS1_11target_archE906ELNS1_3gpuE6ELNS1_3repE0EEENS1_30default_config_static_selectorELNS0_4arch9wavefront6targetE1EEEvSW_,comdat
.Lfunc_end57:
	.size	_ZN7rocprim17ROCPRIM_400000_NS6detail17trampoline_kernelINS0_14default_configENS1_27lower_bound_config_selectorIylEEZNS1_14transform_implILb0ES3_S5_N6thrust23THRUST_200600_302600_NS6detail15normal_iteratorINS8_7pointerIyNS8_11hip_rocprim5par_tENS8_11use_defaultESE_EEEENSA_INSB_IlSD_SE_SE_EEEEZNS1_13binary_searchIS3_S5_PySG_SI_NS1_21lower_bound_search_opENS9_16wrapped_functionINS8_6system6detail7generic6detail18binary_search_lessEbEEEE10hipError_tPvRmT1_T2_T3_mmT4_T5_P12ihipStream_tbEUlRKyE_EEST_SX_SY_mSZ_S12_bEUlT_E_NS1_11comp_targetILNS1_3genE2ELNS1_11target_archE906ELNS1_3gpuE6ELNS1_3repE0EEENS1_30default_config_static_selectorELNS0_4arch9wavefront6targetE1EEEvSW_, .Lfunc_end57-_ZN7rocprim17ROCPRIM_400000_NS6detail17trampoline_kernelINS0_14default_configENS1_27lower_bound_config_selectorIylEEZNS1_14transform_implILb0ES3_S5_N6thrust23THRUST_200600_302600_NS6detail15normal_iteratorINS8_7pointerIyNS8_11hip_rocprim5par_tENS8_11use_defaultESE_EEEENSA_INSB_IlSD_SE_SE_EEEEZNS1_13binary_searchIS3_S5_PySG_SI_NS1_21lower_bound_search_opENS9_16wrapped_functionINS8_6system6detail7generic6detail18binary_search_lessEbEEEE10hipError_tPvRmT1_T2_T3_mmT4_T5_P12ihipStream_tbEUlRKyE_EEST_SX_SY_mSZ_S12_bEUlT_E_NS1_11comp_targetILNS1_3genE2ELNS1_11target_archE906ELNS1_3gpuE6ELNS1_3repE0EEENS1_30default_config_static_selectorELNS0_4arch9wavefront6targetE1EEEvSW_
                                        ; -- End function
	.set _ZN7rocprim17ROCPRIM_400000_NS6detail17trampoline_kernelINS0_14default_configENS1_27lower_bound_config_selectorIylEEZNS1_14transform_implILb0ES3_S5_N6thrust23THRUST_200600_302600_NS6detail15normal_iteratorINS8_7pointerIyNS8_11hip_rocprim5par_tENS8_11use_defaultESE_EEEENSA_INSB_IlSD_SE_SE_EEEEZNS1_13binary_searchIS3_S5_PySG_SI_NS1_21lower_bound_search_opENS9_16wrapped_functionINS8_6system6detail7generic6detail18binary_search_lessEbEEEE10hipError_tPvRmT1_T2_T3_mmT4_T5_P12ihipStream_tbEUlRKyE_EEST_SX_SY_mSZ_S12_bEUlT_E_NS1_11comp_targetILNS1_3genE2ELNS1_11target_archE906ELNS1_3gpuE6ELNS1_3repE0EEENS1_30default_config_static_selectorELNS0_4arch9wavefront6targetE1EEEvSW_.num_vgpr, 14
	.set _ZN7rocprim17ROCPRIM_400000_NS6detail17trampoline_kernelINS0_14default_configENS1_27lower_bound_config_selectorIylEEZNS1_14transform_implILb0ES3_S5_N6thrust23THRUST_200600_302600_NS6detail15normal_iteratorINS8_7pointerIyNS8_11hip_rocprim5par_tENS8_11use_defaultESE_EEEENSA_INSB_IlSD_SE_SE_EEEEZNS1_13binary_searchIS3_S5_PySG_SI_NS1_21lower_bound_search_opENS9_16wrapped_functionINS8_6system6detail7generic6detail18binary_search_lessEbEEEE10hipError_tPvRmT1_T2_T3_mmT4_T5_P12ihipStream_tbEUlRKyE_EEST_SX_SY_mSZ_S12_bEUlT_E_NS1_11comp_targetILNS1_3genE2ELNS1_11target_archE906ELNS1_3gpuE6ELNS1_3repE0EEENS1_30default_config_static_selectorELNS0_4arch9wavefront6targetE1EEEvSW_.num_agpr, 0
	.set _ZN7rocprim17ROCPRIM_400000_NS6detail17trampoline_kernelINS0_14default_configENS1_27lower_bound_config_selectorIylEEZNS1_14transform_implILb0ES3_S5_N6thrust23THRUST_200600_302600_NS6detail15normal_iteratorINS8_7pointerIyNS8_11hip_rocprim5par_tENS8_11use_defaultESE_EEEENSA_INSB_IlSD_SE_SE_EEEEZNS1_13binary_searchIS3_S5_PySG_SI_NS1_21lower_bound_search_opENS9_16wrapped_functionINS8_6system6detail7generic6detail18binary_search_lessEbEEEE10hipError_tPvRmT1_T2_T3_mmT4_T5_P12ihipStream_tbEUlRKyE_EEST_SX_SY_mSZ_S12_bEUlT_E_NS1_11comp_targetILNS1_3genE2ELNS1_11target_archE906ELNS1_3gpuE6ELNS1_3repE0EEENS1_30default_config_static_selectorELNS0_4arch9wavefront6targetE1EEEvSW_.numbered_sgpr, 18
	.set _ZN7rocprim17ROCPRIM_400000_NS6detail17trampoline_kernelINS0_14default_configENS1_27lower_bound_config_selectorIylEEZNS1_14transform_implILb0ES3_S5_N6thrust23THRUST_200600_302600_NS6detail15normal_iteratorINS8_7pointerIyNS8_11hip_rocprim5par_tENS8_11use_defaultESE_EEEENSA_INSB_IlSD_SE_SE_EEEEZNS1_13binary_searchIS3_S5_PySG_SI_NS1_21lower_bound_search_opENS9_16wrapped_functionINS8_6system6detail7generic6detail18binary_search_lessEbEEEE10hipError_tPvRmT1_T2_T3_mmT4_T5_P12ihipStream_tbEUlRKyE_EEST_SX_SY_mSZ_S12_bEUlT_E_NS1_11comp_targetILNS1_3genE2ELNS1_11target_archE906ELNS1_3gpuE6ELNS1_3repE0EEENS1_30default_config_static_selectorELNS0_4arch9wavefront6targetE1EEEvSW_.num_named_barrier, 0
	.set _ZN7rocprim17ROCPRIM_400000_NS6detail17trampoline_kernelINS0_14default_configENS1_27lower_bound_config_selectorIylEEZNS1_14transform_implILb0ES3_S5_N6thrust23THRUST_200600_302600_NS6detail15normal_iteratorINS8_7pointerIyNS8_11hip_rocprim5par_tENS8_11use_defaultESE_EEEENSA_INSB_IlSD_SE_SE_EEEEZNS1_13binary_searchIS3_S5_PySG_SI_NS1_21lower_bound_search_opENS9_16wrapped_functionINS8_6system6detail7generic6detail18binary_search_lessEbEEEE10hipError_tPvRmT1_T2_T3_mmT4_T5_P12ihipStream_tbEUlRKyE_EEST_SX_SY_mSZ_S12_bEUlT_E_NS1_11comp_targetILNS1_3genE2ELNS1_11target_archE906ELNS1_3gpuE6ELNS1_3repE0EEENS1_30default_config_static_selectorELNS0_4arch9wavefront6targetE1EEEvSW_.private_seg_size, 0
	.set _ZN7rocprim17ROCPRIM_400000_NS6detail17trampoline_kernelINS0_14default_configENS1_27lower_bound_config_selectorIylEEZNS1_14transform_implILb0ES3_S5_N6thrust23THRUST_200600_302600_NS6detail15normal_iteratorINS8_7pointerIyNS8_11hip_rocprim5par_tENS8_11use_defaultESE_EEEENSA_INSB_IlSD_SE_SE_EEEEZNS1_13binary_searchIS3_S5_PySG_SI_NS1_21lower_bound_search_opENS9_16wrapped_functionINS8_6system6detail7generic6detail18binary_search_lessEbEEEE10hipError_tPvRmT1_T2_T3_mmT4_T5_P12ihipStream_tbEUlRKyE_EEST_SX_SY_mSZ_S12_bEUlT_E_NS1_11comp_targetILNS1_3genE2ELNS1_11target_archE906ELNS1_3gpuE6ELNS1_3repE0EEENS1_30default_config_static_selectorELNS0_4arch9wavefront6targetE1EEEvSW_.uses_vcc, 1
	.set _ZN7rocprim17ROCPRIM_400000_NS6detail17trampoline_kernelINS0_14default_configENS1_27lower_bound_config_selectorIylEEZNS1_14transform_implILb0ES3_S5_N6thrust23THRUST_200600_302600_NS6detail15normal_iteratorINS8_7pointerIyNS8_11hip_rocprim5par_tENS8_11use_defaultESE_EEEENSA_INSB_IlSD_SE_SE_EEEEZNS1_13binary_searchIS3_S5_PySG_SI_NS1_21lower_bound_search_opENS9_16wrapped_functionINS8_6system6detail7generic6detail18binary_search_lessEbEEEE10hipError_tPvRmT1_T2_T3_mmT4_T5_P12ihipStream_tbEUlRKyE_EEST_SX_SY_mSZ_S12_bEUlT_E_NS1_11comp_targetILNS1_3genE2ELNS1_11target_archE906ELNS1_3gpuE6ELNS1_3repE0EEENS1_30default_config_static_selectorELNS0_4arch9wavefront6targetE1EEEvSW_.uses_flat_scratch, 0
	.set _ZN7rocprim17ROCPRIM_400000_NS6detail17trampoline_kernelINS0_14default_configENS1_27lower_bound_config_selectorIylEEZNS1_14transform_implILb0ES3_S5_N6thrust23THRUST_200600_302600_NS6detail15normal_iteratorINS8_7pointerIyNS8_11hip_rocprim5par_tENS8_11use_defaultESE_EEEENSA_INSB_IlSD_SE_SE_EEEEZNS1_13binary_searchIS3_S5_PySG_SI_NS1_21lower_bound_search_opENS9_16wrapped_functionINS8_6system6detail7generic6detail18binary_search_lessEbEEEE10hipError_tPvRmT1_T2_T3_mmT4_T5_P12ihipStream_tbEUlRKyE_EEST_SX_SY_mSZ_S12_bEUlT_E_NS1_11comp_targetILNS1_3genE2ELNS1_11target_archE906ELNS1_3gpuE6ELNS1_3repE0EEENS1_30default_config_static_selectorELNS0_4arch9wavefront6targetE1EEEvSW_.has_dyn_sized_stack, 0
	.set _ZN7rocprim17ROCPRIM_400000_NS6detail17trampoline_kernelINS0_14default_configENS1_27lower_bound_config_selectorIylEEZNS1_14transform_implILb0ES3_S5_N6thrust23THRUST_200600_302600_NS6detail15normal_iteratorINS8_7pointerIyNS8_11hip_rocprim5par_tENS8_11use_defaultESE_EEEENSA_INSB_IlSD_SE_SE_EEEEZNS1_13binary_searchIS3_S5_PySG_SI_NS1_21lower_bound_search_opENS9_16wrapped_functionINS8_6system6detail7generic6detail18binary_search_lessEbEEEE10hipError_tPvRmT1_T2_T3_mmT4_T5_P12ihipStream_tbEUlRKyE_EEST_SX_SY_mSZ_S12_bEUlT_E_NS1_11comp_targetILNS1_3genE2ELNS1_11target_archE906ELNS1_3gpuE6ELNS1_3repE0EEENS1_30default_config_static_selectorELNS0_4arch9wavefront6targetE1EEEvSW_.has_recursion, 0
	.set _ZN7rocprim17ROCPRIM_400000_NS6detail17trampoline_kernelINS0_14default_configENS1_27lower_bound_config_selectorIylEEZNS1_14transform_implILb0ES3_S5_N6thrust23THRUST_200600_302600_NS6detail15normal_iteratorINS8_7pointerIyNS8_11hip_rocprim5par_tENS8_11use_defaultESE_EEEENSA_INSB_IlSD_SE_SE_EEEEZNS1_13binary_searchIS3_S5_PySG_SI_NS1_21lower_bound_search_opENS9_16wrapped_functionINS8_6system6detail7generic6detail18binary_search_lessEbEEEE10hipError_tPvRmT1_T2_T3_mmT4_T5_P12ihipStream_tbEUlRKyE_EEST_SX_SY_mSZ_S12_bEUlT_E_NS1_11comp_targetILNS1_3genE2ELNS1_11target_archE906ELNS1_3gpuE6ELNS1_3repE0EEENS1_30default_config_static_selectorELNS0_4arch9wavefront6targetE1EEEvSW_.has_indirect_call, 0
	.section	.AMDGPU.csdata,"",@progbits
; Kernel info:
; codeLenInByte = 700
; TotalNumSgprs: 22
; NumVgprs: 14
; ScratchSize: 0
; MemoryBound: 0
; FloatMode: 240
; IeeeMode: 1
; LDSByteSize: 0 bytes/workgroup (compile time only)
; SGPRBlocks: 2
; VGPRBlocks: 3
; NumSGPRsForWavesPerEU: 22
; NumVGPRsForWavesPerEU: 14
; Occupancy: 10
; WaveLimiterHint : 0
; COMPUTE_PGM_RSRC2:SCRATCH_EN: 0
; COMPUTE_PGM_RSRC2:USER_SGPR: 6
; COMPUTE_PGM_RSRC2:TRAP_HANDLER: 0
; COMPUTE_PGM_RSRC2:TGID_X_EN: 1
; COMPUTE_PGM_RSRC2:TGID_Y_EN: 0
; COMPUTE_PGM_RSRC2:TGID_Z_EN: 0
; COMPUTE_PGM_RSRC2:TIDIG_COMP_CNT: 0
	.section	.text._ZN7rocprim17ROCPRIM_400000_NS6detail17trampoline_kernelINS0_14default_configENS1_27lower_bound_config_selectorIylEEZNS1_14transform_implILb0ES3_S5_N6thrust23THRUST_200600_302600_NS6detail15normal_iteratorINS8_7pointerIyNS8_11hip_rocprim5par_tENS8_11use_defaultESE_EEEENSA_INSB_IlSD_SE_SE_EEEEZNS1_13binary_searchIS3_S5_PySG_SI_NS1_21lower_bound_search_opENS9_16wrapped_functionINS8_6system6detail7generic6detail18binary_search_lessEbEEEE10hipError_tPvRmT1_T2_T3_mmT4_T5_P12ihipStream_tbEUlRKyE_EEST_SX_SY_mSZ_S12_bEUlT_E_NS1_11comp_targetILNS1_3genE10ELNS1_11target_archE1201ELNS1_3gpuE5ELNS1_3repE0EEENS1_30default_config_static_selectorELNS0_4arch9wavefront6targetE1EEEvSW_,"axG",@progbits,_ZN7rocprim17ROCPRIM_400000_NS6detail17trampoline_kernelINS0_14default_configENS1_27lower_bound_config_selectorIylEEZNS1_14transform_implILb0ES3_S5_N6thrust23THRUST_200600_302600_NS6detail15normal_iteratorINS8_7pointerIyNS8_11hip_rocprim5par_tENS8_11use_defaultESE_EEEENSA_INSB_IlSD_SE_SE_EEEEZNS1_13binary_searchIS3_S5_PySG_SI_NS1_21lower_bound_search_opENS9_16wrapped_functionINS8_6system6detail7generic6detail18binary_search_lessEbEEEE10hipError_tPvRmT1_T2_T3_mmT4_T5_P12ihipStream_tbEUlRKyE_EEST_SX_SY_mSZ_S12_bEUlT_E_NS1_11comp_targetILNS1_3genE10ELNS1_11target_archE1201ELNS1_3gpuE5ELNS1_3repE0EEENS1_30default_config_static_selectorELNS0_4arch9wavefront6targetE1EEEvSW_,comdat
	.protected	_ZN7rocprim17ROCPRIM_400000_NS6detail17trampoline_kernelINS0_14default_configENS1_27lower_bound_config_selectorIylEEZNS1_14transform_implILb0ES3_S5_N6thrust23THRUST_200600_302600_NS6detail15normal_iteratorINS8_7pointerIyNS8_11hip_rocprim5par_tENS8_11use_defaultESE_EEEENSA_INSB_IlSD_SE_SE_EEEEZNS1_13binary_searchIS3_S5_PySG_SI_NS1_21lower_bound_search_opENS9_16wrapped_functionINS8_6system6detail7generic6detail18binary_search_lessEbEEEE10hipError_tPvRmT1_T2_T3_mmT4_T5_P12ihipStream_tbEUlRKyE_EEST_SX_SY_mSZ_S12_bEUlT_E_NS1_11comp_targetILNS1_3genE10ELNS1_11target_archE1201ELNS1_3gpuE5ELNS1_3repE0EEENS1_30default_config_static_selectorELNS0_4arch9wavefront6targetE1EEEvSW_ ; -- Begin function _ZN7rocprim17ROCPRIM_400000_NS6detail17trampoline_kernelINS0_14default_configENS1_27lower_bound_config_selectorIylEEZNS1_14transform_implILb0ES3_S5_N6thrust23THRUST_200600_302600_NS6detail15normal_iteratorINS8_7pointerIyNS8_11hip_rocprim5par_tENS8_11use_defaultESE_EEEENSA_INSB_IlSD_SE_SE_EEEEZNS1_13binary_searchIS3_S5_PySG_SI_NS1_21lower_bound_search_opENS9_16wrapped_functionINS8_6system6detail7generic6detail18binary_search_lessEbEEEE10hipError_tPvRmT1_T2_T3_mmT4_T5_P12ihipStream_tbEUlRKyE_EEST_SX_SY_mSZ_S12_bEUlT_E_NS1_11comp_targetILNS1_3genE10ELNS1_11target_archE1201ELNS1_3gpuE5ELNS1_3repE0EEENS1_30default_config_static_selectorELNS0_4arch9wavefront6targetE1EEEvSW_
	.globl	_ZN7rocprim17ROCPRIM_400000_NS6detail17trampoline_kernelINS0_14default_configENS1_27lower_bound_config_selectorIylEEZNS1_14transform_implILb0ES3_S5_N6thrust23THRUST_200600_302600_NS6detail15normal_iteratorINS8_7pointerIyNS8_11hip_rocprim5par_tENS8_11use_defaultESE_EEEENSA_INSB_IlSD_SE_SE_EEEEZNS1_13binary_searchIS3_S5_PySG_SI_NS1_21lower_bound_search_opENS9_16wrapped_functionINS8_6system6detail7generic6detail18binary_search_lessEbEEEE10hipError_tPvRmT1_T2_T3_mmT4_T5_P12ihipStream_tbEUlRKyE_EEST_SX_SY_mSZ_S12_bEUlT_E_NS1_11comp_targetILNS1_3genE10ELNS1_11target_archE1201ELNS1_3gpuE5ELNS1_3repE0EEENS1_30default_config_static_selectorELNS0_4arch9wavefront6targetE1EEEvSW_
	.p2align	8
	.type	_ZN7rocprim17ROCPRIM_400000_NS6detail17trampoline_kernelINS0_14default_configENS1_27lower_bound_config_selectorIylEEZNS1_14transform_implILb0ES3_S5_N6thrust23THRUST_200600_302600_NS6detail15normal_iteratorINS8_7pointerIyNS8_11hip_rocprim5par_tENS8_11use_defaultESE_EEEENSA_INSB_IlSD_SE_SE_EEEEZNS1_13binary_searchIS3_S5_PySG_SI_NS1_21lower_bound_search_opENS9_16wrapped_functionINS8_6system6detail7generic6detail18binary_search_lessEbEEEE10hipError_tPvRmT1_T2_T3_mmT4_T5_P12ihipStream_tbEUlRKyE_EEST_SX_SY_mSZ_S12_bEUlT_E_NS1_11comp_targetILNS1_3genE10ELNS1_11target_archE1201ELNS1_3gpuE5ELNS1_3repE0EEENS1_30default_config_static_selectorELNS0_4arch9wavefront6targetE1EEEvSW_,@function
_ZN7rocprim17ROCPRIM_400000_NS6detail17trampoline_kernelINS0_14default_configENS1_27lower_bound_config_selectorIylEEZNS1_14transform_implILb0ES3_S5_N6thrust23THRUST_200600_302600_NS6detail15normal_iteratorINS8_7pointerIyNS8_11hip_rocprim5par_tENS8_11use_defaultESE_EEEENSA_INSB_IlSD_SE_SE_EEEEZNS1_13binary_searchIS3_S5_PySG_SI_NS1_21lower_bound_search_opENS9_16wrapped_functionINS8_6system6detail7generic6detail18binary_search_lessEbEEEE10hipError_tPvRmT1_T2_T3_mmT4_T5_P12ihipStream_tbEUlRKyE_EEST_SX_SY_mSZ_S12_bEUlT_E_NS1_11comp_targetILNS1_3genE10ELNS1_11target_archE1201ELNS1_3gpuE5ELNS1_3repE0EEENS1_30default_config_static_selectorELNS0_4arch9wavefront6targetE1EEEvSW_: ; @_ZN7rocprim17ROCPRIM_400000_NS6detail17trampoline_kernelINS0_14default_configENS1_27lower_bound_config_selectorIylEEZNS1_14transform_implILb0ES3_S5_N6thrust23THRUST_200600_302600_NS6detail15normal_iteratorINS8_7pointerIyNS8_11hip_rocprim5par_tENS8_11use_defaultESE_EEEENSA_INSB_IlSD_SE_SE_EEEEZNS1_13binary_searchIS3_S5_PySG_SI_NS1_21lower_bound_search_opENS9_16wrapped_functionINS8_6system6detail7generic6detail18binary_search_lessEbEEEE10hipError_tPvRmT1_T2_T3_mmT4_T5_P12ihipStream_tbEUlRKyE_EEST_SX_SY_mSZ_S12_bEUlT_E_NS1_11comp_targetILNS1_3genE10ELNS1_11target_archE1201ELNS1_3gpuE5ELNS1_3repE0EEENS1_30default_config_static_selectorELNS0_4arch9wavefront6targetE1EEEvSW_
; %bb.0:
	.section	.rodata,"a",@progbits
	.p2align	6, 0x0
	.amdhsa_kernel _ZN7rocprim17ROCPRIM_400000_NS6detail17trampoline_kernelINS0_14default_configENS1_27lower_bound_config_selectorIylEEZNS1_14transform_implILb0ES3_S5_N6thrust23THRUST_200600_302600_NS6detail15normal_iteratorINS8_7pointerIyNS8_11hip_rocprim5par_tENS8_11use_defaultESE_EEEENSA_INSB_IlSD_SE_SE_EEEEZNS1_13binary_searchIS3_S5_PySG_SI_NS1_21lower_bound_search_opENS9_16wrapped_functionINS8_6system6detail7generic6detail18binary_search_lessEbEEEE10hipError_tPvRmT1_T2_T3_mmT4_T5_P12ihipStream_tbEUlRKyE_EEST_SX_SY_mSZ_S12_bEUlT_E_NS1_11comp_targetILNS1_3genE10ELNS1_11target_archE1201ELNS1_3gpuE5ELNS1_3repE0EEENS1_30default_config_static_selectorELNS0_4arch9wavefront6targetE1EEEvSW_
		.amdhsa_group_segment_fixed_size 0
		.amdhsa_private_segment_fixed_size 0
		.amdhsa_kernarg_size 56
		.amdhsa_user_sgpr_count 6
		.amdhsa_user_sgpr_private_segment_buffer 1
		.amdhsa_user_sgpr_dispatch_ptr 0
		.amdhsa_user_sgpr_queue_ptr 0
		.amdhsa_user_sgpr_kernarg_segment_ptr 1
		.amdhsa_user_sgpr_dispatch_id 0
		.amdhsa_user_sgpr_flat_scratch_init 0
		.amdhsa_user_sgpr_private_segment_size 0
		.amdhsa_uses_dynamic_stack 0
		.amdhsa_system_sgpr_private_segment_wavefront_offset 0
		.amdhsa_system_sgpr_workgroup_id_x 1
		.amdhsa_system_sgpr_workgroup_id_y 0
		.amdhsa_system_sgpr_workgroup_id_z 0
		.amdhsa_system_sgpr_workgroup_info 0
		.amdhsa_system_vgpr_workitem_id 0
		.amdhsa_next_free_vgpr 1
		.amdhsa_next_free_sgpr 0
		.amdhsa_reserve_vcc 0
		.amdhsa_reserve_flat_scratch 0
		.amdhsa_float_round_mode_32 0
		.amdhsa_float_round_mode_16_64 0
		.amdhsa_float_denorm_mode_32 3
		.amdhsa_float_denorm_mode_16_64 3
		.amdhsa_dx10_clamp 1
		.amdhsa_ieee_mode 1
		.amdhsa_fp16_overflow 0
		.amdhsa_exception_fp_ieee_invalid_op 0
		.amdhsa_exception_fp_denorm_src 0
		.amdhsa_exception_fp_ieee_div_zero 0
		.amdhsa_exception_fp_ieee_overflow 0
		.amdhsa_exception_fp_ieee_underflow 0
		.amdhsa_exception_fp_ieee_inexact 0
		.amdhsa_exception_int_div_zero 0
	.end_amdhsa_kernel
	.section	.text._ZN7rocprim17ROCPRIM_400000_NS6detail17trampoline_kernelINS0_14default_configENS1_27lower_bound_config_selectorIylEEZNS1_14transform_implILb0ES3_S5_N6thrust23THRUST_200600_302600_NS6detail15normal_iteratorINS8_7pointerIyNS8_11hip_rocprim5par_tENS8_11use_defaultESE_EEEENSA_INSB_IlSD_SE_SE_EEEEZNS1_13binary_searchIS3_S5_PySG_SI_NS1_21lower_bound_search_opENS9_16wrapped_functionINS8_6system6detail7generic6detail18binary_search_lessEbEEEE10hipError_tPvRmT1_T2_T3_mmT4_T5_P12ihipStream_tbEUlRKyE_EEST_SX_SY_mSZ_S12_bEUlT_E_NS1_11comp_targetILNS1_3genE10ELNS1_11target_archE1201ELNS1_3gpuE5ELNS1_3repE0EEENS1_30default_config_static_selectorELNS0_4arch9wavefront6targetE1EEEvSW_,"axG",@progbits,_ZN7rocprim17ROCPRIM_400000_NS6detail17trampoline_kernelINS0_14default_configENS1_27lower_bound_config_selectorIylEEZNS1_14transform_implILb0ES3_S5_N6thrust23THRUST_200600_302600_NS6detail15normal_iteratorINS8_7pointerIyNS8_11hip_rocprim5par_tENS8_11use_defaultESE_EEEENSA_INSB_IlSD_SE_SE_EEEEZNS1_13binary_searchIS3_S5_PySG_SI_NS1_21lower_bound_search_opENS9_16wrapped_functionINS8_6system6detail7generic6detail18binary_search_lessEbEEEE10hipError_tPvRmT1_T2_T3_mmT4_T5_P12ihipStream_tbEUlRKyE_EEST_SX_SY_mSZ_S12_bEUlT_E_NS1_11comp_targetILNS1_3genE10ELNS1_11target_archE1201ELNS1_3gpuE5ELNS1_3repE0EEENS1_30default_config_static_selectorELNS0_4arch9wavefront6targetE1EEEvSW_,comdat
.Lfunc_end58:
	.size	_ZN7rocprim17ROCPRIM_400000_NS6detail17trampoline_kernelINS0_14default_configENS1_27lower_bound_config_selectorIylEEZNS1_14transform_implILb0ES3_S5_N6thrust23THRUST_200600_302600_NS6detail15normal_iteratorINS8_7pointerIyNS8_11hip_rocprim5par_tENS8_11use_defaultESE_EEEENSA_INSB_IlSD_SE_SE_EEEEZNS1_13binary_searchIS3_S5_PySG_SI_NS1_21lower_bound_search_opENS9_16wrapped_functionINS8_6system6detail7generic6detail18binary_search_lessEbEEEE10hipError_tPvRmT1_T2_T3_mmT4_T5_P12ihipStream_tbEUlRKyE_EEST_SX_SY_mSZ_S12_bEUlT_E_NS1_11comp_targetILNS1_3genE10ELNS1_11target_archE1201ELNS1_3gpuE5ELNS1_3repE0EEENS1_30default_config_static_selectorELNS0_4arch9wavefront6targetE1EEEvSW_, .Lfunc_end58-_ZN7rocprim17ROCPRIM_400000_NS6detail17trampoline_kernelINS0_14default_configENS1_27lower_bound_config_selectorIylEEZNS1_14transform_implILb0ES3_S5_N6thrust23THRUST_200600_302600_NS6detail15normal_iteratorINS8_7pointerIyNS8_11hip_rocprim5par_tENS8_11use_defaultESE_EEEENSA_INSB_IlSD_SE_SE_EEEEZNS1_13binary_searchIS3_S5_PySG_SI_NS1_21lower_bound_search_opENS9_16wrapped_functionINS8_6system6detail7generic6detail18binary_search_lessEbEEEE10hipError_tPvRmT1_T2_T3_mmT4_T5_P12ihipStream_tbEUlRKyE_EEST_SX_SY_mSZ_S12_bEUlT_E_NS1_11comp_targetILNS1_3genE10ELNS1_11target_archE1201ELNS1_3gpuE5ELNS1_3repE0EEENS1_30default_config_static_selectorELNS0_4arch9wavefront6targetE1EEEvSW_
                                        ; -- End function
	.set _ZN7rocprim17ROCPRIM_400000_NS6detail17trampoline_kernelINS0_14default_configENS1_27lower_bound_config_selectorIylEEZNS1_14transform_implILb0ES3_S5_N6thrust23THRUST_200600_302600_NS6detail15normal_iteratorINS8_7pointerIyNS8_11hip_rocprim5par_tENS8_11use_defaultESE_EEEENSA_INSB_IlSD_SE_SE_EEEEZNS1_13binary_searchIS3_S5_PySG_SI_NS1_21lower_bound_search_opENS9_16wrapped_functionINS8_6system6detail7generic6detail18binary_search_lessEbEEEE10hipError_tPvRmT1_T2_T3_mmT4_T5_P12ihipStream_tbEUlRKyE_EEST_SX_SY_mSZ_S12_bEUlT_E_NS1_11comp_targetILNS1_3genE10ELNS1_11target_archE1201ELNS1_3gpuE5ELNS1_3repE0EEENS1_30default_config_static_selectorELNS0_4arch9wavefront6targetE1EEEvSW_.num_vgpr, 0
	.set _ZN7rocprim17ROCPRIM_400000_NS6detail17trampoline_kernelINS0_14default_configENS1_27lower_bound_config_selectorIylEEZNS1_14transform_implILb0ES3_S5_N6thrust23THRUST_200600_302600_NS6detail15normal_iteratorINS8_7pointerIyNS8_11hip_rocprim5par_tENS8_11use_defaultESE_EEEENSA_INSB_IlSD_SE_SE_EEEEZNS1_13binary_searchIS3_S5_PySG_SI_NS1_21lower_bound_search_opENS9_16wrapped_functionINS8_6system6detail7generic6detail18binary_search_lessEbEEEE10hipError_tPvRmT1_T2_T3_mmT4_T5_P12ihipStream_tbEUlRKyE_EEST_SX_SY_mSZ_S12_bEUlT_E_NS1_11comp_targetILNS1_3genE10ELNS1_11target_archE1201ELNS1_3gpuE5ELNS1_3repE0EEENS1_30default_config_static_selectorELNS0_4arch9wavefront6targetE1EEEvSW_.num_agpr, 0
	.set _ZN7rocprim17ROCPRIM_400000_NS6detail17trampoline_kernelINS0_14default_configENS1_27lower_bound_config_selectorIylEEZNS1_14transform_implILb0ES3_S5_N6thrust23THRUST_200600_302600_NS6detail15normal_iteratorINS8_7pointerIyNS8_11hip_rocprim5par_tENS8_11use_defaultESE_EEEENSA_INSB_IlSD_SE_SE_EEEEZNS1_13binary_searchIS3_S5_PySG_SI_NS1_21lower_bound_search_opENS9_16wrapped_functionINS8_6system6detail7generic6detail18binary_search_lessEbEEEE10hipError_tPvRmT1_T2_T3_mmT4_T5_P12ihipStream_tbEUlRKyE_EEST_SX_SY_mSZ_S12_bEUlT_E_NS1_11comp_targetILNS1_3genE10ELNS1_11target_archE1201ELNS1_3gpuE5ELNS1_3repE0EEENS1_30default_config_static_selectorELNS0_4arch9wavefront6targetE1EEEvSW_.numbered_sgpr, 0
	.set _ZN7rocprim17ROCPRIM_400000_NS6detail17trampoline_kernelINS0_14default_configENS1_27lower_bound_config_selectorIylEEZNS1_14transform_implILb0ES3_S5_N6thrust23THRUST_200600_302600_NS6detail15normal_iteratorINS8_7pointerIyNS8_11hip_rocprim5par_tENS8_11use_defaultESE_EEEENSA_INSB_IlSD_SE_SE_EEEEZNS1_13binary_searchIS3_S5_PySG_SI_NS1_21lower_bound_search_opENS9_16wrapped_functionINS8_6system6detail7generic6detail18binary_search_lessEbEEEE10hipError_tPvRmT1_T2_T3_mmT4_T5_P12ihipStream_tbEUlRKyE_EEST_SX_SY_mSZ_S12_bEUlT_E_NS1_11comp_targetILNS1_3genE10ELNS1_11target_archE1201ELNS1_3gpuE5ELNS1_3repE0EEENS1_30default_config_static_selectorELNS0_4arch9wavefront6targetE1EEEvSW_.num_named_barrier, 0
	.set _ZN7rocprim17ROCPRIM_400000_NS6detail17trampoline_kernelINS0_14default_configENS1_27lower_bound_config_selectorIylEEZNS1_14transform_implILb0ES3_S5_N6thrust23THRUST_200600_302600_NS6detail15normal_iteratorINS8_7pointerIyNS8_11hip_rocprim5par_tENS8_11use_defaultESE_EEEENSA_INSB_IlSD_SE_SE_EEEEZNS1_13binary_searchIS3_S5_PySG_SI_NS1_21lower_bound_search_opENS9_16wrapped_functionINS8_6system6detail7generic6detail18binary_search_lessEbEEEE10hipError_tPvRmT1_T2_T3_mmT4_T5_P12ihipStream_tbEUlRKyE_EEST_SX_SY_mSZ_S12_bEUlT_E_NS1_11comp_targetILNS1_3genE10ELNS1_11target_archE1201ELNS1_3gpuE5ELNS1_3repE0EEENS1_30default_config_static_selectorELNS0_4arch9wavefront6targetE1EEEvSW_.private_seg_size, 0
	.set _ZN7rocprim17ROCPRIM_400000_NS6detail17trampoline_kernelINS0_14default_configENS1_27lower_bound_config_selectorIylEEZNS1_14transform_implILb0ES3_S5_N6thrust23THRUST_200600_302600_NS6detail15normal_iteratorINS8_7pointerIyNS8_11hip_rocprim5par_tENS8_11use_defaultESE_EEEENSA_INSB_IlSD_SE_SE_EEEEZNS1_13binary_searchIS3_S5_PySG_SI_NS1_21lower_bound_search_opENS9_16wrapped_functionINS8_6system6detail7generic6detail18binary_search_lessEbEEEE10hipError_tPvRmT1_T2_T3_mmT4_T5_P12ihipStream_tbEUlRKyE_EEST_SX_SY_mSZ_S12_bEUlT_E_NS1_11comp_targetILNS1_3genE10ELNS1_11target_archE1201ELNS1_3gpuE5ELNS1_3repE0EEENS1_30default_config_static_selectorELNS0_4arch9wavefront6targetE1EEEvSW_.uses_vcc, 0
	.set _ZN7rocprim17ROCPRIM_400000_NS6detail17trampoline_kernelINS0_14default_configENS1_27lower_bound_config_selectorIylEEZNS1_14transform_implILb0ES3_S5_N6thrust23THRUST_200600_302600_NS6detail15normal_iteratorINS8_7pointerIyNS8_11hip_rocprim5par_tENS8_11use_defaultESE_EEEENSA_INSB_IlSD_SE_SE_EEEEZNS1_13binary_searchIS3_S5_PySG_SI_NS1_21lower_bound_search_opENS9_16wrapped_functionINS8_6system6detail7generic6detail18binary_search_lessEbEEEE10hipError_tPvRmT1_T2_T3_mmT4_T5_P12ihipStream_tbEUlRKyE_EEST_SX_SY_mSZ_S12_bEUlT_E_NS1_11comp_targetILNS1_3genE10ELNS1_11target_archE1201ELNS1_3gpuE5ELNS1_3repE0EEENS1_30default_config_static_selectorELNS0_4arch9wavefront6targetE1EEEvSW_.uses_flat_scratch, 0
	.set _ZN7rocprim17ROCPRIM_400000_NS6detail17trampoline_kernelINS0_14default_configENS1_27lower_bound_config_selectorIylEEZNS1_14transform_implILb0ES3_S5_N6thrust23THRUST_200600_302600_NS6detail15normal_iteratorINS8_7pointerIyNS8_11hip_rocprim5par_tENS8_11use_defaultESE_EEEENSA_INSB_IlSD_SE_SE_EEEEZNS1_13binary_searchIS3_S5_PySG_SI_NS1_21lower_bound_search_opENS9_16wrapped_functionINS8_6system6detail7generic6detail18binary_search_lessEbEEEE10hipError_tPvRmT1_T2_T3_mmT4_T5_P12ihipStream_tbEUlRKyE_EEST_SX_SY_mSZ_S12_bEUlT_E_NS1_11comp_targetILNS1_3genE10ELNS1_11target_archE1201ELNS1_3gpuE5ELNS1_3repE0EEENS1_30default_config_static_selectorELNS0_4arch9wavefront6targetE1EEEvSW_.has_dyn_sized_stack, 0
	.set _ZN7rocprim17ROCPRIM_400000_NS6detail17trampoline_kernelINS0_14default_configENS1_27lower_bound_config_selectorIylEEZNS1_14transform_implILb0ES3_S5_N6thrust23THRUST_200600_302600_NS6detail15normal_iteratorINS8_7pointerIyNS8_11hip_rocprim5par_tENS8_11use_defaultESE_EEEENSA_INSB_IlSD_SE_SE_EEEEZNS1_13binary_searchIS3_S5_PySG_SI_NS1_21lower_bound_search_opENS9_16wrapped_functionINS8_6system6detail7generic6detail18binary_search_lessEbEEEE10hipError_tPvRmT1_T2_T3_mmT4_T5_P12ihipStream_tbEUlRKyE_EEST_SX_SY_mSZ_S12_bEUlT_E_NS1_11comp_targetILNS1_3genE10ELNS1_11target_archE1201ELNS1_3gpuE5ELNS1_3repE0EEENS1_30default_config_static_selectorELNS0_4arch9wavefront6targetE1EEEvSW_.has_recursion, 0
	.set _ZN7rocprim17ROCPRIM_400000_NS6detail17trampoline_kernelINS0_14default_configENS1_27lower_bound_config_selectorIylEEZNS1_14transform_implILb0ES3_S5_N6thrust23THRUST_200600_302600_NS6detail15normal_iteratorINS8_7pointerIyNS8_11hip_rocprim5par_tENS8_11use_defaultESE_EEEENSA_INSB_IlSD_SE_SE_EEEEZNS1_13binary_searchIS3_S5_PySG_SI_NS1_21lower_bound_search_opENS9_16wrapped_functionINS8_6system6detail7generic6detail18binary_search_lessEbEEEE10hipError_tPvRmT1_T2_T3_mmT4_T5_P12ihipStream_tbEUlRKyE_EEST_SX_SY_mSZ_S12_bEUlT_E_NS1_11comp_targetILNS1_3genE10ELNS1_11target_archE1201ELNS1_3gpuE5ELNS1_3repE0EEENS1_30default_config_static_selectorELNS0_4arch9wavefront6targetE1EEEvSW_.has_indirect_call, 0
	.section	.AMDGPU.csdata,"",@progbits
; Kernel info:
; codeLenInByte = 0
; TotalNumSgprs: 4
; NumVgprs: 0
; ScratchSize: 0
; MemoryBound: 0
; FloatMode: 240
; IeeeMode: 1
; LDSByteSize: 0 bytes/workgroup (compile time only)
; SGPRBlocks: 0
; VGPRBlocks: 0
; NumSGPRsForWavesPerEU: 4
; NumVGPRsForWavesPerEU: 1
; Occupancy: 10
; WaveLimiterHint : 0
; COMPUTE_PGM_RSRC2:SCRATCH_EN: 0
; COMPUTE_PGM_RSRC2:USER_SGPR: 6
; COMPUTE_PGM_RSRC2:TRAP_HANDLER: 0
; COMPUTE_PGM_RSRC2:TGID_X_EN: 1
; COMPUTE_PGM_RSRC2:TGID_Y_EN: 0
; COMPUTE_PGM_RSRC2:TGID_Z_EN: 0
; COMPUTE_PGM_RSRC2:TIDIG_COMP_CNT: 0
	.section	.text._ZN7rocprim17ROCPRIM_400000_NS6detail17trampoline_kernelINS0_14default_configENS1_27lower_bound_config_selectorIylEEZNS1_14transform_implILb0ES3_S5_N6thrust23THRUST_200600_302600_NS6detail15normal_iteratorINS8_7pointerIyNS8_11hip_rocprim5par_tENS8_11use_defaultESE_EEEENSA_INSB_IlSD_SE_SE_EEEEZNS1_13binary_searchIS3_S5_PySG_SI_NS1_21lower_bound_search_opENS9_16wrapped_functionINS8_6system6detail7generic6detail18binary_search_lessEbEEEE10hipError_tPvRmT1_T2_T3_mmT4_T5_P12ihipStream_tbEUlRKyE_EEST_SX_SY_mSZ_S12_bEUlT_E_NS1_11comp_targetILNS1_3genE10ELNS1_11target_archE1200ELNS1_3gpuE4ELNS1_3repE0EEENS1_30default_config_static_selectorELNS0_4arch9wavefront6targetE1EEEvSW_,"axG",@progbits,_ZN7rocprim17ROCPRIM_400000_NS6detail17trampoline_kernelINS0_14default_configENS1_27lower_bound_config_selectorIylEEZNS1_14transform_implILb0ES3_S5_N6thrust23THRUST_200600_302600_NS6detail15normal_iteratorINS8_7pointerIyNS8_11hip_rocprim5par_tENS8_11use_defaultESE_EEEENSA_INSB_IlSD_SE_SE_EEEEZNS1_13binary_searchIS3_S5_PySG_SI_NS1_21lower_bound_search_opENS9_16wrapped_functionINS8_6system6detail7generic6detail18binary_search_lessEbEEEE10hipError_tPvRmT1_T2_T3_mmT4_T5_P12ihipStream_tbEUlRKyE_EEST_SX_SY_mSZ_S12_bEUlT_E_NS1_11comp_targetILNS1_3genE10ELNS1_11target_archE1200ELNS1_3gpuE4ELNS1_3repE0EEENS1_30default_config_static_selectorELNS0_4arch9wavefront6targetE1EEEvSW_,comdat
	.protected	_ZN7rocprim17ROCPRIM_400000_NS6detail17trampoline_kernelINS0_14default_configENS1_27lower_bound_config_selectorIylEEZNS1_14transform_implILb0ES3_S5_N6thrust23THRUST_200600_302600_NS6detail15normal_iteratorINS8_7pointerIyNS8_11hip_rocprim5par_tENS8_11use_defaultESE_EEEENSA_INSB_IlSD_SE_SE_EEEEZNS1_13binary_searchIS3_S5_PySG_SI_NS1_21lower_bound_search_opENS9_16wrapped_functionINS8_6system6detail7generic6detail18binary_search_lessEbEEEE10hipError_tPvRmT1_T2_T3_mmT4_T5_P12ihipStream_tbEUlRKyE_EEST_SX_SY_mSZ_S12_bEUlT_E_NS1_11comp_targetILNS1_3genE10ELNS1_11target_archE1200ELNS1_3gpuE4ELNS1_3repE0EEENS1_30default_config_static_selectorELNS0_4arch9wavefront6targetE1EEEvSW_ ; -- Begin function _ZN7rocprim17ROCPRIM_400000_NS6detail17trampoline_kernelINS0_14default_configENS1_27lower_bound_config_selectorIylEEZNS1_14transform_implILb0ES3_S5_N6thrust23THRUST_200600_302600_NS6detail15normal_iteratorINS8_7pointerIyNS8_11hip_rocprim5par_tENS8_11use_defaultESE_EEEENSA_INSB_IlSD_SE_SE_EEEEZNS1_13binary_searchIS3_S5_PySG_SI_NS1_21lower_bound_search_opENS9_16wrapped_functionINS8_6system6detail7generic6detail18binary_search_lessEbEEEE10hipError_tPvRmT1_T2_T3_mmT4_T5_P12ihipStream_tbEUlRKyE_EEST_SX_SY_mSZ_S12_bEUlT_E_NS1_11comp_targetILNS1_3genE10ELNS1_11target_archE1200ELNS1_3gpuE4ELNS1_3repE0EEENS1_30default_config_static_selectorELNS0_4arch9wavefront6targetE1EEEvSW_
	.globl	_ZN7rocprim17ROCPRIM_400000_NS6detail17trampoline_kernelINS0_14default_configENS1_27lower_bound_config_selectorIylEEZNS1_14transform_implILb0ES3_S5_N6thrust23THRUST_200600_302600_NS6detail15normal_iteratorINS8_7pointerIyNS8_11hip_rocprim5par_tENS8_11use_defaultESE_EEEENSA_INSB_IlSD_SE_SE_EEEEZNS1_13binary_searchIS3_S5_PySG_SI_NS1_21lower_bound_search_opENS9_16wrapped_functionINS8_6system6detail7generic6detail18binary_search_lessEbEEEE10hipError_tPvRmT1_T2_T3_mmT4_T5_P12ihipStream_tbEUlRKyE_EEST_SX_SY_mSZ_S12_bEUlT_E_NS1_11comp_targetILNS1_3genE10ELNS1_11target_archE1200ELNS1_3gpuE4ELNS1_3repE0EEENS1_30default_config_static_selectorELNS0_4arch9wavefront6targetE1EEEvSW_
	.p2align	8
	.type	_ZN7rocprim17ROCPRIM_400000_NS6detail17trampoline_kernelINS0_14default_configENS1_27lower_bound_config_selectorIylEEZNS1_14transform_implILb0ES3_S5_N6thrust23THRUST_200600_302600_NS6detail15normal_iteratorINS8_7pointerIyNS8_11hip_rocprim5par_tENS8_11use_defaultESE_EEEENSA_INSB_IlSD_SE_SE_EEEEZNS1_13binary_searchIS3_S5_PySG_SI_NS1_21lower_bound_search_opENS9_16wrapped_functionINS8_6system6detail7generic6detail18binary_search_lessEbEEEE10hipError_tPvRmT1_T2_T3_mmT4_T5_P12ihipStream_tbEUlRKyE_EEST_SX_SY_mSZ_S12_bEUlT_E_NS1_11comp_targetILNS1_3genE10ELNS1_11target_archE1200ELNS1_3gpuE4ELNS1_3repE0EEENS1_30default_config_static_selectorELNS0_4arch9wavefront6targetE1EEEvSW_,@function
_ZN7rocprim17ROCPRIM_400000_NS6detail17trampoline_kernelINS0_14default_configENS1_27lower_bound_config_selectorIylEEZNS1_14transform_implILb0ES3_S5_N6thrust23THRUST_200600_302600_NS6detail15normal_iteratorINS8_7pointerIyNS8_11hip_rocprim5par_tENS8_11use_defaultESE_EEEENSA_INSB_IlSD_SE_SE_EEEEZNS1_13binary_searchIS3_S5_PySG_SI_NS1_21lower_bound_search_opENS9_16wrapped_functionINS8_6system6detail7generic6detail18binary_search_lessEbEEEE10hipError_tPvRmT1_T2_T3_mmT4_T5_P12ihipStream_tbEUlRKyE_EEST_SX_SY_mSZ_S12_bEUlT_E_NS1_11comp_targetILNS1_3genE10ELNS1_11target_archE1200ELNS1_3gpuE4ELNS1_3repE0EEENS1_30default_config_static_selectorELNS0_4arch9wavefront6targetE1EEEvSW_: ; @_ZN7rocprim17ROCPRIM_400000_NS6detail17trampoline_kernelINS0_14default_configENS1_27lower_bound_config_selectorIylEEZNS1_14transform_implILb0ES3_S5_N6thrust23THRUST_200600_302600_NS6detail15normal_iteratorINS8_7pointerIyNS8_11hip_rocprim5par_tENS8_11use_defaultESE_EEEENSA_INSB_IlSD_SE_SE_EEEEZNS1_13binary_searchIS3_S5_PySG_SI_NS1_21lower_bound_search_opENS9_16wrapped_functionINS8_6system6detail7generic6detail18binary_search_lessEbEEEE10hipError_tPvRmT1_T2_T3_mmT4_T5_P12ihipStream_tbEUlRKyE_EEST_SX_SY_mSZ_S12_bEUlT_E_NS1_11comp_targetILNS1_3genE10ELNS1_11target_archE1200ELNS1_3gpuE4ELNS1_3repE0EEENS1_30default_config_static_selectorELNS0_4arch9wavefront6targetE1EEEvSW_
; %bb.0:
	.section	.rodata,"a",@progbits
	.p2align	6, 0x0
	.amdhsa_kernel _ZN7rocprim17ROCPRIM_400000_NS6detail17trampoline_kernelINS0_14default_configENS1_27lower_bound_config_selectorIylEEZNS1_14transform_implILb0ES3_S5_N6thrust23THRUST_200600_302600_NS6detail15normal_iteratorINS8_7pointerIyNS8_11hip_rocprim5par_tENS8_11use_defaultESE_EEEENSA_INSB_IlSD_SE_SE_EEEEZNS1_13binary_searchIS3_S5_PySG_SI_NS1_21lower_bound_search_opENS9_16wrapped_functionINS8_6system6detail7generic6detail18binary_search_lessEbEEEE10hipError_tPvRmT1_T2_T3_mmT4_T5_P12ihipStream_tbEUlRKyE_EEST_SX_SY_mSZ_S12_bEUlT_E_NS1_11comp_targetILNS1_3genE10ELNS1_11target_archE1200ELNS1_3gpuE4ELNS1_3repE0EEENS1_30default_config_static_selectorELNS0_4arch9wavefront6targetE1EEEvSW_
		.amdhsa_group_segment_fixed_size 0
		.amdhsa_private_segment_fixed_size 0
		.amdhsa_kernarg_size 56
		.amdhsa_user_sgpr_count 6
		.amdhsa_user_sgpr_private_segment_buffer 1
		.amdhsa_user_sgpr_dispatch_ptr 0
		.amdhsa_user_sgpr_queue_ptr 0
		.amdhsa_user_sgpr_kernarg_segment_ptr 1
		.amdhsa_user_sgpr_dispatch_id 0
		.amdhsa_user_sgpr_flat_scratch_init 0
		.amdhsa_user_sgpr_private_segment_size 0
		.amdhsa_uses_dynamic_stack 0
		.amdhsa_system_sgpr_private_segment_wavefront_offset 0
		.amdhsa_system_sgpr_workgroup_id_x 1
		.amdhsa_system_sgpr_workgroup_id_y 0
		.amdhsa_system_sgpr_workgroup_id_z 0
		.amdhsa_system_sgpr_workgroup_info 0
		.amdhsa_system_vgpr_workitem_id 0
		.amdhsa_next_free_vgpr 1
		.amdhsa_next_free_sgpr 0
		.amdhsa_reserve_vcc 0
		.amdhsa_reserve_flat_scratch 0
		.amdhsa_float_round_mode_32 0
		.amdhsa_float_round_mode_16_64 0
		.amdhsa_float_denorm_mode_32 3
		.amdhsa_float_denorm_mode_16_64 3
		.amdhsa_dx10_clamp 1
		.amdhsa_ieee_mode 1
		.amdhsa_fp16_overflow 0
		.amdhsa_exception_fp_ieee_invalid_op 0
		.amdhsa_exception_fp_denorm_src 0
		.amdhsa_exception_fp_ieee_div_zero 0
		.amdhsa_exception_fp_ieee_overflow 0
		.amdhsa_exception_fp_ieee_underflow 0
		.amdhsa_exception_fp_ieee_inexact 0
		.amdhsa_exception_int_div_zero 0
	.end_amdhsa_kernel
	.section	.text._ZN7rocprim17ROCPRIM_400000_NS6detail17trampoline_kernelINS0_14default_configENS1_27lower_bound_config_selectorIylEEZNS1_14transform_implILb0ES3_S5_N6thrust23THRUST_200600_302600_NS6detail15normal_iteratorINS8_7pointerIyNS8_11hip_rocprim5par_tENS8_11use_defaultESE_EEEENSA_INSB_IlSD_SE_SE_EEEEZNS1_13binary_searchIS3_S5_PySG_SI_NS1_21lower_bound_search_opENS9_16wrapped_functionINS8_6system6detail7generic6detail18binary_search_lessEbEEEE10hipError_tPvRmT1_T2_T3_mmT4_T5_P12ihipStream_tbEUlRKyE_EEST_SX_SY_mSZ_S12_bEUlT_E_NS1_11comp_targetILNS1_3genE10ELNS1_11target_archE1200ELNS1_3gpuE4ELNS1_3repE0EEENS1_30default_config_static_selectorELNS0_4arch9wavefront6targetE1EEEvSW_,"axG",@progbits,_ZN7rocprim17ROCPRIM_400000_NS6detail17trampoline_kernelINS0_14default_configENS1_27lower_bound_config_selectorIylEEZNS1_14transform_implILb0ES3_S5_N6thrust23THRUST_200600_302600_NS6detail15normal_iteratorINS8_7pointerIyNS8_11hip_rocprim5par_tENS8_11use_defaultESE_EEEENSA_INSB_IlSD_SE_SE_EEEEZNS1_13binary_searchIS3_S5_PySG_SI_NS1_21lower_bound_search_opENS9_16wrapped_functionINS8_6system6detail7generic6detail18binary_search_lessEbEEEE10hipError_tPvRmT1_T2_T3_mmT4_T5_P12ihipStream_tbEUlRKyE_EEST_SX_SY_mSZ_S12_bEUlT_E_NS1_11comp_targetILNS1_3genE10ELNS1_11target_archE1200ELNS1_3gpuE4ELNS1_3repE0EEENS1_30default_config_static_selectorELNS0_4arch9wavefront6targetE1EEEvSW_,comdat
.Lfunc_end59:
	.size	_ZN7rocprim17ROCPRIM_400000_NS6detail17trampoline_kernelINS0_14default_configENS1_27lower_bound_config_selectorIylEEZNS1_14transform_implILb0ES3_S5_N6thrust23THRUST_200600_302600_NS6detail15normal_iteratorINS8_7pointerIyNS8_11hip_rocprim5par_tENS8_11use_defaultESE_EEEENSA_INSB_IlSD_SE_SE_EEEEZNS1_13binary_searchIS3_S5_PySG_SI_NS1_21lower_bound_search_opENS9_16wrapped_functionINS8_6system6detail7generic6detail18binary_search_lessEbEEEE10hipError_tPvRmT1_T2_T3_mmT4_T5_P12ihipStream_tbEUlRKyE_EEST_SX_SY_mSZ_S12_bEUlT_E_NS1_11comp_targetILNS1_3genE10ELNS1_11target_archE1200ELNS1_3gpuE4ELNS1_3repE0EEENS1_30default_config_static_selectorELNS0_4arch9wavefront6targetE1EEEvSW_, .Lfunc_end59-_ZN7rocprim17ROCPRIM_400000_NS6detail17trampoline_kernelINS0_14default_configENS1_27lower_bound_config_selectorIylEEZNS1_14transform_implILb0ES3_S5_N6thrust23THRUST_200600_302600_NS6detail15normal_iteratorINS8_7pointerIyNS8_11hip_rocprim5par_tENS8_11use_defaultESE_EEEENSA_INSB_IlSD_SE_SE_EEEEZNS1_13binary_searchIS3_S5_PySG_SI_NS1_21lower_bound_search_opENS9_16wrapped_functionINS8_6system6detail7generic6detail18binary_search_lessEbEEEE10hipError_tPvRmT1_T2_T3_mmT4_T5_P12ihipStream_tbEUlRKyE_EEST_SX_SY_mSZ_S12_bEUlT_E_NS1_11comp_targetILNS1_3genE10ELNS1_11target_archE1200ELNS1_3gpuE4ELNS1_3repE0EEENS1_30default_config_static_selectorELNS0_4arch9wavefront6targetE1EEEvSW_
                                        ; -- End function
	.set _ZN7rocprim17ROCPRIM_400000_NS6detail17trampoline_kernelINS0_14default_configENS1_27lower_bound_config_selectorIylEEZNS1_14transform_implILb0ES3_S5_N6thrust23THRUST_200600_302600_NS6detail15normal_iteratorINS8_7pointerIyNS8_11hip_rocprim5par_tENS8_11use_defaultESE_EEEENSA_INSB_IlSD_SE_SE_EEEEZNS1_13binary_searchIS3_S5_PySG_SI_NS1_21lower_bound_search_opENS9_16wrapped_functionINS8_6system6detail7generic6detail18binary_search_lessEbEEEE10hipError_tPvRmT1_T2_T3_mmT4_T5_P12ihipStream_tbEUlRKyE_EEST_SX_SY_mSZ_S12_bEUlT_E_NS1_11comp_targetILNS1_3genE10ELNS1_11target_archE1200ELNS1_3gpuE4ELNS1_3repE0EEENS1_30default_config_static_selectorELNS0_4arch9wavefront6targetE1EEEvSW_.num_vgpr, 0
	.set _ZN7rocprim17ROCPRIM_400000_NS6detail17trampoline_kernelINS0_14default_configENS1_27lower_bound_config_selectorIylEEZNS1_14transform_implILb0ES3_S5_N6thrust23THRUST_200600_302600_NS6detail15normal_iteratorINS8_7pointerIyNS8_11hip_rocprim5par_tENS8_11use_defaultESE_EEEENSA_INSB_IlSD_SE_SE_EEEEZNS1_13binary_searchIS3_S5_PySG_SI_NS1_21lower_bound_search_opENS9_16wrapped_functionINS8_6system6detail7generic6detail18binary_search_lessEbEEEE10hipError_tPvRmT1_T2_T3_mmT4_T5_P12ihipStream_tbEUlRKyE_EEST_SX_SY_mSZ_S12_bEUlT_E_NS1_11comp_targetILNS1_3genE10ELNS1_11target_archE1200ELNS1_3gpuE4ELNS1_3repE0EEENS1_30default_config_static_selectorELNS0_4arch9wavefront6targetE1EEEvSW_.num_agpr, 0
	.set _ZN7rocprim17ROCPRIM_400000_NS6detail17trampoline_kernelINS0_14default_configENS1_27lower_bound_config_selectorIylEEZNS1_14transform_implILb0ES3_S5_N6thrust23THRUST_200600_302600_NS6detail15normal_iteratorINS8_7pointerIyNS8_11hip_rocprim5par_tENS8_11use_defaultESE_EEEENSA_INSB_IlSD_SE_SE_EEEEZNS1_13binary_searchIS3_S5_PySG_SI_NS1_21lower_bound_search_opENS9_16wrapped_functionINS8_6system6detail7generic6detail18binary_search_lessEbEEEE10hipError_tPvRmT1_T2_T3_mmT4_T5_P12ihipStream_tbEUlRKyE_EEST_SX_SY_mSZ_S12_bEUlT_E_NS1_11comp_targetILNS1_3genE10ELNS1_11target_archE1200ELNS1_3gpuE4ELNS1_3repE0EEENS1_30default_config_static_selectorELNS0_4arch9wavefront6targetE1EEEvSW_.numbered_sgpr, 0
	.set _ZN7rocprim17ROCPRIM_400000_NS6detail17trampoline_kernelINS0_14default_configENS1_27lower_bound_config_selectorIylEEZNS1_14transform_implILb0ES3_S5_N6thrust23THRUST_200600_302600_NS6detail15normal_iteratorINS8_7pointerIyNS8_11hip_rocprim5par_tENS8_11use_defaultESE_EEEENSA_INSB_IlSD_SE_SE_EEEEZNS1_13binary_searchIS3_S5_PySG_SI_NS1_21lower_bound_search_opENS9_16wrapped_functionINS8_6system6detail7generic6detail18binary_search_lessEbEEEE10hipError_tPvRmT1_T2_T3_mmT4_T5_P12ihipStream_tbEUlRKyE_EEST_SX_SY_mSZ_S12_bEUlT_E_NS1_11comp_targetILNS1_3genE10ELNS1_11target_archE1200ELNS1_3gpuE4ELNS1_3repE0EEENS1_30default_config_static_selectorELNS0_4arch9wavefront6targetE1EEEvSW_.num_named_barrier, 0
	.set _ZN7rocprim17ROCPRIM_400000_NS6detail17trampoline_kernelINS0_14default_configENS1_27lower_bound_config_selectorIylEEZNS1_14transform_implILb0ES3_S5_N6thrust23THRUST_200600_302600_NS6detail15normal_iteratorINS8_7pointerIyNS8_11hip_rocprim5par_tENS8_11use_defaultESE_EEEENSA_INSB_IlSD_SE_SE_EEEEZNS1_13binary_searchIS3_S5_PySG_SI_NS1_21lower_bound_search_opENS9_16wrapped_functionINS8_6system6detail7generic6detail18binary_search_lessEbEEEE10hipError_tPvRmT1_T2_T3_mmT4_T5_P12ihipStream_tbEUlRKyE_EEST_SX_SY_mSZ_S12_bEUlT_E_NS1_11comp_targetILNS1_3genE10ELNS1_11target_archE1200ELNS1_3gpuE4ELNS1_3repE0EEENS1_30default_config_static_selectorELNS0_4arch9wavefront6targetE1EEEvSW_.private_seg_size, 0
	.set _ZN7rocprim17ROCPRIM_400000_NS6detail17trampoline_kernelINS0_14default_configENS1_27lower_bound_config_selectorIylEEZNS1_14transform_implILb0ES3_S5_N6thrust23THRUST_200600_302600_NS6detail15normal_iteratorINS8_7pointerIyNS8_11hip_rocprim5par_tENS8_11use_defaultESE_EEEENSA_INSB_IlSD_SE_SE_EEEEZNS1_13binary_searchIS3_S5_PySG_SI_NS1_21lower_bound_search_opENS9_16wrapped_functionINS8_6system6detail7generic6detail18binary_search_lessEbEEEE10hipError_tPvRmT1_T2_T3_mmT4_T5_P12ihipStream_tbEUlRKyE_EEST_SX_SY_mSZ_S12_bEUlT_E_NS1_11comp_targetILNS1_3genE10ELNS1_11target_archE1200ELNS1_3gpuE4ELNS1_3repE0EEENS1_30default_config_static_selectorELNS0_4arch9wavefront6targetE1EEEvSW_.uses_vcc, 0
	.set _ZN7rocprim17ROCPRIM_400000_NS6detail17trampoline_kernelINS0_14default_configENS1_27lower_bound_config_selectorIylEEZNS1_14transform_implILb0ES3_S5_N6thrust23THRUST_200600_302600_NS6detail15normal_iteratorINS8_7pointerIyNS8_11hip_rocprim5par_tENS8_11use_defaultESE_EEEENSA_INSB_IlSD_SE_SE_EEEEZNS1_13binary_searchIS3_S5_PySG_SI_NS1_21lower_bound_search_opENS9_16wrapped_functionINS8_6system6detail7generic6detail18binary_search_lessEbEEEE10hipError_tPvRmT1_T2_T3_mmT4_T5_P12ihipStream_tbEUlRKyE_EEST_SX_SY_mSZ_S12_bEUlT_E_NS1_11comp_targetILNS1_3genE10ELNS1_11target_archE1200ELNS1_3gpuE4ELNS1_3repE0EEENS1_30default_config_static_selectorELNS0_4arch9wavefront6targetE1EEEvSW_.uses_flat_scratch, 0
	.set _ZN7rocprim17ROCPRIM_400000_NS6detail17trampoline_kernelINS0_14default_configENS1_27lower_bound_config_selectorIylEEZNS1_14transform_implILb0ES3_S5_N6thrust23THRUST_200600_302600_NS6detail15normal_iteratorINS8_7pointerIyNS8_11hip_rocprim5par_tENS8_11use_defaultESE_EEEENSA_INSB_IlSD_SE_SE_EEEEZNS1_13binary_searchIS3_S5_PySG_SI_NS1_21lower_bound_search_opENS9_16wrapped_functionINS8_6system6detail7generic6detail18binary_search_lessEbEEEE10hipError_tPvRmT1_T2_T3_mmT4_T5_P12ihipStream_tbEUlRKyE_EEST_SX_SY_mSZ_S12_bEUlT_E_NS1_11comp_targetILNS1_3genE10ELNS1_11target_archE1200ELNS1_3gpuE4ELNS1_3repE0EEENS1_30default_config_static_selectorELNS0_4arch9wavefront6targetE1EEEvSW_.has_dyn_sized_stack, 0
	.set _ZN7rocprim17ROCPRIM_400000_NS6detail17trampoline_kernelINS0_14default_configENS1_27lower_bound_config_selectorIylEEZNS1_14transform_implILb0ES3_S5_N6thrust23THRUST_200600_302600_NS6detail15normal_iteratorINS8_7pointerIyNS8_11hip_rocprim5par_tENS8_11use_defaultESE_EEEENSA_INSB_IlSD_SE_SE_EEEEZNS1_13binary_searchIS3_S5_PySG_SI_NS1_21lower_bound_search_opENS9_16wrapped_functionINS8_6system6detail7generic6detail18binary_search_lessEbEEEE10hipError_tPvRmT1_T2_T3_mmT4_T5_P12ihipStream_tbEUlRKyE_EEST_SX_SY_mSZ_S12_bEUlT_E_NS1_11comp_targetILNS1_3genE10ELNS1_11target_archE1200ELNS1_3gpuE4ELNS1_3repE0EEENS1_30default_config_static_selectorELNS0_4arch9wavefront6targetE1EEEvSW_.has_recursion, 0
	.set _ZN7rocprim17ROCPRIM_400000_NS6detail17trampoline_kernelINS0_14default_configENS1_27lower_bound_config_selectorIylEEZNS1_14transform_implILb0ES3_S5_N6thrust23THRUST_200600_302600_NS6detail15normal_iteratorINS8_7pointerIyNS8_11hip_rocprim5par_tENS8_11use_defaultESE_EEEENSA_INSB_IlSD_SE_SE_EEEEZNS1_13binary_searchIS3_S5_PySG_SI_NS1_21lower_bound_search_opENS9_16wrapped_functionINS8_6system6detail7generic6detail18binary_search_lessEbEEEE10hipError_tPvRmT1_T2_T3_mmT4_T5_P12ihipStream_tbEUlRKyE_EEST_SX_SY_mSZ_S12_bEUlT_E_NS1_11comp_targetILNS1_3genE10ELNS1_11target_archE1200ELNS1_3gpuE4ELNS1_3repE0EEENS1_30default_config_static_selectorELNS0_4arch9wavefront6targetE1EEEvSW_.has_indirect_call, 0
	.section	.AMDGPU.csdata,"",@progbits
; Kernel info:
; codeLenInByte = 0
; TotalNumSgprs: 4
; NumVgprs: 0
; ScratchSize: 0
; MemoryBound: 0
; FloatMode: 240
; IeeeMode: 1
; LDSByteSize: 0 bytes/workgroup (compile time only)
; SGPRBlocks: 0
; VGPRBlocks: 0
; NumSGPRsForWavesPerEU: 4
; NumVGPRsForWavesPerEU: 1
; Occupancy: 10
; WaveLimiterHint : 0
; COMPUTE_PGM_RSRC2:SCRATCH_EN: 0
; COMPUTE_PGM_RSRC2:USER_SGPR: 6
; COMPUTE_PGM_RSRC2:TRAP_HANDLER: 0
; COMPUTE_PGM_RSRC2:TGID_X_EN: 1
; COMPUTE_PGM_RSRC2:TGID_Y_EN: 0
; COMPUTE_PGM_RSRC2:TGID_Z_EN: 0
; COMPUTE_PGM_RSRC2:TIDIG_COMP_CNT: 0
	.section	.text._ZN7rocprim17ROCPRIM_400000_NS6detail17trampoline_kernelINS0_14default_configENS1_27lower_bound_config_selectorIylEEZNS1_14transform_implILb0ES3_S5_N6thrust23THRUST_200600_302600_NS6detail15normal_iteratorINS8_7pointerIyNS8_11hip_rocprim5par_tENS8_11use_defaultESE_EEEENSA_INSB_IlSD_SE_SE_EEEEZNS1_13binary_searchIS3_S5_PySG_SI_NS1_21lower_bound_search_opENS9_16wrapped_functionINS8_6system6detail7generic6detail18binary_search_lessEbEEEE10hipError_tPvRmT1_T2_T3_mmT4_T5_P12ihipStream_tbEUlRKyE_EEST_SX_SY_mSZ_S12_bEUlT_E_NS1_11comp_targetILNS1_3genE9ELNS1_11target_archE1100ELNS1_3gpuE3ELNS1_3repE0EEENS1_30default_config_static_selectorELNS0_4arch9wavefront6targetE1EEEvSW_,"axG",@progbits,_ZN7rocprim17ROCPRIM_400000_NS6detail17trampoline_kernelINS0_14default_configENS1_27lower_bound_config_selectorIylEEZNS1_14transform_implILb0ES3_S5_N6thrust23THRUST_200600_302600_NS6detail15normal_iteratorINS8_7pointerIyNS8_11hip_rocprim5par_tENS8_11use_defaultESE_EEEENSA_INSB_IlSD_SE_SE_EEEEZNS1_13binary_searchIS3_S5_PySG_SI_NS1_21lower_bound_search_opENS9_16wrapped_functionINS8_6system6detail7generic6detail18binary_search_lessEbEEEE10hipError_tPvRmT1_T2_T3_mmT4_T5_P12ihipStream_tbEUlRKyE_EEST_SX_SY_mSZ_S12_bEUlT_E_NS1_11comp_targetILNS1_3genE9ELNS1_11target_archE1100ELNS1_3gpuE3ELNS1_3repE0EEENS1_30default_config_static_selectorELNS0_4arch9wavefront6targetE1EEEvSW_,comdat
	.protected	_ZN7rocprim17ROCPRIM_400000_NS6detail17trampoline_kernelINS0_14default_configENS1_27lower_bound_config_selectorIylEEZNS1_14transform_implILb0ES3_S5_N6thrust23THRUST_200600_302600_NS6detail15normal_iteratorINS8_7pointerIyNS8_11hip_rocprim5par_tENS8_11use_defaultESE_EEEENSA_INSB_IlSD_SE_SE_EEEEZNS1_13binary_searchIS3_S5_PySG_SI_NS1_21lower_bound_search_opENS9_16wrapped_functionINS8_6system6detail7generic6detail18binary_search_lessEbEEEE10hipError_tPvRmT1_T2_T3_mmT4_T5_P12ihipStream_tbEUlRKyE_EEST_SX_SY_mSZ_S12_bEUlT_E_NS1_11comp_targetILNS1_3genE9ELNS1_11target_archE1100ELNS1_3gpuE3ELNS1_3repE0EEENS1_30default_config_static_selectorELNS0_4arch9wavefront6targetE1EEEvSW_ ; -- Begin function _ZN7rocprim17ROCPRIM_400000_NS6detail17trampoline_kernelINS0_14default_configENS1_27lower_bound_config_selectorIylEEZNS1_14transform_implILb0ES3_S5_N6thrust23THRUST_200600_302600_NS6detail15normal_iteratorINS8_7pointerIyNS8_11hip_rocprim5par_tENS8_11use_defaultESE_EEEENSA_INSB_IlSD_SE_SE_EEEEZNS1_13binary_searchIS3_S5_PySG_SI_NS1_21lower_bound_search_opENS9_16wrapped_functionINS8_6system6detail7generic6detail18binary_search_lessEbEEEE10hipError_tPvRmT1_T2_T3_mmT4_T5_P12ihipStream_tbEUlRKyE_EEST_SX_SY_mSZ_S12_bEUlT_E_NS1_11comp_targetILNS1_3genE9ELNS1_11target_archE1100ELNS1_3gpuE3ELNS1_3repE0EEENS1_30default_config_static_selectorELNS0_4arch9wavefront6targetE1EEEvSW_
	.globl	_ZN7rocprim17ROCPRIM_400000_NS6detail17trampoline_kernelINS0_14default_configENS1_27lower_bound_config_selectorIylEEZNS1_14transform_implILb0ES3_S5_N6thrust23THRUST_200600_302600_NS6detail15normal_iteratorINS8_7pointerIyNS8_11hip_rocprim5par_tENS8_11use_defaultESE_EEEENSA_INSB_IlSD_SE_SE_EEEEZNS1_13binary_searchIS3_S5_PySG_SI_NS1_21lower_bound_search_opENS9_16wrapped_functionINS8_6system6detail7generic6detail18binary_search_lessEbEEEE10hipError_tPvRmT1_T2_T3_mmT4_T5_P12ihipStream_tbEUlRKyE_EEST_SX_SY_mSZ_S12_bEUlT_E_NS1_11comp_targetILNS1_3genE9ELNS1_11target_archE1100ELNS1_3gpuE3ELNS1_3repE0EEENS1_30default_config_static_selectorELNS0_4arch9wavefront6targetE1EEEvSW_
	.p2align	8
	.type	_ZN7rocprim17ROCPRIM_400000_NS6detail17trampoline_kernelINS0_14default_configENS1_27lower_bound_config_selectorIylEEZNS1_14transform_implILb0ES3_S5_N6thrust23THRUST_200600_302600_NS6detail15normal_iteratorINS8_7pointerIyNS8_11hip_rocprim5par_tENS8_11use_defaultESE_EEEENSA_INSB_IlSD_SE_SE_EEEEZNS1_13binary_searchIS3_S5_PySG_SI_NS1_21lower_bound_search_opENS9_16wrapped_functionINS8_6system6detail7generic6detail18binary_search_lessEbEEEE10hipError_tPvRmT1_T2_T3_mmT4_T5_P12ihipStream_tbEUlRKyE_EEST_SX_SY_mSZ_S12_bEUlT_E_NS1_11comp_targetILNS1_3genE9ELNS1_11target_archE1100ELNS1_3gpuE3ELNS1_3repE0EEENS1_30default_config_static_selectorELNS0_4arch9wavefront6targetE1EEEvSW_,@function
_ZN7rocprim17ROCPRIM_400000_NS6detail17trampoline_kernelINS0_14default_configENS1_27lower_bound_config_selectorIylEEZNS1_14transform_implILb0ES3_S5_N6thrust23THRUST_200600_302600_NS6detail15normal_iteratorINS8_7pointerIyNS8_11hip_rocprim5par_tENS8_11use_defaultESE_EEEENSA_INSB_IlSD_SE_SE_EEEEZNS1_13binary_searchIS3_S5_PySG_SI_NS1_21lower_bound_search_opENS9_16wrapped_functionINS8_6system6detail7generic6detail18binary_search_lessEbEEEE10hipError_tPvRmT1_T2_T3_mmT4_T5_P12ihipStream_tbEUlRKyE_EEST_SX_SY_mSZ_S12_bEUlT_E_NS1_11comp_targetILNS1_3genE9ELNS1_11target_archE1100ELNS1_3gpuE3ELNS1_3repE0EEENS1_30default_config_static_selectorELNS0_4arch9wavefront6targetE1EEEvSW_: ; @_ZN7rocprim17ROCPRIM_400000_NS6detail17trampoline_kernelINS0_14default_configENS1_27lower_bound_config_selectorIylEEZNS1_14transform_implILb0ES3_S5_N6thrust23THRUST_200600_302600_NS6detail15normal_iteratorINS8_7pointerIyNS8_11hip_rocprim5par_tENS8_11use_defaultESE_EEEENSA_INSB_IlSD_SE_SE_EEEEZNS1_13binary_searchIS3_S5_PySG_SI_NS1_21lower_bound_search_opENS9_16wrapped_functionINS8_6system6detail7generic6detail18binary_search_lessEbEEEE10hipError_tPvRmT1_T2_T3_mmT4_T5_P12ihipStream_tbEUlRKyE_EEST_SX_SY_mSZ_S12_bEUlT_E_NS1_11comp_targetILNS1_3genE9ELNS1_11target_archE1100ELNS1_3gpuE3ELNS1_3repE0EEENS1_30default_config_static_selectorELNS0_4arch9wavefront6targetE1EEEvSW_
; %bb.0:
	.section	.rodata,"a",@progbits
	.p2align	6, 0x0
	.amdhsa_kernel _ZN7rocprim17ROCPRIM_400000_NS6detail17trampoline_kernelINS0_14default_configENS1_27lower_bound_config_selectorIylEEZNS1_14transform_implILb0ES3_S5_N6thrust23THRUST_200600_302600_NS6detail15normal_iteratorINS8_7pointerIyNS8_11hip_rocprim5par_tENS8_11use_defaultESE_EEEENSA_INSB_IlSD_SE_SE_EEEEZNS1_13binary_searchIS3_S5_PySG_SI_NS1_21lower_bound_search_opENS9_16wrapped_functionINS8_6system6detail7generic6detail18binary_search_lessEbEEEE10hipError_tPvRmT1_T2_T3_mmT4_T5_P12ihipStream_tbEUlRKyE_EEST_SX_SY_mSZ_S12_bEUlT_E_NS1_11comp_targetILNS1_3genE9ELNS1_11target_archE1100ELNS1_3gpuE3ELNS1_3repE0EEENS1_30default_config_static_selectorELNS0_4arch9wavefront6targetE1EEEvSW_
		.amdhsa_group_segment_fixed_size 0
		.amdhsa_private_segment_fixed_size 0
		.amdhsa_kernarg_size 56
		.amdhsa_user_sgpr_count 6
		.amdhsa_user_sgpr_private_segment_buffer 1
		.amdhsa_user_sgpr_dispatch_ptr 0
		.amdhsa_user_sgpr_queue_ptr 0
		.amdhsa_user_sgpr_kernarg_segment_ptr 1
		.amdhsa_user_sgpr_dispatch_id 0
		.amdhsa_user_sgpr_flat_scratch_init 0
		.amdhsa_user_sgpr_private_segment_size 0
		.amdhsa_uses_dynamic_stack 0
		.amdhsa_system_sgpr_private_segment_wavefront_offset 0
		.amdhsa_system_sgpr_workgroup_id_x 1
		.amdhsa_system_sgpr_workgroup_id_y 0
		.amdhsa_system_sgpr_workgroup_id_z 0
		.amdhsa_system_sgpr_workgroup_info 0
		.amdhsa_system_vgpr_workitem_id 0
		.amdhsa_next_free_vgpr 1
		.amdhsa_next_free_sgpr 0
		.amdhsa_reserve_vcc 0
		.amdhsa_reserve_flat_scratch 0
		.amdhsa_float_round_mode_32 0
		.amdhsa_float_round_mode_16_64 0
		.amdhsa_float_denorm_mode_32 3
		.amdhsa_float_denorm_mode_16_64 3
		.amdhsa_dx10_clamp 1
		.amdhsa_ieee_mode 1
		.amdhsa_fp16_overflow 0
		.amdhsa_exception_fp_ieee_invalid_op 0
		.amdhsa_exception_fp_denorm_src 0
		.amdhsa_exception_fp_ieee_div_zero 0
		.amdhsa_exception_fp_ieee_overflow 0
		.amdhsa_exception_fp_ieee_underflow 0
		.amdhsa_exception_fp_ieee_inexact 0
		.amdhsa_exception_int_div_zero 0
	.end_amdhsa_kernel
	.section	.text._ZN7rocprim17ROCPRIM_400000_NS6detail17trampoline_kernelINS0_14default_configENS1_27lower_bound_config_selectorIylEEZNS1_14transform_implILb0ES3_S5_N6thrust23THRUST_200600_302600_NS6detail15normal_iteratorINS8_7pointerIyNS8_11hip_rocprim5par_tENS8_11use_defaultESE_EEEENSA_INSB_IlSD_SE_SE_EEEEZNS1_13binary_searchIS3_S5_PySG_SI_NS1_21lower_bound_search_opENS9_16wrapped_functionINS8_6system6detail7generic6detail18binary_search_lessEbEEEE10hipError_tPvRmT1_T2_T3_mmT4_T5_P12ihipStream_tbEUlRKyE_EEST_SX_SY_mSZ_S12_bEUlT_E_NS1_11comp_targetILNS1_3genE9ELNS1_11target_archE1100ELNS1_3gpuE3ELNS1_3repE0EEENS1_30default_config_static_selectorELNS0_4arch9wavefront6targetE1EEEvSW_,"axG",@progbits,_ZN7rocprim17ROCPRIM_400000_NS6detail17trampoline_kernelINS0_14default_configENS1_27lower_bound_config_selectorIylEEZNS1_14transform_implILb0ES3_S5_N6thrust23THRUST_200600_302600_NS6detail15normal_iteratorINS8_7pointerIyNS8_11hip_rocprim5par_tENS8_11use_defaultESE_EEEENSA_INSB_IlSD_SE_SE_EEEEZNS1_13binary_searchIS3_S5_PySG_SI_NS1_21lower_bound_search_opENS9_16wrapped_functionINS8_6system6detail7generic6detail18binary_search_lessEbEEEE10hipError_tPvRmT1_T2_T3_mmT4_T5_P12ihipStream_tbEUlRKyE_EEST_SX_SY_mSZ_S12_bEUlT_E_NS1_11comp_targetILNS1_3genE9ELNS1_11target_archE1100ELNS1_3gpuE3ELNS1_3repE0EEENS1_30default_config_static_selectorELNS0_4arch9wavefront6targetE1EEEvSW_,comdat
.Lfunc_end60:
	.size	_ZN7rocprim17ROCPRIM_400000_NS6detail17trampoline_kernelINS0_14default_configENS1_27lower_bound_config_selectorIylEEZNS1_14transform_implILb0ES3_S5_N6thrust23THRUST_200600_302600_NS6detail15normal_iteratorINS8_7pointerIyNS8_11hip_rocprim5par_tENS8_11use_defaultESE_EEEENSA_INSB_IlSD_SE_SE_EEEEZNS1_13binary_searchIS3_S5_PySG_SI_NS1_21lower_bound_search_opENS9_16wrapped_functionINS8_6system6detail7generic6detail18binary_search_lessEbEEEE10hipError_tPvRmT1_T2_T3_mmT4_T5_P12ihipStream_tbEUlRKyE_EEST_SX_SY_mSZ_S12_bEUlT_E_NS1_11comp_targetILNS1_3genE9ELNS1_11target_archE1100ELNS1_3gpuE3ELNS1_3repE0EEENS1_30default_config_static_selectorELNS0_4arch9wavefront6targetE1EEEvSW_, .Lfunc_end60-_ZN7rocprim17ROCPRIM_400000_NS6detail17trampoline_kernelINS0_14default_configENS1_27lower_bound_config_selectorIylEEZNS1_14transform_implILb0ES3_S5_N6thrust23THRUST_200600_302600_NS6detail15normal_iteratorINS8_7pointerIyNS8_11hip_rocprim5par_tENS8_11use_defaultESE_EEEENSA_INSB_IlSD_SE_SE_EEEEZNS1_13binary_searchIS3_S5_PySG_SI_NS1_21lower_bound_search_opENS9_16wrapped_functionINS8_6system6detail7generic6detail18binary_search_lessEbEEEE10hipError_tPvRmT1_T2_T3_mmT4_T5_P12ihipStream_tbEUlRKyE_EEST_SX_SY_mSZ_S12_bEUlT_E_NS1_11comp_targetILNS1_3genE9ELNS1_11target_archE1100ELNS1_3gpuE3ELNS1_3repE0EEENS1_30default_config_static_selectorELNS0_4arch9wavefront6targetE1EEEvSW_
                                        ; -- End function
	.set _ZN7rocprim17ROCPRIM_400000_NS6detail17trampoline_kernelINS0_14default_configENS1_27lower_bound_config_selectorIylEEZNS1_14transform_implILb0ES3_S5_N6thrust23THRUST_200600_302600_NS6detail15normal_iteratorINS8_7pointerIyNS8_11hip_rocprim5par_tENS8_11use_defaultESE_EEEENSA_INSB_IlSD_SE_SE_EEEEZNS1_13binary_searchIS3_S5_PySG_SI_NS1_21lower_bound_search_opENS9_16wrapped_functionINS8_6system6detail7generic6detail18binary_search_lessEbEEEE10hipError_tPvRmT1_T2_T3_mmT4_T5_P12ihipStream_tbEUlRKyE_EEST_SX_SY_mSZ_S12_bEUlT_E_NS1_11comp_targetILNS1_3genE9ELNS1_11target_archE1100ELNS1_3gpuE3ELNS1_3repE0EEENS1_30default_config_static_selectorELNS0_4arch9wavefront6targetE1EEEvSW_.num_vgpr, 0
	.set _ZN7rocprim17ROCPRIM_400000_NS6detail17trampoline_kernelINS0_14default_configENS1_27lower_bound_config_selectorIylEEZNS1_14transform_implILb0ES3_S5_N6thrust23THRUST_200600_302600_NS6detail15normal_iteratorINS8_7pointerIyNS8_11hip_rocprim5par_tENS8_11use_defaultESE_EEEENSA_INSB_IlSD_SE_SE_EEEEZNS1_13binary_searchIS3_S5_PySG_SI_NS1_21lower_bound_search_opENS9_16wrapped_functionINS8_6system6detail7generic6detail18binary_search_lessEbEEEE10hipError_tPvRmT1_T2_T3_mmT4_T5_P12ihipStream_tbEUlRKyE_EEST_SX_SY_mSZ_S12_bEUlT_E_NS1_11comp_targetILNS1_3genE9ELNS1_11target_archE1100ELNS1_3gpuE3ELNS1_3repE0EEENS1_30default_config_static_selectorELNS0_4arch9wavefront6targetE1EEEvSW_.num_agpr, 0
	.set _ZN7rocprim17ROCPRIM_400000_NS6detail17trampoline_kernelINS0_14default_configENS1_27lower_bound_config_selectorIylEEZNS1_14transform_implILb0ES3_S5_N6thrust23THRUST_200600_302600_NS6detail15normal_iteratorINS8_7pointerIyNS8_11hip_rocprim5par_tENS8_11use_defaultESE_EEEENSA_INSB_IlSD_SE_SE_EEEEZNS1_13binary_searchIS3_S5_PySG_SI_NS1_21lower_bound_search_opENS9_16wrapped_functionINS8_6system6detail7generic6detail18binary_search_lessEbEEEE10hipError_tPvRmT1_T2_T3_mmT4_T5_P12ihipStream_tbEUlRKyE_EEST_SX_SY_mSZ_S12_bEUlT_E_NS1_11comp_targetILNS1_3genE9ELNS1_11target_archE1100ELNS1_3gpuE3ELNS1_3repE0EEENS1_30default_config_static_selectorELNS0_4arch9wavefront6targetE1EEEvSW_.numbered_sgpr, 0
	.set _ZN7rocprim17ROCPRIM_400000_NS6detail17trampoline_kernelINS0_14default_configENS1_27lower_bound_config_selectorIylEEZNS1_14transform_implILb0ES3_S5_N6thrust23THRUST_200600_302600_NS6detail15normal_iteratorINS8_7pointerIyNS8_11hip_rocprim5par_tENS8_11use_defaultESE_EEEENSA_INSB_IlSD_SE_SE_EEEEZNS1_13binary_searchIS3_S5_PySG_SI_NS1_21lower_bound_search_opENS9_16wrapped_functionINS8_6system6detail7generic6detail18binary_search_lessEbEEEE10hipError_tPvRmT1_T2_T3_mmT4_T5_P12ihipStream_tbEUlRKyE_EEST_SX_SY_mSZ_S12_bEUlT_E_NS1_11comp_targetILNS1_3genE9ELNS1_11target_archE1100ELNS1_3gpuE3ELNS1_3repE0EEENS1_30default_config_static_selectorELNS0_4arch9wavefront6targetE1EEEvSW_.num_named_barrier, 0
	.set _ZN7rocprim17ROCPRIM_400000_NS6detail17trampoline_kernelINS0_14default_configENS1_27lower_bound_config_selectorIylEEZNS1_14transform_implILb0ES3_S5_N6thrust23THRUST_200600_302600_NS6detail15normal_iteratorINS8_7pointerIyNS8_11hip_rocprim5par_tENS8_11use_defaultESE_EEEENSA_INSB_IlSD_SE_SE_EEEEZNS1_13binary_searchIS3_S5_PySG_SI_NS1_21lower_bound_search_opENS9_16wrapped_functionINS8_6system6detail7generic6detail18binary_search_lessEbEEEE10hipError_tPvRmT1_T2_T3_mmT4_T5_P12ihipStream_tbEUlRKyE_EEST_SX_SY_mSZ_S12_bEUlT_E_NS1_11comp_targetILNS1_3genE9ELNS1_11target_archE1100ELNS1_3gpuE3ELNS1_3repE0EEENS1_30default_config_static_selectorELNS0_4arch9wavefront6targetE1EEEvSW_.private_seg_size, 0
	.set _ZN7rocprim17ROCPRIM_400000_NS6detail17trampoline_kernelINS0_14default_configENS1_27lower_bound_config_selectorIylEEZNS1_14transform_implILb0ES3_S5_N6thrust23THRUST_200600_302600_NS6detail15normal_iteratorINS8_7pointerIyNS8_11hip_rocprim5par_tENS8_11use_defaultESE_EEEENSA_INSB_IlSD_SE_SE_EEEEZNS1_13binary_searchIS3_S5_PySG_SI_NS1_21lower_bound_search_opENS9_16wrapped_functionINS8_6system6detail7generic6detail18binary_search_lessEbEEEE10hipError_tPvRmT1_T2_T3_mmT4_T5_P12ihipStream_tbEUlRKyE_EEST_SX_SY_mSZ_S12_bEUlT_E_NS1_11comp_targetILNS1_3genE9ELNS1_11target_archE1100ELNS1_3gpuE3ELNS1_3repE0EEENS1_30default_config_static_selectorELNS0_4arch9wavefront6targetE1EEEvSW_.uses_vcc, 0
	.set _ZN7rocprim17ROCPRIM_400000_NS6detail17trampoline_kernelINS0_14default_configENS1_27lower_bound_config_selectorIylEEZNS1_14transform_implILb0ES3_S5_N6thrust23THRUST_200600_302600_NS6detail15normal_iteratorINS8_7pointerIyNS8_11hip_rocprim5par_tENS8_11use_defaultESE_EEEENSA_INSB_IlSD_SE_SE_EEEEZNS1_13binary_searchIS3_S5_PySG_SI_NS1_21lower_bound_search_opENS9_16wrapped_functionINS8_6system6detail7generic6detail18binary_search_lessEbEEEE10hipError_tPvRmT1_T2_T3_mmT4_T5_P12ihipStream_tbEUlRKyE_EEST_SX_SY_mSZ_S12_bEUlT_E_NS1_11comp_targetILNS1_3genE9ELNS1_11target_archE1100ELNS1_3gpuE3ELNS1_3repE0EEENS1_30default_config_static_selectorELNS0_4arch9wavefront6targetE1EEEvSW_.uses_flat_scratch, 0
	.set _ZN7rocprim17ROCPRIM_400000_NS6detail17trampoline_kernelINS0_14default_configENS1_27lower_bound_config_selectorIylEEZNS1_14transform_implILb0ES3_S5_N6thrust23THRUST_200600_302600_NS6detail15normal_iteratorINS8_7pointerIyNS8_11hip_rocprim5par_tENS8_11use_defaultESE_EEEENSA_INSB_IlSD_SE_SE_EEEEZNS1_13binary_searchIS3_S5_PySG_SI_NS1_21lower_bound_search_opENS9_16wrapped_functionINS8_6system6detail7generic6detail18binary_search_lessEbEEEE10hipError_tPvRmT1_T2_T3_mmT4_T5_P12ihipStream_tbEUlRKyE_EEST_SX_SY_mSZ_S12_bEUlT_E_NS1_11comp_targetILNS1_3genE9ELNS1_11target_archE1100ELNS1_3gpuE3ELNS1_3repE0EEENS1_30default_config_static_selectorELNS0_4arch9wavefront6targetE1EEEvSW_.has_dyn_sized_stack, 0
	.set _ZN7rocprim17ROCPRIM_400000_NS6detail17trampoline_kernelINS0_14default_configENS1_27lower_bound_config_selectorIylEEZNS1_14transform_implILb0ES3_S5_N6thrust23THRUST_200600_302600_NS6detail15normal_iteratorINS8_7pointerIyNS8_11hip_rocprim5par_tENS8_11use_defaultESE_EEEENSA_INSB_IlSD_SE_SE_EEEEZNS1_13binary_searchIS3_S5_PySG_SI_NS1_21lower_bound_search_opENS9_16wrapped_functionINS8_6system6detail7generic6detail18binary_search_lessEbEEEE10hipError_tPvRmT1_T2_T3_mmT4_T5_P12ihipStream_tbEUlRKyE_EEST_SX_SY_mSZ_S12_bEUlT_E_NS1_11comp_targetILNS1_3genE9ELNS1_11target_archE1100ELNS1_3gpuE3ELNS1_3repE0EEENS1_30default_config_static_selectorELNS0_4arch9wavefront6targetE1EEEvSW_.has_recursion, 0
	.set _ZN7rocprim17ROCPRIM_400000_NS6detail17trampoline_kernelINS0_14default_configENS1_27lower_bound_config_selectorIylEEZNS1_14transform_implILb0ES3_S5_N6thrust23THRUST_200600_302600_NS6detail15normal_iteratorINS8_7pointerIyNS8_11hip_rocprim5par_tENS8_11use_defaultESE_EEEENSA_INSB_IlSD_SE_SE_EEEEZNS1_13binary_searchIS3_S5_PySG_SI_NS1_21lower_bound_search_opENS9_16wrapped_functionINS8_6system6detail7generic6detail18binary_search_lessEbEEEE10hipError_tPvRmT1_T2_T3_mmT4_T5_P12ihipStream_tbEUlRKyE_EEST_SX_SY_mSZ_S12_bEUlT_E_NS1_11comp_targetILNS1_3genE9ELNS1_11target_archE1100ELNS1_3gpuE3ELNS1_3repE0EEENS1_30default_config_static_selectorELNS0_4arch9wavefront6targetE1EEEvSW_.has_indirect_call, 0
	.section	.AMDGPU.csdata,"",@progbits
; Kernel info:
; codeLenInByte = 0
; TotalNumSgprs: 4
; NumVgprs: 0
; ScratchSize: 0
; MemoryBound: 0
; FloatMode: 240
; IeeeMode: 1
; LDSByteSize: 0 bytes/workgroup (compile time only)
; SGPRBlocks: 0
; VGPRBlocks: 0
; NumSGPRsForWavesPerEU: 4
; NumVGPRsForWavesPerEU: 1
; Occupancy: 10
; WaveLimiterHint : 0
; COMPUTE_PGM_RSRC2:SCRATCH_EN: 0
; COMPUTE_PGM_RSRC2:USER_SGPR: 6
; COMPUTE_PGM_RSRC2:TRAP_HANDLER: 0
; COMPUTE_PGM_RSRC2:TGID_X_EN: 1
; COMPUTE_PGM_RSRC2:TGID_Y_EN: 0
; COMPUTE_PGM_RSRC2:TGID_Z_EN: 0
; COMPUTE_PGM_RSRC2:TIDIG_COMP_CNT: 0
	.section	.text._ZN7rocprim17ROCPRIM_400000_NS6detail17trampoline_kernelINS0_14default_configENS1_27lower_bound_config_selectorIylEEZNS1_14transform_implILb0ES3_S5_N6thrust23THRUST_200600_302600_NS6detail15normal_iteratorINS8_7pointerIyNS8_11hip_rocprim5par_tENS8_11use_defaultESE_EEEENSA_INSB_IlSD_SE_SE_EEEEZNS1_13binary_searchIS3_S5_PySG_SI_NS1_21lower_bound_search_opENS9_16wrapped_functionINS8_6system6detail7generic6detail18binary_search_lessEbEEEE10hipError_tPvRmT1_T2_T3_mmT4_T5_P12ihipStream_tbEUlRKyE_EEST_SX_SY_mSZ_S12_bEUlT_E_NS1_11comp_targetILNS1_3genE8ELNS1_11target_archE1030ELNS1_3gpuE2ELNS1_3repE0EEENS1_30default_config_static_selectorELNS0_4arch9wavefront6targetE1EEEvSW_,"axG",@progbits,_ZN7rocprim17ROCPRIM_400000_NS6detail17trampoline_kernelINS0_14default_configENS1_27lower_bound_config_selectorIylEEZNS1_14transform_implILb0ES3_S5_N6thrust23THRUST_200600_302600_NS6detail15normal_iteratorINS8_7pointerIyNS8_11hip_rocprim5par_tENS8_11use_defaultESE_EEEENSA_INSB_IlSD_SE_SE_EEEEZNS1_13binary_searchIS3_S5_PySG_SI_NS1_21lower_bound_search_opENS9_16wrapped_functionINS8_6system6detail7generic6detail18binary_search_lessEbEEEE10hipError_tPvRmT1_T2_T3_mmT4_T5_P12ihipStream_tbEUlRKyE_EEST_SX_SY_mSZ_S12_bEUlT_E_NS1_11comp_targetILNS1_3genE8ELNS1_11target_archE1030ELNS1_3gpuE2ELNS1_3repE0EEENS1_30default_config_static_selectorELNS0_4arch9wavefront6targetE1EEEvSW_,comdat
	.protected	_ZN7rocprim17ROCPRIM_400000_NS6detail17trampoline_kernelINS0_14default_configENS1_27lower_bound_config_selectorIylEEZNS1_14transform_implILb0ES3_S5_N6thrust23THRUST_200600_302600_NS6detail15normal_iteratorINS8_7pointerIyNS8_11hip_rocprim5par_tENS8_11use_defaultESE_EEEENSA_INSB_IlSD_SE_SE_EEEEZNS1_13binary_searchIS3_S5_PySG_SI_NS1_21lower_bound_search_opENS9_16wrapped_functionINS8_6system6detail7generic6detail18binary_search_lessEbEEEE10hipError_tPvRmT1_T2_T3_mmT4_T5_P12ihipStream_tbEUlRKyE_EEST_SX_SY_mSZ_S12_bEUlT_E_NS1_11comp_targetILNS1_3genE8ELNS1_11target_archE1030ELNS1_3gpuE2ELNS1_3repE0EEENS1_30default_config_static_selectorELNS0_4arch9wavefront6targetE1EEEvSW_ ; -- Begin function _ZN7rocprim17ROCPRIM_400000_NS6detail17trampoline_kernelINS0_14default_configENS1_27lower_bound_config_selectorIylEEZNS1_14transform_implILb0ES3_S5_N6thrust23THRUST_200600_302600_NS6detail15normal_iteratorINS8_7pointerIyNS8_11hip_rocprim5par_tENS8_11use_defaultESE_EEEENSA_INSB_IlSD_SE_SE_EEEEZNS1_13binary_searchIS3_S5_PySG_SI_NS1_21lower_bound_search_opENS9_16wrapped_functionINS8_6system6detail7generic6detail18binary_search_lessEbEEEE10hipError_tPvRmT1_T2_T3_mmT4_T5_P12ihipStream_tbEUlRKyE_EEST_SX_SY_mSZ_S12_bEUlT_E_NS1_11comp_targetILNS1_3genE8ELNS1_11target_archE1030ELNS1_3gpuE2ELNS1_3repE0EEENS1_30default_config_static_selectorELNS0_4arch9wavefront6targetE1EEEvSW_
	.globl	_ZN7rocprim17ROCPRIM_400000_NS6detail17trampoline_kernelINS0_14default_configENS1_27lower_bound_config_selectorIylEEZNS1_14transform_implILb0ES3_S5_N6thrust23THRUST_200600_302600_NS6detail15normal_iteratorINS8_7pointerIyNS8_11hip_rocprim5par_tENS8_11use_defaultESE_EEEENSA_INSB_IlSD_SE_SE_EEEEZNS1_13binary_searchIS3_S5_PySG_SI_NS1_21lower_bound_search_opENS9_16wrapped_functionINS8_6system6detail7generic6detail18binary_search_lessEbEEEE10hipError_tPvRmT1_T2_T3_mmT4_T5_P12ihipStream_tbEUlRKyE_EEST_SX_SY_mSZ_S12_bEUlT_E_NS1_11comp_targetILNS1_3genE8ELNS1_11target_archE1030ELNS1_3gpuE2ELNS1_3repE0EEENS1_30default_config_static_selectorELNS0_4arch9wavefront6targetE1EEEvSW_
	.p2align	8
	.type	_ZN7rocprim17ROCPRIM_400000_NS6detail17trampoline_kernelINS0_14default_configENS1_27lower_bound_config_selectorIylEEZNS1_14transform_implILb0ES3_S5_N6thrust23THRUST_200600_302600_NS6detail15normal_iteratorINS8_7pointerIyNS8_11hip_rocprim5par_tENS8_11use_defaultESE_EEEENSA_INSB_IlSD_SE_SE_EEEEZNS1_13binary_searchIS3_S5_PySG_SI_NS1_21lower_bound_search_opENS9_16wrapped_functionINS8_6system6detail7generic6detail18binary_search_lessEbEEEE10hipError_tPvRmT1_T2_T3_mmT4_T5_P12ihipStream_tbEUlRKyE_EEST_SX_SY_mSZ_S12_bEUlT_E_NS1_11comp_targetILNS1_3genE8ELNS1_11target_archE1030ELNS1_3gpuE2ELNS1_3repE0EEENS1_30default_config_static_selectorELNS0_4arch9wavefront6targetE1EEEvSW_,@function
_ZN7rocprim17ROCPRIM_400000_NS6detail17trampoline_kernelINS0_14default_configENS1_27lower_bound_config_selectorIylEEZNS1_14transform_implILb0ES3_S5_N6thrust23THRUST_200600_302600_NS6detail15normal_iteratorINS8_7pointerIyNS8_11hip_rocprim5par_tENS8_11use_defaultESE_EEEENSA_INSB_IlSD_SE_SE_EEEEZNS1_13binary_searchIS3_S5_PySG_SI_NS1_21lower_bound_search_opENS9_16wrapped_functionINS8_6system6detail7generic6detail18binary_search_lessEbEEEE10hipError_tPvRmT1_T2_T3_mmT4_T5_P12ihipStream_tbEUlRKyE_EEST_SX_SY_mSZ_S12_bEUlT_E_NS1_11comp_targetILNS1_3genE8ELNS1_11target_archE1030ELNS1_3gpuE2ELNS1_3repE0EEENS1_30default_config_static_selectorELNS0_4arch9wavefront6targetE1EEEvSW_: ; @_ZN7rocprim17ROCPRIM_400000_NS6detail17trampoline_kernelINS0_14default_configENS1_27lower_bound_config_selectorIylEEZNS1_14transform_implILb0ES3_S5_N6thrust23THRUST_200600_302600_NS6detail15normal_iteratorINS8_7pointerIyNS8_11hip_rocprim5par_tENS8_11use_defaultESE_EEEENSA_INSB_IlSD_SE_SE_EEEEZNS1_13binary_searchIS3_S5_PySG_SI_NS1_21lower_bound_search_opENS9_16wrapped_functionINS8_6system6detail7generic6detail18binary_search_lessEbEEEE10hipError_tPvRmT1_T2_T3_mmT4_T5_P12ihipStream_tbEUlRKyE_EEST_SX_SY_mSZ_S12_bEUlT_E_NS1_11comp_targetILNS1_3genE8ELNS1_11target_archE1030ELNS1_3gpuE2ELNS1_3repE0EEENS1_30default_config_static_selectorELNS0_4arch9wavefront6targetE1EEEvSW_
; %bb.0:
	.section	.rodata,"a",@progbits
	.p2align	6, 0x0
	.amdhsa_kernel _ZN7rocprim17ROCPRIM_400000_NS6detail17trampoline_kernelINS0_14default_configENS1_27lower_bound_config_selectorIylEEZNS1_14transform_implILb0ES3_S5_N6thrust23THRUST_200600_302600_NS6detail15normal_iteratorINS8_7pointerIyNS8_11hip_rocprim5par_tENS8_11use_defaultESE_EEEENSA_INSB_IlSD_SE_SE_EEEEZNS1_13binary_searchIS3_S5_PySG_SI_NS1_21lower_bound_search_opENS9_16wrapped_functionINS8_6system6detail7generic6detail18binary_search_lessEbEEEE10hipError_tPvRmT1_T2_T3_mmT4_T5_P12ihipStream_tbEUlRKyE_EEST_SX_SY_mSZ_S12_bEUlT_E_NS1_11comp_targetILNS1_3genE8ELNS1_11target_archE1030ELNS1_3gpuE2ELNS1_3repE0EEENS1_30default_config_static_selectorELNS0_4arch9wavefront6targetE1EEEvSW_
		.amdhsa_group_segment_fixed_size 0
		.amdhsa_private_segment_fixed_size 0
		.amdhsa_kernarg_size 56
		.amdhsa_user_sgpr_count 6
		.amdhsa_user_sgpr_private_segment_buffer 1
		.amdhsa_user_sgpr_dispatch_ptr 0
		.amdhsa_user_sgpr_queue_ptr 0
		.amdhsa_user_sgpr_kernarg_segment_ptr 1
		.amdhsa_user_sgpr_dispatch_id 0
		.amdhsa_user_sgpr_flat_scratch_init 0
		.amdhsa_user_sgpr_private_segment_size 0
		.amdhsa_uses_dynamic_stack 0
		.amdhsa_system_sgpr_private_segment_wavefront_offset 0
		.amdhsa_system_sgpr_workgroup_id_x 1
		.amdhsa_system_sgpr_workgroup_id_y 0
		.amdhsa_system_sgpr_workgroup_id_z 0
		.amdhsa_system_sgpr_workgroup_info 0
		.amdhsa_system_vgpr_workitem_id 0
		.amdhsa_next_free_vgpr 1
		.amdhsa_next_free_sgpr 0
		.amdhsa_reserve_vcc 0
		.amdhsa_reserve_flat_scratch 0
		.amdhsa_float_round_mode_32 0
		.amdhsa_float_round_mode_16_64 0
		.amdhsa_float_denorm_mode_32 3
		.amdhsa_float_denorm_mode_16_64 3
		.amdhsa_dx10_clamp 1
		.amdhsa_ieee_mode 1
		.amdhsa_fp16_overflow 0
		.amdhsa_exception_fp_ieee_invalid_op 0
		.amdhsa_exception_fp_denorm_src 0
		.amdhsa_exception_fp_ieee_div_zero 0
		.amdhsa_exception_fp_ieee_overflow 0
		.amdhsa_exception_fp_ieee_underflow 0
		.amdhsa_exception_fp_ieee_inexact 0
		.amdhsa_exception_int_div_zero 0
	.end_amdhsa_kernel
	.section	.text._ZN7rocprim17ROCPRIM_400000_NS6detail17trampoline_kernelINS0_14default_configENS1_27lower_bound_config_selectorIylEEZNS1_14transform_implILb0ES3_S5_N6thrust23THRUST_200600_302600_NS6detail15normal_iteratorINS8_7pointerIyNS8_11hip_rocprim5par_tENS8_11use_defaultESE_EEEENSA_INSB_IlSD_SE_SE_EEEEZNS1_13binary_searchIS3_S5_PySG_SI_NS1_21lower_bound_search_opENS9_16wrapped_functionINS8_6system6detail7generic6detail18binary_search_lessEbEEEE10hipError_tPvRmT1_T2_T3_mmT4_T5_P12ihipStream_tbEUlRKyE_EEST_SX_SY_mSZ_S12_bEUlT_E_NS1_11comp_targetILNS1_3genE8ELNS1_11target_archE1030ELNS1_3gpuE2ELNS1_3repE0EEENS1_30default_config_static_selectorELNS0_4arch9wavefront6targetE1EEEvSW_,"axG",@progbits,_ZN7rocprim17ROCPRIM_400000_NS6detail17trampoline_kernelINS0_14default_configENS1_27lower_bound_config_selectorIylEEZNS1_14transform_implILb0ES3_S5_N6thrust23THRUST_200600_302600_NS6detail15normal_iteratorINS8_7pointerIyNS8_11hip_rocprim5par_tENS8_11use_defaultESE_EEEENSA_INSB_IlSD_SE_SE_EEEEZNS1_13binary_searchIS3_S5_PySG_SI_NS1_21lower_bound_search_opENS9_16wrapped_functionINS8_6system6detail7generic6detail18binary_search_lessEbEEEE10hipError_tPvRmT1_T2_T3_mmT4_T5_P12ihipStream_tbEUlRKyE_EEST_SX_SY_mSZ_S12_bEUlT_E_NS1_11comp_targetILNS1_3genE8ELNS1_11target_archE1030ELNS1_3gpuE2ELNS1_3repE0EEENS1_30default_config_static_selectorELNS0_4arch9wavefront6targetE1EEEvSW_,comdat
.Lfunc_end61:
	.size	_ZN7rocprim17ROCPRIM_400000_NS6detail17trampoline_kernelINS0_14default_configENS1_27lower_bound_config_selectorIylEEZNS1_14transform_implILb0ES3_S5_N6thrust23THRUST_200600_302600_NS6detail15normal_iteratorINS8_7pointerIyNS8_11hip_rocprim5par_tENS8_11use_defaultESE_EEEENSA_INSB_IlSD_SE_SE_EEEEZNS1_13binary_searchIS3_S5_PySG_SI_NS1_21lower_bound_search_opENS9_16wrapped_functionINS8_6system6detail7generic6detail18binary_search_lessEbEEEE10hipError_tPvRmT1_T2_T3_mmT4_T5_P12ihipStream_tbEUlRKyE_EEST_SX_SY_mSZ_S12_bEUlT_E_NS1_11comp_targetILNS1_3genE8ELNS1_11target_archE1030ELNS1_3gpuE2ELNS1_3repE0EEENS1_30default_config_static_selectorELNS0_4arch9wavefront6targetE1EEEvSW_, .Lfunc_end61-_ZN7rocprim17ROCPRIM_400000_NS6detail17trampoline_kernelINS0_14default_configENS1_27lower_bound_config_selectorIylEEZNS1_14transform_implILb0ES3_S5_N6thrust23THRUST_200600_302600_NS6detail15normal_iteratorINS8_7pointerIyNS8_11hip_rocprim5par_tENS8_11use_defaultESE_EEEENSA_INSB_IlSD_SE_SE_EEEEZNS1_13binary_searchIS3_S5_PySG_SI_NS1_21lower_bound_search_opENS9_16wrapped_functionINS8_6system6detail7generic6detail18binary_search_lessEbEEEE10hipError_tPvRmT1_T2_T3_mmT4_T5_P12ihipStream_tbEUlRKyE_EEST_SX_SY_mSZ_S12_bEUlT_E_NS1_11comp_targetILNS1_3genE8ELNS1_11target_archE1030ELNS1_3gpuE2ELNS1_3repE0EEENS1_30default_config_static_selectorELNS0_4arch9wavefront6targetE1EEEvSW_
                                        ; -- End function
	.set _ZN7rocprim17ROCPRIM_400000_NS6detail17trampoline_kernelINS0_14default_configENS1_27lower_bound_config_selectorIylEEZNS1_14transform_implILb0ES3_S5_N6thrust23THRUST_200600_302600_NS6detail15normal_iteratorINS8_7pointerIyNS8_11hip_rocprim5par_tENS8_11use_defaultESE_EEEENSA_INSB_IlSD_SE_SE_EEEEZNS1_13binary_searchIS3_S5_PySG_SI_NS1_21lower_bound_search_opENS9_16wrapped_functionINS8_6system6detail7generic6detail18binary_search_lessEbEEEE10hipError_tPvRmT1_T2_T3_mmT4_T5_P12ihipStream_tbEUlRKyE_EEST_SX_SY_mSZ_S12_bEUlT_E_NS1_11comp_targetILNS1_3genE8ELNS1_11target_archE1030ELNS1_3gpuE2ELNS1_3repE0EEENS1_30default_config_static_selectorELNS0_4arch9wavefront6targetE1EEEvSW_.num_vgpr, 0
	.set _ZN7rocprim17ROCPRIM_400000_NS6detail17trampoline_kernelINS0_14default_configENS1_27lower_bound_config_selectorIylEEZNS1_14transform_implILb0ES3_S5_N6thrust23THRUST_200600_302600_NS6detail15normal_iteratorINS8_7pointerIyNS8_11hip_rocprim5par_tENS8_11use_defaultESE_EEEENSA_INSB_IlSD_SE_SE_EEEEZNS1_13binary_searchIS3_S5_PySG_SI_NS1_21lower_bound_search_opENS9_16wrapped_functionINS8_6system6detail7generic6detail18binary_search_lessEbEEEE10hipError_tPvRmT1_T2_T3_mmT4_T5_P12ihipStream_tbEUlRKyE_EEST_SX_SY_mSZ_S12_bEUlT_E_NS1_11comp_targetILNS1_3genE8ELNS1_11target_archE1030ELNS1_3gpuE2ELNS1_3repE0EEENS1_30default_config_static_selectorELNS0_4arch9wavefront6targetE1EEEvSW_.num_agpr, 0
	.set _ZN7rocprim17ROCPRIM_400000_NS6detail17trampoline_kernelINS0_14default_configENS1_27lower_bound_config_selectorIylEEZNS1_14transform_implILb0ES3_S5_N6thrust23THRUST_200600_302600_NS6detail15normal_iteratorINS8_7pointerIyNS8_11hip_rocprim5par_tENS8_11use_defaultESE_EEEENSA_INSB_IlSD_SE_SE_EEEEZNS1_13binary_searchIS3_S5_PySG_SI_NS1_21lower_bound_search_opENS9_16wrapped_functionINS8_6system6detail7generic6detail18binary_search_lessEbEEEE10hipError_tPvRmT1_T2_T3_mmT4_T5_P12ihipStream_tbEUlRKyE_EEST_SX_SY_mSZ_S12_bEUlT_E_NS1_11comp_targetILNS1_3genE8ELNS1_11target_archE1030ELNS1_3gpuE2ELNS1_3repE0EEENS1_30default_config_static_selectorELNS0_4arch9wavefront6targetE1EEEvSW_.numbered_sgpr, 0
	.set _ZN7rocprim17ROCPRIM_400000_NS6detail17trampoline_kernelINS0_14default_configENS1_27lower_bound_config_selectorIylEEZNS1_14transform_implILb0ES3_S5_N6thrust23THRUST_200600_302600_NS6detail15normal_iteratorINS8_7pointerIyNS8_11hip_rocprim5par_tENS8_11use_defaultESE_EEEENSA_INSB_IlSD_SE_SE_EEEEZNS1_13binary_searchIS3_S5_PySG_SI_NS1_21lower_bound_search_opENS9_16wrapped_functionINS8_6system6detail7generic6detail18binary_search_lessEbEEEE10hipError_tPvRmT1_T2_T3_mmT4_T5_P12ihipStream_tbEUlRKyE_EEST_SX_SY_mSZ_S12_bEUlT_E_NS1_11comp_targetILNS1_3genE8ELNS1_11target_archE1030ELNS1_3gpuE2ELNS1_3repE0EEENS1_30default_config_static_selectorELNS0_4arch9wavefront6targetE1EEEvSW_.num_named_barrier, 0
	.set _ZN7rocprim17ROCPRIM_400000_NS6detail17trampoline_kernelINS0_14default_configENS1_27lower_bound_config_selectorIylEEZNS1_14transform_implILb0ES3_S5_N6thrust23THRUST_200600_302600_NS6detail15normal_iteratorINS8_7pointerIyNS8_11hip_rocprim5par_tENS8_11use_defaultESE_EEEENSA_INSB_IlSD_SE_SE_EEEEZNS1_13binary_searchIS3_S5_PySG_SI_NS1_21lower_bound_search_opENS9_16wrapped_functionINS8_6system6detail7generic6detail18binary_search_lessEbEEEE10hipError_tPvRmT1_T2_T3_mmT4_T5_P12ihipStream_tbEUlRKyE_EEST_SX_SY_mSZ_S12_bEUlT_E_NS1_11comp_targetILNS1_3genE8ELNS1_11target_archE1030ELNS1_3gpuE2ELNS1_3repE0EEENS1_30default_config_static_selectorELNS0_4arch9wavefront6targetE1EEEvSW_.private_seg_size, 0
	.set _ZN7rocprim17ROCPRIM_400000_NS6detail17trampoline_kernelINS0_14default_configENS1_27lower_bound_config_selectorIylEEZNS1_14transform_implILb0ES3_S5_N6thrust23THRUST_200600_302600_NS6detail15normal_iteratorINS8_7pointerIyNS8_11hip_rocprim5par_tENS8_11use_defaultESE_EEEENSA_INSB_IlSD_SE_SE_EEEEZNS1_13binary_searchIS3_S5_PySG_SI_NS1_21lower_bound_search_opENS9_16wrapped_functionINS8_6system6detail7generic6detail18binary_search_lessEbEEEE10hipError_tPvRmT1_T2_T3_mmT4_T5_P12ihipStream_tbEUlRKyE_EEST_SX_SY_mSZ_S12_bEUlT_E_NS1_11comp_targetILNS1_3genE8ELNS1_11target_archE1030ELNS1_3gpuE2ELNS1_3repE0EEENS1_30default_config_static_selectorELNS0_4arch9wavefront6targetE1EEEvSW_.uses_vcc, 0
	.set _ZN7rocprim17ROCPRIM_400000_NS6detail17trampoline_kernelINS0_14default_configENS1_27lower_bound_config_selectorIylEEZNS1_14transform_implILb0ES3_S5_N6thrust23THRUST_200600_302600_NS6detail15normal_iteratorINS8_7pointerIyNS8_11hip_rocprim5par_tENS8_11use_defaultESE_EEEENSA_INSB_IlSD_SE_SE_EEEEZNS1_13binary_searchIS3_S5_PySG_SI_NS1_21lower_bound_search_opENS9_16wrapped_functionINS8_6system6detail7generic6detail18binary_search_lessEbEEEE10hipError_tPvRmT1_T2_T3_mmT4_T5_P12ihipStream_tbEUlRKyE_EEST_SX_SY_mSZ_S12_bEUlT_E_NS1_11comp_targetILNS1_3genE8ELNS1_11target_archE1030ELNS1_3gpuE2ELNS1_3repE0EEENS1_30default_config_static_selectorELNS0_4arch9wavefront6targetE1EEEvSW_.uses_flat_scratch, 0
	.set _ZN7rocprim17ROCPRIM_400000_NS6detail17trampoline_kernelINS0_14default_configENS1_27lower_bound_config_selectorIylEEZNS1_14transform_implILb0ES3_S5_N6thrust23THRUST_200600_302600_NS6detail15normal_iteratorINS8_7pointerIyNS8_11hip_rocprim5par_tENS8_11use_defaultESE_EEEENSA_INSB_IlSD_SE_SE_EEEEZNS1_13binary_searchIS3_S5_PySG_SI_NS1_21lower_bound_search_opENS9_16wrapped_functionINS8_6system6detail7generic6detail18binary_search_lessEbEEEE10hipError_tPvRmT1_T2_T3_mmT4_T5_P12ihipStream_tbEUlRKyE_EEST_SX_SY_mSZ_S12_bEUlT_E_NS1_11comp_targetILNS1_3genE8ELNS1_11target_archE1030ELNS1_3gpuE2ELNS1_3repE0EEENS1_30default_config_static_selectorELNS0_4arch9wavefront6targetE1EEEvSW_.has_dyn_sized_stack, 0
	.set _ZN7rocprim17ROCPRIM_400000_NS6detail17trampoline_kernelINS0_14default_configENS1_27lower_bound_config_selectorIylEEZNS1_14transform_implILb0ES3_S5_N6thrust23THRUST_200600_302600_NS6detail15normal_iteratorINS8_7pointerIyNS8_11hip_rocprim5par_tENS8_11use_defaultESE_EEEENSA_INSB_IlSD_SE_SE_EEEEZNS1_13binary_searchIS3_S5_PySG_SI_NS1_21lower_bound_search_opENS9_16wrapped_functionINS8_6system6detail7generic6detail18binary_search_lessEbEEEE10hipError_tPvRmT1_T2_T3_mmT4_T5_P12ihipStream_tbEUlRKyE_EEST_SX_SY_mSZ_S12_bEUlT_E_NS1_11comp_targetILNS1_3genE8ELNS1_11target_archE1030ELNS1_3gpuE2ELNS1_3repE0EEENS1_30default_config_static_selectorELNS0_4arch9wavefront6targetE1EEEvSW_.has_recursion, 0
	.set _ZN7rocprim17ROCPRIM_400000_NS6detail17trampoline_kernelINS0_14default_configENS1_27lower_bound_config_selectorIylEEZNS1_14transform_implILb0ES3_S5_N6thrust23THRUST_200600_302600_NS6detail15normal_iteratorINS8_7pointerIyNS8_11hip_rocprim5par_tENS8_11use_defaultESE_EEEENSA_INSB_IlSD_SE_SE_EEEEZNS1_13binary_searchIS3_S5_PySG_SI_NS1_21lower_bound_search_opENS9_16wrapped_functionINS8_6system6detail7generic6detail18binary_search_lessEbEEEE10hipError_tPvRmT1_T2_T3_mmT4_T5_P12ihipStream_tbEUlRKyE_EEST_SX_SY_mSZ_S12_bEUlT_E_NS1_11comp_targetILNS1_3genE8ELNS1_11target_archE1030ELNS1_3gpuE2ELNS1_3repE0EEENS1_30default_config_static_selectorELNS0_4arch9wavefront6targetE1EEEvSW_.has_indirect_call, 0
	.section	.AMDGPU.csdata,"",@progbits
; Kernel info:
; codeLenInByte = 0
; TotalNumSgprs: 4
; NumVgprs: 0
; ScratchSize: 0
; MemoryBound: 0
; FloatMode: 240
; IeeeMode: 1
; LDSByteSize: 0 bytes/workgroup (compile time only)
; SGPRBlocks: 0
; VGPRBlocks: 0
; NumSGPRsForWavesPerEU: 4
; NumVGPRsForWavesPerEU: 1
; Occupancy: 10
; WaveLimiterHint : 0
; COMPUTE_PGM_RSRC2:SCRATCH_EN: 0
; COMPUTE_PGM_RSRC2:USER_SGPR: 6
; COMPUTE_PGM_RSRC2:TRAP_HANDLER: 0
; COMPUTE_PGM_RSRC2:TGID_X_EN: 1
; COMPUTE_PGM_RSRC2:TGID_Y_EN: 0
; COMPUTE_PGM_RSRC2:TGID_Z_EN: 0
; COMPUTE_PGM_RSRC2:TIDIG_COMP_CNT: 0
	.section	.text._ZN6thrust23THRUST_200600_302600_NS11hip_rocprim14__parallel_for6kernelILj256ENS1_20__uninitialized_fill7functorINS0_10device_ptrIjEEjEEmLj1EEEvT0_T1_SA_,"axG",@progbits,_ZN6thrust23THRUST_200600_302600_NS11hip_rocprim14__parallel_for6kernelILj256ENS1_20__uninitialized_fill7functorINS0_10device_ptrIjEEjEEmLj1EEEvT0_T1_SA_,comdat
	.protected	_ZN6thrust23THRUST_200600_302600_NS11hip_rocprim14__parallel_for6kernelILj256ENS1_20__uninitialized_fill7functorINS0_10device_ptrIjEEjEEmLj1EEEvT0_T1_SA_ ; -- Begin function _ZN6thrust23THRUST_200600_302600_NS11hip_rocprim14__parallel_for6kernelILj256ENS1_20__uninitialized_fill7functorINS0_10device_ptrIjEEjEEmLj1EEEvT0_T1_SA_
	.globl	_ZN6thrust23THRUST_200600_302600_NS11hip_rocprim14__parallel_for6kernelILj256ENS1_20__uninitialized_fill7functorINS0_10device_ptrIjEEjEEmLj1EEEvT0_T1_SA_
	.p2align	8
	.type	_ZN6thrust23THRUST_200600_302600_NS11hip_rocprim14__parallel_for6kernelILj256ENS1_20__uninitialized_fill7functorINS0_10device_ptrIjEEjEEmLj1EEEvT0_T1_SA_,@function
_ZN6thrust23THRUST_200600_302600_NS11hip_rocprim14__parallel_for6kernelILj256ENS1_20__uninitialized_fill7functorINS0_10device_ptrIjEEjEEmLj1EEEvT0_T1_SA_: ; @_ZN6thrust23THRUST_200600_302600_NS11hip_rocprim14__parallel_for6kernelILj256ENS1_20__uninitialized_fill7functorINS0_10device_ptrIjEEjEEmLj1EEEvT0_T1_SA_
; %bb.0:
	s_load_dwordx4 s[12:15], s[4:5], 0x10
	s_load_dwordx2 s[0:1], s[4:5], 0x0
	s_load_dword s8, s[4:5], 0x8
	s_lshl_b32 s2, s6, 8
	v_mov_b32_e32 v1, 0xff
	s_waitcnt lgkmcnt(0)
	s_add_u32 s2, s14, s2
	s_addc_u32 s3, s15, 0
	s_sub_u32 s4, s12, s2
	v_mov_b32_e32 v2, 0
	s_subb_u32 s5, s13, s3
	v_cmp_gt_u64_e32 vcc, s[4:5], v[1:2]
	s_mov_b64 s[6:7], -1
	s_cbranch_vccz .LBB62_3
; %bb.1:
	s_andn2_b64 vcc, exec, s[6:7]
	s_cbranch_vccz .LBB62_6
.LBB62_2:
	s_endpgm
.LBB62_3:
	v_cmp_gt_u32_e32 vcc, s4, v0
	s_and_saveexec_b64 s[4:5], vcc
	s_cbranch_execz .LBB62_5
; %bb.4:
	s_lshl_b64 s[6:7], s[2:3], 2
	s_add_u32 s6, s0, s6
	s_addc_u32 s7, s1, s7
	v_lshlrev_b32_e32 v1, 2, v0
	v_mov_b32_e32 v2, s7
	v_add_co_u32_e32 v1, vcc, s6, v1
	v_addc_co_u32_e32 v2, vcc, 0, v2, vcc
	v_mov_b32_e32 v3, s8
	flat_store_dword v[1:2], v3
.LBB62_5:
	s_or_b64 exec, exec, s[4:5]
	s_cbranch_execnz .LBB62_2
.LBB62_6:
	s_lshl_b64 s[2:3], s[2:3], 2
	s_add_u32 s0, s0, s2
	s_addc_u32 s1, s1, s3
	v_lshlrev_b32_e32 v0, 2, v0
	v_mov_b32_e32 v1, s1
	v_add_co_u32_e32 v0, vcc, s0, v0
	v_addc_co_u32_e32 v1, vcc, 0, v1, vcc
	v_mov_b32_e32 v2, s8
	flat_store_dword v[0:1], v2
	s_endpgm
	.section	.rodata,"a",@progbits
	.p2align	6, 0x0
	.amdhsa_kernel _ZN6thrust23THRUST_200600_302600_NS11hip_rocprim14__parallel_for6kernelILj256ENS1_20__uninitialized_fill7functorINS0_10device_ptrIjEEjEEmLj1EEEvT0_T1_SA_
		.amdhsa_group_segment_fixed_size 0
		.amdhsa_private_segment_fixed_size 0
		.amdhsa_kernarg_size 32
		.amdhsa_user_sgpr_count 6
		.amdhsa_user_sgpr_private_segment_buffer 1
		.amdhsa_user_sgpr_dispatch_ptr 0
		.amdhsa_user_sgpr_queue_ptr 0
		.amdhsa_user_sgpr_kernarg_segment_ptr 1
		.amdhsa_user_sgpr_dispatch_id 0
		.amdhsa_user_sgpr_flat_scratch_init 0
		.amdhsa_user_sgpr_private_segment_size 0
		.amdhsa_uses_dynamic_stack 0
		.amdhsa_system_sgpr_private_segment_wavefront_offset 0
		.amdhsa_system_sgpr_workgroup_id_x 1
		.amdhsa_system_sgpr_workgroup_id_y 0
		.amdhsa_system_sgpr_workgroup_id_z 0
		.amdhsa_system_sgpr_workgroup_info 0
		.amdhsa_system_vgpr_workitem_id 0
		.amdhsa_next_free_vgpr 4
		.amdhsa_next_free_sgpr 16
		.amdhsa_reserve_vcc 1
		.amdhsa_reserve_flat_scratch 0
		.amdhsa_float_round_mode_32 0
		.amdhsa_float_round_mode_16_64 0
		.amdhsa_float_denorm_mode_32 3
		.amdhsa_float_denorm_mode_16_64 3
		.amdhsa_dx10_clamp 1
		.amdhsa_ieee_mode 1
		.amdhsa_fp16_overflow 0
		.amdhsa_exception_fp_ieee_invalid_op 0
		.amdhsa_exception_fp_denorm_src 0
		.amdhsa_exception_fp_ieee_div_zero 0
		.amdhsa_exception_fp_ieee_overflow 0
		.amdhsa_exception_fp_ieee_underflow 0
		.amdhsa_exception_fp_ieee_inexact 0
		.amdhsa_exception_int_div_zero 0
	.end_amdhsa_kernel
	.section	.text._ZN6thrust23THRUST_200600_302600_NS11hip_rocprim14__parallel_for6kernelILj256ENS1_20__uninitialized_fill7functorINS0_10device_ptrIjEEjEEmLj1EEEvT0_T1_SA_,"axG",@progbits,_ZN6thrust23THRUST_200600_302600_NS11hip_rocprim14__parallel_for6kernelILj256ENS1_20__uninitialized_fill7functorINS0_10device_ptrIjEEjEEmLj1EEEvT0_T1_SA_,comdat
.Lfunc_end62:
	.size	_ZN6thrust23THRUST_200600_302600_NS11hip_rocprim14__parallel_for6kernelILj256ENS1_20__uninitialized_fill7functorINS0_10device_ptrIjEEjEEmLj1EEEvT0_T1_SA_, .Lfunc_end62-_ZN6thrust23THRUST_200600_302600_NS11hip_rocprim14__parallel_for6kernelILj256ENS1_20__uninitialized_fill7functorINS0_10device_ptrIjEEjEEmLj1EEEvT0_T1_SA_
                                        ; -- End function
	.set _ZN6thrust23THRUST_200600_302600_NS11hip_rocprim14__parallel_for6kernelILj256ENS1_20__uninitialized_fill7functorINS0_10device_ptrIjEEjEEmLj1EEEvT0_T1_SA_.num_vgpr, 4
	.set _ZN6thrust23THRUST_200600_302600_NS11hip_rocprim14__parallel_for6kernelILj256ENS1_20__uninitialized_fill7functorINS0_10device_ptrIjEEjEEmLj1EEEvT0_T1_SA_.num_agpr, 0
	.set _ZN6thrust23THRUST_200600_302600_NS11hip_rocprim14__parallel_for6kernelILj256ENS1_20__uninitialized_fill7functorINS0_10device_ptrIjEEjEEmLj1EEEvT0_T1_SA_.numbered_sgpr, 16
	.set _ZN6thrust23THRUST_200600_302600_NS11hip_rocprim14__parallel_for6kernelILj256ENS1_20__uninitialized_fill7functorINS0_10device_ptrIjEEjEEmLj1EEEvT0_T1_SA_.num_named_barrier, 0
	.set _ZN6thrust23THRUST_200600_302600_NS11hip_rocprim14__parallel_for6kernelILj256ENS1_20__uninitialized_fill7functorINS0_10device_ptrIjEEjEEmLj1EEEvT0_T1_SA_.private_seg_size, 0
	.set _ZN6thrust23THRUST_200600_302600_NS11hip_rocprim14__parallel_for6kernelILj256ENS1_20__uninitialized_fill7functorINS0_10device_ptrIjEEjEEmLj1EEEvT0_T1_SA_.uses_vcc, 1
	.set _ZN6thrust23THRUST_200600_302600_NS11hip_rocprim14__parallel_for6kernelILj256ENS1_20__uninitialized_fill7functorINS0_10device_ptrIjEEjEEmLj1EEEvT0_T1_SA_.uses_flat_scratch, 0
	.set _ZN6thrust23THRUST_200600_302600_NS11hip_rocprim14__parallel_for6kernelILj256ENS1_20__uninitialized_fill7functorINS0_10device_ptrIjEEjEEmLj1EEEvT0_T1_SA_.has_dyn_sized_stack, 0
	.set _ZN6thrust23THRUST_200600_302600_NS11hip_rocprim14__parallel_for6kernelILj256ENS1_20__uninitialized_fill7functorINS0_10device_ptrIjEEjEEmLj1EEEvT0_T1_SA_.has_recursion, 0
	.set _ZN6thrust23THRUST_200600_302600_NS11hip_rocprim14__parallel_for6kernelILj256ENS1_20__uninitialized_fill7functorINS0_10device_ptrIjEEjEEmLj1EEEvT0_T1_SA_.has_indirect_call, 0
	.section	.AMDGPU.csdata,"",@progbits
; Kernel info:
; codeLenInByte = 188
; TotalNumSgprs: 20
; NumVgprs: 4
; ScratchSize: 0
; MemoryBound: 0
; FloatMode: 240
; IeeeMode: 1
; LDSByteSize: 0 bytes/workgroup (compile time only)
; SGPRBlocks: 2
; VGPRBlocks: 0
; NumSGPRsForWavesPerEU: 20
; NumVGPRsForWavesPerEU: 4
; Occupancy: 10
; WaveLimiterHint : 0
; COMPUTE_PGM_RSRC2:SCRATCH_EN: 0
; COMPUTE_PGM_RSRC2:USER_SGPR: 6
; COMPUTE_PGM_RSRC2:TRAP_HANDLER: 0
; COMPUTE_PGM_RSRC2:TGID_X_EN: 1
; COMPUTE_PGM_RSRC2:TGID_Y_EN: 0
; COMPUTE_PGM_RSRC2:TGID_Z_EN: 0
; COMPUTE_PGM_RSRC2:TIDIG_COMP_CNT: 0
	.section	.text._Z18lower_bound_kernelIjEvmPT_Pl,"axG",@progbits,_Z18lower_bound_kernelIjEvmPT_Pl,comdat
	.protected	_Z18lower_bound_kernelIjEvmPT_Pl ; -- Begin function _Z18lower_bound_kernelIjEvmPT_Pl
	.globl	_Z18lower_bound_kernelIjEvmPT_Pl
	.p2align	8
	.type	_Z18lower_bound_kernelIjEvmPT_Pl,@function
_Z18lower_bound_kernelIjEvmPT_Pl:       ; @_Z18lower_bound_kernelIjEvmPT_Pl
; %bb.0:
	s_load_dwordx4 s[0:3], s[4:5], 0x0
	v_mov_b32_e32 v0, 0
	s_load_dwordx2 s[4:5], s[4:5], 0x10
	v_mov_b32_e32 v1, v0
	s_mov_b64 s[8:9], -1
	s_waitcnt lgkmcnt(0)
	s_lshl_b64 s[0:1], s[0:1], 2
	s_add_u32 s0, s2, s0
	s_addc_u32 s1, s3, s1
	s_sub_u32 s0, s0, s2
	s_subb_u32 s1, s1, s3
	s_ashr_i64 s[6:7], s[0:1], 2
	v_cmp_lt_i64_e64 s[0:1], s[6:7], 1
	global_store_dwordx2 v0, v[0:1], s[4:5]
	s_and_b64 s[0:1], exec, s[0:1]
	s_mov_b64 vcc, s[0:1]
	s_cbranch_vccz .LBB63_2
; %bb.1:
	v_mov_b32_e32 v1, v0
	v_mov_b32_e32 v2, v0
	;; [unrolled: 1-line block ×3, first 2 shown]
	global_store_dwordx4 v0, v[0:3], s[4:5] offset:8
	s_mov_b64 s[8:9], 0
.LBB63_2:
	s_andn2_b64 vcc, exec, s[8:9]
	s_mov_b64 s[8:9], 0
	s_cbranch_vccnz .LBB63_9
; %bb.3:
	s_mov_b64 s[10:11], s[6:7]
.LBB63_4:                               ; =>This Inner Loop Header: Depth=1
	s_sub_u32 s12, s10, s8
	s_subb_u32 s13, s11, s9
	s_lshr_b64 s[12:13], s[12:13], 1
	s_add_u32 s12, s12, s8
	s_addc_u32 s13, s13, s9
	s_lshl_b64 s[14:15], s[12:13], 2
	s_add_u32 s14, s2, s14
	s_addc_u32 s15, s3, s15
	s_load_dword s14, s[14:15], 0x0
	s_add_u32 s15, s12, 1
	s_addc_u32 s16, s13, 0
	s_waitcnt lgkmcnt(0)
	s_cmp_eq_u32 s14, 0
	s_cselect_b32 s10, s10, s12
	s_cselect_b32 s11, s11, s13
	v_mov_b32_e32 v0, s10
	s_cselect_b32 s9, s16, s9
	s_cselect_b32 s8, s15, s8
	v_mov_b32_e32 v1, s11
	v_cmp_lt_i64_e32 vcc, s[8:9], v[0:1]
	s_cbranch_vccnz .LBB63_4
; %bb.5:
	s_lshl_b64 s[8:9], s[8:9], 2
	s_add_u32 s8, s2, s8
	s_addc_u32 s9, s3, s9
	s_sub_u32 s8, s8, s2
	s_subb_u32 s9, s9, s3
	s_ashr_i64 s[8:9], s[8:9], 2
	v_mov_b32_e32 v0, s8
	v_mov_b32_e32 v2, 0
	;; [unrolled: 1-line block ×3, first 2 shown]
	s_mov_b64 s[8:9], 0
	s_mov_b64 s[10:11], s[6:7]
	global_store_dwordx2 v2, v[0:1], s[4:5] offset:8
.LBB63_6:                               ; =>This Inner Loop Header: Depth=1
	s_sub_u32 s12, s10, s8
	s_subb_u32 s13, s11, s9
	s_lshr_b64 s[12:13], s[12:13], 1
	s_add_u32 s12, s12, s8
	s_addc_u32 s13, s13, s9
	s_lshl_b64 s[14:15], s[12:13], 2
	s_add_u32 s14, s2, s14
	s_addc_u32 s15, s3, s15
	s_load_dword s14, s[14:15], 0x0
	s_add_u32 s15, s12, 1
	s_addc_u32 s16, s13, 0
	s_waitcnt lgkmcnt(0)
	s_cmp_lt_u32 s14, 2
	s_cselect_b32 s10, s10, s12
	s_cselect_b32 s11, s11, s13
	v_mov_b32_e32 v0, s10
	s_cselect_b32 s9, s16, s9
	s_cselect_b32 s8, s15, s8
	v_mov_b32_e32 v1, s11
	v_cmp_lt_i64_e32 vcc, s[8:9], v[0:1]
	s_cbranch_vccnz .LBB63_6
; %bb.7:
	s_lshl_b64 s[8:9], s[8:9], 2
	s_add_u32 s8, s2, s8
	s_addc_u32 s9, s3, s9
	s_sub_u32 s8, s8, s2
	s_subb_u32 s9, s9, s3
	s_ashr_i64 s[8:9], s[8:9], 2
	v_mov_b32_e32 v0, s8
	v_mov_b32_e32 v2, 0
	;; [unrolled: 1-line block ×3, first 2 shown]
	s_mov_b64 s[8:9], 0
	s_mov_b64 s[10:11], s[6:7]
	global_store_dwordx2 v2, v[0:1], s[4:5] offset:16
.LBB63_8:                               ; =>This Inner Loop Header: Depth=1
	s_sub_u32 s12, s10, s8
	s_subb_u32 s13, s11, s9
	s_lshr_b64 s[12:13], s[12:13], 1
	s_add_u32 s12, s12, s8
	s_addc_u32 s13, s13, s9
	s_lshl_b64 s[14:15], s[12:13], 2
	s_add_u32 s14, s2, s14
	s_addc_u32 s15, s3, s15
	s_load_dword s14, s[14:15], 0x0
	s_add_u32 s15, s12, 1
	s_addc_u32 s16, s13, 0
	s_waitcnt lgkmcnt(0)
	s_cmp_lt_u32 s14, 3
	s_cselect_b32 s10, s10, s12
	s_cselect_b32 s11, s11, s13
	v_mov_b32_e32 v0, s10
	s_cselect_b32 s9, s16, s9
	s_cselect_b32 s8, s15, s8
	v_mov_b32_e32 v1, s11
	v_cmp_ge_i64_e32 vcc, s[8:9], v[0:1]
	s_cbranch_vccz .LBB63_8
.LBB63_9:
	s_lshl_b64 s[8:9], s[8:9], 2
	s_add_u32 s8, s2, s8
	s_addc_u32 s9, s3, s9
	s_sub_u32 s8, s8, s2
	s_subb_u32 s9, s9, s3
	s_ashr_i64 s[8:9], s[8:9], 2
	v_mov_b32_e32 v1, s8
	v_mov_b32_e32 v0, 0
	;; [unrolled: 1-line block ×3, first 2 shown]
	s_mov_b64 s[8:9], -1
	s_mov_b64 vcc, s[0:1]
	global_store_dwordx2 v0, v[1:2], s[4:5] offset:24
	s_cbranch_vccz .LBB63_11
; %bb.10:
	v_mov_b32_e32 v1, v0
	global_store_dwordx2 v0, v[0:1], s[4:5] offset:32
	s_mov_b64 s[8:9], 0
.LBB63_11:
	s_andn2_b64 vcc, exec, s[8:9]
	s_mov_b64 s[8:9], 0
	s_cbranch_vccnz .LBB63_16
; %bb.12:
	s_mov_b64 s[10:11], s[6:7]
.LBB63_13:                              ; =>This Inner Loop Header: Depth=1
	s_sub_u32 s12, s10, s8
	s_subb_u32 s13, s11, s9
	s_lshr_b64 s[12:13], s[12:13], 1
	s_add_u32 s12, s12, s8
	s_addc_u32 s13, s13, s9
	s_lshl_b64 s[14:15], s[12:13], 2
	s_add_u32 s14, s2, s14
	s_addc_u32 s15, s3, s15
	s_load_dword s14, s[14:15], 0x0
	s_add_u32 s15, s12, 1
	s_addc_u32 s16, s13, 0
	s_waitcnt lgkmcnt(0)
	s_cmp_lt_u32 s14, 4
	s_cselect_b32 s10, s10, s12
	s_cselect_b32 s11, s11, s13
	v_mov_b32_e32 v0, s10
	s_cselect_b32 s9, s16, s9
	s_cselect_b32 s8, s15, s8
	v_mov_b32_e32 v1, s11
	v_cmp_lt_i64_e32 vcc, s[8:9], v[0:1]
	s_cbranch_vccnz .LBB63_13
; %bb.14:
	s_lshl_b64 s[8:9], s[8:9], 2
	s_add_u32 s8, s2, s8
	s_addc_u32 s9, s3, s9
	s_sub_u32 s8, s8, s2
	s_subb_u32 s9, s9, s3
	s_ashr_i64 s[8:9], s[8:9], 2
	v_mov_b32_e32 v0, s8
	v_mov_b32_e32 v2, 0
	;; [unrolled: 1-line block ×3, first 2 shown]
	s_mov_b64 s[8:9], 0
	s_mov_b64 s[10:11], s[6:7]
	global_store_dwordx2 v2, v[0:1], s[4:5] offset:32
.LBB63_15:                              ; =>This Inner Loop Header: Depth=1
	s_sub_u32 s12, s10, s8
	s_subb_u32 s13, s11, s9
	s_lshr_b64 s[12:13], s[12:13], 1
	s_add_u32 s12, s12, s8
	s_addc_u32 s13, s13, s9
	s_lshl_b64 s[14:15], s[12:13], 2
	s_add_u32 s14, s2, s14
	s_addc_u32 s15, s3, s15
	s_load_dword s14, s[14:15], 0x0
	s_add_u32 s15, s12, 1
	s_addc_u32 s16, s13, 0
	s_waitcnt lgkmcnt(0)
	s_cmp_lt_u32 s14, 5
	s_cselect_b32 s10, s10, s12
	s_cselect_b32 s11, s11, s13
	v_mov_b32_e32 v0, s10
	s_cselect_b32 s9, s16, s9
	s_cselect_b32 s8, s15, s8
	v_mov_b32_e32 v1, s11
	v_cmp_ge_i64_e32 vcc, s[8:9], v[0:1]
	s_cbranch_vccz .LBB63_15
.LBB63_16:
	s_lshl_b64 s[8:9], s[8:9], 2
	s_add_u32 s8, s2, s8
	s_addc_u32 s9, s3, s9
	s_sub_u32 s8, s8, s2
	s_subb_u32 s9, s9, s3
	s_ashr_i64 s[8:9], s[8:9], 2
	v_mov_b32_e32 v1, s8
	v_mov_b32_e32 v0, 0
	;; [unrolled: 1-line block ×3, first 2 shown]
	s_mov_b64 s[8:9], -1
	s_mov_b64 vcc, s[0:1]
	global_store_dwordx2 v0, v[1:2], s[4:5] offset:40
	s_cbranch_vccz .LBB63_18
; %bb.17:
	v_mov_b32_e32 v1, v0
	global_store_dwordx2 v0, v[0:1], s[4:5] offset:48
	s_mov_b64 s[8:9], 0
.LBB63_18:
	s_andn2_b64 vcc, exec, s[8:9]
	s_mov_b64 s[8:9], 0
	s_cbranch_vccnz .LBB63_23
; %bb.19:
	s_mov_b64 s[10:11], s[6:7]
.LBB63_20:                              ; =>This Inner Loop Header: Depth=1
	s_sub_u32 s12, s10, s8
	s_subb_u32 s13, s11, s9
	s_lshr_b64 s[12:13], s[12:13], 1
	s_add_u32 s12, s12, s8
	s_addc_u32 s13, s13, s9
	s_lshl_b64 s[14:15], s[12:13], 2
	s_add_u32 s14, s2, s14
	s_addc_u32 s15, s3, s15
	s_load_dword s14, s[14:15], 0x0
	s_add_u32 s15, s12, 1
	s_addc_u32 s16, s13, 0
	s_waitcnt lgkmcnt(0)
	s_cmp_lt_u32 s14, 6
	s_cselect_b32 s10, s10, s12
	s_cselect_b32 s11, s11, s13
	v_mov_b32_e32 v0, s10
	s_cselect_b32 s9, s16, s9
	s_cselect_b32 s8, s15, s8
	v_mov_b32_e32 v1, s11
	v_cmp_lt_i64_e32 vcc, s[8:9], v[0:1]
	s_cbranch_vccnz .LBB63_20
; %bb.21:
	s_lshl_b64 s[8:9], s[8:9], 2
	s_add_u32 s8, s2, s8
	s_addc_u32 s9, s3, s9
	s_sub_u32 s8, s8, s2
	s_subb_u32 s9, s9, s3
	s_ashr_i64 s[8:9], s[8:9], 2
	v_mov_b32_e32 v0, s8
	v_mov_b32_e32 v2, 0
	;; [unrolled: 1-line block ×3, first 2 shown]
	s_mov_b64 s[8:9], 0
	s_mov_b64 s[10:11], s[6:7]
	global_store_dwordx2 v2, v[0:1], s[4:5] offset:48
.LBB63_22:                              ; =>This Inner Loop Header: Depth=1
	s_sub_u32 s12, s10, s8
	s_subb_u32 s13, s11, s9
	s_lshr_b64 s[12:13], s[12:13], 1
	s_add_u32 s12, s12, s8
	s_addc_u32 s13, s13, s9
	s_lshl_b64 s[14:15], s[12:13], 2
	s_add_u32 s14, s2, s14
	s_addc_u32 s15, s3, s15
	s_load_dword s14, s[14:15], 0x0
	s_add_u32 s15, s12, 1
	s_addc_u32 s16, s13, 0
	s_waitcnt lgkmcnt(0)
	s_cmp_lt_u32 s14, 7
	s_cselect_b32 s10, s10, s12
	s_cselect_b32 s11, s11, s13
	v_mov_b32_e32 v0, s10
	s_cselect_b32 s9, s16, s9
	s_cselect_b32 s8, s15, s8
	v_mov_b32_e32 v1, s11
	v_cmp_ge_i64_e32 vcc, s[8:9], v[0:1]
	s_cbranch_vccz .LBB63_22
.LBB63_23:
	s_lshl_b64 s[8:9], s[8:9], 2
	s_add_u32 s8, s2, s8
	s_addc_u32 s9, s3, s9
	s_sub_u32 s8, s8, s2
	s_subb_u32 s9, s9, s3
	s_ashr_i64 s[8:9], s[8:9], 2
	v_mov_b32_e32 v1, s8
	v_mov_b32_e32 v0, 0
	;; [unrolled: 1-line block ×3, first 2 shown]
	s_mov_b64 s[8:9], -1
	s_mov_b64 vcc, s[0:1]
	global_store_dwordx2 v0, v[1:2], s[4:5] offset:56
	s_cbranch_vccz .LBB63_25
; %bb.24:
	v_mov_b32_e32 v1, v0
	global_store_dwordx2 v0, v[0:1], s[4:5] offset:64
	s_mov_b64 s[8:9], 0
.LBB63_25:
	s_andn2_b64 vcc, exec, s[8:9]
	s_mov_b64 s[0:1], 0
	s_cbranch_vccnz .LBB63_30
; %bb.26:
	s_mov_b64 s[8:9], s[6:7]
.LBB63_27:                              ; =>This Inner Loop Header: Depth=1
	s_sub_u32 s10, s8, s0
	s_subb_u32 s11, s9, s1
	s_lshr_b64 s[10:11], s[10:11], 1
	s_add_u32 s10, s10, s0
	s_addc_u32 s11, s11, s1
	s_lshl_b64 s[12:13], s[10:11], 2
	s_add_u32 s12, s2, s12
	s_addc_u32 s13, s3, s13
	s_load_dword s12, s[12:13], 0x0
	s_add_u32 s13, s10, 1
	s_addc_u32 s14, s11, 0
	s_waitcnt lgkmcnt(0)
	s_cmp_lt_u32 s12, 8
	s_cselect_b32 s8, s8, s10
	s_cselect_b32 s9, s9, s11
	v_mov_b32_e32 v0, s8
	s_cselect_b32 s1, s14, s1
	s_cselect_b32 s0, s13, s0
	v_mov_b32_e32 v1, s9
	v_cmp_lt_i64_e32 vcc, s[0:1], v[0:1]
	s_cbranch_vccnz .LBB63_27
; %bb.28:
	s_lshl_b64 s[0:1], s[0:1], 2
	s_add_u32 s0, s2, s0
	s_addc_u32 s1, s3, s1
	s_sub_u32 s0, s0, s2
	s_subb_u32 s1, s1, s3
	s_ashr_i64 s[0:1], s[0:1], 2
	v_mov_b32_e32 v0, s0
	v_mov_b32_e32 v2, 0
	;; [unrolled: 1-line block ×3, first 2 shown]
	s_mov_b64 s[0:1], 0
	global_store_dwordx2 v2, v[0:1], s[4:5] offset:64
.LBB63_29:                              ; =>This Inner Loop Header: Depth=1
	s_sub_u32 s8, s6, s0
	s_subb_u32 s9, s7, s1
	s_lshr_b64 s[8:9], s[8:9], 1
	s_add_u32 s8, s8, s0
	s_addc_u32 s9, s9, s1
	s_lshl_b64 s[10:11], s[8:9], 2
	s_add_u32 s10, s2, s10
	s_addc_u32 s11, s3, s11
	s_load_dword s10, s[10:11], 0x0
	s_add_u32 s11, s8, 1
	s_addc_u32 s12, s9, 0
	s_waitcnt lgkmcnt(0)
	s_cmp_lt_u32 s10, 9
	s_cselect_b32 s6, s6, s8
	s_cselect_b32 s7, s7, s9
	v_mov_b32_e32 v0, s6
	s_cselect_b32 s1, s12, s1
	s_cselect_b32 s0, s11, s0
	v_mov_b32_e32 v1, s7
	v_cmp_ge_i64_e32 vcc, s[0:1], v[0:1]
	s_cbranch_vccz .LBB63_29
.LBB63_30:
	s_lshl_b64 s[0:1], s[0:1], 2
	s_add_u32 s0, s2, s0
	s_addc_u32 s1, s3, s1
	s_sub_u32 s0, s0, s2
	s_subb_u32 s1, s1, s3
	s_ashr_i64 s[0:1], s[0:1], 2
	v_mov_b32_e32 v0, s0
	v_mov_b32_e32 v2, 0
	v_mov_b32_e32 v1, s1
	global_store_dwordx2 v2, v[0:1], s[4:5] offset:72
	s_endpgm
	.section	.rodata,"a",@progbits
	.p2align	6, 0x0
	.amdhsa_kernel _Z18lower_bound_kernelIjEvmPT_Pl
		.amdhsa_group_segment_fixed_size 0
		.amdhsa_private_segment_fixed_size 0
		.amdhsa_kernarg_size 24
		.amdhsa_user_sgpr_count 6
		.amdhsa_user_sgpr_private_segment_buffer 1
		.amdhsa_user_sgpr_dispatch_ptr 0
		.amdhsa_user_sgpr_queue_ptr 0
		.amdhsa_user_sgpr_kernarg_segment_ptr 1
		.amdhsa_user_sgpr_dispatch_id 0
		.amdhsa_user_sgpr_flat_scratch_init 0
		.amdhsa_user_sgpr_private_segment_size 0
		.amdhsa_uses_dynamic_stack 0
		.amdhsa_system_sgpr_private_segment_wavefront_offset 0
		.amdhsa_system_sgpr_workgroup_id_x 1
		.amdhsa_system_sgpr_workgroup_id_y 0
		.amdhsa_system_sgpr_workgroup_id_z 0
		.amdhsa_system_sgpr_workgroup_info 0
		.amdhsa_system_vgpr_workitem_id 0
		.amdhsa_next_free_vgpr 4
		.amdhsa_next_free_sgpr 17
		.amdhsa_reserve_vcc 1
		.amdhsa_reserve_flat_scratch 0
		.amdhsa_float_round_mode_32 0
		.amdhsa_float_round_mode_16_64 0
		.amdhsa_float_denorm_mode_32 3
		.amdhsa_float_denorm_mode_16_64 3
		.amdhsa_dx10_clamp 1
		.amdhsa_ieee_mode 1
		.amdhsa_fp16_overflow 0
		.amdhsa_exception_fp_ieee_invalid_op 0
		.amdhsa_exception_fp_denorm_src 0
		.amdhsa_exception_fp_ieee_div_zero 0
		.amdhsa_exception_fp_ieee_overflow 0
		.amdhsa_exception_fp_ieee_underflow 0
		.amdhsa_exception_fp_ieee_inexact 0
		.amdhsa_exception_int_div_zero 0
	.end_amdhsa_kernel
	.section	.text._Z18lower_bound_kernelIjEvmPT_Pl,"axG",@progbits,_Z18lower_bound_kernelIjEvmPT_Pl,comdat
.Lfunc_end63:
	.size	_Z18lower_bound_kernelIjEvmPT_Pl, .Lfunc_end63-_Z18lower_bound_kernelIjEvmPT_Pl
                                        ; -- End function
	.set _Z18lower_bound_kernelIjEvmPT_Pl.num_vgpr, 4
	.set _Z18lower_bound_kernelIjEvmPT_Pl.num_agpr, 0
	.set _Z18lower_bound_kernelIjEvmPT_Pl.numbered_sgpr, 17
	.set _Z18lower_bound_kernelIjEvmPT_Pl.num_named_barrier, 0
	.set _Z18lower_bound_kernelIjEvmPT_Pl.private_seg_size, 0
	.set _Z18lower_bound_kernelIjEvmPT_Pl.uses_vcc, 1
	.set _Z18lower_bound_kernelIjEvmPT_Pl.uses_flat_scratch, 0
	.set _Z18lower_bound_kernelIjEvmPT_Pl.has_dyn_sized_stack, 0
	.set _Z18lower_bound_kernelIjEvmPT_Pl.has_recursion, 0
	.set _Z18lower_bound_kernelIjEvmPT_Pl.has_indirect_call, 0
	.section	.AMDGPU.csdata,"",@progbits
; Kernel info:
; codeLenInByte = 1484
; TotalNumSgprs: 21
; NumVgprs: 4
; ScratchSize: 0
; MemoryBound: 0
; FloatMode: 240
; IeeeMode: 1
; LDSByteSize: 0 bytes/workgroup (compile time only)
; SGPRBlocks: 2
; VGPRBlocks: 0
; NumSGPRsForWavesPerEU: 21
; NumVGPRsForWavesPerEU: 4
; Occupancy: 10
; WaveLimiterHint : 0
; COMPUTE_PGM_RSRC2:SCRATCH_EN: 0
; COMPUTE_PGM_RSRC2:USER_SGPR: 6
; COMPUTE_PGM_RSRC2:TRAP_HANDLER: 0
; COMPUTE_PGM_RSRC2:TGID_X_EN: 1
; COMPUTE_PGM_RSRC2:TGID_Y_EN: 0
; COMPUTE_PGM_RSRC2:TGID_Z_EN: 0
; COMPUTE_PGM_RSRC2:TIDIG_COMP_CNT: 0
	.section	.text._ZN7rocprim17ROCPRIM_400000_NS6detail17trampoline_kernelINS0_14default_configENS1_27lower_bound_config_selectorIjlEEZNS1_14transform_implILb0ES3_S5_N6thrust23THRUST_200600_302600_NS6detail15normal_iteratorINS8_7pointerIjNS8_11hip_rocprim5par_tENS8_11use_defaultESE_EEEENSA_INSB_IlSD_SE_SE_EEEEZNS1_13binary_searchIS3_S5_PjSG_SI_NS1_21lower_bound_search_opENS9_16wrapped_functionI11custom_lessbEEEE10hipError_tPvRmT1_T2_T3_mmT4_T5_P12ihipStream_tbEUlRKjE_EESP_ST_SU_mSV_SY_bEUlT_E_NS1_11comp_targetILNS1_3genE0ELNS1_11target_archE4294967295ELNS1_3gpuE0ELNS1_3repE0EEENS1_30default_config_static_selectorELNS0_4arch9wavefront6targetE1EEEvSS_,"axG",@progbits,_ZN7rocprim17ROCPRIM_400000_NS6detail17trampoline_kernelINS0_14default_configENS1_27lower_bound_config_selectorIjlEEZNS1_14transform_implILb0ES3_S5_N6thrust23THRUST_200600_302600_NS6detail15normal_iteratorINS8_7pointerIjNS8_11hip_rocprim5par_tENS8_11use_defaultESE_EEEENSA_INSB_IlSD_SE_SE_EEEEZNS1_13binary_searchIS3_S5_PjSG_SI_NS1_21lower_bound_search_opENS9_16wrapped_functionI11custom_lessbEEEE10hipError_tPvRmT1_T2_T3_mmT4_T5_P12ihipStream_tbEUlRKjE_EESP_ST_SU_mSV_SY_bEUlT_E_NS1_11comp_targetILNS1_3genE0ELNS1_11target_archE4294967295ELNS1_3gpuE0ELNS1_3repE0EEENS1_30default_config_static_selectorELNS0_4arch9wavefront6targetE1EEEvSS_,comdat
	.protected	_ZN7rocprim17ROCPRIM_400000_NS6detail17trampoline_kernelINS0_14default_configENS1_27lower_bound_config_selectorIjlEEZNS1_14transform_implILb0ES3_S5_N6thrust23THRUST_200600_302600_NS6detail15normal_iteratorINS8_7pointerIjNS8_11hip_rocprim5par_tENS8_11use_defaultESE_EEEENSA_INSB_IlSD_SE_SE_EEEEZNS1_13binary_searchIS3_S5_PjSG_SI_NS1_21lower_bound_search_opENS9_16wrapped_functionI11custom_lessbEEEE10hipError_tPvRmT1_T2_T3_mmT4_T5_P12ihipStream_tbEUlRKjE_EESP_ST_SU_mSV_SY_bEUlT_E_NS1_11comp_targetILNS1_3genE0ELNS1_11target_archE4294967295ELNS1_3gpuE0ELNS1_3repE0EEENS1_30default_config_static_selectorELNS0_4arch9wavefront6targetE1EEEvSS_ ; -- Begin function _ZN7rocprim17ROCPRIM_400000_NS6detail17trampoline_kernelINS0_14default_configENS1_27lower_bound_config_selectorIjlEEZNS1_14transform_implILb0ES3_S5_N6thrust23THRUST_200600_302600_NS6detail15normal_iteratorINS8_7pointerIjNS8_11hip_rocprim5par_tENS8_11use_defaultESE_EEEENSA_INSB_IlSD_SE_SE_EEEEZNS1_13binary_searchIS3_S5_PjSG_SI_NS1_21lower_bound_search_opENS9_16wrapped_functionI11custom_lessbEEEE10hipError_tPvRmT1_T2_T3_mmT4_T5_P12ihipStream_tbEUlRKjE_EESP_ST_SU_mSV_SY_bEUlT_E_NS1_11comp_targetILNS1_3genE0ELNS1_11target_archE4294967295ELNS1_3gpuE0ELNS1_3repE0EEENS1_30default_config_static_selectorELNS0_4arch9wavefront6targetE1EEEvSS_
	.globl	_ZN7rocprim17ROCPRIM_400000_NS6detail17trampoline_kernelINS0_14default_configENS1_27lower_bound_config_selectorIjlEEZNS1_14transform_implILb0ES3_S5_N6thrust23THRUST_200600_302600_NS6detail15normal_iteratorINS8_7pointerIjNS8_11hip_rocprim5par_tENS8_11use_defaultESE_EEEENSA_INSB_IlSD_SE_SE_EEEEZNS1_13binary_searchIS3_S5_PjSG_SI_NS1_21lower_bound_search_opENS9_16wrapped_functionI11custom_lessbEEEE10hipError_tPvRmT1_T2_T3_mmT4_T5_P12ihipStream_tbEUlRKjE_EESP_ST_SU_mSV_SY_bEUlT_E_NS1_11comp_targetILNS1_3genE0ELNS1_11target_archE4294967295ELNS1_3gpuE0ELNS1_3repE0EEENS1_30default_config_static_selectorELNS0_4arch9wavefront6targetE1EEEvSS_
	.p2align	8
	.type	_ZN7rocprim17ROCPRIM_400000_NS6detail17trampoline_kernelINS0_14default_configENS1_27lower_bound_config_selectorIjlEEZNS1_14transform_implILb0ES3_S5_N6thrust23THRUST_200600_302600_NS6detail15normal_iteratorINS8_7pointerIjNS8_11hip_rocprim5par_tENS8_11use_defaultESE_EEEENSA_INSB_IlSD_SE_SE_EEEEZNS1_13binary_searchIS3_S5_PjSG_SI_NS1_21lower_bound_search_opENS9_16wrapped_functionI11custom_lessbEEEE10hipError_tPvRmT1_T2_T3_mmT4_T5_P12ihipStream_tbEUlRKjE_EESP_ST_SU_mSV_SY_bEUlT_E_NS1_11comp_targetILNS1_3genE0ELNS1_11target_archE4294967295ELNS1_3gpuE0ELNS1_3repE0EEENS1_30default_config_static_selectorELNS0_4arch9wavefront6targetE1EEEvSS_,@function
_ZN7rocprim17ROCPRIM_400000_NS6detail17trampoline_kernelINS0_14default_configENS1_27lower_bound_config_selectorIjlEEZNS1_14transform_implILb0ES3_S5_N6thrust23THRUST_200600_302600_NS6detail15normal_iteratorINS8_7pointerIjNS8_11hip_rocprim5par_tENS8_11use_defaultESE_EEEENSA_INSB_IlSD_SE_SE_EEEEZNS1_13binary_searchIS3_S5_PjSG_SI_NS1_21lower_bound_search_opENS9_16wrapped_functionI11custom_lessbEEEE10hipError_tPvRmT1_T2_T3_mmT4_T5_P12ihipStream_tbEUlRKjE_EESP_ST_SU_mSV_SY_bEUlT_E_NS1_11comp_targetILNS1_3genE0ELNS1_11target_archE4294967295ELNS1_3gpuE0ELNS1_3repE0EEENS1_30default_config_static_selectorELNS0_4arch9wavefront6targetE1EEEvSS_: ; @_ZN7rocprim17ROCPRIM_400000_NS6detail17trampoline_kernelINS0_14default_configENS1_27lower_bound_config_selectorIjlEEZNS1_14transform_implILb0ES3_S5_N6thrust23THRUST_200600_302600_NS6detail15normal_iteratorINS8_7pointerIjNS8_11hip_rocprim5par_tENS8_11use_defaultESE_EEEENSA_INSB_IlSD_SE_SE_EEEEZNS1_13binary_searchIS3_S5_PjSG_SI_NS1_21lower_bound_search_opENS9_16wrapped_functionI11custom_lessbEEEE10hipError_tPvRmT1_T2_T3_mmT4_T5_P12ihipStream_tbEUlRKjE_EESP_ST_SU_mSV_SY_bEUlT_E_NS1_11comp_targetILNS1_3genE0ELNS1_11target_archE4294967295ELNS1_3gpuE0ELNS1_3repE0EEENS1_30default_config_static_selectorELNS0_4arch9wavefront6targetE1EEEvSS_
; %bb.0:
	.section	.rodata,"a",@progbits
	.p2align	6, 0x0
	.amdhsa_kernel _ZN7rocprim17ROCPRIM_400000_NS6detail17trampoline_kernelINS0_14default_configENS1_27lower_bound_config_selectorIjlEEZNS1_14transform_implILb0ES3_S5_N6thrust23THRUST_200600_302600_NS6detail15normal_iteratorINS8_7pointerIjNS8_11hip_rocprim5par_tENS8_11use_defaultESE_EEEENSA_INSB_IlSD_SE_SE_EEEEZNS1_13binary_searchIS3_S5_PjSG_SI_NS1_21lower_bound_search_opENS9_16wrapped_functionI11custom_lessbEEEE10hipError_tPvRmT1_T2_T3_mmT4_T5_P12ihipStream_tbEUlRKjE_EESP_ST_SU_mSV_SY_bEUlT_E_NS1_11comp_targetILNS1_3genE0ELNS1_11target_archE4294967295ELNS1_3gpuE0ELNS1_3repE0EEENS1_30default_config_static_selectorELNS0_4arch9wavefront6targetE1EEEvSS_
		.amdhsa_group_segment_fixed_size 0
		.amdhsa_private_segment_fixed_size 0
		.amdhsa_kernarg_size 56
		.amdhsa_user_sgpr_count 6
		.amdhsa_user_sgpr_private_segment_buffer 1
		.amdhsa_user_sgpr_dispatch_ptr 0
		.amdhsa_user_sgpr_queue_ptr 0
		.amdhsa_user_sgpr_kernarg_segment_ptr 1
		.amdhsa_user_sgpr_dispatch_id 0
		.amdhsa_user_sgpr_flat_scratch_init 0
		.amdhsa_user_sgpr_private_segment_size 0
		.amdhsa_uses_dynamic_stack 0
		.amdhsa_system_sgpr_private_segment_wavefront_offset 0
		.amdhsa_system_sgpr_workgroup_id_x 1
		.amdhsa_system_sgpr_workgroup_id_y 0
		.amdhsa_system_sgpr_workgroup_id_z 0
		.amdhsa_system_sgpr_workgroup_info 0
		.amdhsa_system_vgpr_workitem_id 0
		.amdhsa_next_free_vgpr 1
		.amdhsa_next_free_sgpr 0
		.amdhsa_reserve_vcc 0
		.amdhsa_reserve_flat_scratch 0
		.amdhsa_float_round_mode_32 0
		.amdhsa_float_round_mode_16_64 0
		.amdhsa_float_denorm_mode_32 3
		.amdhsa_float_denorm_mode_16_64 3
		.amdhsa_dx10_clamp 1
		.amdhsa_ieee_mode 1
		.amdhsa_fp16_overflow 0
		.amdhsa_exception_fp_ieee_invalid_op 0
		.amdhsa_exception_fp_denorm_src 0
		.amdhsa_exception_fp_ieee_div_zero 0
		.amdhsa_exception_fp_ieee_overflow 0
		.amdhsa_exception_fp_ieee_underflow 0
		.amdhsa_exception_fp_ieee_inexact 0
		.amdhsa_exception_int_div_zero 0
	.end_amdhsa_kernel
	.section	.text._ZN7rocprim17ROCPRIM_400000_NS6detail17trampoline_kernelINS0_14default_configENS1_27lower_bound_config_selectorIjlEEZNS1_14transform_implILb0ES3_S5_N6thrust23THRUST_200600_302600_NS6detail15normal_iteratorINS8_7pointerIjNS8_11hip_rocprim5par_tENS8_11use_defaultESE_EEEENSA_INSB_IlSD_SE_SE_EEEEZNS1_13binary_searchIS3_S5_PjSG_SI_NS1_21lower_bound_search_opENS9_16wrapped_functionI11custom_lessbEEEE10hipError_tPvRmT1_T2_T3_mmT4_T5_P12ihipStream_tbEUlRKjE_EESP_ST_SU_mSV_SY_bEUlT_E_NS1_11comp_targetILNS1_3genE0ELNS1_11target_archE4294967295ELNS1_3gpuE0ELNS1_3repE0EEENS1_30default_config_static_selectorELNS0_4arch9wavefront6targetE1EEEvSS_,"axG",@progbits,_ZN7rocprim17ROCPRIM_400000_NS6detail17trampoline_kernelINS0_14default_configENS1_27lower_bound_config_selectorIjlEEZNS1_14transform_implILb0ES3_S5_N6thrust23THRUST_200600_302600_NS6detail15normal_iteratorINS8_7pointerIjNS8_11hip_rocprim5par_tENS8_11use_defaultESE_EEEENSA_INSB_IlSD_SE_SE_EEEEZNS1_13binary_searchIS3_S5_PjSG_SI_NS1_21lower_bound_search_opENS9_16wrapped_functionI11custom_lessbEEEE10hipError_tPvRmT1_T2_T3_mmT4_T5_P12ihipStream_tbEUlRKjE_EESP_ST_SU_mSV_SY_bEUlT_E_NS1_11comp_targetILNS1_3genE0ELNS1_11target_archE4294967295ELNS1_3gpuE0ELNS1_3repE0EEENS1_30default_config_static_selectorELNS0_4arch9wavefront6targetE1EEEvSS_,comdat
.Lfunc_end64:
	.size	_ZN7rocprim17ROCPRIM_400000_NS6detail17trampoline_kernelINS0_14default_configENS1_27lower_bound_config_selectorIjlEEZNS1_14transform_implILb0ES3_S5_N6thrust23THRUST_200600_302600_NS6detail15normal_iteratorINS8_7pointerIjNS8_11hip_rocprim5par_tENS8_11use_defaultESE_EEEENSA_INSB_IlSD_SE_SE_EEEEZNS1_13binary_searchIS3_S5_PjSG_SI_NS1_21lower_bound_search_opENS9_16wrapped_functionI11custom_lessbEEEE10hipError_tPvRmT1_T2_T3_mmT4_T5_P12ihipStream_tbEUlRKjE_EESP_ST_SU_mSV_SY_bEUlT_E_NS1_11comp_targetILNS1_3genE0ELNS1_11target_archE4294967295ELNS1_3gpuE0ELNS1_3repE0EEENS1_30default_config_static_selectorELNS0_4arch9wavefront6targetE1EEEvSS_, .Lfunc_end64-_ZN7rocprim17ROCPRIM_400000_NS6detail17trampoline_kernelINS0_14default_configENS1_27lower_bound_config_selectorIjlEEZNS1_14transform_implILb0ES3_S5_N6thrust23THRUST_200600_302600_NS6detail15normal_iteratorINS8_7pointerIjNS8_11hip_rocprim5par_tENS8_11use_defaultESE_EEEENSA_INSB_IlSD_SE_SE_EEEEZNS1_13binary_searchIS3_S5_PjSG_SI_NS1_21lower_bound_search_opENS9_16wrapped_functionI11custom_lessbEEEE10hipError_tPvRmT1_T2_T3_mmT4_T5_P12ihipStream_tbEUlRKjE_EESP_ST_SU_mSV_SY_bEUlT_E_NS1_11comp_targetILNS1_3genE0ELNS1_11target_archE4294967295ELNS1_3gpuE0ELNS1_3repE0EEENS1_30default_config_static_selectorELNS0_4arch9wavefront6targetE1EEEvSS_
                                        ; -- End function
	.set _ZN7rocprim17ROCPRIM_400000_NS6detail17trampoline_kernelINS0_14default_configENS1_27lower_bound_config_selectorIjlEEZNS1_14transform_implILb0ES3_S5_N6thrust23THRUST_200600_302600_NS6detail15normal_iteratorINS8_7pointerIjNS8_11hip_rocprim5par_tENS8_11use_defaultESE_EEEENSA_INSB_IlSD_SE_SE_EEEEZNS1_13binary_searchIS3_S5_PjSG_SI_NS1_21lower_bound_search_opENS9_16wrapped_functionI11custom_lessbEEEE10hipError_tPvRmT1_T2_T3_mmT4_T5_P12ihipStream_tbEUlRKjE_EESP_ST_SU_mSV_SY_bEUlT_E_NS1_11comp_targetILNS1_3genE0ELNS1_11target_archE4294967295ELNS1_3gpuE0ELNS1_3repE0EEENS1_30default_config_static_selectorELNS0_4arch9wavefront6targetE1EEEvSS_.num_vgpr, 0
	.set _ZN7rocprim17ROCPRIM_400000_NS6detail17trampoline_kernelINS0_14default_configENS1_27lower_bound_config_selectorIjlEEZNS1_14transform_implILb0ES3_S5_N6thrust23THRUST_200600_302600_NS6detail15normal_iteratorINS8_7pointerIjNS8_11hip_rocprim5par_tENS8_11use_defaultESE_EEEENSA_INSB_IlSD_SE_SE_EEEEZNS1_13binary_searchIS3_S5_PjSG_SI_NS1_21lower_bound_search_opENS9_16wrapped_functionI11custom_lessbEEEE10hipError_tPvRmT1_T2_T3_mmT4_T5_P12ihipStream_tbEUlRKjE_EESP_ST_SU_mSV_SY_bEUlT_E_NS1_11comp_targetILNS1_3genE0ELNS1_11target_archE4294967295ELNS1_3gpuE0ELNS1_3repE0EEENS1_30default_config_static_selectorELNS0_4arch9wavefront6targetE1EEEvSS_.num_agpr, 0
	.set _ZN7rocprim17ROCPRIM_400000_NS6detail17trampoline_kernelINS0_14default_configENS1_27lower_bound_config_selectorIjlEEZNS1_14transform_implILb0ES3_S5_N6thrust23THRUST_200600_302600_NS6detail15normal_iteratorINS8_7pointerIjNS8_11hip_rocprim5par_tENS8_11use_defaultESE_EEEENSA_INSB_IlSD_SE_SE_EEEEZNS1_13binary_searchIS3_S5_PjSG_SI_NS1_21lower_bound_search_opENS9_16wrapped_functionI11custom_lessbEEEE10hipError_tPvRmT1_T2_T3_mmT4_T5_P12ihipStream_tbEUlRKjE_EESP_ST_SU_mSV_SY_bEUlT_E_NS1_11comp_targetILNS1_3genE0ELNS1_11target_archE4294967295ELNS1_3gpuE0ELNS1_3repE0EEENS1_30default_config_static_selectorELNS0_4arch9wavefront6targetE1EEEvSS_.numbered_sgpr, 0
	.set _ZN7rocprim17ROCPRIM_400000_NS6detail17trampoline_kernelINS0_14default_configENS1_27lower_bound_config_selectorIjlEEZNS1_14transform_implILb0ES3_S5_N6thrust23THRUST_200600_302600_NS6detail15normal_iteratorINS8_7pointerIjNS8_11hip_rocprim5par_tENS8_11use_defaultESE_EEEENSA_INSB_IlSD_SE_SE_EEEEZNS1_13binary_searchIS3_S5_PjSG_SI_NS1_21lower_bound_search_opENS9_16wrapped_functionI11custom_lessbEEEE10hipError_tPvRmT1_T2_T3_mmT4_T5_P12ihipStream_tbEUlRKjE_EESP_ST_SU_mSV_SY_bEUlT_E_NS1_11comp_targetILNS1_3genE0ELNS1_11target_archE4294967295ELNS1_3gpuE0ELNS1_3repE0EEENS1_30default_config_static_selectorELNS0_4arch9wavefront6targetE1EEEvSS_.num_named_barrier, 0
	.set _ZN7rocprim17ROCPRIM_400000_NS6detail17trampoline_kernelINS0_14default_configENS1_27lower_bound_config_selectorIjlEEZNS1_14transform_implILb0ES3_S5_N6thrust23THRUST_200600_302600_NS6detail15normal_iteratorINS8_7pointerIjNS8_11hip_rocprim5par_tENS8_11use_defaultESE_EEEENSA_INSB_IlSD_SE_SE_EEEEZNS1_13binary_searchIS3_S5_PjSG_SI_NS1_21lower_bound_search_opENS9_16wrapped_functionI11custom_lessbEEEE10hipError_tPvRmT1_T2_T3_mmT4_T5_P12ihipStream_tbEUlRKjE_EESP_ST_SU_mSV_SY_bEUlT_E_NS1_11comp_targetILNS1_3genE0ELNS1_11target_archE4294967295ELNS1_3gpuE0ELNS1_3repE0EEENS1_30default_config_static_selectorELNS0_4arch9wavefront6targetE1EEEvSS_.private_seg_size, 0
	.set _ZN7rocprim17ROCPRIM_400000_NS6detail17trampoline_kernelINS0_14default_configENS1_27lower_bound_config_selectorIjlEEZNS1_14transform_implILb0ES3_S5_N6thrust23THRUST_200600_302600_NS6detail15normal_iteratorINS8_7pointerIjNS8_11hip_rocprim5par_tENS8_11use_defaultESE_EEEENSA_INSB_IlSD_SE_SE_EEEEZNS1_13binary_searchIS3_S5_PjSG_SI_NS1_21lower_bound_search_opENS9_16wrapped_functionI11custom_lessbEEEE10hipError_tPvRmT1_T2_T3_mmT4_T5_P12ihipStream_tbEUlRKjE_EESP_ST_SU_mSV_SY_bEUlT_E_NS1_11comp_targetILNS1_3genE0ELNS1_11target_archE4294967295ELNS1_3gpuE0ELNS1_3repE0EEENS1_30default_config_static_selectorELNS0_4arch9wavefront6targetE1EEEvSS_.uses_vcc, 0
	.set _ZN7rocprim17ROCPRIM_400000_NS6detail17trampoline_kernelINS0_14default_configENS1_27lower_bound_config_selectorIjlEEZNS1_14transform_implILb0ES3_S5_N6thrust23THRUST_200600_302600_NS6detail15normal_iteratorINS8_7pointerIjNS8_11hip_rocprim5par_tENS8_11use_defaultESE_EEEENSA_INSB_IlSD_SE_SE_EEEEZNS1_13binary_searchIS3_S5_PjSG_SI_NS1_21lower_bound_search_opENS9_16wrapped_functionI11custom_lessbEEEE10hipError_tPvRmT1_T2_T3_mmT4_T5_P12ihipStream_tbEUlRKjE_EESP_ST_SU_mSV_SY_bEUlT_E_NS1_11comp_targetILNS1_3genE0ELNS1_11target_archE4294967295ELNS1_3gpuE0ELNS1_3repE0EEENS1_30default_config_static_selectorELNS0_4arch9wavefront6targetE1EEEvSS_.uses_flat_scratch, 0
	.set _ZN7rocprim17ROCPRIM_400000_NS6detail17trampoline_kernelINS0_14default_configENS1_27lower_bound_config_selectorIjlEEZNS1_14transform_implILb0ES3_S5_N6thrust23THRUST_200600_302600_NS6detail15normal_iteratorINS8_7pointerIjNS8_11hip_rocprim5par_tENS8_11use_defaultESE_EEEENSA_INSB_IlSD_SE_SE_EEEEZNS1_13binary_searchIS3_S5_PjSG_SI_NS1_21lower_bound_search_opENS9_16wrapped_functionI11custom_lessbEEEE10hipError_tPvRmT1_T2_T3_mmT4_T5_P12ihipStream_tbEUlRKjE_EESP_ST_SU_mSV_SY_bEUlT_E_NS1_11comp_targetILNS1_3genE0ELNS1_11target_archE4294967295ELNS1_3gpuE0ELNS1_3repE0EEENS1_30default_config_static_selectorELNS0_4arch9wavefront6targetE1EEEvSS_.has_dyn_sized_stack, 0
	.set _ZN7rocprim17ROCPRIM_400000_NS6detail17trampoline_kernelINS0_14default_configENS1_27lower_bound_config_selectorIjlEEZNS1_14transform_implILb0ES3_S5_N6thrust23THRUST_200600_302600_NS6detail15normal_iteratorINS8_7pointerIjNS8_11hip_rocprim5par_tENS8_11use_defaultESE_EEEENSA_INSB_IlSD_SE_SE_EEEEZNS1_13binary_searchIS3_S5_PjSG_SI_NS1_21lower_bound_search_opENS9_16wrapped_functionI11custom_lessbEEEE10hipError_tPvRmT1_T2_T3_mmT4_T5_P12ihipStream_tbEUlRKjE_EESP_ST_SU_mSV_SY_bEUlT_E_NS1_11comp_targetILNS1_3genE0ELNS1_11target_archE4294967295ELNS1_3gpuE0ELNS1_3repE0EEENS1_30default_config_static_selectorELNS0_4arch9wavefront6targetE1EEEvSS_.has_recursion, 0
	.set _ZN7rocprim17ROCPRIM_400000_NS6detail17trampoline_kernelINS0_14default_configENS1_27lower_bound_config_selectorIjlEEZNS1_14transform_implILb0ES3_S5_N6thrust23THRUST_200600_302600_NS6detail15normal_iteratorINS8_7pointerIjNS8_11hip_rocprim5par_tENS8_11use_defaultESE_EEEENSA_INSB_IlSD_SE_SE_EEEEZNS1_13binary_searchIS3_S5_PjSG_SI_NS1_21lower_bound_search_opENS9_16wrapped_functionI11custom_lessbEEEE10hipError_tPvRmT1_T2_T3_mmT4_T5_P12ihipStream_tbEUlRKjE_EESP_ST_SU_mSV_SY_bEUlT_E_NS1_11comp_targetILNS1_3genE0ELNS1_11target_archE4294967295ELNS1_3gpuE0ELNS1_3repE0EEENS1_30default_config_static_selectorELNS0_4arch9wavefront6targetE1EEEvSS_.has_indirect_call, 0
	.section	.AMDGPU.csdata,"",@progbits
; Kernel info:
; codeLenInByte = 0
; TotalNumSgprs: 4
; NumVgprs: 0
; ScratchSize: 0
; MemoryBound: 0
; FloatMode: 240
; IeeeMode: 1
; LDSByteSize: 0 bytes/workgroup (compile time only)
; SGPRBlocks: 0
; VGPRBlocks: 0
; NumSGPRsForWavesPerEU: 4
; NumVGPRsForWavesPerEU: 1
; Occupancy: 10
; WaveLimiterHint : 0
; COMPUTE_PGM_RSRC2:SCRATCH_EN: 0
; COMPUTE_PGM_RSRC2:USER_SGPR: 6
; COMPUTE_PGM_RSRC2:TRAP_HANDLER: 0
; COMPUTE_PGM_RSRC2:TGID_X_EN: 1
; COMPUTE_PGM_RSRC2:TGID_Y_EN: 0
; COMPUTE_PGM_RSRC2:TGID_Z_EN: 0
; COMPUTE_PGM_RSRC2:TIDIG_COMP_CNT: 0
	.section	.text._ZN7rocprim17ROCPRIM_400000_NS6detail17trampoline_kernelINS0_14default_configENS1_27lower_bound_config_selectorIjlEEZNS1_14transform_implILb0ES3_S5_N6thrust23THRUST_200600_302600_NS6detail15normal_iteratorINS8_7pointerIjNS8_11hip_rocprim5par_tENS8_11use_defaultESE_EEEENSA_INSB_IlSD_SE_SE_EEEEZNS1_13binary_searchIS3_S5_PjSG_SI_NS1_21lower_bound_search_opENS9_16wrapped_functionI11custom_lessbEEEE10hipError_tPvRmT1_T2_T3_mmT4_T5_P12ihipStream_tbEUlRKjE_EESP_ST_SU_mSV_SY_bEUlT_E_NS1_11comp_targetILNS1_3genE5ELNS1_11target_archE942ELNS1_3gpuE9ELNS1_3repE0EEENS1_30default_config_static_selectorELNS0_4arch9wavefront6targetE1EEEvSS_,"axG",@progbits,_ZN7rocprim17ROCPRIM_400000_NS6detail17trampoline_kernelINS0_14default_configENS1_27lower_bound_config_selectorIjlEEZNS1_14transform_implILb0ES3_S5_N6thrust23THRUST_200600_302600_NS6detail15normal_iteratorINS8_7pointerIjNS8_11hip_rocprim5par_tENS8_11use_defaultESE_EEEENSA_INSB_IlSD_SE_SE_EEEEZNS1_13binary_searchIS3_S5_PjSG_SI_NS1_21lower_bound_search_opENS9_16wrapped_functionI11custom_lessbEEEE10hipError_tPvRmT1_T2_T3_mmT4_T5_P12ihipStream_tbEUlRKjE_EESP_ST_SU_mSV_SY_bEUlT_E_NS1_11comp_targetILNS1_3genE5ELNS1_11target_archE942ELNS1_3gpuE9ELNS1_3repE0EEENS1_30default_config_static_selectorELNS0_4arch9wavefront6targetE1EEEvSS_,comdat
	.protected	_ZN7rocprim17ROCPRIM_400000_NS6detail17trampoline_kernelINS0_14default_configENS1_27lower_bound_config_selectorIjlEEZNS1_14transform_implILb0ES3_S5_N6thrust23THRUST_200600_302600_NS6detail15normal_iteratorINS8_7pointerIjNS8_11hip_rocprim5par_tENS8_11use_defaultESE_EEEENSA_INSB_IlSD_SE_SE_EEEEZNS1_13binary_searchIS3_S5_PjSG_SI_NS1_21lower_bound_search_opENS9_16wrapped_functionI11custom_lessbEEEE10hipError_tPvRmT1_T2_T3_mmT4_T5_P12ihipStream_tbEUlRKjE_EESP_ST_SU_mSV_SY_bEUlT_E_NS1_11comp_targetILNS1_3genE5ELNS1_11target_archE942ELNS1_3gpuE9ELNS1_3repE0EEENS1_30default_config_static_selectorELNS0_4arch9wavefront6targetE1EEEvSS_ ; -- Begin function _ZN7rocprim17ROCPRIM_400000_NS6detail17trampoline_kernelINS0_14default_configENS1_27lower_bound_config_selectorIjlEEZNS1_14transform_implILb0ES3_S5_N6thrust23THRUST_200600_302600_NS6detail15normal_iteratorINS8_7pointerIjNS8_11hip_rocprim5par_tENS8_11use_defaultESE_EEEENSA_INSB_IlSD_SE_SE_EEEEZNS1_13binary_searchIS3_S5_PjSG_SI_NS1_21lower_bound_search_opENS9_16wrapped_functionI11custom_lessbEEEE10hipError_tPvRmT1_T2_T3_mmT4_T5_P12ihipStream_tbEUlRKjE_EESP_ST_SU_mSV_SY_bEUlT_E_NS1_11comp_targetILNS1_3genE5ELNS1_11target_archE942ELNS1_3gpuE9ELNS1_3repE0EEENS1_30default_config_static_selectorELNS0_4arch9wavefront6targetE1EEEvSS_
	.globl	_ZN7rocprim17ROCPRIM_400000_NS6detail17trampoline_kernelINS0_14default_configENS1_27lower_bound_config_selectorIjlEEZNS1_14transform_implILb0ES3_S5_N6thrust23THRUST_200600_302600_NS6detail15normal_iteratorINS8_7pointerIjNS8_11hip_rocprim5par_tENS8_11use_defaultESE_EEEENSA_INSB_IlSD_SE_SE_EEEEZNS1_13binary_searchIS3_S5_PjSG_SI_NS1_21lower_bound_search_opENS9_16wrapped_functionI11custom_lessbEEEE10hipError_tPvRmT1_T2_T3_mmT4_T5_P12ihipStream_tbEUlRKjE_EESP_ST_SU_mSV_SY_bEUlT_E_NS1_11comp_targetILNS1_3genE5ELNS1_11target_archE942ELNS1_3gpuE9ELNS1_3repE0EEENS1_30default_config_static_selectorELNS0_4arch9wavefront6targetE1EEEvSS_
	.p2align	8
	.type	_ZN7rocprim17ROCPRIM_400000_NS6detail17trampoline_kernelINS0_14default_configENS1_27lower_bound_config_selectorIjlEEZNS1_14transform_implILb0ES3_S5_N6thrust23THRUST_200600_302600_NS6detail15normal_iteratorINS8_7pointerIjNS8_11hip_rocprim5par_tENS8_11use_defaultESE_EEEENSA_INSB_IlSD_SE_SE_EEEEZNS1_13binary_searchIS3_S5_PjSG_SI_NS1_21lower_bound_search_opENS9_16wrapped_functionI11custom_lessbEEEE10hipError_tPvRmT1_T2_T3_mmT4_T5_P12ihipStream_tbEUlRKjE_EESP_ST_SU_mSV_SY_bEUlT_E_NS1_11comp_targetILNS1_3genE5ELNS1_11target_archE942ELNS1_3gpuE9ELNS1_3repE0EEENS1_30default_config_static_selectorELNS0_4arch9wavefront6targetE1EEEvSS_,@function
_ZN7rocprim17ROCPRIM_400000_NS6detail17trampoline_kernelINS0_14default_configENS1_27lower_bound_config_selectorIjlEEZNS1_14transform_implILb0ES3_S5_N6thrust23THRUST_200600_302600_NS6detail15normal_iteratorINS8_7pointerIjNS8_11hip_rocprim5par_tENS8_11use_defaultESE_EEEENSA_INSB_IlSD_SE_SE_EEEEZNS1_13binary_searchIS3_S5_PjSG_SI_NS1_21lower_bound_search_opENS9_16wrapped_functionI11custom_lessbEEEE10hipError_tPvRmT1_T2_T3_mmT4_T5_P12ihipStream_tbEUlRKjE_EESP_ST_SU_mSV_SY_bEUlT_E_NS1_11comp_targetILNS1_3genE5ELNS1_11target_archE942ELNS1_3gpuE9ELNS1_3repE0EEENS1_30default_config_static_selectorELNS0_4arch9wavefront6targetE1EEEvSS_: ; @_ZN7rocprim17ROCPRIM_400000_NS6detail17trampoline_kernelINS0_14default_configENS1_27lower_bound_config_selectorIjlEEZNS1_14transform_implILb0ES3_S5_N6thrust23THRUST_200600_302600_NS6detail15normal_iteratorINS8_7pointerIjNS8_11hip_rocprim5par_tENS8_11use_defaultESE_EEEENSA_INSB_IlSD_SE_SE_EEEEZNS1_13binary_searchIS3_S5_PjSG_SI_NS1_21lower_bound_search_opENS9_16wrapped_functionI11custom_lessbEEEE10hipError_tPvRmT1_T2_T3_mmT4_T5_P12ihipStream_tbEUlRKjE_EESP_ST_SU_mSV_SY_bEUlT_E_NS1_11comp_targetILNS1_3genE5ELNS1_11target_archE942ELNS1_3gpuE9ELNS1_3repE0EEENS1_30default_config_static_selectorELNS0_4arch9wavefront6targetE1EEEvSS_
; %bb.0:
	.section	.rodata,"a",@progbits
	.p2align	6, 0x0
	.amdhsa_kernel _ZN7rocprim17ROCPRIM_400000_NS6detail17trampoline_kernelINS0_14default_configENS1_27lower_bound_config_selectorIjlEEZNS1_14transform_implILb0ES3_S5_N6thrust23THRUST_200600_302600_NS6detail15normal_iteratorINS8_7pointerIjNS8_11hip_rocprim5par_tENS8_11use_defaultESE_EEEENSA_INSB_IlSD_SE_SE_EEEEZNS1_13binary_searchIS3_S5_PjSG_SI_NS1_21lower_bound_search_opENS9_16wrapped_functionI11custom_lessbEEEE10hipError_tPvRmT1_T2_T3_mmT4_T5_P12ihipStream_tbEUlRKjE_EESP_ST_SU_mSV_SY_bEUlT_E_NS1_11comp_targetILNS1_3genE5ELNS1_11target_archE942ELNS1_3gpuE9ELNS1_3repE0EEENS1_30default_config_static_selectorELNS0_4arch9wavefront6targetE1EEEvSS_
		.amdhsa_group_segment_fixed_size 0
		.amdhsa_private_segment_fixed_size 0
		.amdhsa_kernarg_size 56
		.amdhsa_user_sgpr_count 6
		.amdhsa_user_sgpr_private_segment_buffer 1
		.amdhsa_user_sgpr_dispatch_ptr 0
		.amdhsa_user_sgpr_queue_ptr 0
		.amdhsa_user_sgpr_kernarg_segment_ptr 1
		.amdhsa_user_sgpr_dispatch_id 0
		.amdhsa_user_sgpr_flat_scratch_init 0
		.amdhsa_user_sgpr_private_segment_size 0
		.amdhsa_uses_dynamic_stack 0
		.amdhsa_system_sgpr_private_segment_wavefront_offset 0
		.amdhsa_system_sgpr_workgroup_id_x 1
		.amdhsa_system_sgpr_workgroup_id_y 0
		.amdhsa_system_sgpr_workgroup_id_z 0
		.amdhsa_system_sgpr_workgroup_info 0
		.amdhsa_system_vgpr_workitem_id 0
		.amdhsa_next_free_vgpr 1
		.amdhsa_next_free_sgpr 0
		.amdhsa_reserve_vcc 0
		.amdhsa_reserve_flat_scratch 0
		.amdhsa_float_round_mode_32 0
		.amdhsa_float_round_mode_16_64 0
		.amdhsa_float_denorm_mode_32 3
		.amdhsa_float_denorm_mode_16_64 3
		.amdhsa_dx10_clamp 1
		.amdhsa_ieee_mode 1
		.amdhsa_fp16_overflow 0
		.amdhsa_exception_fp_ieee_invalid_op 0
		.amdhsa_exception_fp_denorm_src 0
		.amdhsa_exception_fp_ieee_div_zero 0
		.amdhsa_exception_fp_ieee_overflow 0
		.amdhsa_exception_fp_ieee_underflow 0
		.amdhsa_exception_fp_ieee_inexact 0
		.amdhsa_exception_int_div_zero 0
	.end_amdhsa_kernel
	.section	.text._ZN7rocprim17ROCPRIM_400000_NS6detail17trampoline_kernelINS0_14default_configENS1_27lower_bound_config_selectorIjlEEZNS1_14transform_implILb0ES3_S5_N6thrust23THRUST_200600_302600_NS6detail15normal_iteratorINS8_7pointerIjNS8_11hip_rocprim5par_tENS8_11use_defaultESE_EEEENSA_INSB_IlSD_SE_SE_EEEEZNS1_13binary_searchIS3_S5_PjSG_SI_NS1_21lower_bound_search_opENS9_16wrapped_functionI11custom_lessbEEEE10hipError_tPvRmT1_T2_T3_mmT4_T5_P12ihipStream_tbEUlRKjE_EESP_ST_SU_mSV_SY_bEUlT_E_NS1_11comp_targetILNS1_3genE5ELNS1_11target_archE942ELNS1_3gpuE9ELNS1_3repE0EEENS1_30default_config_static_selectorELNS0_4arch9wavefront6targetE1EEEvSS_,"axG",@progbits,_ZN7rocprim17ROCPRIM_400000_NS6detail17trampoline_kernelINS0_14default_configENS1_27lower_bound_config_selectorIjlEEZNS1_14transform_implILb0ES3_S5_N6thrust23THRUST_200600_302600_NS6detail15normal_iteratorINS8_7pointerIjNS8_11hip_rocprim5par_tENS8_11use_defaultESE_EEEENSA_INSB_IlSD_SE_SE_EEEEZNS1_13binary_searchIS3_S5_PjSG_SI_NS1_21lower_bound_search_opENS9_16wrapped_functionI11custom_lessbEEEE10hipError_tPvRmT1_T2_T3_mmT4_T5_P12ihipStream_tbEUlRKjE_EESP_ST_SU_mSV_SY_bEUlT_E_NS1_11comp_targetILNS1_3genE5ELNS1_11target_archE942ELNS1_3gpuE9ELNS1_3repE0EEENS1_30default_config_static_selectorELNS0_4arch9wavefront6targetE1EEEvSS_,comdat
.Lfunc_end65:
	.size	_ZN7rocprim17ROCPRIM_400000_NS6detail17trampoline_kernelINS0_14default_configENS1_27lower_bound_config_selectorIjlEEZNS1_14transform_implILb0ES3_S5_N6thrust23THRUST_200600_302600_NS6detail15normal_iteratorINS8_7pointerIjNS8_11hip_rocprim5par_tENS8_11use_defaultESE_EEEENSA_INSB_IlSD_SE_SE_EEEEZNS1_13binary_searchIS3_S5_PjSG_SI_NS1_21lower_bound_search_opENS9_16wrapped_functionI11custom_lessbEEEE10hipError_tPvRmT1_T2_T3_mmT4_T5_P12ihipStream_tbEUlRKjE_EESP_ST_SU_mSV_SY_bEUlT_E_NS1_11comp_targetILNS1_3genE5ELNS1_11target_archE942ELNS1_3gpuE9ELNS1_3repE0EEENS1_30default_config_static_selectorELNS0_4arch9wavefront6targetE1EEEvSS_, .Lfunc_end65-_ZN7rocprim17ROCPRIM_400000_NS6detail17trampoline_kernelINS0_14default_configENS1_27lower_bound_config_selectorIjlEEZNS1_14transform_implILb0ES3_S5_N6thrust23THRUST_200600_302600_NS6detail15normal_iteratorINS8_7pointerIjNS8_11hip_rocprim5par_tENS8_11use_defaultESE_EEEENSA_INSB_IlSD_SE_SE_EEEEZNS1_13binary_searchIS3_S5_PjSG_SI_NS1_21lower_bound_search_opENS9_16wrapped_functionI11custom_lessbEEEE10hipError_tPvRmT1_T2_T3_mmT4_T5_P12ihipStream_tbEUlRKjE_EESP_ST_SU_mSV_SY_bEUlT_E_NS1_11comp_targetILNS1_3genE5ELNS1_11target_archE942ELNS1_3gpuE9ELNS1_3repE0EEENS1_30default_config_static_selectorELNS0_4arch9wavefront6targetE1EEEvSS_
                                        ; -- End function
	.set _ZN7rocprim17ROCPRIM_400000_NS6detail17trampoline_kernelINS0_14default_configENS1_27lower_bound_config_selectorIjlEEZNS1_14transform_implILb0ES3_S5_N6thrust23THRUST_200600_302600_NS6detail15normal_iteratorINS8_7pointerIjNS8_11hip_rocprim5par_tENS8_11use_defaultESE_EEEENSA_INSB_IlSD_SE_SE_EEEEZNS1_13binary_searchIS3_S5_PjSG_SI_NS1_21lower_bound_search_opENS9_16wrapped_functionI11custom_lessbEEEE10hipError_tPvRmT1_T2_T3_mmT4_T5_P12ihipStream_tbEUlRKjE_EESP_ST_SU_mSV_SY_bEUlT_E_NS1_11comp_targetILNS1_3genE5ELNS1_11target_archE942ELNS1_3gpuE9ELNS1_3repE0EEENS1_30default_config_static_selectorELNS0_4arch9wavefront6targetE1EEEvSS_.num_vgpr, 0
	.set _ZN7rocprim17ROCPRIM_400000_NS6detail17trampoline_kernelINS0_14default_configENS1_27lower_bound_config_selectorIjlEEZNS1_14transform_implILb0ES3_S5_N6thrust23THRUST_200600_302600_NS6detail15normal_iteratorINS8_7pointerIjNS8_11hip_rocprim5par_tENS8_11use_defaultESE_EEEENSA_INSB_IlSD_SE_SE_EEEEZNS1_13binary_searchIS3_S5_PjSG_SI_NS1_21lower_bound_search_opENS9_16wrapped_functionI11custom_lessbEEEE10hipError_tPvRmT1_T2_T3_mmT4_T5_P12ihipStream_tbEUlRKjE_EESP_ST_SU_mSV_SY_bEUlT_E_NS1_11comp_targetILNS1_3genE5ELNS1_11target_archE942ELNS1_3gpuE9ELNS1_3repE0EEENS1_30default_config_static_selectorELNS0_4arch9wavefront6targetE1EEEvSS_.num_agpr, 0
	.set _ZN7rocprim17ROCPRIM_400000_NS6detail17trampoline_kernelINS0_14default_configENS1_27lower_bound_config_selectorIjlEEZNS1_14transform_implILb0ES3_S5_N6thrust23THRUST_200600_302600_NS6detail15normal_iteratorINS8_7pointerIjNS8_11hip_rocprim5par_tENS8_11use_defaultESE_EEEENSA_INSB_IlSD_SE_SE_EEEEZNS1_13binary_searchIS3_S5_PjSG_SI_NS1_21lower_bound_search_opENS9_16wrapped_functionI11custom_lessbEEEE10hipError_tPvRmT1_T2_T3_mmT4_T5_P12ihipStream_tbEUlRKjE_EESP_ST_SU_mSV_SY_bEUlT_E_NS1_11comp_targetILNS1_3genE5ELNS1_11target_archE942ELNS1_3gpuE9ELNS1_3repE0EEENS1_30default_config_static_selectorELNS0_4arch9wavefront6targetE1EEEvSS_.numbered_sgpr, 0
	.set _ZN7rocprim17ROCPRIM_400000_NS6detail17trampoline_kernelINS0_14default_configENS1_27lower_bound_config_selectorIjlEEZNS1_14transform_implILb0ES3_S5_N6thrust23THRUST_200600_302600_NS6detail15normal_iteratorINS8_7pointerIjNS8_11hip_rocprim5par_tENS8_11use_defaultESE_EEEENSA_INSB_IlSD_SE_SE_EEEEZNS1_13binary_searchIS3_S5_PjSG_SI_NS1_21lower_bound_search_opENS9_16wrapped_functionI11custom_lessbEEEE10hipError_tPvRmT1_T2_T3_mmT4_T5_P12ihipStream_tbEUlRKjE_EESP_ST_SU_mSV_SY_bEUlT_E_NS1_11comp_targetILNS1_3genE5ELNS1_11target_archE942ELNS1_3gpuE9ELNS1_3repE0EEENS1_30default_config_static_selectorELNS0_4arch9wavefront6targetE1EEEvSS_.num_named_barrier, 0
	.set _ZN7rocprim17ROCPRIM_400000_NS6detail17trampoline_kernelINS0_14default_configENS1_27lower_bound_config_selectorIjlEEZNS1_14transform_implILb0ES3_S5_N6thrust23THRUST_200600_302600_NS6detail15normal_iteratorINS8_7pointerIjNS8_11hip_rocprim5par_tENS8_11use_defaultESE_EEEENSA_INSB_IlSD_SE_SE_EEEEZNS1_13binary_searchIS3_S5_PjSG_SI_NS1_21lower_bound_search_opENS9_16wrapped_functionI11custom_lessbEEEE10hipError_tPvRmT1_T2_T3_mmT4_T5_P12ihipStream_tbEUlRKjE_EESP_ST_SU_mSV_SY_bEUlT_E_NS1_11comp_targetILNS1_3genE5ELNS1_11target_archE942ELNS1_3gpuE9ELNS1_3repE0EEENS1_30default_config_static_selectorELNS0_4arch9wavefront6targetE1EEEvSS_.private_seg_size, 0
	.set _ZN7rocprim17ROCPRIM_400000_NS6detail17trampoline_kernelINS0_14default_configENS1_27lower_bound_config_selectorIjlEEZNS1_14transform_implILb0ES3_S5_N6thrust23THRUST_200600_302600_NS6detail15normal_iteratorINS8_7pointerIjNS8_11hip_rocprim5par_tENS8_11use_defaultESE_EEEENSA_INSB_IlSD_SE_SE_EEEEZNS1_13binary_searchIS3_S5_PjSG_SI_NS1_21lower_bound_search_opENS9_16wrapped_functionI11custom_lessbEEEE10hipError_tPvRmT1_T2_T3_mmT4_T5_P12ihipStream_tbEUlRKjE_EESP_ST_SU_mSV_SY_bEUlT_E_NS1_11comp_targetILNS1_3genE5ELNS1_11target_archE942ELNS1_3gpuE9ELNS1_3repE0EEENS1_30default_config_static_selectorELNS0_4arch9wavefront6targetE1EEEvSS_.uses_vcc, 0
	.set _ZN7rocprim17ROCPRIM_400000_NS6detail17trampoline_kernelINS0_14default_configENS1_27lower_bound_config_selectorIjlEEZNS1_14transform_implILb0ES3_S5_N6thrust23THRUST_200600_302600_NS6detail15normal_iteratorINS8_7pointerIjNS8_11hip_rocprim5par_tENS8_11use_defaultESE_EEEENSA_INSB_IlSD_SE_SE_EEEEZNS1_13binary_searchIS3_S5_PjSG_SI_NS1_21lower_bound_search_opENS9_16wrapped_functionI11custom_lessbEEEE10hipError_tPvRmT1_T2_T3_mmT4_T5_P12ihipStream_tbEUlRKjE_EESP_ST_SU_mSV_SY_bEUlT_E_NS1_11comp_targetILNS1_3genE5ELNS1_11target_archE942ELNS1_3gpuE9ELNS1_3repE0EEENS1_30default_config_static_selectorELNS0_4arch9wavefront6targetE1EEEvSS_.uses_flat_scratch, 0
	.set _ZN7rocprim17ROCPRIM_400000_NS6detail17trampoline_kernelINS0_14default_configENS1_27lower_bound_config_selectorIjlEEZNS1_14transform_implILb0ES3_S5_N6thrust23THRUST_200600_302600_NS6detail15normal_iteratorINS8_7pointerIjNS8_11hip_rocprim5par_tENS8_11use_defaultESE_EEEENSA_INSB_IlSD_SE_SE_EEEEZNS1_13binary_searchIS3_S5_PjSG_SI_NS1_21lower_bound_search_opENS9_16wrapped_functionI11custom_lessbEEEE10hipError_tPvRmT1_T2_T3_mmT4_T5_P12ihipStream_tbEUlRKjE_EESP_ST_SU_mSV_SY_bEUlT_E_NS1_11comp_targetILNS1_3genE5ELNS1_11target_archE942ELNS1_3gpuE9ELNS1_3repE0EEENS1_30default_config_static_selectorELNS0_4arch9wavefront6targetE1EEEvSS_.has_dyn_sized_stack, 0
	.set _ZN7rocprim17ROCPRIM_400000_NS6detail17trampoline_kernelINS0_14default_configENS1_27lower_bound_config_selectorIjlEEZNS1_14transform_implILb0ES3_S5_N6thrust23THRUST_200600_302600_NS6detail15normal_iteratorINS8_7pointerIjNS8_11hip_rocprim5par_tENS8_11use_defaultESE_EEEENSA_INSB_IlSD_SE_SE_EEEEZNS1_13binary_searchIS3_S5_PjSG_SI_NS1_21lower_bound_search_opENS9_16wrapped_functionI11custom_lessbEEEE10hipError_tPvRmT1_T2_T3_mmT4_T5_P12ihipStream_tbEUlRKjE_EESP_ST_SU_mSV_SY_bEUlT_E_NS1_11comp_targetILNS1_3genE5ELNS1_11target_archE942ELNS1_3gpuE9ELNS1_3repE0EEENS1_30default_config_static_selectorELNS0_4arch9wavefront6targetE1EEEvSS_.has_recursion, 0
	.set _ZN7rocprim17ROCPRIM_400000_NS6detail17trampoline_kernelINS0_14default_configENS1_27lower_bound_config_selectorIjlEEZNS1_14transform_implILb0ES3_S5_N6thrust23THRUST_200600_302600_NS6detail15normal_iteratorINS8_7pointerIjNS8_11hip_rocprim5par_tENS8_11use_defaultESE_EEEENSA_INSB_IlSD_SE_SE_EEEEZNS1_13binary_searchIS3_S5_PjSG_SI_NS1_21lower_bound_search_opENS9_16wrapped_functionI11custom_lessbEEEE10hipError_tPvRmT1_T2_T3_mmT4_T5_P12ihipStream_tbEUlRKjE_EESP_ST_SU_mSV_SY_bEUlT_E_NS1_11comp_targetILNS1_3genE5ELNS1_11target_archE942ELNS1_3gpuE9ELNS1_3repE0EEENS1_30default_config_static_selectorELNS0_4arch9wavefront6targetE1EEEvSS_.has_indirect_call, 0
	.section	.AMDGPU.csdata,"",@progbits
; Kernel info:
; codeLenInByte = 0
; TotalNumSgprs: 4
; NumVgprs: 0
; ScratchSize: 0
; MemoryBound: 0
; FloatMode: 240
; IeeeMode: 1
; LDSByteSize: 0 bytes/workgroup (compile time only)
; SGPRBlocks: 0
; VGPRBlocks: 0
; NumSGPRsForWavesPerEU: 4
; NumVGPRsForWavesPerEU: 1
; Occupancy: 10
; WaveLimiterHint : 0
; COMPUTE_PGM_RSRC2:SCRATCH_EN: 0
; COMPUTE_PGM_RSRC2:USER_SGPR: 6
; COMPUTE_PGM_RSRC2:TRAP_HANDLER: 0
; COMPUTE_PGM_RSRC2:TGID_X_EN: 1
; COMPUTE_PGM_RSRC2:TGID_Y_EN: 0
; COMPUTE_PGM_RSRC2:TGID_Z_EN: 0
; COMPUTE_PGM_RSRC2:TIDIG_COMP_CNT: 0
	.section	.text._ZN7rocprim17ROCPRIM_400000_NS6detail17trampoline_kernelINS0_14default_configENS1_27lower_bound_config_selectorIjlEEZNS1_14transform_implILb0ES3_S5_N6thrust23THRUST_200600_302600_NS6detail15normal_iteratorINS8_7pointerIjNS8_11hip_rocprim5par_tENS8_11use_defaultESE_EEEENSA_INSB_IlSD_SE_SE_EEEEZNS1_13binary_searchIS3_S5_PjSG_SI_NS1_21lower_bound_search_opENS9_16wrapped_functionI11custom_lessbEEEE10hipError_tPvRmT1_T2_T3_mmT4_T5_P12ihipStream_tbEUlRKjE_EESP_ST_SU_mSV_SY_bEUlT_E_NS1_11comp_targetILNS1_3genE4ELNS1_11target_archE910ELNS1_3gpuE8ELNS1_3repE0EEENS1_30default_config_static_selectorELNS0_4arch9wavefront6targetE1EEEvSS_,"axG",@progbits,_ZN7rocprim17ROCPRIM_400000_NS6detail17trampoline_kernelINS0_14default_configENS1_27lower_bound_config_selectorIjlEEZNS1_14transform_implILb0ES3_S5_N6thrust23THRUST_200600_302600_NS6detail15normal_iteratorINS8_7pointerIjNS8_11hip_rocprim5par_tENS8_11use_defaultESE_EEEENSA_INSB_IlSD_SE_SE_EEEEZNS1_13binary_searchIS3_S5_PjSG_SI_NS1_21lower_bound_search_opENS9_16wrapped_functionI11custom_lessbEEEE10hipError_tPvRmT1_T2_T3_mmT4_T5_P12ihipStream_tbEUlRKjE_EESP_ST_SU_mSV_SY_bEUlT_E_NS1_11comp_targetILNS1_3genE4ELNS1_11target_archE910ELNS1_3gpuE8ELNS1_3repE0EEENS1_30default_config_static_selectorELNS0_4arch9wavefront6targetE1EEEvSS_,comdat
	.protected	_ZN7rocprim17ROCPRIM_400000_NS6detail17trampoline_kernelINS0_14default_configENS1_27lower_bound_config_selectorIjlEEZNS1_14transform_implILb0ES3_S5_N6thrust23THRUST_200600_302600_NS6detail15normal_iteratorINS8_7pointerIjNS8_11hip_rocprim5par_tENS8_11use_defaultESE_EEEENSA_INSB_IlSD_SE_SE_EEEEZNS1_13binary_searchIS3_S5_PjSG_SI_NS1_21lower_bound_search_opENS9_16wrapped_functionI11custom_lessbEEEE10hipError_tPvRmT1_T2_T3_mmT4_T5_P12ihipStream_tbEUlRKjE_EESP_ST_SU_mSV_SY_bEUlT_E_NS1_11comp_targetILNS1_3genE4ELNS1_11target_archE910ELNS1_3gpuE8ELNS1_3repE0EEENS1_30default_config_static_selectorELNS0_4arch9wavefront6targetE1EEEvSS_ ; -- Begin function _ZN7rocprim17ROCPRIM_400000_NS6detail17trampoline_kernelINS0_14default_configENS1_27lower_bound_config_selectorIjlEEZNS1_14transform_implILb0ES3_S5_N6thrust23THRUST_200600_302600_NS6detail15normal_iteratorINS8_7pointerIjNS8_11hip_rocprim5par_tENS8_11use_defaultESE_EEEENSA_INSB_IlSD_SE_SE_EEEEZNS1_13binary_searchIS3_S5_PjSG_SI_NS1_21lower_bound_search_opENS9_16wrapped_functionI11custom_lessbEEEE10hipError_tPvRmT1_T2_T3_mmT4_T5_P12ihipStream_tbEUlRKjE_EESP_ST_SU_mSV_SY_bEUlT_E_NS1_11comp_targetILNS1_3genE4ELNS1_11target_archE910ELNS1_3gpuE8ELNS1_3repE0EEENS1_30default_config_static_selectorELNS0_4arch9wavefront6targetE1EEEvSS_
	.globl	_ZN7rocprim17ROCPRIM_400000_NS6detail17trampoline_kernelINS0_14default_configENS1_27lower_bound_config_selectorIjlEEZNS1_14transform_implILb0ES3_S5_N6thrust23THRUST_200600_302600_NS6detail15normal_iteratorINS8_7pointerIjNS8_11hip_rocprim5par_tENS8_11use_defaultESE_EEEENSA_INSB_IlSD_SE_SE_EEEEZNS1_13binary_searchIS3_S5_PjSG_SI_NS1_21lower_bound_search_opENS9_16wrapped_functionI11custom_lessbEEEE10hipError_tPvRmT1_T2_T3_mmT4_T5_P12ihipStream_tbEUlRKjE_EESP_ST_SU_mSV_SY_bEUlT_E_NS1_11comp_targetILNS1_3genE4ELNS1_11target_archE910ELNS1_3gpuE8ELNS1_3repE0EEENS1_30default_config_static_selectorELNS0_4arch9wavefront6targetE1EEEvSS_
	.p2align	8
	.type	_ZN7rocprim17ROCPRIM_400000_NS6detail17trampoline_kernelINS0_14default_configENS1_27lower_bound_config_selectorIjlEEZNS1_14transform_implILb0ES3_S5_N6thrust23THRUST_200600_302600_NS6detail15normal_iteratorINS8_7pointerIjNS8_11hip_rocprim5par_tENS8_11use_defaultESE_EEEENSA_INSB_IlSD_SE_SE_EEEEZNS1_13binary_searchIS3_S5_PjSG_SI_NS1_21lower_bound_search_opENS9_16wrapped_functionI11custom_lessbEEEE10hipError_tPvRmT1_T2_T3_mmT4_T5_P12ihipStream_tbEUlRKjE_EESP_ST_SU_mSV_SY_bEUlT_E_NS1_11comp_targetILNS1_3genE4ELNS1_11target_archE910ELNS1_3gpuE8ELNS1_3repE0EEENS1_30default_config_static_selectorELNS0_4arch9wavefront6targetE1EEEvSS_,@function
_ZN7rocprim17ROCPRIM_400000_NS6detail17trampoline_kernelINS0_14default_configENS1_27lower_bound_config_selectorIjlEEZNS1_14transform_implILb0ES3_S5_N6thrust23THRUST_200600_302600_NS6detail15normal_iteratorINS8_7pointerIjNS8_11hip_rocprim5par_tENS8_11use_defaultESE_EEEENSA_INSB_IlSD_SE_SE_EEEEZNS1_13binary_searchIS3_S5_PjSG_SI_NS1_21lower_bound_search_opENS9_16wrapped_functionI11custom_lessbEEEE10hipError_tPvRmT1_T2_T3_mmT4_T5_P12ihipStream_tbEUlRKjE_EESP_ST_SU_mSV_SY_bEUlT_E_NS1_11comp_targetILNS1_3genE4ELNS1_11target_archE910ELNS1_3gpuE8ELNS1_3repE0EEENS1_30default_config_static_selectorELNS0_4arch9wavefront6targetE1EEEvSS_: ; @_ZN7rocprim17ROCPRIM_400000_NS6detail17trampoline_kernelINS0_14default_configENS1_27lower_bound_config_selectorIjlEEZNS1_14transform_implILb0ES3_S5_N6thrust23THRUST_200600_302600_NS6detail15normal_iteratorINS8_7pointerIjNS8_11hip_rocprim5par_tENS8_11use_defaultESE_EEEENSA_INSB_IlSD_SE_SE_EEEEZNS1_13binary_searchIS3_S5_PjSG_SI_NS1_21lower_bound_search_opENS9_16wrapped_functionI11custom_lessbEEEE10hipError_tPvRmT1_T2_T3_mmT4_T5_P12ihipStream_tbEUlRKjE_EESP_ST_SU_mSV_SY_bEUlT_E_NS1_11comp_targetILNS1_3genE4ELNS1_11target_archE910ELNS1_3gpuE8ELNS1_3repE0EEENS1_30default_config_static_selectorELNS0_4arch9wavefront6targetE1EEEvSS_
; %bb.0:
	.section	.rodata,"a",@progbits
	.p2align	6, 0x0
	.amdhsa_kernel _ZN7rocprim17ROCPRIM_400000_NS6detail17trampoline_kernelINS0_14default_configENS1_27lower_bound_config_selectorIjlEEZNS1_14transform_implILb0ES3_S5_N6thrust23THRUST_200600_302600_NS6detail15normal_iteratorINS8_7pointerIjNS8_11hip_rocprim5par_tENS8_11use_defaultESE_EEEENSA_INSB_IlSD_SE_SE_EEEEZNS1_13binary_searchIS3_S5_PjSG_SI_NS1_21lower_bound_search_opENS9_16wrapped_functionI11custom_lessbEEEE10hipError_tPvRmT1_T2_T3_mmT4_T5_P12ihipStream_tbEUlRKjE_EESP_ST_SU_mSV_SY_bEUlT_E_NS1_11comp_targetILNS1_3genE4ELNS1_11target_archE910ELNS1_3gpuE8ELNS1_3repE0EEENS1_30default_config_static_selectorELNS0_4arch9wavefront6targetE1EEEvSS_
		.amdhsa_group_segment_fixed_size 0
		.amdhsa_private_segment_fixed_size 0
		.amdhsa_kernarg_size 56
		.amdhsa_user_sgpr_count 6
		.amdhsa_user_sgpr_private_segment_buffer 1
		.amdhsa_user_sgpr_dispatch_ptr 0
		.amdhsa_user_sgpr_queue_ptr 0
		.amdhsa_user_sgpr_kernarg_segment_ptr 1
		.amdhsa_user_sgpr_dispatch_id 0
		.amdhsa_user_sgpr_flat_scratch_init 0
		.amdhsa_user_sgpr_private_segment_size 0
		.amdhsa_uses_dynamic_stack 0
		.amdhsa_system_sgpr_private_segment_wavefront_offset 0
		.amdhsa_system_sgpr_workgroup_id_x 1
		.amdhsa_system_sgpr_workgroup_id_y 0
		.amdhsa_system_sgpr_workgroup_id_z 0
		.amdhsa_system_sgpr_workgroup_info 0
		.amdhsa_system_vgpr_workitem_id 0
		.amdhsa_next_free_vgpr 1
		.amdhsa_next_free_sgpr 0
		.amdhsa_reserve_vcc 0
		.amdhsa_reserve_flat_scratch 0
		.amdhsa_float_round_mode_32 0
		.amdhsa_float_round_mode_16_64 0
		.amdhsa_float_denorm_mode_32 3
		.amdhsa_float_denorm_mode_16_64 3
		.amdhsa_dx10_clamp 1
		.amdhsa_ieee_mode 1
		.amdhsa_fp16_overflow 0
		.amdhsa_exception_fp_ieee_invalid_op 0
		.amdhsa_exception_fp_denorm_src 0
		.amdhsa_exception_fp_ieee_div_zero 0
		.amdhsa_exception_fp_ieee_overflow 0
		.amdhsa_exception_fp_ieee_underflow 0
		.amdhsa_exception_fp_ieee_inexact 0
		.amdhsa_exception_int_div_zero 0
	.end_amdhsa_kernel
	.section	.text._ZN7rocprim17ROCPRIM_400000_NS6detail17trampoline_kernelINS0_14default_configENS1_27lower_bound_config_selectorIjlEEZNS1_14transform_implILb0ES3_S5_N6thrust23THRUST_200600_302600_NS6detail15normal_iteratorINS8_7pointerIjNS8_11hip_rocprim5par_tENS8_11use_defaultESE_EEEENSA_INSB_IlSD_SE_SE_EEEEZNS1_13binary_searchIS3_S5_PjSG_SI_NS1_21lower_bound_search_opENS9_16wrapped_functionI11custom_lessbEEEE10hipError_tPvRmT1_T2_T3_mmT4_T5_P12ihipStream_tbEUlRKjE_EESP_ST_SU_mSV_SY_bEUlT_E_NS1_11comp_targetILNS1_3genE4ELNS1_11target_archE910ELNS1_3gpuE8ELNS1_3repE0EEENS1_30default_config_static_selectorELNS0_4arch9wavefront6targetE1EEEvSS_,"axG",@progbits,_ZN7rocprim17ROCPRIM_400000_NS6detail17trampoline_kernelINS0_14default_configENS1_27lower_bound_config_selectorIjlEEZNS1_14transform_implILb0ES3_S5_N6thrust23THRUST_200600_302600_NS6detail15normal_iteratorINS8_7pointerIjNS8_11hip_rocprim5par_tENS8_11use_defaultESE_EEEENSA_INSB_IlSD_SE_SE_EEEEZNS1_13binary_searchIS3_S5_PjSG_SI_NS1_21lower_bound_search_opENS9_16wrapped_functionI11custom_lessbEEEE10hipError_tPvRmT1_T2_T3_mmT4_T5_P12ihipStream_tbEUlRKjE_EESP_ST_SU_mSV_SY_bEUlT_E_NS1_11comp_targetILNS1_3genE4ELNS1_11target_archE910ELNS1_3gpuE8ELNS1_3repE0EEENS1_30default_config_static_selectorELNS0_4arch9wavefront6targetE1EEEvSS_,comdat
.Lfunc_end66:
	.size	_ZN7rocprim17ROCPRIM_400000_NS6detail17trampoline_kernelINS0_14default_configENS1_27lower_bound_config_selectorIjlEEZNS1_14transform_implILb0ES3_S5_N6thrust23THRUST_200600_302600_NS6detail15normal_iteratorINS8_7pointerIjNS8_11hip_rocprim5par_tENS8_11use_defaultESE_EEEENSA_INSB_IlSD_SE_SE_EEEEZNS1_13binary_searchIS3_S5_PjSG_SI_NS1_21lower_bound_search_opENS9_16wrapped_functionI11custom_lessbEEEE10hipError_tPvRmT1_T2_T3_mmT4_T5_P12ihipStream_tbEUlRKjE_EESP_ST_SU_mSV_SY_bEUlT_E_NS1_11comp_targetILNS1_3genE4ELNS1_11target_archE910ELNS1_3gpuE8ELNS1_3repE0EEENS1_30default_config_static_selectorELNS0_4arch9wavefront6targetE1EEEvSS_, .Lfunc_end66-_ZN7rocprim17ROCPRIM_400000_NS6detail17trampoline_kernelINS0_14default_configENS1_27lower_bound_config_selectorIjlEEZNS1_14transform_implILb0ES3_S5_N6thrust23THRUST_200600_302600_NS6detail15normal_iteratorINS8_7pointerIjNS8_11hip_rocprim5par_tENS8_11use_defaultESE_EEEENSA_INSB_IlSD_SE_SE_EEEEZNS1_13binary_searchIS3_S5_PjSG_SI_NS1_21lower_bound_search_opENS9_16wrapped_functionI11custom_lessbEEEE10hipError_tPvRmT1_T2_T3_mmT4_T5_P12ihipStream_tbEUlRKjE_EESP_ST_SU_mSV_SY_bEUlT_E_NS1_11comp_targetILNS1_3genE4ELNS1_11target_archE910ELNS1_3gpuE8ELNS1_3repE0EEENS1_30default_config_static_selectorELNS0_4arch9wavefront6targetE1EEEvSS_
                                        ; -- End function
	.set _ZN7rocprim17ROCPRIM_400000_NS6detail17trampoline_kernelINS0_14default_configENS1_27lower_bound_config_selectorIjlEEZNS1_14transform_implILb0ES3_S5_N6thrust23THRUST_200600_302600_NS6detail15normal_iteratorINS8_7pointerIjNS8_11hip_rocprim5par_tENS8_11use_defaultESE_EEEENSA_INSB_IlSD_SE_SE_EEEEZNS1_13binary_searchIS3_S5_PjSG_SI_NS1_21lower_bound_search_opENS9_16wrapped_functionI11custom_lessbEEEE10hipError_tPvRmT1_T2_T3_mmT4_T5_P12ihipStream_tbEUlRKjE_EESP_ST_SU_mSV_SY_bEUlT_E_NS1_11comp_targetILNS1_3genE4ELNS1_11target_archE910ELNS1_3gpuE8ELNS1_3repE0EEENS1_30default_config_static_selectorELNS0_4arch9wavefront6targetE1EEEvSS_.num_vgpr, 0
	.set _ZN7rocprim17ROCPRIM_400000_NS6detail17trampoline_kernelINS0_14default_configENS1_27lower_bound_config_selectorIjlEEZNS1_14transform_implILb0ES3_S5_N6thrust23THRUST_200600_302600_NS6detail15normal_iteratorINS8_7pointerIjNS8_11hip_rocprim5par_tENS8_11use_defaultESE_EEEENSA_INSB_IlSD_SE_SE_EEEEZNS1_13binary_searchIS3_S5_PjSG_SI_NS1_21lower_bound_search_opENS9_16wrapped_functionI11custom_lessbEEEE10hipError_tPvRmT1_T2_T3_mmT4_T5_P12ihipStream_tbEUlRKjE_EESP_ST_SU_mSV_SY_bEUlT_E_NS1_11comp_targetILNS1_3genE4ELNS1_11target_archE910ELNS1_3gpuE8ELNS1_3repE0EEENS1_30default_config_static_selectorELNS0_4arch9wavefront6targetE1EEEvSS_.num_agpr, 0
	.set _ZN7rocprim17ROCPRIM_400000_NS6detail17trampoline_kernelINS0_14default_configENS1_27lower_bound_config_selectorIjlEEZNS1_14transform_implILb0ES3_S5_N6thrust23THRUST_200600_302600_NS6detail15normal_iteratorINS8_7pointerIjNS8_11hip_rocprim5par_tENS8_11use_defaultESE_EEEENSA_INSB_IlSD_SE_SE_EEEEZNS1_13binary_searchIS3_S5_PjSG_SI_NS1_21lower_bound_search_opENS9_16wrapped_functionI11custom_lessbEEEE10hipError_tPvRmT1_T2_T3_mmT4_T5_P12ihipStream_tbEUlRKjE_EESP_ST_SU_mSV_SY_bEUlT_E_NS1_11comp_targetILNS1_3genE4ELNS1_11target_archE910ELNS1_3gpuE8ELNS1_3repE0EEENS1_30default_config_static_selectorELNS0_4arch9wavefront6targetE1EEEvSS_.numbered_sgpr, 0
	.set _ZN7rocprim17ROCPRIM_400000_NS6detail17trampoline_kernelINS0_14default_configENS1_27lower_bound_config_selectorIjlEEZNS1_14transform_implILb0ES3_S5_N6thrust23THRUST_200600_302600_NS6detail15normal_iteratorINS8_7pointerIjNS8_11hip_rocprim5par_tENS8_11use_defaultESE_EEEENSA_INSB_IlSD_SE_SE_EEEEZNS1_13binary_searchIS3_S5_PjSG_SI_NS1_21lower_bound_search_opENS9_16wrapped_functionI11custom_lessbEEEE10hipError_tPvRmT1_T2_T3_mmT4_T5_P12ihipStream_tbEUlRKjE_EESP_ST_SU_mSV_SY_bEUlT_E_NS1_11comp_targetILNS1_3genE4ELNS1_11target_archE910ELNS1_3gpuE8ELNS1_3repE0EEENS1_30default_config_static_selectorELNS0_4arch9wavefront6targetE1EEEvSS_.num_named_barrier, 0
	.set _ZN7rocprim17ROCPRIM_400000_NS6detail17trampoline_kernelINS0_14default_configENS1_27lower_bound_config_selectorIjlEEZNS1_14transform_implILb0ES3_S5_N6thrust23THRUST_200600_302600_NS6detail15normal_iteratorINS8_7pointerIjNS8_11hip_rocprim5par_tENS8_11use_defaultESE_EEEENSA_INSB_IlSD_SE_SE_EEEEZNS1_13binary_searchIS3_S5_PjSG_SI_NS1_21lower_bound_search_opENS9_16wrapped_functionI11custom_lessbEEEE10hipError_tPvRmT1_T2_T3_mmT4_T5_P12ihipStream_tbEUlRKjE_EESP_ST_SU_mSV_SY_bEUlT_E_NS1_11comp_targetILNS1_3genE4ELNS1_11target_archE910ELNS1_3gpuE8ELNS1_3repE0EEENS1_30default_config_static_selectorELNS0_4arch9wavefront6targetE1EEEvSS_.private_seg_size, 0
	.set _ZN7rocprim17ROCPRIM_400000_NS6detail17trampoline_kernelINS0_14default_configENS1_27lower_bound_config_selectorIjlEEZNS1_14transform_implILb0ES3_S5_N6thrust23THRUST_200600_302600_NS6detail15normal_iteratorINS8_7pointerIjNS8_11hip_rocprim5par_tENS8_11use_defaultESE_EEEENSA_INSB_IlSD_SE_SE_EEEEZNS1_13binary_searchIS3_S5_PjSG_SI_NS1_21lower_bound_search_opENS9_16wrapped_functionI11custom_lessbEEEE10hipError_tPvRmT1_T2_T3_mmT4_T5_P12ihipStream_tbEUlRKjE_EESP_ST_SU_mSV_SY_bEUlT_E_NS1_11comp_targetILNS1_3genE4ELNS1_11target_archE910ELNS1_3gpuE8ELNS1_3repE0EEENS1_30default_config_static_selectorELNS0_4arch9wavefront6targetE1EEEvSS_.uses_vcc, 0
	.set _ZN7rocprim17ROCPRIM_400000_NS6detail17trampoline_kernelINS0_14default_configENS1_27lower_bound_config_selectorIjlEEZNS1_14transform_implILb0ES3_S5_N6thrust23THRUST_200600_302600_NS6detail15normal_iteratorINS8_7pointerIjNS8_11hip_rocprim5par_tENS8_11use_defaultESE_EEEENSA_INSB_IlSD_SE_SE_EEEEZNS1_13binary_searchIS3_S5_PjSG_SI_NS1_21lower_bound_search_opENS9_16wrapped_functionI11custom_lessbEEEE10hipError_tPvRmT1_T2_T3_mmT4_T5_P12ihipStream_tbEUlRKjE_EESP_ST_SU_mSV_SY_bEUlT_E_NS1_11comp_targetILNS1_3genE4ELNS1_11target_archE910ELNS1_3gpuE8ELNS1_3repE0EEENS1_30default_config_static_selectorELNS0_4arch9wavefront6targetE1EEEvSS_.uses_flat_scratch, 0
	.set _ZN7rocprim17ROCPRIM_400000_NS6detail17trampoline_kernelINS0_14default_configENS1_27lower_bound_config_selectorIjlEEZNS1_14transform_implILb0ES3_S5_N6thrust23THRUST_200600_302600_NS6detail15normal_iteratorINS8_7pointerIjNS8_11hip_rocprim5par_tENS8_11use_defaultESE_EEEENSA_INSB_IlSD_SE_SE_EEEEZNS1_13binary_searchIS3_S5_PjSG_SI_NS1_21lower_bound_search_opENS9_16wrapped_functionI11custom_lessbEEEE10hipError_tPvRmT1_T2_T3_mmT4_T5_P12ihipStream_tbEUlRKjE_EESP_ST_SU_mSV_SY_bEUlT_E_NS1_11comp_targetILNS1_3genE4ELNS1_11target_archE910ELNS1_3gpuE8ELNS1_3repE0EEENS1_30default_config_static_selectorELNS0_4arch9wavefront6targetE1EEEvSS_.has_dyn_sized_stack, 0
	.set _ZN7rocprim17ROCPRIM_400000_NS6detail17trampoline_kernelINS0_14default_configENS1_27lower_bound_config_selectorIjlEEZNS1_14transform_implILb0ES3_S5_N6thrust23THRUST_200600_302600_NS6detail15normal_iteratorINS8_7pointerIjNS8_11hip_rocprim5par_tENS8_11use_defaultESE_EEEENSA_INSB_IlSD_SE_SE_EEEEZNS1_13binary_searchIS3_S5_PjSG_SI_NS1_21lower_bound_search_opENS9_16wrapped_functionI11custom_lessbEEEE10hipError_tPvRmT1_T2_T3_mmT4_T5_P12ihipStream_tbEUlRKjE_EESP_ST_SU_mSV_SY_bEUlT_E_NS1_11comp_targetILNS1_3genE4ELNS1_11target_archE910ELNS1_3gpuE8ELNS1_3repE0EEENS1_30default_config_static_selectorELNS0_4arch9wavefront6targetE1EEEvSS_.has_recursion, 0
	.set _ZN7rocprim17ROCPRIM_400000_NS6detail17trampoline_kernelINS0_14default_configENS1_27lower_bound_config_selectorIjlEEZNS1_14transform_implILb0ES3_S5_N6thrust23THRUST_200600_302600_NS6detail15normal_iteratorINS8_7pointerIjNS8_11hip_rocprim5par_tENS8_11use_defaultESE_EEEENSA_INSB_IlSD_SE_SE_EEEEZNS1_13binary_searchIS3_S5_PjSG_SI_NS1_21lower_bound_search_opENS9_16wrapped_functionI11custom_lessbEEEE10hipError_tPvRmT1_T2_T3_mmT4_T5_P12ihipStream_tbEUlRKjE_EESP_ST_SU_mSV_SY_bEUlT_E_NS1_11comp_targetILNS1_3genE4ELNS1_11target_archE910ELNS1_3gpuE8ELNS1_3repE0EEENS1_30default_config_static_selectorELNS0_4arch9wavefront6targetE1EEEvSS_.has_indirect_call, 0
	.section	.AMDGPU.csdata,"",@progbits
; Kernel info:
; codeLenInByte = 0
; TotalNumSgprs: 4
; NumVgprs: 0
; ScratchSize: 0
; MemoryBound: 0
; FloatMode: 240
; IeeeMode: 1
; LDSByteSize: 0 bytes/workgroup (compile time only)
; SGPRBlocks: 0
; VGPRBlocks: 0
; NumSGPRsForWavesPerEU: 4
; NumVGPRsForWavesPerEU: 1
; Occupancy: 10
; WaveLimiterHint : 0
; COMPUTE_PGM_RSRC2:SCRATCH_EN: 0
; COMPUTE_PGM_RSRC2:USER_SGPR: 6
; COMPUTE_PGM_RSRC2:TRAP_HANDLER: 0
; COMPUTE_PGM_RSRC2:TGID_X_EN: 1
; COMPUTE_PGM_RSRC2:TGID_Y_EN: 0
; COMPUTE_PGM_RSRC2:TGID_Z_EN: 0
; COMPUTE_PGM_RSRC2:TIDIG_COMP_CNT: 0
	.section	.text._ZN7rocprim17ROCPRIM_400000_NS6detail17trampoline_kernelINS0_14default_configENS1_27lower_bound_config_selectorIjlEEZNS1_14transform_implILb0ES3_S5_N6thrust23THRUST_200600_302600_NS6detail15normal_iteratorINS8_7pointerIjNS8_11hip_rocprim5par_tENS8_11use_defaultESE_EEEENSA_INSB_IlSD_SE_SE_EEEEZNS1_13binary_searchIS3_S5_PjSG_SI_NS1_21lower_bound_search_opENS9_16wrapped_functionI11custom_lessbEEEE10hipError_tPvRmT1_T2_T3_mmT4_T5_P12ihipStream_tbEUlRKjE_EESP_ST_SU_mSV_SY_bEUlT_E_NS1_11comp_targetILNS1_3genE3ELNS1_11target_archE908ELNS1_3gpuE7ELNS1_3repE0EEENS1_30default_config_static_selectorELNS0_4arch9wavefront6targetE1EEEvSS_,"axG",@progbits,_ZN7rocprim17ROCPRIM_400000_NS6detail17trampoline_kernelINS0_14default_configENS1_27lower_bound_config_selectorIjlEEZNS1_14transform_implILb0ES3_S5_N6thrust23THRUST_200600_302600_NS6detail15normal_iteratorINS8_7pointerIjNS8_11hip_rocprim5par_tENS8_11use_defaultESE_EEEENSA_INSB_IlSD_SE_SE_EEEEZNS1_13binary_searchIS3_S5_PjSG_SI_NS1_21lower_bound_search_opENS9_16wrapped_functionI11custom_lessbEEEE10hipError_tPvRmT1_T2_T3_mmT4_T5_P12ihipStream_tbEUlRKjE_EESP_ST_SU_mSV_SY_bEUlT_E_NS1_11comp_targetILNS1_3genE3ELNS1_11target_archE908ELNS1_3gpuE7ELNS1_3repE0EEENS1_30default_config_static_selectorELNS0_4arch9wavefront6targetE1EEEvSS_,comdat
	.protected	_ZN7rocprim17ROCPRIM_400000_NS6detail17trampoline_kernelINS0_14default_configENS1_27lower_bound_config_selectorIjlEEZNS1_14transform_implILb0ES3_S5_N6thrust23THRUST_200600_302600_NS6detail15normal_iteratorINS8_7pointerIjNS8_11hip_rocprim5par_tENS8_11use_defaultESE_EEEENSA_INSB_IlSD_SE_SE_EEEEZNS1_13binary_searchIS3_S5_PjSG_SI_NS1_21lower_bound_search_opENS9_16wrapped_functionI11custom_lessbEEEE10hipError_tPvRmT1_T2_T3_mmT4_T5_P12ihipStream_tbEUlRKjE_EESP_ST_SU_mSV_SY_bEUlT_E_NS1_11comp_targetILNS1_3genE3ELNS1_11target_archE908ELNS1_3gpuE7ELNS1_3repE0EEENS1_30default_config_static_selectorELNS0_4arch9wavefront6targetE1EEEvSS_ ; -- Begin function _ZN7rocprim17ROCPRIM_400000_NS6detail17trampoline_kernelINS0_14default_configENS1_27lower_bound_config_selectorIjlEEZNS1_14transform_implILb0ES3_S5_N6thrust23THRUST_200600_302600_NS6detail15normal_iteratorINS8_7pointerIjNS8_11hip_rocprim5par_tENS8_11use_defaultESE_EEEENSA_INSB_IlSD_SE_SE_EEEEZNS1_13binary_searchIS3_S5_PjSG_SI_NS1_21lower_bound_search_opENS9_16wrapped_functionI11custom_lessbEEEE10hipError_tPvRmT1_T2_T3_mmT4_T5_P12ihipStream_tbEUlRKjE_EESP_ST_SU_mSV_SY_bEUlT_E_NS1_11comp_targetILNS1_3genE3ELNS1_11target_archE908ELNS1_3gpuE7ELNS1_3repE0EEENS1_30default_config_static_selectorELNS0_4arch9wavefront6targetE1EEEvSS_
	.globl	_ZN7rocprim17ROCPRIM_400000_NS6detail17trampoline_kernelINS0_14default_configENS1_27lower_bound_config_selectorIjlEEZNS1_14transform_implILb0ES3_S5_N6thrust23THRUST_200600_302600_NS6detail15normal_iteratorINS8_7pointerIjNS8_11hip_rocprim5par_tENS8_11use_defaultESE_EEEENSA_INSB_IlSD_SE_SE_EEEEZNS1_13binary_searchIS3_S5_PjSG_SI_NS1_21lower_bound_search_opENS9_16wrapped_functionI11custom_lessbEEEE10hipError_tPvRmT1_T2_T3_mmT4_T5_P12ihipStream_tbEUlRKjE_EESP_ST_SU_mSV_SY_bEUlT_E_NS1_11comp_targetILNS1_3genE3ELNS1_11target_archE908ELNS1_3gpuE7ELNS1_3repE0EEENS1_30default_config_static_selectorELNS0_4arch9wavefront6targetE1EEEvSS_
	.p2align	8
	.type	_ZN7rocprim17ROCPRIM_400000_NS6detail17trampoline_kernelINS0_14default_configENS1_27lower_bound_config_selectorIjlEEZNS1_14transform_implILb0ES3_S5_N6thrust23THRUST_200600_302600_NS6detail15normal_iteratorINS8_7pointerIjNS8_11hip_rocprim5par_tENS8_11use_defaultESE_EEEENSA_INSB_IlSD_SE_SE_EEEEZNS1_13binary_searchIS3_S5_PjSG_SI_NS1_21lower_bound_search_opENS9_16wrapped_functionI11custom_lessbEEEE10hipError_tPvRmT1_T2_T3_mmT4_T5_P12ihipStream_tbEUlRKjE_EESP_ST_SU_mSV_SY_bEUlT_E_NS1_11comp_targetILNS1_3genE3ELNS1_11target_archE908ELNS1_3gpuE7ELNS1_3repE0EEENS1_30default_config_static_selectorELNS0_4arch9wavefront6targetE1EEEvSS_,@function
_ZN7rocprim17ROCPRIM_400000_NS6detail17trampoline_kernelINS0_14default_configENS1_27lower_bound_config_selectorIjlEEZNS1_14transform_implILb0ES3_S5_N6thrust23THRUST_200600_302600_NS6detail15normal_iteratorINS8_7pointerIjNS8_11hip_rocprim5par_tENS8_11use_defaultESE_EEEENSA_INSB_IlSD_SE_SE_EEEEZNS1_13binary_searchIS3_S5_PjSG_SI_NS1_21lower_bound_search_opENS9_16wrapped_functionI11custom_lessbEEEE10hipError_tPvRmT1_T2_T3_mmT4_T5_P12ihipStream_tbEUlRKjE_EESP_ST_SU_mSV_SY_bEUlT_E_NS1_11comp_targetILNS1_3genE3ELNS1_11target_archE908ELNS1_3gpuE7ELNS1_3repE0EEENS1_30default_config_static_selectorELNS0_4arch9wavefront6targetE1EEEvSS_: ; @_ZN7rocprim17ROCPRIM_400000_NS6detail17trampoline_kernelINS0_14default_configENS1_27lower_bound_config_selectorIjlEEZNS1_14transform_implILb0ES3_S5_N6thrust23THRUST_200600_302600_NS6detail15normal_iteratorINS8_7pointerIjNS8_11hip_rocprim5par_tENS8_11use_defaultESE_EEEENSA_INSB_IlSD_SE_SE_EEEEZNS1_13binary_searchIS3_S5_PjSG_SI_NS1_21lower_bound_search_opENS9_16wrapped_functionI11custom_lessbEEEE10hipError_tPvRmT1_T2_T3_mmT4_T5_P12ihipStream_tbEUlRKjE_EESP_ST_SU_mSV_SY_bEUlT_E_NS1_11comp_targetILNS1_3genE3ELNS1_11target_archE908ELNS1_3gpuE7ELNS1_3repE0EEENS1_30default_config_static_selectorELNS0_4arch9wavefront6targetE1EEEvSS_
; %bb.0:
	.section	.rodata,"a",@progbits
	.p2align	6, 0x0
	.amdhsa_kernel _ZN7rocprim17ROCPRIM_400000_NS6detail17trampoline_kernelINS0_14default_configENS1_27lower_bound_config_selectorIjlEEZNS1_14transform_implILb0ES3_S5_N6thrust23THRUST_200600_302600_NS6detail15normal_iteratorINS8_7pointerIjNS8_11hip_rocprim5par_tENS8_11use_defaultESE_EEEENSA_INSB_IlSD_SE_SE_EEEEZNS1_13binary_searchIS3_S5_PjSG_SI_NS1_21lower_bound_search_opENS9_16wrapped_functionI11custom_lessbEEEE10hipError_tPvRmT1_T2_T3_mmT4_T5_P12ihipStream_tbEUlRKjE_EESP_ST_SU_mSV_SY_bEUlT_E_NS1_11comp_targetILNS1_3genE3ELNS1_11target_archE908ELNS1_3gpuE7ELNS1_3repE0EEENS1_30default_config_static_selectorELNS0_4arch9wavefront6targetE1EEEvSS_
		.amdhsa_group_segment_fixed_size 0
		.amdhsa_private_segment_fixed_size 0
		.amdhsa_kernarg_size 56
		.amdhsa_user_sgpr_count 6
		.amdhsa_user_sgpr_private_segment_buffer 1
		.amdhsa_user_sgpr_dispatch_ptr 0
		.amdhsa_user_sgpr_queue_ptr 0
		.amdhsa_user_sgpr_kernarg_segment_ptr 1
		.amdhsa_user_sgpr_dispatch_id 0
		.amdhsa_user_sgpr_flat_scratch_init 0
		.amdhsa_user_sgpr_private_segment_size 0
		.amdhsa_uses_dynamic_stack 0
		.amdhsa_system_sgpr_private_segment_wavefront_offset 0
		.amdhsa_system_sgpr_workgroup_id_x 1
		.amdhsa_system_sgpr_workgroup_id_y 0
		.amdhsa_system_sgpr_workgroup_id_z 0
		.amdhsa_system_sgpr_workgroup_info 0
		.amdhsa_system_vgpr_workitem_id 0
		.amdhsa_next_free_vgpr 1
		.amdhsa_next_free_sgpr 0
		.amdhsa_reserve_vcc 0
		.amdhsa_reserve_flat_scratch 0
		.amdhsa_float_round_mode_32 0
		.amdhsa_float_round_mode_16_64 0
		.amdhsa_float_denorm_mode_32 3
		.amdhsa_float_denorm_mode_16_64 3
		.amdhsa_dx10_clamp 1
		.amdhsa_ieee_mode 1
		.amdhsa_fp16_overflow 0
		.amdhsa_exception_fp_ieee_invalid_op 0
		.amdhsa_exception_fp_denorm_src 0
		.amdhsa_exception_fp_ieee_div_zero 0
		.amdhsa_exception_fp_ieee_overflow 0
		.amdhsa_exception_fp_ieee_underflow 0
		.amdhsa_exception_fp_ieee_inexact 0
		.amdhsa_exception_int_div_zero 0
	.end_amdhsa_kernel
	.section	.text._ZN7rocprim17ROCPRIM_400000_NS6detail17trampoline_kernelINS0_14default_configENS1_27lower_bound_config_selectorIjlEEZNS1_14transform_implILb0ES3_S5_N6thrust23THRUST_200600_302600_NS6detail15normal_iteratorINS8_7pointerIjNS8_11hip_rocprim5par_tENS8_11use_defaultESE_EEEENSA_INSB_IlSD_SE_SE_EEEEZNS1_13binary_searchIS3_S5_PjSG_SI_NS1_21lower_bound_search_opENS9_16wrapped_functionI11custom_lessbEEEE10hipError_tPvRmT1_T2_T3_mmT4_T5_P12ihipStream_tbEUlRKjE_EESP_ST_SU_mSV_SY_bEUlT_E_NS1_11comp_targetILNS1_3genE3ELNS1_11target_archE908ELNS1_3gpuE7ELNS1_3repE0EEENS1_30default_config_static_selectorELNS0_4arch9wavefront6targetE1EEEvSS_,"axG",@progbits,_ZN7rocprim17ROCPRIM_400000_NS6detail17trampoline_kernelINS0_14default_configENS1_27lower_bound_config_selectorIjlEEZNS1_14transform_implILb0ES3_S5_N6thrust23THRUST_200600_302600_NS6detail15normal_iteratorINS8_7pointerIjNS8_11hip_rocprim5par_tENS8_11use_defaultESE_EEEENSA_INSB_IlSD_SE_SE_EEEEZNS1_13binary_searchIS3_S5_PjSG_SI_NS1_21lower_bound_search_opENS9_16wrapped_functionI11custom_lessbEEEE10hipError_tPvRmT1_T2_T3_mmT4_T5_P12ihipStream_tbEUlRKjE_EESP_ST_SU_mSV_SY_bEUlT_E_NS1_11comp_targetILNS1_3genE3ELNS1_11target_archE908ELNS1_3gpuE7ELNS1_3repE0EEENS1_30default_config_static_selectorELNS0_4arch9wavefront6targetE1EEEvSS_,comdat
.Lfunc_end67:
	.size	_ZN7rocprim17ROCPRIM_400000_NS6detail17trampoline_kernelINS0_14default_configENS1_27lower_bound_config_selectorIjlEEZNS1_14transform_implILb0ES3_S5_N6thrust23THRUST_200600_302600_NS6detail15normal_iteratorINS8_7pointerIjNS8_11hip_rocprim5par_tENS8_11use_defaultESE_EEEENSA_INSB_IlSD_SE_SE_EEEEZNS1_13binary_searchIS3_S5_PjSG_SI_NS1_21lower_bound_search_opENS9_16wrapped_functionI11custom_lessbEEEE10hipError_tPvRmT1_T2_T3_mmT4_T5_P12ihipStream_tbEUlRKjE_EESP_ST_SU_mSV_SY_bEUlT_E_NS1_11comp_targetILNS1_3genE3ELNS1_11target_archE908ELNS1_3gpuE7ELNS1_3repE0EEENS1_30default_config_static_selectorELNS0_4arch9wavefront6targetE1EEEvSS_, .Lfunc_end67-_ZN7rocprim17ROCPRIM_400000_NS6detail17trampoline_kernelINS0_14default_configENS1_27lower_bound_config_selectorIjlEEZNS1_14transform_implILb0ES3_S5_N6thrust23THRUST_200600_302600_NS6detail15normal_iteratorINS8_7pointerIjNS8_11hip_rocprim5par_tENS8_11use_defaultESE_EEEENSA_INSB_IlSD_SE_SE_EEEEZNS1_13binary_searchIS3_S5_PjSG_SI_NS1_21lower_bound_search_opENS9_16wrapped_functionI11custom_lessbEEEE10hipError_tPvRmT1_T2_T3_mmT4_T5_P12ihipStream_tbEUlRKjE_EESP_ST_SU_mSV_SY_bEUlT_E_NS1_11comp_targetILNS1_3genE3ELNS1_11target_archE908ELNS1_3gpuE7ELNS1_3repE0EEENS1_30default_config_static_selectorELNS0_4arch9wavefront6targetE1EEEvSS_
                                        ; -- End function
	.set _ZN7rocprim17ROCPRIM_400000_NS6detail17trampoline_kernelINS0_14default_configENS1_27lower_bound_config_selectorIjlEEZNS1_14transform_implILb0ES3_S5_N6thrust23THRUST_200600_302600_NS6detail15normal_iteratorINS8_7pointerIjNS8_11hip_rocprim5par_tENS8_11use_defaultESE_EEEENSA_INSB_IlSD_SE_SE_EEEEZNS1_13binary_searchIS3_S5_PjSG_SI_NS1_21lower_bound_search_opENS9_16wrapped_functionI11custom_lessbEEEE10hipError_tPvRmT1_T2_T3_mmT4_T5_P12ihipStream_tbEUlRKjE_EESP_ST_SU_mSV_SY_bEUlT_E_NS1_11comp_targetILNS1_3genE3ELNS1_11target_archE908ELNS1_3gpuE7ELNS1_3repE0EEENS1_30default_config_static_selectorELNS0_4arch9wavefront6targetE1EEEvSS_.num_vgpr, 0
	.set _ZN7rocprim17ROCPRIM_400000_NS6detail17trampoline_kernelINS0_14default_configENS1_27lower_bound_config_selectorIjlEEZNS1_14transform_implILb0ES3_S5_N6thrust23THRUST_200600_302600_NS6detail15normal_iteratorINS8_7pointerIjNS8_11hip_rocprim5par_tENS8_11use_defaultESE_EEEENSA_INSB_IlSD_SE_SE_EEEEZNS1_13binary_searchIS3_S5_PjSG_SI_NS1_21lower_bound_search_opENS9_16wrapped_functionI11custom_lessbEEEE10hipError_tPvRmT1_T2_T3_mmT4_T5_P12ihipStream_tbEUlRKjE_EESP_ST_SU_mSV_SY_bEUlT_E_NS1_11comp_targetILNS1_3genE3ELNS1_11target_archE908ELNS1_3gpuE7ELNS1_3repE0EEENS1_30default_config_static_selectorELNS0_4arch9wavefront6targetE1EEEvSS_.num_agpr, 0
	.set _ZN7rocprim17ROCPRIM_400000_NS6detail17trampoline_kernelINS0_14default_configENS1_27lower_bound_config_selectorIjlEEZNS1_14transform_implILb0ES3_S5_N6thrust23THRUST_200600_302600_NS6detail15normal_iteratorINS8_7pointerIjNS8_11hip_rocprim5par_tENS8_11use_defaultESE_EEEENSA_INSB_IlSD_SE_SE_EEEEZNS1_13binary_searchIS3_S5_PjSG_SI_NS1_21lower_bound_search_opENS9_16wrapped_functionI11custom_lessbEEEE10hipError_tPvRmT1_T2_T3_mmT4_T5_P12ihipStream_tbEUlRKjE_EESP_ST_SU_mSV_SY_bEUlT_E_NS1_11comp_targetILNS1_3genE3ELNS1_11target_archE908ELNS1_3gpuE7ELNS1_3repE0EEENS1_30default_config_static_selectorELNS0_4arch9wavefront6targetE1EEEvSS_.numbered_sgpr, 0
	.set _ZN7rocprim17ROCPRIM_400000_NS6detail17trampoline_kernelINS0_14default_configENS1_27lower_bound_config_selectorIjlEEZNS1_14transform_implILb0ES3_S5_N6thrust23THRUST_200600_302600_NS6detail15normal_iteratorINS8_7pointerIjNS8_11hip_rocprim5par_tENS8_11use_defaultESE_EEEENSA_INSB_IlSD_SE_SE_EEEEZNS1_13binary_searchIS3_S5_PjSG_SI_NS1_21lower_bound_search_opENS9_16wrapped_functionI11custom_lessbEEEE10hipError_tPvRmT1_T2_T3_mmT4_T5_P12ihipStream_tbEUlRKjE_EESP_ST_SU_mSV_SY_bEUlT_E_NS1_11comp_targetILNS1_3genE3ELNS1_11target_archE908ELNS1_3gpuE7ELNS1_3repE0EEENS1_30default_config_static_selectorELNS0_4arch9wavefront6targetE1EEEvSS_.num_named_barrier, 0
	.set _ZN7rocprim17ROCPRIM_400000_NS6detail17trampoline_kernelINS0_14default_configENS1_27lower_bound_config_selectorIjlEEZNS1_14transform_implILb0ES3_S5_N6thrust23THRUST_200600_302600_NS6detail15normal_iteratorINS8_7pointerIjNS8_11hip_rocprim5par_tENS8_11use_defaultESE_EEEENSA_INSB_IlSD_SE_SE_EEEEZNS1_13binary_searchIS3_S5_PjSG_SI_NS1_21lower_bound_search_opENS9_16wrapped_functionI11custom_lessbEEEE10hipError_tPvRmT1_T2_T3_mmT4_T5_P12ihipStream_tbEUlRKjE_EESP_ST_SU_mSV_SY_bEUlT_E_NS1_11comp_targetILNS1_3genE3ELNS1_11target_archE908ELNS1_3gpuE7ELNS1_3repE0EEENS1_30default_config_static_selectorELNS0_4arch9wavefront6targetE1EEEvSS_.private_seg_size, 0
	.set _ZN7rocprim17ROCPRIM_400000_NS6detail17trampoline_kernelINS0_14default_configENS1_27lower_bound_config_selectorIjlEEZNS1_14transform_implILb0ES3_S5_N6thrust23THRUST_200600_302600_NS6detail15normal_iteratorINS8_7pointerIjNS8_11hip_rocprim5par_tENS8_11use_defaultESE_EEEENSA_INSB_IlSD_SE_SE_EEEEZNS1_13binary_searchIS3_S5_PjSG_SI_NS1_21lower_bound_search_opENS9_16wrapped_functionI11custom_lessbEEEE10hipError_tPvRmT1_T2_T3_mmT4_T5_P12ihipStream_tbEUlRKjE_EESP_ST_SU_mSV_SY_bEUlT_E_NS1_11comp_targetILNS1_3genE3ELNS1_11target_archE908ELNS1_3gpuE7ELNS1_3repE0EEENS1_30default_config_static_selectorELNS0_4arch9wavefront6targetE1EEEvSS_.uses_vcc, 0
	.set _ZN7rocprim17ROCPRIM_400000_NS6detail17trampoline_kernelINS0_14default_configENS1_27lower_bound_config_selectorIjlEEZNS1_14transform_implILb0ES3_S5_N6thrust23THRUST_200600_302600_NS6detail15normal_iteratorINS8_7pointerIjNS8_11hip_rocprim5par_tENS8_11use_defaultESE_EEEENSA_INSB_IlSD_SE_SE_EEEEZNS1_13binary_searchIS3_S5_PjSG_SI_NS1_21lower_bound_search_opENS9_16wrapped_functionI11custom_lessbEEEE10hipError_tPvRmT1_T2_T3_mmT4_T5_P12ihipStream_tbEUlRKjE_EESP_ST_SU_mSV_SY_bEUlT_E_NS1_11comp_targetILNS1_3genE3ELNS1_11target_archE908ELNS1_3gpuE7ELNS1_3repE0EEENS1_30default_config_static_selectorELNS0_4arch9wavefront6targetE1EEEvSS_.uses_flat_scratch, 0
	.set _ZN7rocprim17ROCPRIM_400000_NS6detail17trampoline_kernelINS0_14default_configENS1_27lower_bound_config_selectorIjlEEZNS1_14transform_implILb0ES3_S5_N6thrust23THRUST_200600_302600_NS6detail15normal_iteratorINS8_7pointerIjNS8_11hip_rocprim5par_tENS8_11use_defaultESE_EEEENSA_INSB_IlSD_SE_SE_EEEEZNS1_13binary_searchIS3_S5_PjSG_SI_NS1_21lower_bound_search_opENS9_16wrapped_functionI11custom_lessbEEEE10hipError_tPvRmT1_T2_T3_mmT4_T5_P12ihipStream_tbEUlRKjE_EESP_ST_SU_mSV_SY_bEUlT_E_NS1_11comp_targetILNS1_3genE3ELNS1_11target_archE908ELNS1_3gpuE7ELNS1_3repE0EEENS1_30default_config_static_selectorELNS0_4arch9wavefront6targetE1EEEvSS_.has_dyn_sized_stack, 0
	.set _ZN7rocprim17ROCPRIM_400000_NS6detail17trampoline_kernelINS0_14default_configENS1_27lower_bound_config_selectorIjlEEZNS1_14transform_implILb0ES3_S5_N6thrust23THRUST_200600_302600_NS6detail15normal_iteratorINS8_7pointerIjNS8_11hip_rocprim5par_tENS8_11use_defaultESE_EEEENSA_INSB_IlSD_SE_SE_EEEEZNS1_13binary_searchIS3_S5_PjSG_SI_NS1_21lower_bound_search_opENS9_16wrapped_functionI11custom_lessbEEEE10hipError_tPvRmT1_T2_T3_mmT4_T5_P12ihipStream_tbEUlRKjE_EESP_ST_SU_mSV_SY_bEUlT_E_NS1_11comp_targetILNS1_3genE3ELNS1_11target_archE908ELNS1_3gpuE7ELNS1_3repE0EEENS1_30default_config_static_selectorELNS0_4arch9wavefront6targetE1EEEvSS_.has_recursion, 0
	.set _ZN7rocprim17ROCPRIM_400000_NS6detail17trampoline_kernelINS0_14default_configENS1_27lower_bound_config_selectorIjlEEZNS1_14transform_implILb0ES3_S5_N6thrust23THRUST_200600_302600_NS6detail15normal_iteratorINS8_7pointerIjNS8_11hip_rocprim5par_tENS8_11use_defaultESE_EEEENSA_INSB_IlSD_SE_SE_EEEEZNS1_13binary_searchIS3_S5_PjSG_SI_NS1_21lower_bound_search_opENS9_16wrapped_functionI11custom_lessbEEEE10hipError_tPvRmT1_T2_T3_mmT4_T5_P12ihipStream_tbEUlRKjE_EESP_ST_SU_mSV_SY_bEUlT_E_NS1_11comp_targetILNS1_3genE3ELNS1_11target_archE908ELNS1_3gpuE7ELNS1_3repE0EEENS1_30default_config_static_selectorELNS0_4arch9wavefront6targetE1EEEvSS_.has_indirect_call, 0
	.section	.AMDGPU.csdata,"",@progbits
; Kernel info:
; codeLenInByte = 0
; TotalNumSgprs: 4
; NumVgprs: 0
; ScratchSize: 0
; MemoryBound: 0
; FloatMode: 240
; IeeeMode: 1
; LDSByteSize: 0 bytes/workgroup (compile time only)
; SGPRBlocks: 0
; VGPRBlocks: 0
; NumSGPRsForWavesPerEU: 4
; NumVGPRsForWavesPerEU: 1
; Occupancy: 10
; WaveLimiterHint : 0
; COMPUTE_PGM_RSRC2:SCRATCH_EN: 0
; COMPUTE_PGM_RSRC2:USER_SGPR: 6
; COMPUTE_PGM_RSRC2:TRAP_HANDLER: 0
; COMPUTE_PGM_RSRC2:TGID_X_EN: 1
; COMPUTE_PGM_RSRC2:TGID_Y_EN: 0
; COMPUTE_PGM_RSRC2:TGID_Z_EN: 0
; COMPUTE_PGM_RSRC2:TIDIG_COMP_CNT: 0
	.section	.text._ZN7rocprim17ROCPRIM_400000_NS6detail17trampoline_kernelINS0_14default_configENS1_27lower_bound_config_selectorIjlEEZNS1_14transform_implILb0ES3_S5_N6thrust23THRUST_200600_302600_NS6detail15normal_iteratorINS8_7pointerIjNS8_11hip_rocprim5par_tENS8_11use_defaultESE_EEEENSA_INSB_IlSD_SE_SE_EEEEZNS1_13binary_searchIS3_S5_PjSG_SI_NS1_21lower_bound_search_opENS9_16wrapped_functionI11custom_lessbEEEE10hipError_tPvRmT1_T2_T3_mmT4_T5_P12ihipStream_tbEUlRKjE_EESP_ST_SU_mSV_SY_bEUlT_E_NS1_11comp_targetILNS1_3genE2ELNS1_11target_archE906ELNS1_3gpuE6ELNS1_3repE0EEENS1_30default_config_static_selectorELNS0_4arch9wavefront6targetE1EEEvSS_,"axG",@progbits,_ZN7rocprim17ROCPRIM_400000_NS6detail17trampoline_kernelINS0_14default_configENS1_27lower_bound_config_selectorIjlEEZNS1_14transform_implILb0ES3_S5_N6thrust23THRUST_200600_302600_NS6detail15normal_iteratorINS8_7pointerIjNS8_11hip_rocprim5par_tENS8_11use_defaultESE_EEEENSA_INSB_IlSD_SE_SE_EEEEZNS1_13binary_searchIS3_S5_PjSG_SI_NS1_21lower_bound_search_opENS9_16wrapped_functionI11custom_lessbEEEE10hipError_tPvRmT1_T2_T3_mmT4_T5_P12ihipStream_tbEUlRKjE_EESP_ST_SU_mSV_SY_bEUlT_E_NS1_11comp_targetILNS1_3genE2ELNS1_11target_archE906ELNS1_3gpuE6ELNS1_3repE0EEENS1_30default_config_static_selectorELNS0_4arch9wavefront6targetE1EEEvSS_,comdat
	.protected	_ZN7rocprim17ROCPRIM_400000_NS6detail17trampoline_kernelINS0_14default_configENS1_27lower_bound_config_selectorIjlEEZNS1_14transform_implILb0ES3_S5_N6thrust23THRUST_200600_302600_NS6detail15normal_iteratorINS8_7pointerIjNS8_11hip_rocprim5par_tENS8_11use_defaultESE_EEEENSA_INSB_IlSD_SE_SE_EEEEZNS1_13binary_searchIS3_S5_PjSG_SI_NS1_21lower_bound_search_opENS9_16wrapped_functionI11custom_lessbEEEE10hipError_tPvRmT1_T2_T3_mmT4_T5_P12ihipStream_tbEUlRKjE_EESP_ST_SU_mSV_SY_bEUlT_E_NS1_11comp_targetILNS1_3genE2ELNS1_11target_archE906ELNS1_3gpuE6ELNS1_3repE0EEENS1_30default_config_static_selectorELNS0_4arch9wavefront6targetE1EEEvSS_ ; -- Begin function _ZN7rocprim17ROCPRIM_400000_NS6detail17trampoline_kernelINS0_14default_configENS1_27lower_bound_config_selectorIjlEEZNS1_14transform_implILb0ES3_S5_N6thrust23THRUST_200600_302600_NS6detail15normal_iteratorINS8_7pointerIjNS8_11hip_rocprim5par_tENS8_11use_defaultESE_EEEENSA_INSB_IlSD_SE_SE_EEEEZNS1_13binary_searchIS3_S5_PjSG_SI_NS1_21lower_bound_search_opENS9_16wrapped_functionI11custom_lessbEEEE10hipError_tPvRmT1_T2_T3_mmT4_T5_P12ihipStream_tbEUlRKjE_EESP_ST_SU_mSV_SY_bEUlT_E_NS1_11comp_targetILNS1_3genE2ELNS1_11target_archE906ELNS1_3gpuE6ELNS1_3repE0EEENS1_30default_config_static_selectorELNS0_4arch9wavefront6targetE1EEEvSS_
	.globl	_ZN7rocprim17ROCPRIM_400000_NS6detail17trampoline_kernelINS0_14default_configENS1_27lower_bound_config_selectorIjlEEZNS1_14transform_implILb0ES3_S5_N6thrust23THRUST_200600_302600_NS6detail15normal_iteratorINS8_7pointerIjNS8_11hip_rocprim5par_tENS8_11use_defaultESE_EEEENSA_INSB_IlSD_SE_SE_EEEEZNS1_13binary_searchIS3_S5_PjSG_SI_NS1_21lower_bound_search_opENS9_16wrapped_functionI11custom_lessbEEEE10hipError_tPvRmT1_T2_T3_mmT4_T5_P12ihipStream_tbEUlRKjE_EESP_ST_SU_mSV_SY_bEUlT_E_NS1_11comp_targetILNS1_3genE2ELNS1_11target_archE906ELNS1_3gpuE6ELNS1_3repE0EEENS1_30default_config_static_selectorELNS0_4arch9wavefront6targetE1EEEvSS_
	.p2align	8
	.type	_ZN7rocprim17ROCPRIM_400000_NS6detail17trampoline_kernelINS0_14default_configENS1_27lower_bound_config_selectorIjlEEZNS1_14transform_implILb0ES3_S5_N6thrust23THRUST_200600_302600_NS6detail15normal_iteratorINS8_7pointerIjNS8_11hip_rocprim5par_tENS8_11use_defaultESE_EEEENSA_INSB_IlSD_SE_SE_EEEEZNS1_13binary_searchIS3_S5_PjSG_SI_NS1_21lower_bound_search_opENS9_16wrapped_functionI11custom_lessbEEEE10hipError_tPvRmT1_T2_T3_mmT4_T5_P12ihipStream_tbEUlRKjE_EESP_ST_SU_mSV_SY_bEUlT_E_NS1_11comp_targetILNS1_3genE2ELNS1_11target_archE906ELNS1_3gpuE6ELNS1_3repE0EEENS1_30default_config_static_selectorELNS0_4arch9wavefront6targetE1EEEvSS_,@function
_ZN7rocprim17ROCPRIM_400000_NS6detail17trampoline_kernelINS0_14default_configENS1_27lower_bound_config_selectorIjlEEZNS1_14transform_implILb0ES3_S5_N6thrust23THRUST_200600_302600_NS6detail15normal_iteratorINS8_7pointerIjNS8_11hip_rocprim5par_tENS8_11use_defaultESE_EEEENSA_INSB_IlSD_SE_SE_EEEEZNS1_13binary_searchIS3_S5_PjSG_SI_NS1_21lower_bound_search_opENS9_16wrapped_functionI11custom_lessbEEEE10hipError_tPvRmT1_T2_T3_mmT4_T5_P12ihipStream_tbEUlRKjE_EESP_ST_SU_mSV_SY_bEUlT_E_NS1_11comp_targetILNS1_3genE2ELNS1_11target_archE906ELNS1_3gpuE6ELNS1_3repE0EEENS1_30default_config_static_selectorELNS0_4arch9wavefront6targetE1EEEvSS_: ; @_ZN7rocprim17ROCPRIM_400000_NS6detail17trampoline_kernelINS0_14default_configENS1_27lower_bound_config_selectorIjlEEZNS1_14transform_implILb0ES3_S5_N6thrust23THRUST_200600_302600_NS6detail15normal_iteratorINS8_7pointerIjNS8_11hip_rocprim5par_tENS8_11use_defaultESE_EEEENSA_INSB_IlSD_SE_SE_EEEEZNS1_13binary_searchIS3_S5_PjSG_SI_NS1_21lower_bound_search_opENS9_16wrapped_functionI11custom_lessbEEEE10hipError_tPvRmT1_T2_T3_mmT4_T5_P12ihipStream_tbEUlRKjE_EESP_ST_SU_mSV_SY_bEUlT_E_NS1_11comp_targetILNS1_3genE2ELNS1_11target_archE906ELNS1_3gpuE6ELNS1_3repE0EEENS1_30default_config_static_selectorELNS0_4arch9wavefront6targetE1EEEvSS_
; %bb.0:
	s_load_dwordx4 s[16:19], s[4:5], 0x0
	s_load_dwordx4 s[8:11], s[4:5], 0x18
	s_load_dwordx2 s[12:13], s[4:5], 0x28
	s_load_dword s15, s[4:5], 0x38
	s_waitcnt lgkmcnt(0)
	s_lshl_b64 s[0:1], s[18:19], 2
	s_add_u32 s2, s16, s0
	s_addc_u32 s3, s17, s1
	s_lshl_b64 s[0:1], s[18:19], 3
	s_add_u32 s7, s8, s0
	s_addc_u32 s14, s9, s1
	s_lshl_b32 s8, s6, 8
	s_add_i32 s15, s15, -1
	s_mov_b32 s9, 0
	s_cmp_lg_u32 s6, s15
	s_mov_b64 s[0:1], -1
	s_cbranch_scc0 .LBB68_7
; %bb.1:
	s_cmp_eq_u64 s[12:13], 0
	s_mov_b64 s[0:1], 0
	s_cbranch_scc1 .LBB68_5
; %bb.2:
	s_lshl_b64 s[16:17], s[8:9], 2
	s_add_u32 s6, s2, s16
	s_addc_u32 s15, s3, s17
	v_lshlrev_b32_e32 v1, 2, v0
	v_mov_b32_e32 v2, s15
	v_add_co_u32_e32 v1, vcc, s6, v1
	v_addc_co_u32_e32 v2, vcc, 0, v2, vcc
	flat_load_dword v5, v[1:2]
	v_mov_b32_e32 v1, 0
	v_mov_b32_e32 v3, s12
	;; [unrolled: 1-line block ×5, first 2 shown]
.LBB68_3:                               ; =>This Inner Loop Header: Depth=1
	v_sub_co_u32_e32 v7, vcc, v3, v1
	v_subb_co_u32_e32 v8, vcc, v4, v2, vcc
	v_lshrrev_b64 v[9:10], 1, v[7:8]
	v_lshrrev_b64 v[7:8], 6, v[7:8]
	v_add_co_u32_e32 v9, vcc, v9, v1
	v_addc_co_u32_e32 v10, vcc, v10, v2, vcc
	v_add_co_u32_e32 v7, vcc, v9, v7
	v_addc_co_u32_e32 v8, vcc, v10, v8, vcc
	v_lshlrev_b64 v[9:10], 2, v[7:8]
	v_add_co_u32_e32 v9, vcc, s10, v9
	v_addc_co_u32_e32 v10, vcc, v6, v10, vcc
	global_load_dword v9, v[9:10], off
	v_add_co_u32_e32 v10, vcc, 1, v7
	v_addc_co_u32_e32 v11, vcc, 0, v8, vcc
	s_waitcnt vmcnt(0) lgkmcnt(0)
	v_cmp_lt_u32_e32 vcc, v9, v5
	v_cndmask_b32_e32 v4, v8, v4, vcc
	v_cndmask_b32_e32 v3, v7, v3, vcc
	v_cndmask_b32_e32 v2, v2, v11, vcc
	v_cndmask_b32_e32 v1, v1, v10, vcc
	v_cmp_ge_u64_e32 vcc, v[1:2], v[3:4]
	s_or_b64 s[0:1], vcc, s[0:1]
	s_andn2_b64 exec, exec, s[0:1]
	s_cbranch_execnz .LBB68_3
; %bb.4:
	s_or_b64 exec, exec, s[0:1]
	s_branch .LBB68_6
.LBB68_5:
	v_mov_b32_e32 v1, 0
	v_mov_b32_e32 v2, 0
.LBB68_6:
	s_lshl_b64 s[0:1], s[8:9], 3
	s_add_u32 s0, s7, s0
	s_addc_u32 s1, s14, s1
	v_lshlrev_b32_e32 v3, 3, v0
	v_mov_b32_e32 v4, s1
	v_add_co_u32_e32 v3, vcc, s0, v3
	v_addc_co_u32_e32 v4, vcc, 0, v4, vcc
	s_mov_b64 s[0:1], 0
	flat_store_dwordx2 v[3:4], v[1:2]
.LBB68_7:
	s_and_b64 vcc, exec, s[0:1]
	s_cbranch_vccz .LBB68_16
; %bb.8:
	s_load_dword s0, s[4:5], 0x10
                                        ; implicit-def: $vgpr5
	s_waitcnt lgkmcnt(0)
	s_sub_i32 s4, s0, s8
	v_cmp_le_u32_e64 s[0:1], s4, v0
	v_cmp_gt_u32_e32 vcc, s4, v0
	s_and_saveexec_b64 s[4:5], vcc
	s_cbranch_execz .LBB68_10
; %bb.9:
	s_lshl_b64 s[16:17], s[8:9], 2
	s_add_u32 s2, s2, s16
	s_addc_u32 s3, s3, s17
	v_lshlrev_b32_e32 v1, 2, v0
	v_mov_b32_e32 v2, s3
	v_add_co_u32_e64 v1, s[2:3], s2, v1
	v_addc_co_u32_e64 v2, s[2:3], 0, v2, s[2:3]
	flat_load_dword v5, v[1:2]
.LBB68_10:
	s_or_b64 exec, exec, s[4:5]
	s_cmp_lg_u64 s[12:13], 0
	s_cselect_b64 s[4:5], -1, 0
	s_xor_b64 s[0:1], s[0:1], -1
	v_mov_b32_e32 v1, 0
	s_mov_b64 s[2:3], 0
	v_mov_b32_e32 v2, 0
	s_and_b64 s[0:1], s[0:1], s[4:5]
	s_and_saveexec_b64 s[4:5], s[0:1]
	s_cbranch_execz .LBB68_14
; %bb.11:
	v_mov_b32_e32 v1, 0
	v_mov_b32_e32 v3, s12
	;; [unrolled: 1-line block ×5, first 2 shown]
.LBB68_12:                              ; =>This Inner Loop Header: Depth=1
	v_sub_co_u32_e64 v7, s[0:1], v3, v1
	v_subb_co_u32_e64 v8, s[0:1], v4, v2, s[0:1]
	v_lshrrev_b64 v[9:10], 1, v[7:8]
	v_lshrrev_b64 v[7:8], 6, v[7:8]
	v_add_co_u32_e64 v9, s[0:1], v9, v1
	v_addc_co_u32_e64 v10, s[0:1], v10, v2, s[0:1]
	v_add_co_u32_e64 v7, s[0:1], v9, v7
	v_addc_co_u32_e64 v8, s[0:1], v10, v8, s[0:1]
	v_lshlrev_b64 v[9:10], 2, v[7:8]
	v_add_co_u32_e64 v9, s[0:1], s10, v9
	v_addc_co_u32_e64 v10, s[0:1], v6, v10, s[0:1]
	global_load_dword v9, v[9:10], off
	v_add_co_u32_e64 v10, s[0:1], 1, v7
	v_addc_co_u32_e64 v11, s[0:1], 0, v8, s[0:1]
	s_waitcnt vmcnt(0) lgkmcnt(0)
	v_cmp_lt_u32_e64 s[0:1], v9, v5
	v_cndmask_b32_e64 v4, v8, v4, s[0:1]
	v_cndmask_b32_e64 v3, v7, v3, s[0:1]
	;; [unrolled: 1-line block ×4, first 2 shown]
	v_cmp_ge_u64_e64 s[0:1], v[1:2], v[3:4]
	s_or_b64 s[2:3], s[0:1], s[2:3]
	s_andn2_b64 exec, exec, s[2:3]
	s_cbranch_execnz .LBB68_12
; %bb.13:
	s_or_b64 exec, exec, s[2:3]
.LBB68_14:
	s_or_b64 exec, exec, s[4:5]
	s_and_saveexec_b64 s[0:1], vcc
	s_cbranch_execz .LBB68_16
; %bb.15:
	s_lshl_b64 s[0:1], s[8:9], 3
	s_add_u32 s0, s7, s0
	s_addc_u32 s1, s14, s1
	v_lshlrev_b32_e32 v0, 3, v0
	v_mov_b32_e32 v4, s1
	v_add_co_u32_e32 v3, vcc, s0, v0
	v_addc_co_u32_e32 v4, vcc, 0, v4, vcc
	flat_store_dwordx2 v[3:4], v[1:2]
.LBB68_16:
	s_endpgm
	.section	.rodata,"a",@progbits
	.p2align	6, 0x0
	.amdhsa_kernel _ZN7rocprim17ROCPRIM_400000_NS6detail17trampoline_kernelINS0_14default_configENS1_27lower_bound_config_selectorIjlEEZNS1_14transform_implILb0ES3_S5_N6thrust23THRUST_200600_302600_NS6detail15normal_iteratorINS8_7pointerIjNS8_11hip_rocprim5par_tENS8_11use_defaultESE_EEEENSA_INSB_IlSD_SE_SE_EEEEZNS1_13binary_searchIS3_S5_PjSG_SI_NS1_21lower_bound_search_opENS9_16wrapped_functionI11custom_lessbEEEE10hipError_tPvRmT1_T2_T3_mmT4_T5_P12ihipStream_tbEUlRKjE_EESP_ST_SU_mSV_SY_bEUlT_E_NS1_11comp_targetILNS1_3genE2ELNS1_11target_archE906ELNS1_3gpuE6ELNS1_3repE0EEENS1_30default_config_static_selectorELNS0_4arch9wavefront6targetE1EEEvSS_
		.amdhsa_group_segment_fixed_size 0
		.amdhsa_private_segment_fixed_size 0
		.amdhsa_kernarg_size 312
		.amdhsa_user_sgpr_count 6
		.amdhsa_user_sgpr_private_segment_buffer 1
		.amdhsa_user_sgpr_dispatch_ptr 0
		.amdhsa_user_sgpr_queue_ptr 0
		.amdhsa_user_sgpr_kernarg_segment_ptr 1
		.amdhsa_user_sgpr_dispatch_id 0
		.amdhsa_user_sgpr_flat_scratch_init 0
		.amdhsa_user_sgpr_private_segment_size 0
		.amdhsa_uses_dynamic_stack 0
		.amdhsa_system_sgpr_private_segment_wavefront_offset 0
		.amdhsa_system_sgpr_workgroup_id_x 1
		.amdhsa_system_sgpr_workgroup_id_y 0
		.amdhsa_system_sgpr_workgroup_id_z 0
		.amdhsa_system_sgpr_workgroup_info 0
		.amdhsa_system_vgpr_workitem_id 0
		.amdhsa_next_free_vgpr 12
		.amdhsa_next_free_sgpr 20
		.amdhsa_reserve_vcc 1
		.amdhsa_reserve_flat_scratch 0
		.amdhsa_float_round_mode_32 0
		.amdhsa_float_round_mode_16_64 0
		.amdhsa_float_denorm_mode_32 3
		.amdhsa_float_denorm_mode_16_64 3
		.amdhsa_dx10_clamp 1
		.amdhsa_ieee_mode 1
		.amdhsa_fp16_overflow 0
		.amdhsa_exception_fp_ieee_invalid_op 0
		.amdhsa_exception_fp_denorm_src 0
		.amdhsa_exception_fp_ieee_div_zero 0
		.amdhsa_exception_fp_ieee_overflow 0
		.amdhsa_exception_fp_ieee_underflow 0
		.amdhsa_exception_fp_ieee_inexact 0
		.amdhsa_exception_int_div_zero 0
	.end_amdhsa_kernel
	.section	.text._ZN7rocprim17ROCPRIM_400000_NS6detail17trampoline_kernelINS0_14default_configENS1_27lower_bound_config_selectorIjlEEZNS1_14transform_implILb0ES3_S5_N6thrust23THRUST_200600_302600_NS6detail15normal_iteratorINS8_7pointerIjNS8_11hip_rocprim5par_tENS8_11use_defaultESE_EEEENSA_INSB_IlSD_SE_SE_EEEEZNS1_13binary_searchIS3_S5_PjSG_SI_NS1_21lower_bound_search_opENS9_16wrapped_functionI11custom_lessbEEEE10hipError_tPvRmT1_T2_T3_mmT4_T5_P12ihipStream_tbEUlRKjE_EESP_ST_SU_mSV_SY_bEUlT_E_NS1_11comp_targetILNS1_3genE2ELNS1_11target_archE906ELNS1_3gpuE6ELNS1_3repE0EEENS1_30default_config_static_selectorELNS0_4arch9wavefront6targetE1EEEvSS_,"axG",@progbits,_ZN7rocprim17ROCPRIM_400000_NS6detail17trampoline_kernelINS0_14default_configENS1_27lower_bound_config_selectorIjlEEZNS1_14transform_implILb0ES3_S5_N6thrust23THRUST_200600_302600_NS6detail15normal_iteratorINS8_7pointerIjNS8_11hip_rocprim5par_tENS8_11use_defaultESE_EEEENSA_INSB_IlSD_SE_SE_EEEEZNS1_13binary_searchIS3_S5_PjSG_SI_NS1_21lower_bound_search_opENS9_16wrapped_functionI11custom_lessbEEEE10hipError_tPvRmT1_T2_T3_mmT4_T5_P12ihipStream_tbEUlRKjE_EESP_ST_SU_mSV_SY_bEUlT_E_NS1_11comp_targetILNS1_3genE2ELNS1_11target_archE906ELNS1_3gpuE6ELNS1_3repE0EEENS1_30default_config_static_selectorELNS0_4arch9wavefront6targetE1EEEvSS_,comdat
.Lfunc_end68:
	.size	_ZN7rocprim17ROCPRIM_400000_NS6detail17trampoline_kernelINS0_14default_configENS1_27lower_bound_config_selectorIjlEEZNS1_14transform_implILb0ES3_S5_N6thrust23THRUST_200600_302600_NS6detail15normal_iteratorINS8_7pointerIjNS8_11hip_rocprim5par_tENS8_11use_defaultESE_EEEENSA_INSB_IlSD_SE_SE_EEEEZNS1_13binary_searchIS3_S5_PjSG_SI_NS1_21lower_bound_search_opENS9_16wrapped_functionI11custom_lessbEEEE10hipError_tPvRmT1_T2_T3_mmT4_T5_P12ihipStream_tbEUlRKjE_EESP_ST_SU_mSV_SY_bEUlT_E_NS1_11comp_targetILNS1_3genE2ELNS1_11target_archE906ELNS1_3gpuE6ELNS1_3repE0EEENS1_30default_config_static_selectorELNS0_4arch9wavefront6targetE1EEEvSS_, .Lfunc_end68-_ZN7rocprim17ROCPRIM_400000_NS6detail17trampoline_kernelINS0_14default_configENS1_27lower_bound_config_selectorIjlEEZNS1_14transform_implILb0ES3_S5_N6thrust23THRUST_200600_302600_NS6detail15normal_iteratorINS8_7pointerIjNS8_11hip_rocprim5par_tENS8_11use_defaultESE_EEEENSA_INSB_IlSD_SE_SE_EEEEZNS1_13binary_searchIS3_S5_PjSG_SI_NS1_21lower_bound_search_opENS9_16wrapped_functionI11custom_lessbEEEE10hipError_tPvRmT1_T2_T3_mmT4_T5_P12ihipStream_tbEUlRKjE_EESP_ST_SU_mSV_SY_bEUlT_E_NS1_11comp_targetILNS1_3genE2ELNS1_11target_archE906ELNS1_3gpuE6ELNS1_3repE0EEENS1_30default_config_static_selectorELNS0_4arch9wavefront6targetE1EEEvSS_
                                        ; -- End function
	.set _ZN7rocprim17ROCPRIM_400000_NS6detail17trampoline_kernelINS0_14default_configENS1_27lower_bound_config_selectorIjlEEZNS1_14transform_implILb0ES3_S5_N6thrust23THRUST_200600_302600_NS6detail15normal_iteratorINS8_7pointerIjNS8_11hip_rocprim5par_tENS8_11use_defaultESE_EEEENSA_INSB_IlSD_SE_SE_EEEEZNS1_13binary_searchIS3_S5_PjSG_SI_NS1_21lower_bound_search_opENS9_16wrapped_functionI11custom_lessbEEEE10hipError_tPvRmT1_T2_T3_mmT4_T5_P12ihipStream_tbEUlRKjE_EESP_ST_SU_mSV_SY_bEUlT_E_NS1_11comp_targetILNS1_3genE2ELNS1_11target_archE906ELNS1_3gpuE6ELNS1_3repE0EEENS1_30default_config_static_selectorELNS0_4arch9wavefront6targetE1EEEvSS_.num_vgpr, 12
	.set _ZN7rocprim17ROCPRIM_400000_NS6detail17trampoline_kernelINS0_14default_configENS1_27lower_bound_config_selectorIjlEEZNS1_14transform_implILb0ES3_S5_N6thrust23THRUST_200600_302600_NS6detail15normal_iteratorINS8_7pointerIjNS8_11hip_rocprim5par_tENS8_11use_defaultESE_EEEENSA_INSB_IlSD_SE_SE_EEEEZNS1_13binary_searchIS3_S5_PjSG_SI_NS1_21lower_bound_search_opENS9_16wrapped_functionI11custom_lessbEEEE10hipError_tPvRmT1_T2_T3_mmT4_T5_P12ihipStream_tbEUlRKjE_EESP_ST_SU_mSV_SY_bEUlT_E_NS1_11comp_targetILNS1_3genE2ELNS1_11target_archE906ELNS1_3gpuE6ELNS1_3repE0EEENS1_30default_config_static_selectorELNS0_4arch9wavefront6targetE1EEEvSS_.num_agpr, 0
	.set _ZN7rocprim17ROCPRIM_400000_NS6detail17trampoline_kernelINS0_14default_configENS1_27lower_bound_config_selectorIjlEEZNS1_14transform_implILb0ES3_S5_N6thrust23THRUST_200600_302600_NS6detail15normal_iteratorINS8_7pointerIjNS8_11hip_rocprim5par_tENS8_11use_defaultESE_EEEENSA_INSB_IlSD_SE_SE_EEEEZNS1_13binary_searchIS3_S5_PjSG_SI_NS1_21lower_bound_search_opENS9_16wrapped_functionI11custom_lessbEEEE10hipError_tPvRmT1_T2_T3_mmT4_T5_P12ihipStream_tbEUlRKjE_EESP_ST_SU_mSV_SY_bEUlT_E_NS1_11comp_targetILNS1_3genE2ELNS1_11target_archE906ELNS1_3gpuE6ELNS1_3repE0EEENS1_30default_config_static_selectorELNS0_4arch9wavefront6targetE1EEEvSS_.numbered_sgpr, 20
	.set _ZN7rocprim17ROCPRIM_400000_NS6detail17trampoline_kernelINS0_14default_configENS1_27lower_bound_config_selectorIjlEEZNS1_14transform_implILb0ES3_S5_N6thrust23THRUST_200600_302600_NS6detail15normal_iteratorINS8_7pointerIjNS8_11hip_rocprim5par_tENS8_11use_defaultESE_EEEENSA_INSB_IlSD_SE_SE_EEEEZNS1_13binary_searchIS3_S5_PjSG_SI_NS1_21lower_bound_search_opENS9_16wrapped_functionI11custom_lessbEEEE10hipError_tPvRmT1_T2_T3_mmT4_T5_P12ihipStream_tbEUlRKjE_EESP_ST_SU_mSV_SY_bEUlT_E_NS1_11comp_targetILNS1_3genE2ELNS1_11target_archE906ELNS1_3gpuE6ELNS1_3repE0EEENS1_30default_config_static_selectorELNS0_4arch9wavefront6targetE1EEEvSS_.num_named_barrier, 0
	.set _ZN7rocprim17ROCPRIM_400000_NS6detail17trampoline_kernelINS0_14default_configENS1_27lower_bound_config_selectorIjlEEZNS1_14transform_implILb0ES3_S5_N6thrust23THRUST_200600_302600_NS6detail15normal_iteratorINS8_7pointerIjNS8_11hip_rocprim5par_tENS8_11use_defaultESE_EEEENSA_INSB_IlSD_SE_SE_EEEEZNS1_13binary_searchIS3_S5_PjSG_SI_NS1_21lower_bound_search_opENS9_16wrapped_functionI11custom_lessbEEEE10hipError_tPvRmT1_T2_T3_mmT4_T5_P12ihipStream_tbEUlRKjE_EESP_ST_SU_mSV_SY_bEUlT_E_NS1_11comp_targetILNS1_3genE2ELNS1_11target_archE906ELNS1_3gpuE6ELNS1_3repE0EEENS1_30default_config_static_selectorELNS0_4arch9wavefront6targetE1EEEvSS_.private_seg_size, 0
	.set _ZN7rocprim17ROCPRIM_400000_NS6detail17trampoline_kernelINS0_14default_configENS1_27lower_bound_config_selectorIjlEEZNS1_14transform_implILb0ES3_S5_N6thrust23THRUST_200600_302600_NS6detail15normal_iteratorINS8_7pointerIjNS8_11hip_rocprim5par_tENS8_11use_defaultESE_EEEENSA_INSB_IlSD_SE_SE_EEEEZNS1_13binary_searchIS3_S5_PjSG_SI_NS1_21lower_bound_search_opENS9_16wrapped_functionI11custom_lessbEEEE10hipError_tPvRmT1_T2_T3_mmT4_T5_P12ihipStream_tbEUlRKjE_EESP_ST_SU_mSV_SY_bEUlT_E_NS1_11comp_targetILNS1_3genE2ELNS1_11target_archE906ELNS1_3gpuE6ELNS1_3repE0EEENS1_30default_config_static_selectorELNS0_4arch9wavefront6targetE1EEEvSS_.uses_vcc, 1
	.set _ZN7rocprim17ROCPRIM_400000_NS6detail17trampoline_kernelINS0_14default_configENS1_27lower_bound_config_selectorIjlEEZNS1_14transform_implILb0ES3_S5_N6thrust23THRUST_200600_302600_NS6detail15normal_iteratorINS8_7pointerIjNS8_11hip_rocprim5par_tENS8_11use_defaultESE_EEEENSA_INSB_IlSD_SE_SE_EEEEZNS1_13binary_searchIS3_S5_PjSG_SI_NS1_21lower_bound_search_opENS9_16wrapped_functionI11custom_lessbEEEE10hipError_tPvRmT1_T2_T3_mmT4_T5_P12ihipStream_tbEUlRKjE_EESP_ST_SU_mSV_SY_bEUlT_E_NS1_11comp_targetILNS1_3genE2ELNS1_11target_archE906ELNS1_3gpuE6ELNS1_3repE0EEENS1_30default_config_static_selectorELNS0_4arch9wavefront6targetE1EEEvSS_.uses_flat_scratch, 0
	.set _ZN7rocprim17ROCPRIM_400000_NS6detail17trampoline_kernelINS0_14default_configENS1_27lower_bound_config_selectorIjlEEZNS1_14transform_implILb0ES3_S5_N6thrust23THRUST_200600_302600_NS6detail15normal_iteratorINS8_7pointerIjNS8_11hip_rocprim5par_tENS8_11use_defaultESE_EEEENSA_INSB_IlSD_SE_SE_EEEEZNS1_13binary_searchIS3_S5_PjSG_SI_NS1_21lower_bound_search_opENS9_16wrapped_functionI11custom_lessbEEEE10hipError_tPvRmT1_T2_T3_mmT4_T5_P12ihipStream_tbEUlRKjE_EESP_ST_SU_mSV_SY_bEUlT_E_NS1_11comp_targetILNS1_3genE2ELNS1_11target_archE906ELNS1_3gpuE6ELNS1_3repE0EEENS1_30default_config_static_selectorELNS0_4arch9wavefront6targetE1EEEvSS_.has_dyn_sized_stack, 0
	.set _ZN7rocprim17ROCPRIM_400000_NS6detail17trampoline_kernelINS0_14default_configENS1_27lower_bound_config_selectorIjlEEZNS1_14transform_implILb0ES3_S5_N6thrust23THRUST_200600_302600_NS6detail15normal_iteratorINS8_7pointerIjNS8_11hip_rocprim5par_tENS8_11use_defaultESE_EEEENSA_INSB_IlSD_SE_SE_EEEEZNS1_13binary_searchIS3_S5_PjSG_SI_NS1_21lower_bound_search_opENS9_16wrapped_functionI11custom_lessbEEEE10hipError_tPvRmT1_T2_T3_mmT4_T5_P12ihipStream_tbEUlRKjE_EESP_ST_SU_mSV_SY_bEUlT_E_NS1_11comp_targetILNS1_3genE2ELNS1_11target_archE906ELNS1_3gpuE6ELNS1_3repE0EEENS1_30default_config_static_selectorELNS0_4arch9wavefront6targetE1EEEvSS_.has_recursion, 0
	.set _ZN7rocprim17ROCPRIM_400000_NS6detail17trampoline_kernelINS0_14default_configENS1_27lower_bound_config_selectorIjlEEZNS1_14transform_implILb0ES3_S5_N6thrust23THRUST_200600_302600_NS6detail15normal_iteratorINS8_7pointerIjNS8_11hip_rocprim5par_tENS8_11use_defaultESE_EEEENSA_INSB_IlSD_SE_SE_EEEEZNS1_13binary_searchIS3_S5_PjSG_SI_NS1_21lower_bound_search_opENS9_16wrapped_functionI11custom_lessbEEEE10hipError_tPvRmT1_T2_T3_mmT4_T5_P12ihipStream_tbEUlRKjE_EESP_ST_SU_mSV_SY_bEUlT_E_NS1_11comp_targetILNS1_3genE2ELNS1_11target_archE906ELNS1_3gpuE6ELNS1_3repE0EEENS1_30default_config_static_selectorELNS0_4arch9wavefront6targetE1EEEvSS_.has_indirect_call, 0
	.section	.AMDGPU.csdata,"",@progbits
; Kernel info:
; codeLenInByte = 700
; TotalNumSgprs: 24
; NumVgprs: 12
; ScratchSize: 0
; MemoryBound: 0
; FloatMode: 240
; IeeeMode: 1
; LDSByteSize: 0 bytes/workgroup (compile time only)
; SGPRBlocks: 2
; VGPRBlocks: 2
; NumSGPRsForWavesPerEU: 24
; NumVGPRsForWavesPerEU: 12
; Occupancy: 10
; WaveLimiterHint : 0
; COMPUTE_PGM_RSRC2:SCRATCH_EN: 0
; COMPUTE_PGM_RSRC2:USER_SGPR: 6
; COMPUTE_PGM_RSRC2:TRAP_HANDLER: 0
; COMPUTE_PGM_RSRC2:TGID_X_EN: 1
; COMPUTE_PGM_RSRC2:TGID_Y_EN: 0
; COMPUTE_PGM_RSRC2:TGID_Z_EN: 0
; COMPUTE_PGM_RSRC2:TIDIG_COMP_CNT: 0
	.section	.text._ZN7rocprim17ROCPRIM_400000_NS6detail17trampoline_kernelINS0_14default_configENS1_27lower_bound_config_selectorIjlEEZNS1_14transform_implILb0ES3_S5_N6thrust23THRUST_200600_302600_NS6detail15normal_iteratorINS8_7pointerIjNS8_11hip_rocprim5par_tENS8_11use_defaultESE_EEEENSA_INSB_IlSD_SE_SE_EEEEZNS1_13binary_searchIS3_S5_PjSG_SI_NS1_21lower_bound_search_opENS9_16wrapped_functionI11custom_lessbEEEE10hipError_tPvRmT1_T2_T3_mmT4_T5_P12ihipStream_tbEUlRKjE_EESP_ST_SU_mSV_SY_bEUlT_E_NS1_11comp_targetILNS1_3genE10ELNS1_11target_archE1201ELNS1_3gpuE5ELNS1_3repE0EEENS1_30default_config_static_selectorELNS0_4arch9wavefront6targetE1EEEvSS_,"axG",@progbits,_ZN7rocprim17ROCPRIM_400000_NS6detail17trampoline_kernelINS0_14default_configENS1_27lower_bound_config_selectorIjlEEZNS1_14transform_implILb0ES3_S5_N6thrust23THRUST_200600_302600_NS6detail15normal_iteratorINS8_7pointerIjNS8_11hip_rocprim5par_tENS8_11use_defaultESE_EEEENSA_INSB_IlSD_SE_SE_EEEEZNS1_13binary_searchIS3_S5_PjSG_SI_NS1_21lower_bound_search_opENS9_16wrapped_functionI11custom_lessbEEEE10hipError_tPvRmT1_T2_T3_mmT4_T5_P12ihipStream_tbEUlRKjE_EESP_ST_SU_mSV_SY_bEUlT_E_NS1_11comp_targetILNS1_3genE10ELNS1_11target_archE1201ELNS1_3gpuE5ELNS1_3repE0EEENS1_30default_config_static_selectorELNS0_4arch9wavefront6targetE1EEEvSS_,comdat
	.protected	_ZN7rocprim17ROCPRIM_400000_NS6detail17trampoline_kernelINS0_14default_configENS1_27lower_bound_config_selectorIjlEEZNS1_14transform_implILb0ES3_S5_N6thrust23THRUST_200600_302600_NS6detail15normal_iteratorINS8_7pointerIjNS8_11hip_rocprim5par_tENS8_11use_defaultESE_EEEENSA_INSB_IlSD_SE_SE_EEEEZNS1_13binary_searchIS3_S5_PjSG_SI_NS1_21lower_bound_search_opENS9_16wrapped_functionI11custom_lessbEEEE10hipError_tPvRmT1_T2_T3_mmT4_T5_P12ihipStream_tbEUlRKjE_EESP_ST_SU_mSV_SY_bEUlT_E_NS1_11comp_targetILNS1_3genE10ELNS1_11target_archE1201ELNS1_3gpuE5ELNS1_3repE0EEENS1_30default_config_static_selectorELNS0_4arch9wavefront6targetE1EEEvSS_ ; -- Begin function _ZN7rocprim17ROCPRIM_400000_NS6detail17trampoline_kernelINS0_14default_configENS1_27lower_bound_config_selectorIjlEEZNS1_14transform_implILb0ES3_S5_N6thrust23THRUST_200600_302600_NS6detail15normal_iteratorINS8_7pointerIjNS8_11hip_rocprim5par_tENS8_11use_defaultESE_EEEENSA_INSB_IlSD_SE_SE_EEEEZNS1_13binary_searchIS3_S5_PjSG_SI_NS1_21lower_bound_search_opENS9_16wrapped_functionI11custom_lessbEEEE10hipError_tPvRmT1_T2_T3_mmT4_T5_P12ihipStream_tbEUlRKjE_EESP_ST_SU_mSV_SY_bEUlT_E_NS1_11comp_targetILNS1_3genE10ELNS1_11target_archE1201ELNS1_3gpuE5ELNS1_3repE0EEENS1_30default_config_static_selectorELNS0_4arch9wavefront6targetE1EEEvSS_
	.globl	_ZN7rocprim17ROCPRIM_400000_NS6detail17trampoline_kernelINS0_14default_configENS1_27lower_bound_config_selectorIjlEEZNS1_14transform_implILb0ES3_S5_N6thrust23THRUST_200600_302600_NS6detail15normal_iteratorINS8_7pointerIjNS8_11hip_rocprim5par_tENS8_11use_defaultESE_EEEENSA_INSB_IlSD_SE_SE_EEEEZNS1_13binary_searchIS3_S5_PjSG_SI_NS1_21lower_bound_search_opENS9_16wrapped_functionI11custom_lessbEEEE10hipError_tPvRmT1_T2_T3_mmT4_T5_P12ihipStream_tbEUlRKjE_EESP_ST_SU_mSV_SY_bEUlT_E_NS1_11comp_targetILNS1_3genE10ELNS1_11target_archE1201ELNS1_3gpuE5ELNS1_3repE0EEENS1_30default_config_static_selectorELNS0_4arch9wavefront6targetE1EEEvSS_
	.p2align	8
	.type	_ZN7rocprim17ROCPRIM_400000_NS6detail17trampoline_kernelINS0_14default_configENS1_27lower_bound_config_selectorIjlEEZNS1_14transform_implILb0ES3_S5_N6thrust23THRUST_200600_302600_NS6detail15normal_iteratorINS8_7pointerIjNS8_11hip_rocprim5par_tENS8_11use_defaultESE_EEEENSA_INSB_IlSD_SE_SE_EEEEZNS1_13binary_searchIS3_S5_PjSG_SI_NS1_21lower_bound_search_opENS9_16wrapped_functionI11custom_lessbEEEE10hipError_tPvRmT1_T2_T3_mmT4_T5_P12ihipStream_tbEUlRKjE_EESP_ST_SU_mSV_SY_bEUlT_E_NS1_11comp_targetILNS1_3genE10ELNS1_11target_archE1201ELNS1_3gpuE5ELNS1_3repE0EEENS1_30default_config_static_selectorELNS0_4arch9wavefront6targetE1EEEvSS_,@function
_ZN7rocprim17ROCPRIM_400000_NS6detail17trampoline_kernelINS0_14default_configENS1_27lower_bound_config_selectorIjlEEZNS1_14transform_implILb0ES3_S5_N6thrust23THRUST_200600_302600_NS6detail15normal_iteratorINS8_7pointerIjNS8_11hip_rocprim5par_tENS8_11use_defaultESE_EEEENSA_INSB_IlSD_SE_SE_EEEEZNS1_13binary_searchIS3_S5_PjSG_SI_NS1_21lower_bound_search_opENS9_16wrapped_functionI11custom_lessbEEEE10hipError_tPvRmT1_T2_T3_mmT4_T5_P12ihipStream_tbEUlRKjE_EESP_ST_SU_mSV_SY_bEUlT_E_NS1_11comp_targetILNS1_3genE10ELNS1_11target_archE1201ELNS1_3gpuE5ELNS1_3repE0EEENS1_30default_config_static_selectorELNS0_4arch9wavefront6targetE1EEEvSS_: ; @_ZN7rocprim17ROCPRIM_400000_NS6detail17trampoline_kernelINS0_14default_configENS1_27lower_bound_config_selectorIjlEEZNS1_14transform_implILb0ES3_S5_N6thrust23THRUST_200600_302600_NS6detail15normal_iteratorINS8_7pointerIjNS8_11hip_rocprim5par_tENS8_11use_defaultESE_EEEENSA_INSB_IlSD_SE_SE_EEEEZNS1_13binary_searchIS3_S5_PjSG_SI_NS1_21lower_bound_search_opENS9_16wrapped_functionI11custom_lessbEEEE10hipError_tPvRmT1_T2_T3_mmT4_T5_P12ihipStream_tbEUlRKjE_EESP_ST_SU_mSV_SY_bEUlT_E_NS1_11comp_targetILNS1_3genE10ELNS1_11target_archE1201ELNS1_3gpuE5ELNS1_3repE0EEENS1_30default_config_static_selectorELNS0_4arch9wavefront6targetE1EEEvSS_
; %bb.0:
	.section	.rodata,"a",@progbits
	.p2align	6, 0x0
	.amdhsa_kernel _ZN7rocprim17ROCPRIM_400000_NS6detail17trampoline_kernelINS0_14default_configENS1_27lower_bound_config_selectorIjlEEZNS1_14transform_implILb0ES3_S5_N6thrust23THRUST_200600_302600_NS6detail15normal_iteratorINS8_7pointerIjNS8_11hip_rocprim5par_tENS8_11use_defaultESE_EEEENSA_INSB_IlSD_SE_SE_EEEEZNS1_13binary_searchIS3_S5_PjSG_SI_NS1_21lower_bound_search_opENS9_16wrapped_functionI11custom_lessbEEEE10hipError_tPvRmT1_T2_T3_mmT4_T5_P12ihipStream_tbEUlRKjE_EESP_ST_SU_mSV_SY_bEUlT_E_NS1_11comp_targetILNS1_3genE10ELNS1_11target_archE1201ELNS1_3gpuE5ELNS1_3repE0EEENS1_30default_config_static_selectorELNS0_4arch9wavefront6targetE1EEEvSS_
		.amdhsa_group_segment_fixed_size 0
		.amdhsa_private_segment_fixed_size 0
		.amdhsa_kernarg_size 56
		.amdhsa_user_sgpr_count 6
		.amdhsa_user_sgpr_private_segment_buffer 1
		.amdhsa_user_sgpr_dispatch_ptr 0
		.amdhsa_user_sgpr_queue_ptr 0
		.amdhsa_user_sgpr_kernarg_segment_ptr 1
		.amdhsa_user_sgpr_dispatch_id 0
		.amdhsa_user_sgpr_flat_scratch_init 0
		.amdhsa_user_sgpr_private_segment_size 0
		.amdhsa_uses_dynamic_stack 0
		.amdhsa_system_sgpr_private_segment_wavefront_offset 0
		.amdhsa_system_sgpr_workgroup_id_x 1
		.amdhsa_system_sgpr_workgroup_id_y 0
		.amdhsa_system_sgpr_workgroup_id_z 0
		.amdhsa_system_sgpr_workgroup_info 0
		.amdhsa_system_vgpr_workitem_id 0
		.amdhsa_next_free_vgpr 1
		.amdhsa_next_free_sgpr 0
		.amdhsa_reserve_vcc 0
		.amdhsa_reserve_flat_scratch 0
		.amdhsa_float_round_mode_32 0
		.amdhsa_float_round_mode_16_64 0
		.amdhsa_float_denorm_mode_32 3
		.amdhsa_float_denorm_mode_16_64 3
		.amdhsa_dx10_clamp 1
		.amdhsa_ieee_mode 1
		.amdhsa_fp16_overflow 0
		.amdhsa_exception_fp_ieee_invalid_op 0
		.amdhsa_exception_fp_denorm_src 0
		.amdhsa_exception_fp_ieee_div_zero 0
		.amdhsa_exception_fp_ieee_overflow 0
		.amdhsa_exception_fp_ieee_underflow 0
		.amdhsa_exception_fp_ieee_inexact 0
		.amdhsa_exception_int_div_zero 0
	.end_amdhsa_kernel
	.section	.text._ZN7rocprim17ROCPRIM_400000_NS6detail17trampoline_kernelINS0_14default_configENS1_27lower_bound_config_selectorIjlEEZNS1_14transform_implILb0ES3_S5_N6thrust23THRUST_200600_302600_NS6detail15normal_iteratorINS8_7pointerIjNS8_11hip_rocprim5par_tENS8_11use_defaultESE_EEEENSA_INSB_IlSD_SE_SE_EEEEZNS1_13binary_searchIS3_S5_PjSG_SI_NS1_21lower_bound_search_opENS9_16wrapped_functionI11custom_lessbEEEE10hipError_tPvRmT1_T2_T3_mmT4_T5_P12ihipStream_tbEUlRKjE_EESP_ST_SU_mSV_SY_bEUlT_E_NS1_11comp_targetILNS1_3genE10ELNS1_11target_archE1201ELNS1_3gpuE5ELNS1_3repE0EEENS1_30default_config_static_selectorELNS0_4arch9wavefront6targetE1EEEvSS_,"axG",@progbits,_ZN7rocprim17ROCPRIM_400000_NS6detail17trampoline_kernelINS0_14default_configENS1_27lower_bound_config_selectorIjlEEZNS1_14transform_implILb0ES3_S5_N6thrust23THRUST_200600_302600_NS6detail15normal_iteratorINS8_7pointerIjNS8_11hip_rocprim5par_tENS8_11use_defaultESE_EEEENSA_INSB_IlSD_SE_SE_EEEEZNS1_13binary_searchIS3_S5_PjSG_SI_NS1_21lower_bound_search_opENS9_16wrapped_functionI11custom_lessbEEEE10hipError_tPvRmT1_T2_T3_mmT4_T5_P12ihipStream_tbEUlRKjE_EESP_ST_SU_mSV_SY_bEUlT_E_NS1_11comp_targetILNS1_3genE10ELNS1_11target_archE1201ELNS1_3gpuE5ELNS1_3repE0EEENS1_30default_config_static_selectorELNS0_4arch9wavefront6targetE1EEEvSS_,comdat
.Lfunc_end69:
	.size	_ZN7rocprim17ROCPRIM_400000_NS6detail17trampoline_kernelINS0_14default_configENS1_27lower_bound_config_selectorIjlEEZNS1_14transform_implILb0ES3_S5_N6thrust23THRUST_200600_302600_NS6detail15normal_iteratorINS8_7pointerIjNS8_11hip_rocprim5par_tENS8_11use_defaultESE_EEEENSA_INSB_IlSD_SE_SE_EEEEZNS1_13binary_searchIS3_S5_PjSG_SI_NS1_21lower_bound_search_opENS9_16wrapped_functionI11custom_lessbEEEE10hipError_tPvRmT1_T2_T3_mmT4_T5_P12ihipStream_tbEUlRKjE_EESP_ST_SU_mSV_SY_bEUlT_E_NS1_11comp_targetILNS1_3genE10ELNS1_11target_archE1201ELNS1_3gpuE5ELNS1_3repE0EEENS1_30default_config_static_selectorELNS0_4arch9wavefront6targetE1EEEvSS_, .Lfunc_end69-_ZN7rocprim17ROCPRIM_400000_NS6detail17trampoline_kernelINS0_14default_configENS1_27lower_bound_config_selectorIjlEEZNS1_14transform_implILb0ES3_S5_N6thrust23THRUST_200600_302600_NS6detail15normal_iteratorINS8_7pointerIjNS8_11hip_rocprim5par_tENS8_11use_defaultESE_EEEENSA_INSB_IlSD_SE_SE_EEEEZNS1_13binary_searchIS3_S5_PjSG_SI_NS1_21lower_bound_search_opENS9_16wrapped_functionI11custom_lessbEEEE10hipError_tPvRmT1_T2_T3_mmT4_T5_P12ihipStream_tbEUlRKjE_EESP_ST_SU_mSV_SY_bEUlT_E_NS1_11comp_targetILNS1_3genE10ELNS1_11target_archE1201ELNS1_3gpuE5ELNS1_3repE0EEENS1_30default_config_static_selectorELNS0_4arch9wavefront6targetE1EEEvSS_
                                        ; -- End function
	.set _ZN7rocprim17ROCPRIM_400000_NS6detail17trampoline_kernelINS0_14default_configENS1_27lower_bound_config_selectorIjlEEZNS1_14transform_implILb0ES3_S5_N6thrust23THRUST_200600_302600_NS6detail15normal_iteratorINS8_7pointerIjNS8_11hip_rocprim5par_tENS8_11use_defaultESE_EEEENSA_INSB_IlSD_SE_SE_EEEEZNS1_13binary_searchIS3_S5_PjSG_SI_NS1_21lower_bound_search_opENS9_16wrapped_functionI11custom_lessbEEEE10hipError_tPvRmT1_T2_T3_mmT4_T5_P12ihipStream_tbEUlRKjE_EESP_ST_SU_mSV_SY_bEUlT_E_NS1_11comp_targetILNS1_3genE10ELNS1_11target_archE1201ELNS1_3gpuE5ELNS1_3repE0EEENS1_30default_config_static_selectorELNS0_4arch9wavefront6targetE1EEEvSS_.num_vgpr, 0
	.set _ZN7rocprim17ROCPRIM_400000_NS6detail17trampoline_kernelINS0_14default_configENS1_27lower_bound_config_selectorIjlEEZNS1_14transform_implILb0ES3_S5_N6thrust23THRUST_200600_302600_NS6detail15normal_iteratorINS8_7pointerIjNS8_11hip_rocprim5par_tENS8_11use_defaultESE_EEEENSA_INSB_IlSD_SE_SE_EEEEZNS1_13binary_searchIS3_S5_PjSG_SI_NS1_21lower_bound_search_opENS9_16wrapped_functionI11custom_lessbEEEE10hipError_tPvRmT1_T2_T3_mmT4_T5_P12ihipStream_tbEUlRKjE_EESP_ST_SU_mSV_SY_bEUlT_E_NS1_11comp_targetILNS1_3genE10ELNS1_11target_archE1201ELNS1_3gpuE5ELNS1_3repE0EEENS1_30default_config_static_selectorELNS0_4arch9wavefront6targetE1EEEvSS_.num_agpr, 0
	.set _ZN7rocprim17ROCPRIM_400000_NS6detail17trampoline_kernelINS0_14default_configENS1_27lower_bound_config_selectorIjlEEZNS1_14transform_implILb0ES3_S5_N6thrust23THRUST_200600_302600_NS6detail15normal_iteratorINS8_7pointerIjNS8_11hip_rocprim5par_tENS8_11use_defaultESE_EEEENSA_INSB_IlSD_SE_SE_EEEEZNS1_13binary_searchIS3_S5_PjSG_SI_NS1_21lower_bound_search_opENS9_16wrapped_functionI11custom_lessbEEEE10hipError_tPvRmT1_T2_T3_mmT4_T5_P12ihipStream_tbEUlRKjE_EESP_ST_SU_mSV_SY_bEUlT_E_NS1_11comp_targetILNS1_3genE10ELNS1_11target_archE1201ELNS1_3gpuE5ELNS1_3repE0EEENS1_30default_config_static_selectorELNS0_4arch9wavefront6targetE1EEEvSS_.numbered_sgpr, 0
	.set _ZN7rocprim17ROCPRIM_400000_NS6detail17trampoline_kernelINS0_14default_configENS1_27lower_bound_config_selectorIjlEEZNS1_14transform_implILb0ES3_S5_N6thrust23THRUST_200600_302600_NS6detail15normal_iteratorINS8_7pointerIjNS8_11hip_rocprim5par_tENS8_11use_defaultESE_EEEENSA_INSB_IlSD_SE_SE_EEEEZNS1_13binary_searchIS3_S5_PjSG_SI_NS1_21lower_bound_search_opENS9_16wrapped_functionI11custom_lessbEEEE10hipError_tPvRmT1_T2_T3_mmT4_T5_P12ihipStream_tbEUlRKjE_EESP_ST_SU_mSV_SY_bEUlT_E_NS1_11comp_targetILNS1_3genE10ELNS1_11target_archE1201ELNS1_3gpuE5ELNS1_3repE0EEENS1_30default_config_static_selectorELNS0_4arch9wavefront6targetE1EEEvSS_.num_named_barrier, 0
	.set _ZN7rocprim17ROCPRIM_400000_NS6detail17trampoline_kernelINS0_14default_configENS1_27lower_bound_config_selectorIjlEEZNS1_14transform_implILb0ES3_S5_N6thrust23THRUST_200600_302600_NS6detail15normal_iteratorINS8_7pointerIjNS8_11hip_rocprim5par_tENS8_11use_defaultESE_EEEENSA_INSB_IlSD_SE_SE_EEEEZNS1_13binary_searchIS3_S5_PjSG_SI_NS1_21lower_bound_search_opENS9_16wrapped_functionI11custom_lessbEEEE10hipError_tPvRmT1_T2_T3_mmT4_T5_P12ihipStream_tbEUlRKjE_EESP_ST_SU_mSV_SY_bEUlT_E_NS1_11comp_targetILNS1_3genE10ELNS1_11target_archE1201ELNS1_3gpuE5ELNS1_3repE0EEENS1_30default_config_static_selectorELNS0_4arch9wavefront6targetE1EEEvSS_.private_seg_size, 0
	.set _ZN7rocprim17ROCPRIM_400000_NS6detail17trampoline_kernelINS0_14default_configENS1_27lower_bound_config_selectorIjlEEZNS1_14transform_implILb0ES3_S5_N6thrust23THRUST_200600_302600_NS6detail15normal_iteratorINS8_7pointerIjNS8_11hip_rocprim5par_tENS8_11use_defaultESE_EEEENSA_INSB_IlSD_SE_SE_EEEEZNS1_13binary_searchIS3_S5_PjSG_SI_NS1_21lower_bound_search_opENS9_16wrapped_functionI11custom_lessbEEEE10hipError_tPvRmT1_T2_T3_mmT4_T5_P12ihipStream_tbEUlRKjE_EESP_ST_SU_mSV_SY_bEUlT_E_NS1_11comp_targetILNS1_3genE10ELNS1_11target_archE1201ELNS1_3gpuE5ELNS1_3repE0EEENS1_30default_config_static_selectorELNS0_4arch9wavefront6targetE1EEEvSS_.uses_vcc, 0
	.set _ZN7rocprim17ROCPRIM_400000_NS6detail17trampoline_kernelINS0_14default_configENS1_27lower_bound_config_selectorIjlEEZNS1_14transform_implILb0ES3_S5_N6thrust23THRUST_200600_302600_NS6detail15normal_iteratorINS8_7pointerIjNS8_11hip_rocprim5par_tENS8_11use_defaultESE_EEEENSA_INSB_IlSD_SE_SE_EEEEZNS1_13binary_searchIS3_S5_PjSG_SI_NS1_21lower_bound_search_opENS9_16wrapped_functionI11custom_lessbEEEE10hipError_tPvRmT1_T2_T3_mmT4_T5_P12ihipStream_tbEUlRKjE_EESP_ST_SU_mSV_SY_bEUlT_E_NS1_11comp_targetILNS1_3genE10ELNS1_11target_archE1201ELNS1_3gpuE5ELNS1_3repE0EEENS1_30default_config_static_selectorELNS0_4arch9wavefront6targetE1EEEvSS_.uses_flat_scratch, 0
	.set _ZN7rocprim17ROCPRIM_400000_NS6detail17trampoline_kernelINS0_14default_configENS1_27lower_bound_config_selectorIjlEEZNS1_14transform_implILb0ES3_S5_N6thrust23THRUST_200600_302600_NS6detail15normal_iteratorINS8_7pointerIjNS8_11hip_rocprim5par_tENS8_11use_defaultESE_EEEENSA_INSB_IlSD_SE_SE_EEEEZNS1_13binary_searchIS3_S5_PjSG_SI_NS1_21lower_bound_search_opENS9_16wrapped_functionI11custom_lessbEEEE10hipError_tPvRmT1_T2_T3_mmT4_T5_P12ihipStream_tbEUlRKjE_EESP_ST_SU_mSV_SY_bEUlT_E_NS1_11comp_targetILNS1_3genE10ELNS1_11target_archE1201ELNS1_3gpuE5ELNS1_3repE0EEENS1_30default_config_static_selectorELNS0_4arch9wavefront6targetE1EEEvSS_.has_dyn_sized_stack, 0
	.set _ZN7rocprim17ROCPRIM_400000_NS6detail17trampoline_kernelINS0_14default_configENS1_27lower_bound_config_selectorIjlEEZNS1_14transform_implILb0ES3_S5_N6thrust23THRUST_200600_302600_NS6detail15normal_iteratorINS8_7pointerIjNS8_11hip_rocprim5par_tENS8_11use_defaultESE_EEEENSA_INSB_IlSD_SE_SE_EEEEZNS1_13binary_searchIS3_S5_PjSG_SI_NS1_21lower_bound_search_opENS9_16wrapped_functionI11custom_lessbEEEE10hipError_tPvRmT1_T2_T3_mmT4_T5_P12ihipStream_tbEUlRKjE_EESP_ST_SU_mSV_SY_bEUlT_E_NS1_11comp_targetILNS1_3genE10ELNS1_11target_archE1201ELNS1_3gpuE5ELNS1_3repE0EEENS1_30default_config_static_selectorELNS0_4arch9wavefront6targetE1EEEvSS_.has_recursion, 0
	.set _ZN7rocprim17ROCPRIM_400000_NS6detail17trampoline_kernelINS0_14default_configENS1_27lower_bound_config_selectorIjlEEZNS1_14transform_implILb0ES3_S5_N6thrust23THRUST_200600_302600_NS6detail15normal_iteratorINS8_7pointerIjNS8_11hip_rocprim5par_tENS8_11use_defaultESE_EEEENSA_INSB_IlSD_SE_SE_EEEEZNS1_13binary_searchIS3_S5_PjSG_SI_NS1_21lower_bound_search_opENS9_16wrapped_functionI11custom_lessbEEEE10hipError_tPvRmT1_T2_T3_mmT4_T5_P12ihipStream_tbEUlRKjE_EESP_ST_SU_mSV_SY_bEUlT_E_NS1_11comp_targetILNS1_3genE10ELNS1_11target_archE1201ELNS1_3gpuE5ELNS1_3repE0EEENS1_30default_config_static_selectorELNS0_4arch9wavefront6targetE1EEEvSS_.has_indirect_call, 0
	.section	.AMDGPU.csdata,"",@progbits
; Kernel info:
; codeLenInByte = 0
; TotalNumSgprs: 4
; NumVgprs: 0
; ScratchSize: 0
; MemoryBound: 0
; FloatMode: 240
; IeeeMode: 1
; LDSByteSize: 0 bytes/workgroup (compile time only)
; SGPRBlocks: 0
; VGPRBlocks: 0
; NumSGPRsForWavesPerEU: 4
; NumVGPRsForWavesPerEU: 1
; Occupancy: 10
; WaveLimiterHint : 0
; COMPUTE_PGM_RSRC2:SCRATCH_EN: 0
; COMPUTE_PGM_RSRC2:USER_SGPR: 6
; COMPUTE_PGM_RSRC2:TRAP_HANDLER: 0
; COMPUTE_PGM_RSRC2:TGID_X_EN: 1
; COMPUTE_PGM_RSRC2:TGID_Y_EN: 0
; COMPUTE_PGM_RSRC2:TGID_Z_EN: 0
; COMPUTE_PGM_RSRC2:TIDIG_COMP_CNT: 0
	.section	.text._ZN7rocprim17ROCPRIM_400000_NS6detail17trampoline_kernelINS0_14default_configENS1_27lower_bound_config_selectorIjlEEZNS1_14transform_implILb0ES3_S5_N6thrust23THRUST_200600_302600_NS6detail15normal_iteratorINS8_7pointerIjNS8_11hip_rocprim5par_tENS8_11use_defaultESE_EEEENSA_INSB_IlSD_SE_SE_EEEEZNS1_13binary_searchIS3_S5_PjSG_SI_NS1_21lower_bound_search_opENS9_16wrapped_functionI11custom_lessbEEEE10hipError_tPvRmT1_T2_T3_mmT4_T5_P12ihipStream_tbEUlRKjE_EESP_ST_SU_mSV_SY_bEUlT_E_NS1_11comp_targetILNS1_3genE10ELNS1_11target_archE1200ELNS1_3gpuE4ELNS1_3repE0EEENS1_30default_config_static_selectorELNS0_4arch9wavefront6targetE1EEEvSS_,"axG",@progbits,_ZN7rocprim17ROCPRIM_400000_NS6detail17trampoline_kernelINS0_14default_configENS1_27lower_bound_config_selectorIjlEEZNS1_14transform_implILb0ES3_S5_N6thrust23THRUST_200600_302600_NS6detail15normal_iteratorINS8_7pointerIjNS8_11hip_rocprim5par_tENS8_11use_defaultESE_EEEENSA_INSB_IlSD_SE_SE_EEEEZNS1_13binary_searchIS3_S5_PjSG_SI_NS1_21lower_bound_search_opENS9_16wrapped_functionI11custom_lessbEEEE10hipError_tPvRmT1_T2_T3_mmT4_T5_P12ihipStream_tbEUlRKjE_EESP_ST_SU_mSV_SY_bEUlT_E_NS1_11comp_targetILNS1_3genE10ELNS1_11target_archE1200ELNS1_3gpuE4ELNS1_3repE0EEENS1_30default_config_static_selectorELNS0_4arch9wavefront6targetE1EEEvSS_,comdat
	.protected	_ZN7rocprim17ROCPRIM_400000_NS6detail17trampoline_kernelINS0_14default_configENS1_27lower_bound_config_selectorIjlEEZNS1_14transform_implILb0ES3_S5_N6thrust23THRUST_200600_302600_NS6detail15normal_iteratorINS8_7pointerIjNS8_11hip_rocprim5par_tENS8_11use_defaultESE_EEEENSA_INSB_IlSD_SE_SE_EEEEZNS1_13binary_searchIS3_S5_PjSG_SI_NS1_21lower_bound_search_opENS9_16wrapped_functionI11custom_lessbEEEE10hipError_tPvRmT1_T2_T3_mmT4_T5_P12ihipStream_tbEUlRKjE_EESP_ST_SU_mSV_SY_bEUlT_E_NS1_11comp_targetILNS1_3genE10ELNS1_11target_archE1200ELNS1_3gpuE4ELNS1_3repE0EEENS1_30default_config_static_selectorELNS0_4arch9wavefront6targetE1EEEvSS_ ; -- Begin function _ZN7rocprim17ROCPRIM_400000_NS6detail17trampoline_kernelINS0_14default_configENS1_27lower_bound_config_selectorIjlEEZNS1_14transform_implILb0ES3_S5_N6thrust23THRUST_200600_302600_NS6detail15normal_iteratorINS8_7pointerIjNS8_11hip_rocprim5par_tENS8_11use_defaultESE_EEEENSA_INSB_IlSD_SE_SE_EEEEZNS1_13binary_searchIS3_S5_PjSG_SI_NS1_21lower_bound_search_opENS9_16wrapped_functionI11custom_lessbEEEE10hipError_tPvRmT1_T2_T3_mmT4_T5_P12ihipStream_tbEUlRKjE_EESP_ST_SU_mSV_SY_bEUlT_E_NS1_11comp_targetILNS1_3genE10ELNS1_11target_archE1200ELNS1_3gpuE4ELNS1_3repE0EEENS1_30default_config_static_selectorELNS0_4arch9wavefront6targetE1EEEvSS_
	.globl	_ZN7rocprim17ROCPRIM_400000_NS6detail17trampoline_kernelINS0_14default_configENS1_27lower_bound_config_selectorIjlEEZNS1_14transform_implILb0ES3_S5_N6thrust23THRUST_200600_302600_NS6detail15normal_iteratorINS8_7pointerIjNS8_11hip_rocprim5par_tENS8_11use_defaultESE_EEEENSA_INSB_IlSD_SE_SE_EEEEZNS1_13binary_searchIS3_S5_PjSG_SI_NS1_21lower_bound_search_opENS9_16wrapped_functionI11custom_lessbEEEE10hipError_tPvRmT1_T2_T3_mmT4_T5_P12ihipStream_tbEUlRKjE_EESP_ST_SU_mSV_SY_bEUlT_E_NS1_11comp_targetILNS1_3genE10ELNS1_11target_archE1200ELNS1_3gpuE4ELNS1_3repE0EEENS1_30default_config_static_selectorELNS0_4arch9wavefront6targetE1EEEvSS_
	.p2align	8
	.type	_ZN7rocprim17ROCPRIM_400000_NS6detail17trampoline_kernelINS0_14default_configENS1_27lower_bound_config_selectorIjlEEZNS1_14transform_implILb0ES3_S5_N6thrust23THRUST_200600_302600_NS6detail15normal_iteratorINS8_7pointerIjNS8_11hip_rocprim5par_tENS8_11use_defaultESE_EEEENSA_INSB_IlSD_SE_SE_EEEEZNS1_13binary_searchIS3_S5_PjSG_SI_NS1_21lower_bound_search_opENS9_16wrapped_functionI11custom_lessbEEEE10hipError_tPvRmT1_T2_T3_mmT4_T5_P12ihipStream_tbEUlRKjE_EESP_ST_SU_mSV_SY_bEUlT_E_NS1_11comp_targetILNS1_3genE10ELNS1_11target_archE1200ELNS1_3gpuE4ELNS1_3repE0EEENS1_30default_config_static_selectorELNS0_4arch9wavefront6targetE1EEEvSS_,@function
_ZN7rocprim17ROCPRIM_400000_NS6detail17trampoline_kernelINS0_14default_configENS1_27lower_bound_config_selectorIjlEEZNS1_14transform_implILb0ES3_S5_N6thrust23THRUST_200600_302600_NS6detail15normal_iteratorINS8_7pointerIjNS8_11hip_rocprim5par_tENS8_11use_defaultESE_EEEENSA_INSB_IlSD_SE_SE_EEEEZNS1_13binary_searchIS3_S5_PjSG_SI_NS1_21lower_bound_search_opENS9_16wrapped_functionI11custom_lessbEEEE10hipError_tPvRmT1_T2_T3_mmT4_T5_P12ihipStream_tbEUlRKjE_EESP_ST_SU_mSV_SY_bEUlT_E_NS1_11comp_targetILNS1_3genE10ELNS1_11target_archE1200ELNS1_3gpuE4ELNS1_3repE0EEENS1_30default_config_static_selectorELNS0_4arch9wavefront6targetE1EEEvSS_: ; @_ZN7rocprim17ROCPRIM_400000_NS6detail17trampoline_kernelINS0_14default_configENS1_27lower_bound_config_selectorIjlEEZNS1_14transform_implILb0ES3_S5_N6thrust23THRUST_200600_302600_NS6detail15normal_iteratorINS8_7pointerIjNS8_11hip_rocprim5par_tENS8_11use_defaultESE_EEEENSA_INSB_IlSD_SE_SE_EEEEZNS1_13binary_searchIS3_S5_PjSG_SI_NS1_21lower_bound_search_opENS9_16wrapped_functionI11custom_lessbEEEE10hipError_tPvRmT1_T2_T3_mmT4_T5_P12ihipStream_tbEUlRKjE_EESP_ST_SU_mSV_SY_bEUlT_E_NS1_11comp_targetILNS1_3genE10ELNS1_11target_archE1200ELNS1_3gpuE4ELNS1_3repE0EEENS1_30default_config_static_selectorELNS0_4arch9wavefront6targetE1EEEvSS_
; %bb.0:
	.section	.rodata,"a",@progbits
	.p2align	6, 0x0
	.amdhsa_kernel _ZN7rocprim17ROCPRIM_400000_NS6detail17trampoline_kernelINS0_14default_configENS1_27lower_bound_config_selectorIjlEEZNS1_14transform_implILb0ES3_S5_N6thrust23THRUST_200600_302600_NS6detail15normal_iteratorINS8_7pointerIjNS8_11hip_rocprim5par_tENS8_11use_defaultESE_EEEENSA_INSB_IlSD_SE_SE_EEEEZNS1_13binary_searchIS3_S5_PjSG_SI_NS1_21lower_bound_search_opENS9_16wrapped_functionI11custom_lessbEEEE10hipError_tPvRmT1_T2_T3_mmT4_T5_P12ihipStream_tbEUlRKjE_EESP_ST_SU_mSV_SY_bEUlT_E_NS1_11comp_targetILNS1_3genE10ELNS1_11target_archE1200ELNS1_3gpuE4ELNS1_3repE0EEENS1_30default_config_static_selectorELNS0_4arch9wavefront6targetE1EEEvSS_
		.amdhsa_group_segment_fixed_size 0
		.amdhsa_private_segment_fixed_size 0
		.amdhsa_kernarg_size 56
		.amdhsa_user_sgpr_count 6
		.amdhsa_user_sgpr_private_segment_buffer 1
		.amdhsa_user_sgpr_dispatch_ptr 0
		.amdhsa_user_sgpr_queue_ptr 0
		.amdhsa_user_sgpr_kernarg_segment_ptr 1
		.amdhsa_user_sgpr_dispatch_id 0
		.amdhsa_user_sgpr_flat_scratch_init 0
		.amdhsa_user_sgpr_private_segment_size 0
		.amdhsa_uses_dynamic_stack 0
		.amdhsa_system_sgpr_private_segment_wavefront_offset 0
		.amdhsa_system_sgpr_workgroup_id_x 1
		.amdhsa_system_sgpr_workgroup_id_y 0
		.amdhsa_system_sgpr_workgroup_id_z 0
		.amdhsa_system_sgpr_workgroup_info 0
		.amdhsa_system_vgpr_workitem_id 0
		.amdhsa_next_free_vgpr 1
		.amdhsa_next_free_sgpr 0
		.amdhsa_reserve_vcc 0
		.amdhsa_reserve_flat_scratch 0
		.amdhsa_float_round_mode_32 0
		.amdhsa_float_round_mode_16_64 0
		.amdhsa_float_denorm_mode_32 3
		.amdhsa_float_denorm_mode_16_64 3
		.amdhsa_dx10_clamp 1
		.amdhsa_ieee_mode 1
		.amdhsa_fp16_overflow 0
		.amdhsa_exception_fp_ieee_invalid_op 0
		.amdhsa_exception_fp_denorm_src 0
		.amdhsa_exception_fp_ieee_div_zero 0
		.amdhsa_exception_fp_ieee_overflow 0
		.amdhsa_exception_fp_ieee_underflow 0
		.amdhsa_exception_fp_ieee_inexact 0
		.amdhsa_exception_int_div_zero 0
	.end_amdhsa_kernel
	.section	.text._ZN7rocprim17ROCPRIM_400000_NS6detail17trampoline_kernelINS0_14default_configENS1_27lower_bound_config_selectorIjlEEZNS1_14transform_implILb0ES3_S5_N6thrust23THRUST_200600_302600_NS6detail15normal_iteratorINS8_7pointerIjNS8_11hip_rocprim5par_tENS8_11use_defaultESE_EEEENSA_INSB_IlSD_SE_SE_EEEEZNS1_13binary_searchIS3_S5_PjSG_SI_NS1_21lower_bound_search_opENS9_16wrapped_functionI11custom_lessbEEEE10hipError_tPvRmT1_T2_T3_mmT4_T5_P12ihipStream_tbEUlRKjE_EESP_ST_SU_mSV_SY_bEUlT_E_NS1_11comp_targetILNS1_3genE10ELNS1_11target_archE1200ELNS1_3gpuE4ELNS1_3repE0EEENS1_30default_config_static_selectorELNS0_4arch9wavefront6targetE1EEEvSS_,"axG",@progbits,_ZN7rocprim17ROCPRIM_400000_NS6detail17trampoline_kernelINS0_14default_configENS1_27lower_bound_config_selectorIjlEEZNS1_14transform_implILb0ES3_S5_N6thrust23THRUST_200600_302600_NS6detail15normal_iteratorINS8_7pointerIjNS8_11hip_rocprim5par_tENS8_11use_defaultESE_EEEENSA_INSB_IlSD_SE_SE_EEEEZNS1_13binary_searchIS3_S5_PjSG_SI_NS1_21lower_bound_search_opENS9_16wrapped_functionI11custom_lessbEEEE10hipError_tPvRmT1_T2_T3_mmT4_T5_P12ihipStream_tbEUlRKjE_EESP_ST_SU_mSV_SY_bEUlT_E_NS1_11comp_targetILNS1_3genE10ELNS1_11target_archE1200ELNS1_3gpuE4ELNS1_3repE0EEENS1_30default_config_static_selectorELNS0_4arch9wavefront6targetE1EEEvSS_,comdat
.Lfunc_end70:
	.size	_ZN7rocprim17ROCPRIM_400000_NS6detail17trampoline_kernelINS0_14default_configENS1_27lower_bound_config_selectorIjlEEZNS1_14transform_implILb0ES3_S5_N6thrust23THRUST_200600_302600_NS6detail15normal_iteratorINS8_7pointerIjNS8_11hip_rocprim5par_tENS8_11use_defaultESE_EEEENSA_INSB_IlSD_SE_SE_EEEEZNS1_13binary_searchIS3_S5_PjSG_SI_NS1_21lower_bound_search_opENS9_16wrapped_functionI11custom_lessbEEEE10hipError_tPvRmT1_T2_T3_mmT4_T5_P12ihipStream_tbEUlRKjE_EESP_ST_SU_mSV_SY_bEUlT_E_NS1_11comp_targetILNS1_3genE10ELNS1_11target_archE1200ELNS1_3gpuE4ELNS1_3repE0EEENS1_30default_config_static_selectorELNS0_4arch9wavefront6targetE1EEEvSS_, .Lfunc_end70-_ZN7rocprim17ROCPRIM_400000_NS6detail17trampoline_kernelINS0_14default_configENS1_27lower_bound_config_selectorIjlEEZNS1_14transform_implILb0ES3_S5_N6thrust23THRUST_200600_302600_NS6detail15normal_iteratorINS8_7pointerIjNS8_11hip_rocprim5par_tENS8_11use_defaultESE_EEEENSA_INSB_IlSD_SE_SE_EEEEZNS1_13binary_searchIS3_S5_PjSG_SI_NS1_21lower_bound_search_opENS9_16wrapped_functionI11custom_lessbEEEE10hipError_tPvRmT1_T2_T3_mmT4_T5_P12ihipStream_tbEUlRKjE_EESP_ST_SU_mSV_SY_bEUlT_E_NS1_11comp_targetILNS1_3genE10ELNS1_11target_archE1200ELNS1_3gpuE4ELNS1_3repE0EEENS1_30default_config_static_selectorELNS0_4arch9wavefront6targetE1EEEvSS_
                                        ; -- End function
	.set _ZN7rocprim17ROCPRIM_400000_NS6detail17trampoline_kernelINS0_14default_configENS1_27lower_bound_config_selectorIjlEEZNS1_14transform_implILb0ES3_S5_N6thrust23THRUST_200600_302600_NS6detail15normal_iteratorINS8_7pointerIjNS8_11hip_rocprim5par_tENS8_11use_defaultESE_EEEENSA_INSB_IlSD_SE_SE_EEEEZNS1_13binary_searchIS3_S5_PjSG_SI_NS1_21lower_bound_search_opENS9_16wrapped_functionI11custom_lessbEEEE10hipError_tPvRmT1_T2_T3_mmT4_T5_P12ihipStream_tbEUlRKjE_EESP_ST_SU_mSV_SY_bEUlT_E_NS1_11comp_targetILNS1_3genE10ELNS1_11target_archE1200ELNS1_3gpuE4ELNS1_3repE0EEENS1_30default_config_static_selectorELNS0_4arch9wavefront6targetE1EEEvSS_.num_vgpr, 0
	.set _ZN7rocprim17ROCPRIM_400000_NS6detail17trampoline_kernelINS0_14default_configENS1_27lower_bound_config_selectorIjlEEZNS1_14transform_implILb0ES3_S5_N6thrust23THRUST_200600_302600_NS6detail15normal_iteratorINS8_7pointerIjNS8_11hip_rocprim5par_tENS8_11use_defaultESE_EEEENSA_INSB_IlSD_SE_SE_EEEEZNS1_13binary_searchIS3_S5_PjSG_SI_NS1_21lower_bound_search_opENS9_16wrapped_functionI11custom_lessbEEEE10hipError_tPvRmT1_T2_T3_mmT4_T5_P12ihipStream_tbEUlRKjE_EESP_ST_SU_mSV_SY_bEUlT_E_NS1_11comp_targetILNS1_3genE10ELNS1_11target_archE1200ELNS1_3gpuE4ELNS1_3repE0EEENS1_30default_config_static_selectorELNS0_4arch9wavefront6targetE1EEEvSS_.num_agpr, 0
	.set _ZN7rocprim17ROCPRIM_400000_NS6detail17trampoline_kernelINS0_14default_configENS1_27lower_bound_config_selectorIjlEEZNS1_14transform_implILb0ES3_S5_N6thrust23THRUST_200600_302600_NS6detail15normal_iteratorINS8_7pointerIjNS8_11hip_rocprim5par_tENS8_11use_defaultESE_EEEENSA_INSB_IlSD_SE_SE_EEEEZNS1_13binary_searchIS3_S5_PjSG_SI_NS1_21lower_bound_search_opENS9_16wrapped_functionI11custom_lessbEEEE10hipError_tPvRmT1_T2_T3_mmT4_T5_P12ihipStream_tbEUlRKjE_EESP_ST_SU_mSV_SY_bEUlT_E_NS1_11comp_targetILNS1_3genE10ELNS1_11target_archE1200ELNS1_3gpuE4ELNS1_3repE0EEENS1_30default_config_static_selectorELNS0_4arch9wavefront6targetE1EEEvSS_.numbered_sgpr, 0
	.set _ZN7rocprim17ROCPRIM_400000_NS6detail17trampoline_kernelINS0_14default_configENS1_27lower_bound_config_selectorIjlEEZNS1_14transform_implILb0ES3_S5_N6thrust23THRUST_200600_302600_NS6detail15normal_iteratorINS8_7pointerIjNS8_11hip_rocprim5par_tENS8_11use_defaultESE_EEEENSA_INSB_IlSD_SE_SE_EEEEZNS1_13binary_searchIS3_S5_PjSG_SI_NS1_21lower_bound_search_opENS9_16wrapped_functionI11custom_lessbEEEE10hipError_tPvRmT1_T2_T3_mmT4_T5_P12ihipStream_tbEUlRKjE_EESP_ST_SU_mSV_SY_bEUlT_E_NS1_11comp_targetILNS1_3genE10ELNS1_11target_archE1200ELNS1_3gpuE4ELNS1_3repE0EEENS1_30default_config_static_selectorELNS0_4arch9wavefront6targetE1EEEvSS_.num_named_barrier, 0
	.set _ZN7rocprim17ROCPRIM_400000_NS6detail17trampoline_kernelINS0_14default_configENS1_27lower_bound_config_selectorIjlEEZNS1_14transform_implILb0ES3_S5_N6thrust23THRUST_200600_302600_NS6detail15normal_iteratorINS8_7pointerIjNS8_11hip_rocprim5par_tENS8_11use_defaultESE_EEEENSA_INSB_IlSD_SE_SE_EEEEZNS1_13binary_searchIS3_S5_PjSG_SI_NS1_21lower_bound_search_opENS9_16wrapped_functionI11custom_lessbEEEE10hipError_tPvRmT1_T2_T3_mmT4_T5_P12ihipStream_tbEUlRKjE_EESP_ST_SU_mSV_SY_bEUlT_E_NS1_11comp_targetILNS1_3genE10ELNS1_11target_archE1200ELNS1_3gpuE4ELNS1_3repE0EEENS1_30default_config_static_selectorELNS0_4arch9wavefront6targetE1EEEvSS_.private_seg_size, 0
	.set _ZN7rocprim17ROCPRIM_400000_NS6detail17trampoline_kernelINS0_14default_configENS1_27lower_bound_config_selectorIjlEEZNS1_14transform_implILb0ES3_S5_N6thrust23THRUST_200600_302600_NS6detail15normal_iteratorINS8_7pointerIjNS8_11hip_rocprim5par_tENS8_11use_defaultESE_EEEENSA_INSB_IlSD_SE_SE_EEEEZNS1_13binary_searchIS3_S5_PjSG_SI_NS1_21lower_bound_search_opENS9_16wrapped_functionI11custom_lessbEEEE10hipError_tPvRmT1_T2_T3_mmT4_T5_P12ihipStream_tbEUlRKjE_EESP_ST_SU_mSV_SY_bEUlT_E_NS1_11comp_targetILNS1_3genE10ELNS1_11target_archE1200ELNS1_3gpuE4ELNS1_3repE0EEENS1_30default_config_static_selectorELNS0_4arch9wavefront6targetE1EEEvSS_.uses_vcc, 0
	.set _ZN7rocprim17ROCPRIM_400000_NS6detail17trampoline_kernelINS0_14default_configENS1_27lower_bound_config_selectorIjlEEZNS1_14transform_implILb0ES3_S5_N6thrust23THRUST_200600_302600_NS6detail15normal_iteratorINS8_7pointerIjNS8_11hip_rocprim5par_tENS8_11use_defaultESE_EEEENSA_INSB_IlSD_SE_SE_EEEEZNS1_13binary_searchIS3_S5_PjSG_SI_NS1_21lower_bound_search_opENS9_16wrapped_functionI11custom_lessbEEEE10hipError_tPvRmT1_T2_T3_mmT4_T5_P12ihipStream_tbEUlRKjE_EESP_ST_SU_mSV_SY_bEUlT_E_NS1_11comp_targetILNS1_3genE10ELNS1_11target_archE1200ELNS1_3gpuE4ELNS1_3repE0EEENS1_30default_config_static_selectorELNS0_4arch9wavefront6targetE1EEEvSS_.uses_flat_scratch, 0
	.set _ZN7rocprim17ROCPRIM_400000_NS6detail17trampoline_kernelINS0_14default_configENS1_27lower_bound_config_selectorIjlEEZNS1_14transform_implILb0ES3_S5_N6thrust23THRUST_200600_302600_NS6detail15normal_iteratorINS8_7pointerIjNS8_11hip_rocprim5par_tENS8_11use_defaultESE_EEEENSA_INSB_IlSD_SE_SE_EEEEZNS1_13binary_searchIS3_S5_PjSG_SI_NS1_21lower_bound_search_opENS9_16wrapped_functionI11custom_lessbEEEE10hipError_tPvRmT1_T2_T3_mmT4_T5_P12ihipStream_tbEUlRKjE_EESP_ST_SU_mSV_SY_bEUlT_E_NS1_11comp_targetILNS1_3genE10ELNS1_11target_archE1200ELNS1_3gpuE4ELNS1_3repE0EEENS1_30default_config_static_selectorELNS0_4arch9wavefront6targetE1EEEvSS_.has_dyn_sized_stack, 0
	.set _ZN7rocprim17ROCPRIM_400000_NS6detail17trampoline_kernelINS0_14default_configENS1_27lower_bound_config_selectorIjlEEZNS1_14transform_implILb0ES3_S5_N6thrust23THRUST_200600_302600_NS6detail15normal_iteratorINS8_7pointerIjNS8_11hip_rocprim5par_tENS8_11use_defaultESE_EEEENSA_INSB_IlSD_SE_SE_EEEEZNS1_13binary_searchIS3_S5_PjSG_SI_NS1_21lower_bound_search_opENS9_16wrapped_functionI11custom_lessbEEEE10hipError_tPvRmT1_T2_T3_mmT4_T5_P12ihipStream_tbEUlRKjE_EESP_ST_SU_mSV_SY_bEUlT_E_NS1_11comp_targetILNS1_3genE10ELNS1_11target_archE1200ELNS1_3gpuE4ELNS1_3repE0EEENS1_30default_config_static_selectorELNS0_4arch9wavefront6targetE1EEEvSS_.has_recursion, 0
	.set _ZN7rocprim17ROCPRIM_400000_NS6detail17trampoline_kernelINS0_14default_configENS1_27lower_bound_config_selectorIjlEEZNS1_14transform_implILb0ES3_S5_N6thrust23THRUST_200600_302600_NS6detail15normal_iteratorINS8_7pointerIjNS8_11hip_rocprim5par_tENS8_11use_defaultESE_EEEENSA_INSB_IlSD_SE_SE_EEEEZNS1_13binary_searchIS3_S5_PjSG_SI_NS1_21lower_bound_search_opENS9_16wrapped_functionI11custom_lessbEEEE10hipError_tPvRmT1_T2_T3_mmT4_T5_P12ihipStream_tbEUlRKjE_EESP_ST_SU_mSV_SY_bEUlT_E_NS1_11comp_targetILNS1_3genE10ELNS1_11target_archE1200ELNS1_3gpuE4ELNS1_3repE0EEENS1_30default_config_static_selectorELNS0_4arch9wavefront6targetE1EEEvSS_.has_indirect_call, 0
	.section	.AMDGPU.csdata,"",@progbits
; Kernel info:
; codeLenInByte = 0
; TotalNumSgprs: 4
; NumVgprs: 0
; ScratchSize: 0
; MemoryBound: 0
; FloatMode: 240
; IeeeMode: 1
; LDSByteSize: 0 bytes/workgroup (compile time only)
; SGPRBlocks: 0
; VGPRBlocks: 0
; NumSGPRsForWavesPerEU: 4
; NumVGPRsForWavesPerEU: 1
; Occupancy: 10
; WaveLimiterHint : 0
; COMPUTE_PGM_RSRC2:SCRATCH_EN: 0
; COMPUTE_PGM_RSRC2:USER_SGPR: 6
; COMPUTE_PGM_RSRC2:TRAP_HANDLER: 0
; COMPUTE_PGM_RSRC2:TGID_X_EN: 1
; COMPUTE_PGM_RSRC2:TGID_Y_EN: 0
; COMPUTE_PGM_RSRC2:TGID_Z_EN: 0
; COMPUTE_PGM_RSRC2:TIDIG_COMP_CNT: 0
	.section	.text._ZN7rocprim17ROCPRIM_400000_NS6detail17trampoline_kernelINS0_14default_configENS1_27lower_bound_config_selectorIjlEEZNS1_14transform_implILb0ES3_S5_N6thrust23THRUST_200600_302600_NS6detail15normal_iteratorINS8_7pointerIjNS8_11hip_rocprim5par_tENS8_11use_defaultESE_EEEENSA_INSB_IlSD_SE_SE_EEEEZNS1_13binary_searchIS3_S5_PjSG_SI_NS1_21lower_bound_search_opENS9_16wrapped_functionI11custom_lessbEEEE10hipError_tPvRmT1_T2_T3_mmT4_T5_P12ihipStream_tbEUlRKjE_EESP_ST_SU_mSV_SY_bEUlT_E_NS1_11comp_targetILNS1_3genE9ELNS1_11target_archE1100ELNS1_3gpuE3ELNS1_3repE0EEENS1_30default_config_static_selectorELNS0_4arch9wavefront6targetE1EEEvSS_,"axG",@progbits,_ZN7rocprim17ROCPRIM_400000_NS6detail17trampoline_kernelINS0_14default_configENS1_27lower_bound_config_selectorIjlEEZNS1_14transform_implILb0ES3_S5_N6thrust23THRUST_200600_302600_NS6detail15normal_iteratorINS8_7pointerIjNS8_11hip_rocprim5par_tENS8_11use_defaultESE_EEEENSA_INSB_IlSD_SE_SE_EEEEZNS1_13binary_searchIS3_S5_PjSG_SI_NS1_21lower_bound_search_opENS9_16wrapped_functionI11custom_lessbEEEE10hipError_tPvRmT1_T2_T3_mmT4_T5_P12ihipStream_tbEUlRKjE_EESP_ST_SU_mSV_SY_bEUlT_E_NS1_11comp_targetILNS1_3genE9ELNS1_11target_archE1100ELNS1_3gpuE3ELNS1_3repE0EEENS1_30default_config_static_selectorELNS0_4arch9wavefront6targetE1EEEvSS_,comdat
	.protected	_ZN7rocprim17ROCPRIM_400000_NS6detail17trampoline_kernelINS0_14default_configENS1_27lower_bound_config_selectorIjlEEZNS1_14transform_implILb0ES3_S5_N6thrust23THRUST_200600_302600_NS6detail15normal_iteratorINS8_7pointerIjNS8_11hip_rocprim5par_tENS8_11use_defaultESE_EEEENSA_INSB_IlSD_SE_SE_EEEEZNS1_13binary_searchIS3_S5_PjSG_SI_NS1_21lower_bound_search_opENS9_16wrapped_functionI11custom_lessbEEEE10hipError_tPvRmT1_T2_T3_mmT4_T5_P12ihipStream_tbEUlRKjE_EESP_ST_SU_mSV_SY_bEUlT_E_NS1_11comp_targetILNS1_3genE9ELNS1_11target_archE1100ELNS1_3gpuE3ELNS1_3repE0EEENS1_30default_config_static_selectorELNS0_4arch9wavefront6targetE1EEEvSS_ ; -- Begin function _ZN7rocprim17ROCPRIM_400000_NS6detail17trampoline_kernelINS0_14default_configENS1_27lower_bound_config_selectorIjlEEZNS1_14transform_implILb0ES3_S5_N6thrust23THRUST_200600_302600_NS6detail15normal_iteratorINS8_7pointerIjNS8_11hip_rocprim5par_tENS8_11use_defaultESE_EEEENSA_INSB_IlSD_SE_SE_EEEEZNS1_13binary_searchIS3_S5_PjSG_SI_NS1_21lower_bound_search_opENS9_16wrapped_functionI11custom_lessbEEEE10hipError_tPvRmT1_T2_T3_mmT4_T5_P12ihipStream_tbEUlRKjE_EESP_ST_SU_mSV_SY_bEUlT_E_NS1_11comp_targetILNS1_3genE9ELNS1_11target_archE1100ELNS1_3gpuE3ELNS1_3repE0EEENS1_30default_config_static_selectorELNS0_4arch9wavefront6targetE1EEEvSS_
	.globl	_ZN7rocprim17ROCPRIM_400000_NS6detail17trampoline_kernelINS0_14default_configENS1_27lower_bound_config_selectorIjlEEZNS1_14transform_implILb0ES3_S5_N6thrust23THRUST_200600_302600_NS6detail15normal_iteratorINS8_7pointerIjNS8_11hip_rocprim5par_tENS8_11use_defaultESE_EEEENSA_INSB_IlSD_SE_SE_EEEEZNS1_13binary_searchIS3_S5_PjSG_SI_NS1_21lower_bound_search_opENS9_16wrapped_functionI11custom_lessbEEEE10hipError_tPvRmT1_T2_T3_mmT4_T5_P12ihipStream_tbEUlRKjE_EESP_ST_SU_mSV_SY_bEUlT_E_NS1_11comp_targetILNS1_3genE9ELNS1_11target_archE1100ELNS1_3gpuE3ELNS1_3repE0EEENS1_30default_config_static_selectorELNS0_4arch9wavefront6targetE1EEEvSS_
	.p2align	8
	.type	_ZN7rocprim17ROCPRIM_400000_NS6detail17trampoline_kernelINS0_14default_configENS1_27lower_bound_config_selectorIjlEEZNS1_14transform_implILb0ES3_S5_N6thrust23THRUST_200600_302600_NS6detail15normal_iteratorINS8_7pointerIjNS8_11hip_rocprim5par_tENS8_11use_defaultESE_EEEENSA_INSB_IlSD_SE_SE_EEEEZNS1_13binary_searchIS3_S5_PjSG_SI_NS1_21lower_bound_search_opENS9_16wrapped_functionI11custom_lessbEEEE10hipError_tPvRmT1_T2_T3_mmT4_T5_P12ihipStream_tbEUlRKjE_EESP_ST_SU_mSV_SY_bEUlT_E_NS1_11comp_targetILNS1_3genE9ELNS1_11target_archE1100ELNS1_3gpuE3ELNS1_3repE0EEENS1_30default_config_static_selectorELNS0_4arch9wavefront6targetE1EEEvSS_,@function
_ZN7rocprim17ROCPRIM_400000_NS6detail17trampoline_kernelINS0_14default_configENS1_27lower_bound_config_selectorIjlEEZNS1_14transform_implILb0ES3_S5_N6thrust23THRUST_200600_302600_NS6detail15normal_iteratorINS8_7pointerIjNS8_11hip_rocprim5par_tENS8_11use_defaultESE_EEEENSA_INSB_IlSD_SE_SE_EEEEZNS1_13binary_searchIS3_S5_PjSG_SI_NS1_21lower_bound_search_opENS9_16wrapped_functionI11custom_lessbEEEE10hipError_tPvRmT1_T2_T3_mmT4_T5_P12ihipStream_tbEUlRKjE_EESP_ST_SU_mSV_SY_bEUlT_E_NS1_11comp_targetILNS1_3genE9ELNS1_11target_archE1100ELNS1_3gpuE3ELNS1_3repE0EEENS1_30default_config_static_selectorELNS0_4arch9wavefront6targetE1EEEvSS_: ; @_ZN7rocprim17ROCPRIM_400000_NS6detail17trampoline_kernelINS0_14default_configENS1_27lower_bound_config_selectorIjlEEZNS1_14transform_implILb0ES3_S5_N6thrust23THRUST_200600_302600_NS6detail15normal_iteratorINS8_7pointerIjNS8_11hip_rocprim5par_tENS8_11use_defaultESE_EEEENSA_INSB_IlSD_SE_SE_EEEEZNS1_13binary_searchIS3_S5_PjSG_SI_NS1_21lower_bound_search_opENS9_16wrapped_functionI11custom_lessbEEEE10hipError_tPvRmT1_T2_T3_mmT4_T5_P12ihipStream_tbEUlRKjE_EESP_ST_SU_mSV_SY_bEUlT_E_NS1_11comp_targetILNS1_3genE9ELNS1_11target_archE1100ELNS1_3gpuE3ELNS1_3repE0EEENS1_30default_config_static_selectorELNS0_4arch9wavefront6targetE1EEEvSS_
; %bb.0:
	.section	.rodata,"a",@progbits
	.p2align	6, 0x0
	.amdhsa_kernel _ZN7rocprim17ROCPRIM_400000_NS6detail17trampoline_kernelINS0_14default_configENS1_27lower_bound_config_selectorIjlEEZNS1_14transform_implILb0ES3_S5_N6thrust23THRUST_200600_302600_NS6detail15normal_iteratorINS8_7pointerIjNS8_11hip_rocprim5par_tENS8_11use_defaultESE_EEEENSA_INSB_IlSD_SE_SE_EEEEZNS1_13binary_searchIS3_S5_PjSG_SI_NS1_21lower_bound_search_opENS9_16wrapped_functionI11custom_lessbEEEE10hipError_tPvRmT1_T2_T3_mmT4_T5_P12ihipStream_tbEUlRKjE_EESP_ST_SU_mSV_SY_bEUlT_E_NS1_11comp_targetILNS1_3genE9ELNS1_11target_archE1100ELNS1_3gpuE3ELNS1_3repE0EEENS1_30default_config_static_selectorELNS0_4arch9wavefront6targetE1EEEvSS_
		.amdhsa_group_segment_fixed_size 0
		.amdhsa_private_segment_fixed_size 0
		.amdhsa_kernarg_size 56
		.amdhsa_user_sgpr_count 6
		.amdhsa_user_sgpr_private_segment_buffer 1
		.amdhsa_user_sgpr_dispatch_ptr 0
		.amdhsa_user_sgpr_queue_ptr 0
		.amdhsa_user_sgpr_kernarg_segment_ptr 1
		.amdhsa_user_sgpr_dispatch_id 0
		.amdhsa_user_sgpr_flat_scratch_init 0
		.amdhsa_user_sgpr_private_segment_size 0
		.amdhsa_uses_dynamic_stack 0
		.amdhsa_system_sgpr_private_segment_wavefront_offset 0
		.amdhsa_system_sgpr_workgroup_id_x 1
		.amdhsa_system_sgpr_workgroup_id_y 0
		.amdhsa_system_sgpr_workgroup_id_z 0
		.amdhsa_system_sgpr_workgroup_info 0
		.amdhsa_system_vgpr_workitem_id 0
		.amdhsa_next_free_vgpr 1
		.amdhsa_next_free_sgpr 0
		.amdhsa_reserve_vcc 0
		.amdhsa_reserve_flat_scratch 0
		.amdhsa_float_round_mode_32 0
		.amdhsa_float_round_mode_16_64 0
		.amdhsa_float_denorm_mode_32 3
		.amdhsa_float_denorm_mode_16_64 3
		.amdhsa_dx10_clamp 1
		.amdhsa_ieee_mode 1
		.amdhsa_fp16_overflow 0
		.amdhsa_exception_fp_ieee_invalid_op 0
		.amdhsa_exception_fp_denorm_src 0
		.amdhsa_exception_fp_ieee_div_zero 0
		.amdhsa_exception_fp_ieee_overflow 0
		.amdhsa_exception_fp_ieee_underflow 0
		.amdhsa_exception_fp_ieee_inexact 0
		.amdhsa_exception_int_div_zero 0
	.end_amdhsa_kernel
	.section	.text._ZN7rocprim17ROCPRIM_400000_NS6detail17trampoline_kernelINS0_14default_configENS1_27lower_bound_config_selectorIjlEEZNS1_14transform_implILb0ES3_S5_N6thrust23THRUST_200600_302600_NS6detail15normal_iteratorINS8_7pointerIjNS8_11hip_rocprim5par_tENS8_11use_defaultESE_EEEENSA_INSB_IlSD_SE_SE_EEEEZNS1_13binary_searchIS3_S5_PjSG_SI_NS1_21lower_bound_search_opENS9_16wrapped_functionI11custom_lessbEEEE10hipError_tPvRmT1_T2_T3_mmT4_T5_P12ihipStream_tbEUlRKjE_EESP_ST_SU_mSV_SY_bEUlT_E_NS1_11comp_targetILNS1_3genE9ELNS1_11target_archE1100ELNS1_3gpuE3ELNS1_3repE0EEENS1_30default_config_static_selectorELNS0_4arch9wavefront6targetE1EEEvSS_,"axG",@progbits,_ZN7rocprim17ROCPRIM_400000_NS6detail17trampoline_kernelINS0_14default_configENS1_27lower_bound_config_selectorIjlEEZNS1_14transform_implILb0ES3_S5_N6thrust23THRUST_200600_302600_NS6detail15normal_iteratorINS8_7pointerIjNS8_11hip_rocprim5par_tENS8_11use_defaultESE_EEEENSA_INSB_IlSD_SE_SE_EEEEZNS1_13binary_searchIS3_S5_PjSG_SI_NS1_21lower_bound_search_opENS9_16wrapped_functionI11custom_lessbEEEE10hipError_tPvRmT1_T2_T3_mmT4_T5_P12ihipStream_tbEUlRKjE_EESP_ST_SU_mSV_SY_bEUlT_E_NS1_11comp_targetILNS1_3genE9ELNS1_11target_archE1100ELNS1_3gpuE3ELNS1_3repE0EEENS1_30default_config_static_selectorELNS0_4arch9wavefront6targetE1EEEvSS_,comdat
.Lfunc_end71:
	.size	_ZN7rocprim17ROCPRIM_400000_NS6detail17trampoline_kernelINS0_14default_configENS1_27lower_bound_config_selectorIjlEEZNS1_14transform_implILb0ES3_S5_N6thrust23THRUST_200600_302600_NS6detail15normal_iteratorINS8_7pointerIjNS8_11hip_rocprim5par_tENS8_11use_defaultESE_EEEENSA_INSB_IlSD_SE_SE_EEEEZNS1_13binary_searchIS3_S5_PjSG_SI_NS1_21lower_bound_search_opENS9_16wrapped_functionI11custom_lessbEEEE10hipError_tPvRmT1_T2_T3_mmT4_T5_P12ihipStream_tbEUlRKjE_EESP_ST_SU_mSV_SY_bEUlT_E_NS1_11comp_targetILNS1_3genE9ELNS1_11target_archE1100ELNS1_3gpuE3ELNS1_3repE0EEENS1_30default_config_static_selectorELNS0_4arch9wavefront6targetE1EEEvSS_, .Lfunc_end71-_ZN7rocprim17ROCPRIM_400000_NS6detail17trampoline_kernelINS0_14default_configENS1_27lower_bound_config_selectorIjlEEZNS1_14transform_implILb0ES3_S5_N6thrust23THRUST_200600_302600_NS6detail15normal_iteratorINS8_7pointerIjNS8_11hip_rocprim5par_tENS8_11use_defaultESE_EEEENSA_INSB_IlSD_SE_SE_EEEEZNS1_13binary_searchIS3_S5_PjSG_SI_NS1_21lower_bound_search_opENS9_16wrapped_functionI11custom_lessbEEEE10hipError_tPvRmT1_T2_T3_mmT4_T5_P12ihipStream_tbEUlRKjE_EESP_ST_SU_mSV_SY_bEUlT_E_NS1_11comp_targetILNS1_3genE9ELNS1_11target_archE1100ELNS1_3gpuE3ELNS1_3repE0EEENS1_30default_config_static_selectorELNS0_4arch9wavefront6targetE1EEEvSS_
                                        ; -- End function
	.set _ZN7rocprim17ROCPRIM_400000_NS6detail17trampoline_kernelINS0_14default_configENS1_27lower_bound_config_selectorIjlEEZNS1_14transform_implILb0ES3_S5_N6thrust23THRUST_200600_302600_NS6detail15normal_iteratorINS8_7pointerIjNS8_11hip_rocprim5par_tENS8_11use_defaultESE_EEEENSA_INSB_IlSD_SE_SE_EEEEZNS1_13binary_searchIS3_S5_PjSG_SI_NS1_21lower_bound_search_opENS9_16wrapped_functionI11custom_lessbEEEE10hipError_tPvRmT1_T2_T3_mmT4_T5_P12ihipStream_tbEUlRKjE_EESP_ST_SU_mSV_SY_bEUlT_E_NS1_11comp_targetILNS1_3genE9ELNS1_11target_archE1100ELNS1_3gpuE3ELNS1_3repE0EEENS1_30default_config_static_selectorELNS0_4arch9wavefront6targetE1EEEvSS_.num_vgpr, 0
	.set _ZN7rocprim17ROCPRIM_400000_NS6detail17trampoline_kernelINS0_14default_configENS1_27lower_bound_config_selectorIjlEEZNS1_14transform_implILb0ES3_S5_N6thrust23THRUST_200600_302600_NS6detail15normal_iteratorINS8_7pointerIjNS8_11hip_rocprim5par_tENS8_11use_defaultESE_EEEENSA_INSB_IlSD_SE_SE_EEEEZNS1_13binary_searchIS3_S5_PjSG_SI_NS1_21lower_bound_search_opENS9_16wrapped_functionI11custom_lessbEEEE10hipError_tPvRmT1_T2_T3_mmT4_T5_P12ihipStream_tbEUlRKjE_EESP_ST_SU_mSV_SY_bEUlT_E_NS1_11comp_targetILNS1_3genE9ELNS1_11target_archE1100ELNS1_3gpuE3ELNS1_3repE0EEENS1_30default_config_static_selectorELNS0_4arch9wavefront6targetE1EEEvSS_.num_agpr, 0
	.set _ZN7rocprim17ROCPRIM_400000_NS6detail17trampoline_kernelINS0_14default_configENS1_27lower_bound_config_selectorIjlEEZNS1_14transform_implILb0ES3_S5_N6thrust23THRUST_200600_302600_NS6detail15normal_iteratorINS8_7pointerIjNS8_11hip_rocprim5par_tENS8_11use_defaultESE_EEEENSA_INSB_IlSD_SE_SE_EEEEZNS1_13binary_searchIS3_S5_PjSG_SI_NS1_21lower_bound_search_opENS9_16wrapped_functionI11custom_lessbEEEE10hipError_tPvRmT1_T2_T3_mmT4_T5_P12ihipStream_tbEUlRKjE_EESP_ST_SU_mSV_SY_bEUlT_E_NS1_11comp_targetILNS1_3genE9ELNS1_11target_archE1100ELNS1_3gpuE3ELNS1_3repE0EEENS1_30default_config_static_selectorELNS0_4arch9wavefront6targetE1EEEvSS_.numbered_sgpr, 0
	.set _ZN7rocprim17ROCPRIM_400000_NS6detail17trampoline_kernelINS0_14default_configENS1_27lower_bound_config_selectorIjlEEZNS1_14transform_implILb0ES3_S5_N6thrust23THRUST_200600_302600_NS6detail15normal_iteratorINS8_7pointerIjNS8_11hip_rocprim5par_tENS8_11use_defaultESE_EEEENSA_INSB_IlSD_SE_SE_EEEEZNS1_13binary_searchIS3_S5_PjSG_SI_NS1_21lower_bound_search_opENS9_16wrapped_functionI11custom_lessbEEEE10hipError_tPvRmT1_T2_T3_mmT4_T5_P12ihipStream_tbEUlRKjE_EESP_ST_SU_mSV_SY_bEUlT_E_NS1_11comp_targetILNS1_3genE9ELNS1_11target_archE1100ELNS1_3gpuE3ELNS1_3repE0EEENS1_30default_config_static_selectorELNS0_4arch9wavefront6targetE1EEEvSS_.num_named_barrier, 0
	.set _ZN7rocprim17ROCPRIM_400000_NS6detail17trampoline_kernelINS0_14default_configENS1_27lower_bound_config_selectorIjlEEZNS1_14transform_implILb0ES3_S5_N6thrust23THRUST_200600_302600_NS6detail15normal_iteratorINS8_7pointerIjNS8_11hip_rocprim5par_tENS8_11use_defaultESE_EEEENSA_INSB_IlSD_SE_SE_EEEEZNS1_13binary_searchIS3_S5_PjSG_SI_NS1_21lower_bound_search_opENS9_16wrapped_functionI11custom_lessbEEEE10hipError_tPvRmT1_T2_T3_mmT4_T5_P12ihipStream_tbEUlRKjE_EESP_ST_SU_mSV_SY_bEUlT_E_NS1_11comp_targetILNS1_3genE9ELNS1_11target_archE1100ELNS1_3gpuE3ELNS1_3repE0EEENS1_30default_config_static_selectorELNS0_4arch9wavefront6targetE1EEEvSS_.private_seg_size, 0
	.set _ZN7rocprim17ROCPRIM_400000_NS6detail17trampoline_kernelINS0_14default_configENS1_27lower_bound_config_selectorIjlEEZNS1_14transform_implILb0ES3_S5_N6thrust23THRUST_200600_302600_NS6detail15normal_iteratorINS8_7pointerIjNS8_11hip_rocprim5par_tENS8_11use_defaultESE_EEEENSA_INSB_IlSD_SE_SE_EEEEZNS1_13binary_searchIS3_S5_PjSG_SI_NS1_21lower_bound_search_opENS9_16wrapped_functionI11custom_lessbEEEE10hipError_tPvRmT1_T2_T3_mmT4_T5_P12ihipStream_tbEUlRKjE_EESP_ST_SU_mSV_SY_bEUlT_E_NS1_11comp_targetILNS1_3genE9ELNS1_11target_archE1100ELNS1_3gpuE3ELNS1_3repE0EEENS1_30default_config_static_selectorELNS0_4arch9wavefront6targetE1EEEvSS_.uses_vcc, 0
	.set _ZN7rocprim17ROCPRIM_400000_NS6detail17trampoline_kernelINS0_14default_configENS1_27lower_bound_config_selectorIjlEEZNS1_14transform_implILb0ES3_S5_N6thrust23THRUST_200600_302600_NS6detail15normal_iteratorINS8_7pointerIjNS8_11hip_rocprim5par_tENS8_11use_defaultESE_EEEENSA_INSB_IlSD_SE_SE_EEEEZNS1_13binary_searchIS3_S5_PjSG_SI_NS1_21lower_bound_search_opENS9_16wrapped_functionI11custom_lessbEEEE10hipError_tPvRmT1_T2_T3_mmT4_T5_P12ihipStream_tbEUlRKjE_EESP_ST_SU_mSV_SY_bEUlT_E_NS1_11comp_targetILNS1_3genE9ELNS1_11target_archE1100ELNS1_3gpuE3ELNS1_3repE0EEENS1_30default_config_static_selectorELNS0_4arch9wavefront6targetE1EEEvSS_.uses_flat_scratch, 0
	.set _ZN7rocprim17ROCPRIM_400000_NS6detail17trampoline_kernelINS0_14default_configENS1_27lower_bound_config_selectorIjlEEZNS1_14transform_implILb0ES3_S5_N6thrust23THRUST_200600_302600_NS6detail15normal_iteratorINS8_7pointerIjNS8_11hip_rocprim5par_tENS8_11use_defaultESE_EEEENSA_INSB_IlSD_SE_SE_EEEEZNS1_13binary_searchIS3_S5_PjSG_SI_NS1_21lower_bound_search_opENS9_16wrapped_functionI11custom_lessbEEEE10hipError_tPvRmT1_T2_T3_mmT4_T5_P12ihipStream_tbEUlRKjE_EESP_ST_SU_mSV_SY_bEUlT_E_NS1_11comp_targetILNS1_3genE9ELNS1_11target_archE1100ELNS1_3gpuE3ELNS1_3repE0EEENS1_30default_config_static_selectorELNS0_4arch9wavefront6targetE1EEEvSS_.has_dyn_sized_stack, 0
	.set _ZN7rocprim17ROCPRIM_400000_NS6detail17trampoline_kernelINS0_14default_configENS1_27lower_bound_config_selectorIjlEEZNS1_14transform_implILb0ES3_S5_N6thrust23THRUST_200600_302600_NS6detail15normal_iteratorINS8_7pointerIjNS8_11hip_rocprim5par_tENS8_11use_defaultESE_EEEENSA_INSB_IlSD_SE_SE_EEEEZNS1_13binary_searchIS3_S5_PjSG_SI_NS1_21lower_bound_search_opENS9_16wrapped_functionI11custom_lessbEEEE10hipError_tPvRmT1_T2_T3_mmT4_T5_P12ihipStream_tbEUlRKjE_EESP_ST_SU_mSV_SY_bEUlT_E_NS1_11comp_targetILNS1_3genE9ELNS1_11target_archE1100ELNS1_3gpuE3ELNS1_3repE0EEENS1_30default_config_static_selectorELNS0_4arch9wavefront6targetE1EEEvSS_.has_recursion, 0
	.set _ZN7rocprim17ROCPRIM_400000_NS6detail17trampoline_kernelINS0_14default_configENS1_27lower_bound_config_selectorIjlEEZNS1_14transform_implILb0ES3_S5_N6thrust23THRUST_200600_302600_NS6detail15normal_iteratorINS8_7pointerIjNS8_11hip_rocprim5par_tENS8_11use_defaultESE_EEEENSA_INSB_IlSD_SE_SE_EEEEZNS1_13binary_searchIS3_S5_PjSG_SI_NS1_21lower_bound_search_opENS9_16wrapped_functionI11custom_lessbEEEE10hipError_tPvRmT1_T2_T3_mmT4_T5_P12ihipStream_tbEUlRKjE_EESP_ST_SU_mSV_SY_bEUlT_E_NS1_11comp_targetILNS1_3genE9ELNS1_11target_archE1100ELNS1_3gpuE3ELNS1_3repE0EEENS1_30default_config_static_selectorELNS0_4arch9wavefront6targetE1EEEvSS_.has_indirect_call, 0
	.section	.AMDGPU.csdata,"",@progbits
; Kernel info:
; codeLenInByte = 0
; TotalNumSgprs: 4
; NumVgprs: 0
; ScratchSize: 0
; MemoryBound: 0
; FloatMode: 240
; IeeeMode: 1
; LDSByteSize: 0 bytes/workgroup (compile time only)
; SGPRBlocks: 0
; VGPRBlocks: 0
; NumSGPRsForWavesPerEU: 4
; NumVGPRsForWavesPerEU: 1
; Occupancy: 10
; WaveLimiterHint : 0
; COMPUTE_PGM_RSRC2:SCRATCH_EN: 0
; COMPUTE_PGM_RSRC2:USER_SGPR: 6
; COMPUTE_PGM_RSRC2:TRAP_HANDLER: 0
; COMPUTE_PGM_RSRC2:TGID_X_EN: 1
; COMPUTE_PGM_RSRC2:TGID_Y_EN: 0
; COMPUTE_PGM_RSRC2:TGID_Z_EN: 0
; COMPUTE_PGM_RSRC2:TIDIG_COMP_CNT: 0
	.section	.text._ZN7rocprim17ROCPRIM_400000_NS6detail17trampoline_kernelINS0_14default_configENS1_27lower_bound_config_selectorIjlEEZNS1_14transform_implILb0ES3_S5_N6thrust23THRUST_200600_302600_NS6detail15normal_iteratorINS8_7pointerIjNS8_11hip_rocprim5par_tENS8_11use_defaultESE_EEEENSA_INSB_IlSD_SE_SE_EEEEZNS1_13binary_searchIS3_S5_PjSG_SI_NS1_21lower_bound_search_opENS9_16wrapped_functionI11custom_lessbEEEE10hipError_tPvRmT1_T2_T3_mmT4_T5_P12ihipStream_tbEUlRKjE_EESP_ST_SU_mSV_SY_bEUlT_E_NS1_11comp_targetILNS1_3genE8ELNS1_11target_archE1030ELNS1_3gpuE2ELNS1_3repE0EEENS1_30default_config_static_selectorELNS0_4arch9wavefront6targetE1EEEvSS_,"axG",@progbits,_ZN7rocprim17ROCPRIM_400000_NS6detail17trampoline_kernelINS0_14default_configENS1_27lower_bound_config_selectorIjlEEZNS1_14transform_implILb0ES3_S5_N6thrust23THRUST_200600_302600_NS6detail15normal_iteratorINS8_7pointerIjNS8_11hip_rocprim5par_tENS8_11use_defaultESE_EEEENSA_INSB_IlSD_SE_SE_EEEEZNS1_13binary_searchIS3_S5_PjSG_SI_NS1_21lower_bound_search_opENS9_16wrapped_functionI11custom_lessbEEEE10hipError_tPvRmT1_T2_T3_mmT4_T5_P12ihipStream_tbEUlRKjE_EESP_ST_SU_mSV_SY_bEUlT_E_NS1_11comp_targetILNS1_3genE8ELNS1_11target_archE1030ELNS1_3gpuE2ELNS1_3repE0EEENS1_30default_config_static_selectorELNS0_4arch9wavefront6targetE1EEEvSS_,comdat
	.protected	_ZN7rocprim17ROCPRIM_400000_NS6detail17trampoline_kernelINS0_14default_configENS1_27lower_bound_config_selectorIjlEEZNS1_14transform_implILb0ES3_S5_N6thrust23THRUST_200600_302600_NS6detail15normal_iteratorINS8_7pointerIjNS8_11hip_rocprim5par_tENS8_11use_defaultESE_EEEENSA_INSB_IlSD_SE_SE_EEEEZNS1_13binary_searchIS3_S5_PjSG_SI_NS1_21lower_bound_search_opENS9_16wrapped_functionI11custom_lessbEEEE10hipError_tPvRmT1_T2_T3_mmT4_T5_P12ihipStream_tbEUlRKjE_EESP_ST_SU_mSV_SY_bEUlT_E_NS1_11comp_targetILNS1_3genE8ELNS1_11target_archE1030ELNS1_3gpuE2ELNS1_3repE0EEENS1_30default_config_static_selectorELNS0_4arch9wavefront6targetE1EEEvSS_ ; -- Begin function _ZN7rocprim17ROCPRIM_400000_NS6detail17trampoline_kernelINS0_14default_configENS1_27lower_bound_config_selectorIjlEEZNS1_14transform_implILb0ES3_S5_N6thrust23THRUST_200600_302600_NS6detail15normal_iteratorINS8_7pointerIjNS8_11hip_rocprim5par_tENS8_11use_defaultESE_EEEENSA_INSB_IlSD_SE_SE_EEEEZNS1_13binary_searchIS3_S5_PjSG_SI_NS1_21lower_bound_search_opENS9_16wrapped_functionI11custom_lessbEEEE10hipError_tPvRmT1_T2_T3_mmT4_T5_P12ihipStream_tbEUlRKjE_EESP_ST_SU_mSV_SY_bEUlT_E_NS1_11comp_targetILNS1_3genE8ELNS1_11target_archE1030ELNS1_3gpuE2ELNS1_3repE0EEENS1_30default_config_static_selectorELNS0_4arch9wavefront6targetE1EEEvSS_
	.globl	_ZN7rocprim17ROCPRIM_400000_NS6detail17trampoline_kernelINS0_14default_configENS1_27lower_bound_config_selectorIjlEEZNS1_14transform_implILb0ES3_S5_N6thrust23THRUST_200600_302600_NS6detail15normal_iteratorINS8_7pointerIjNS8_11hip_rocprim5par_tENS8_11use_defaultESE_EEEENSA_INSB_IlSD_SE_SE_EEEEZNS1_13binary_searchIS3_S5_PjSG_SI_NS1_21lower_bound_search_opENS9_16wrapped_functionI11custom_lessbEEEE10hipError_tPvRmT1_T2_T3_mmT4_T5_P12ihipStream_tbEUlRKjE_EESP_ST_SU_mSV_SY_bEUlT_E_NS1_11comp_targetILNS1_3genE8ELNS1_11target_archE1030ELNS1_3gpuE2ELNS1_3repE0EEENS1_30default_config_static_selectorELNS0_4arch9wavefront6targetE1EEEvSS_
	.p2align	8
	.type	_ZN7rocprim17ROCPRIM_400000_NS6detail17trampoline_kernelINS0_14default_configENS1_27lower_bound_config_selectorIjlEEZNS1_14transform_implILb0ES3_S5_N6thrust23THRUST_200600_302600_NS6detail15normal_iteratorINS8_7pointerIjNS8_11hip_rocprim5par_tENS8_11use_defaultESE_EEEENSA_INSB_IlSD_SE_SE_EEEEZNS1_13binary_searchIS3_S5_PjSG_SI_NS1_21lower_bound_search_opENS9_16wrapped_functionI11custom_lessbEEEE10hipError_tPvRmT1_T2_T3_mmT4_T5_P12ihipStream_tbEUlRKjE_EESP_ST_SU_mSV_SY_bEUlT_E_NS1_11comp_targetILNS1_3genE8ELNS1_11target_archE1030ELNS1_3gpuE2ELNS1_3repE0EEENS1_30default_config_static_selectorELNS0_4arch9wavefront6targetE1EEEvSS_,@function
_ZN7rocprim17ROCPRIM_400000_NS6detail17trampoline_kernelINS0_14default_configENS1_27lower_bound_config_selectorIjlEEZNS1_14transform_implILb0ES3_S5_N6thrust23THRUST_200600_302600_NS6detail15normal_iteratorINS8_7pointerIjNS8_11hip_rocprim5par_tENS8_11use_defaultESE_EEEENSA_INSB_IlSD_SE_SE_EEEEZNS1_13binary_searchIS3_S5_PjSG_SI_NS1_21lower_bound_search_opENS9_16wrapped_functionI11custom_lessbEEEE10hipError_tPvRmT1_T2_T3_mmT4_T5_P12ihipStream_tbEUlRKjE_EESP_ST_SU_mSV_SY_bEUlT_E_NS1_11comp_targetILNS1_3genE8ELNS1_11target_archE1030ELNS1_3gpuE2ELNS1_3repE0EEENS1_30default_config_static_selectorELNS0_4arch9wavefront6targetE1EEEvSS_: ; @_ZN7rocprim17ROCPRIM_400000_NS6detail17trampoline_kernelINS0_14default_configENS1_27lower_bound_config_selectorIjlEEZNS1_14transform_implILb0ES3_S5_N6thrust23THRUST_200600_302600_NS6detail15normal_iteratorINS8_7pointerIjNS8_11hip_rocprim5par_tENS8_11use_defaultESE_EEEENSA_INSB_IlSD_SE_SE_EEEEZNS1_13binary_searchIS3_S5_PjSG_SI_NS1_21lower_bound_search_opENS9_16wrapped_functionI11custom_lessbEEEE10hipError_tPvRmT1_T2_T3_mmT4_T5_P12ihipStream_tbEUlRKjE_EESP_ST_SU_mSV_SY_bEUlT_E_NS1_11comp_targetILNS1_3genE8ELNS1_11target_archE1030ELNS1_3gpuE2ELNS1_3repE0EEENS1_30default_config_static_selectorELNS0_4arch9wavefront6targetE1EEEvSS_
; %bb.0:
	.section	.rodata,"a",@progbits
	.p2align	6, 0x0
	.amdhsa_kernel _ZN7rocprim17ROCPRIM_400000_NS6detail17trampoline_kernelINS0_14default_configENS1_27lower_bound_config_selectorIjlEEZNS1_14transform_implILb0ES3_S5_N6thrust23THRUST_200600_302600_NS6detail15normal_iteratorINS8_7pointerIjNS8_11hip_rocprim5par_tENS8_11use_defaultESE_EEEENSA_INSB_IlSD_SE_SE_EEEEZNS1_13binary_searchIS3_S5_PjSG_SI_NS1_21lower_bound_search_opENS9_16wrapped_functionI11custom_lessbEEEE10hipError_tPvRmT1_T2_T3_mmT4_T5_P12ihipStream_tbEUlRKjE_EESP_ST_SU_mSV_SY_bEUlT_E_NS1_11comp_targetILNS1_3genE8ELNS1_11target_archE1030ELNS1_3gpuE2ELNS1_3repE0EEENS1_30default_config_static_selectorELNS0_4arch9wavefront6targetE1EEEvSS_
		.amdhsa_group_segment_fixed_size 0
		.amdhsa_private_segment_fixed_size 0
		.amdhsa_kernarg_size 56
		.amdhsa_user_sgpr_count 6
		.amdhsa_user_sgpr_private_segment_buffer 1
		.amdhsa_user_sgpr_dispatch_ptr 0
		.amdhsa_user_sgpr_queue_ptr 0
		.amdhsa_user_sgpr_kernarg_segment_ptr 1
		.amdhsa_user_sgpr_dispatch_id 0
		.amdhsa_user_sgpr_flat_scratch_init 0
		.amdhsa_user_sgpr_private_segment_size 0
		.amdhsa_uses_dynamic_stack 0
		.amdhsa_system_sgpr_private_segment_wavefront_offset 0
		.amdhsa_system_sgpr_workgroup_id_x 1
		.amdhsa_system_sgpr_workgroup_id_y 0
		.amdhsa_system_sgpr_workgroup_id_z 0
		.amdhsa_system_sgpr_workgroup_info 0
		.amdhsa_system_vgpr_workitem_id 0
		.amdhsa_next_free_vgpr 1
		.amdhsa_next_free_sgpr 0
		.amdhsa_reserve_vcc 0
		.amdhsa_reserve_flat_scratch 0
		.amdhsa_float_round_mode_32 0
		.amdhsa_float_round_mode_16_64 0
		.amdhsa_float_denorm_mode_32 3
		.amdhsa_float_denorm_mode_16_64 3
		.amdhsa_dx10_clamp 1
		.amdhsa_ieee_mode 1
		.amdhsa_fp16_overflow 0
		.amdhsa_exception_fp_ieee_invalid_op 0
		.amdhsa_exception_fp_denorm_src 0
		.amdhsa_exception_fp_ieee_div_zero 0
		.amdhsa_exception_fp_ieee_overflow 0
		.amdhsa_exception_fp_ieee_underflow 0
		.amdhsa_exception_fp_ieee_inexact 0
		.amdhsa_exception_int_div_zero 0
	.end_amdhsa_kernel
	.section	.text._ZN7rocprim17ROCPRIM_400000_NS6detail17trampoline_kernelINS0_14default_configENS1_27lower_bound_config_selectorIjlEEZNS1_14transform_implILb0ES3_S5_N6thrust23THRUST_200600_302600_NS6detail15normal_iteratorINS8_7pointerIjNS8_11hip_rocprim5par_tENS8_11use_defaultESE_EEEENSA_INSB_IlSD_SE_SE_EEEEZNS1_13binary_searchIS3_S5_PjSG_SI_NS1_21lower_bound_search_opENS9_16wrapped_functionI11custom_lessbEEEE10hipError_tPvRmT1_T2_T3_mmT4_T5_P12ihipStream_tbEUlRKjE_EESP_ST_SU_mSV_SY_bEUlT_E_NS1_11comp_targetILNS1_3genE8ELNS1_11target_archE1030ELNS1_3gpuE2ELNS1_3repE0EEENS1_30default_config_static_selectorELNS0_4arch9wavefront6targetE1EEEvSS_,"axG",@progbits,_ZN7rocprim17ROCPRIM_400000_NS6detail17trampoline_kernelINS0_14default_configENS1_27lower_bound_config_selectorIjlEEZNS1_14transform_implILb0ES3_S5_N6thrust23THRUST_200600_302600_NS6detail15normal_iteratorINS8_7pointerIjNS8_11hip_rocprim5par_tENS8_11use_defaultESE_EEEENSA_INSB_IlSD_SE_SE_EEEEZNS1_13binary_searchIS3_S5_PjSG_SI_NS1_21lower_bound_search_opENS9_16wrapped_functionI11custom_lessbEEEE10hipError_tPvRmT1_T2_T3_mmT4_T5_P12ihipStream_tbEUlRKjE_EESP_ST_SU_mSV_SY_bEUlT_E_NS1_11comp_targetILNS1_3genE8ELNS1_11target_archE1030ELNS1_3gpuE2ELNS1_3repE0EEENS1_30default_config_static_selectorELNS0_4arch9wavefront6targetE1EEEvSS_,comdat
.Lfunc_end72:
	.size	_ZN7rocprim17ROCPRIM_400000_NS6detail17trampoline_kernelINS0_14default_configENS1_27lower_bound_config_selectorIjlEEZNS1_14transform_implILb0ES3_S5_N6thrust23THRUST_200600_302600_NS6detail15normal_iteratorINS8_7pointerIjNS8_11hip_rocprim5par_tENS8_11use_defaultESE_EEEENSA_INSB_IlSD_SE_SE_EEEEZNS1_13binary_searchIS3_S5_PjSG_SI_NS1_21lower_bound_search_opENS9_16wrapped_functionI11custom_lessbEEEE10hipError_tPvRmT1_T2_T3_mmT4_T5_P12ihipStream_tbEUlRKjE_EESP_ST_SU_mSV_SY_bEUlT_E_NS1_11comp_targetILNS1_3genE8ELNS1_11target_archE1030ELNS1_3gpuE2ELNS1_3repE0EEENS1_30default_config_static_selectorELNS0_4arch9wavefront6targetE1EEEvSS_, .Lfunc_end72-_ZN7rocprim17ROCPRIM_400000_NS6detail17trampoline_kernelINS0_14default_configENS1_27lower_bound_config_selectorIjlEEZNS1_14transform_implILb0ES3_S5_N6thrust23THRUST_200600_302600_NS6detail15normal_iteratorINS8_7pointerIjNS8_11hip_rocprim5par_tENS8_11use_defaultESE_EEEENSA_INSB_IlSD_SE_SE_EEEEZNS1_13binary_searchIS3_S5_PjSG_SI_NS1_21lower_bound_search_opENS9_16wrapped_functionI11custom_lessbEEEE10hipError_tPvRmT1_T2_T3_mmT4_T5_P12ihipStream_tbEUlRKjE_EESP_ST_SU_mSV_SY_bEUlT_E_NS1_11comp_targetILNS1_3genE8ELNS1_11target_archE1030ELNS1_3gpuE2ELNS1_3repE0EEENS1_30default_config_static_selectorELNS0_4arch9wavefront6targetE1EEEvSS_
                                        ; -- End function
	.set _ZN7rocprim17ROCPRIM_400000_NS6detail17trampoline_kernelINS0_14default_configENS1_27lower_bound_config_selectorIjlEEZNS1_14transform_implILb0ES3_S5_N6thrust23THRUST_200600_302600_NS6detail15normal_iteratorINS8_7pointerIjNS8_11hip_rocprim5par_tENS8_11use_defaultESE_EEEENSA_INSB_IlSD_SE_SE_EEEEZNS1_13binary_searchIS3_S5_PjSG_SI_NS1_21lower_bound_search_opENS9_16wrapped_functionI11custom_lessbEEEE10hipError_tPvRmT1_T2_T3_mmT4_T5_P12ihipStream_tbEUlRKjE_EESP_ST_SU_mSV_SY_bEUlT_E_NS1_11comp_targetILNS1_3genE8ELNS1_11target_archE1030ELNS1_3gpuE2ELNS1_3repE0EEENS1_30default_config_static_selectorELNS0_4arch9wavefront6targetE1EEEvSS_.num_vgpr, 0
	.set _ZN7rocprim17ROCPRIM_400000_NS6detail17trampoline_kernelINS0_14default_configENS1_27lower_bound_config_selectorIjlEEZNS1_14transform_implILb0ES3_S5_N6thrust23THRUST_200600_302600_NS6detail15normal_iteratorINS8_7pointerIjNS8_11hip_rocprim5par_tENS8_11use_defaultESE_EEEENSA_INSB_IlSD_SE_SE_EEEEZNS1_13binary_searchIS3_S5_PjSG_SI_NS1_21lower_bound_search_opENS9_16wrapped_functionI11custom_lessbEEEE10hipError_tPvRmT1_T2_T3_mmT4_T5_P12ihipStream_tbEUlRKjE_EESP_ST_SU_mSV_SY_bEUlT_E_NS1_11comp_targetILNS1_3genE8ELNS1_11target_archE1030ELNS1_3gpuE2ELNS1_3repE0EEENS1_30default_config_static_selectorELNS0_4arch9wavefront6targetE1EEEvSS_.num_agpr, 0
	.set _ZN7rocprim17ROCPRIM_400000_NS6detail17trampoline_kernelINS0_14default_configENS1_27lower_bound_config_selectorIjlEEZNS1_14transform_implILb0ES3_S5_N6thrust23THRUST_200600_302600_NS6detail15normal_iteratorINS8_7pointerIjNS8_11hip_rocprim5par_tENS8_11use_defaultESE_EEEENSA_INSB_IlSD_SE_SE_EEEEZNS1_13binary_searchIS3_S5_PjSG_SI_NS1_21lower_bound_search_opENS9_16wrapped_functionI11custom_lessbEEEE10hipError_tPvRmT1_T2_T3_mmT4_T5_P12ihipStream_tbEUlRKjE_EESP_ST_SU_mSV_SY_bEUlT_E_NS1_11comp_targetILNS1_3genE8ELNS1_11target_archE1030ELNS1_3gpuE2ELNS1_3repE0EEENS1_30default_config_static_selectorELNS0_4arch9wavefront6targetE1EEEvSS_.numbered_sgpr, 0
	.set _ZN7rocprim17ROCPRIM_400000_NS6detail17trampoline_kernelINS0_14default_configENS1_27lower_bound_config_selectorIjlEEZNS1_14transform_implILb0ES3_S5_N6thrust23THRUST_200600_302600_NS6detail15normal_iteratorINS8_7pointerIjNS8_11hip_rocprim5par_tENS8_11use_defaultESE_EEEENSA_INSB_IlSD_SE_SE_EEEEZNS1_13binary_searchIS3_S5_PjSG_SI_NS1_21lower_bound_search_opENS9_16wrapped_functionI11custom_lessbEEEE10hipError_tPvRmT1_T2_T3_mmT4_T5_P12ihipStream_tbEUlRKjE_EESP_ST_SU_mSV_SY_bEUlT_E_NS1_11comp_targetILNS1_3genE8ELNS1_11target_archE1030ELNS1_3gpuE2ELNS1_3repE0EEENS1_30default_config_static_selectorELNS0_4arch9wavefront6targetE1EEEvSS_.num_named_barrier, 0
	.set _ZN7rocprim17ROCPRIM_400000_NS6detail17trampoline_kernelINS0_14default_configENS1_27lower_bound_config_selectorIjlEEZNS1_14transform_implILb0ES3_S5_N6thrust23THRUST_200600_302600_NS6detail15normal_iteratorINS8_7pointerIjNS8_11hip_rocprim5par_tENS8_11use_defaultESE_EEEENSA_INSB_IlSD_SE_SE_EEEEZNS1_13binary_searchIS3_S5_PjSG_SI_NS1_21lower_bound_search_opENS9_16wrapped_functionI11custom_lessbEEEE10hipError_tPvRmT1_T2_T3_mmT4_T5_P12ihipStream_tbEUlRKjE_EESP_ST_SU_mSV_SY_bEUlT_E_NS1_11comp_targetILNS1_3genE8ELNS1_11target_archE1030ELNS1_3gpuE2ELNS1_3repE0EEENS1_30default_config_static_selectorELNS0_4arch9wavefront6targetE1EEEvSS_.private_seg_size, 0
	.set _ZN7rocprim17ROCPRIM_400000_NS6detail17trampoline_kernelINS0_14default_configENS1_27lower_bound_config_selectorIjlEEZNS1_14transform_implILb0ES3_S5_N6thrust23THRUST_200600_302600_NS6detail15normal_iteratorINS8_7pointerIjNS8_11hip_rocprim5par_tENS8_11use_defaultESE_EEEENSA_INSB_IlSD_SE_SE_EEEEZNS1_13binary_searchIS3_S5_PjSG_SI_NS1_21lower_bound_search_opENS9_16wrapped_functionI11custom_lessbEEEE10hipError_tPvRmT1_T2_T3_mmT4_T5_P12ihipStream_tbEUlRKjE_EESP_ST_SU_mSV_SY_bEUlT_E_NS1_11comp_targetILNS1_3genE8ELNS1_11target_archE1030ELNS1_3gpuE2ELNS1_3repE0EEENS1_30default_config_static_selectorELNS0_4arch9wavefront6targetE1EEEvSS_.uses_vcc, 0
	.set _ZN7rocprim17ROCPRIM_400000_NS6detail17trampoline_kernelINS0_14default_configENS1_27lower_bound_config_selectorIjlEEZNS1_14transform_implILb0ES3_S5_N6thrust23THRUST_200600_302600_NS6detail15normal_iteratorINS8_7pointerIjNS8_11hip_rocprim5par_tENS8_11use_defaultESE_EEEENSA_INSB_IlSD_SE_SE_EEEEZNS1_13binary_searchIS3_S5_PjSG_SI_NS1_21lower_bound_search_opENS9_16wrapped_functionI11custom_lessbEEEE10hipError_tPvRmT1_T2_T3_mmT4_T5_P12ihipStream_tbEUlRKjE_EESP_ST_SU_mSV_SY_bEUlT_E_NS1_11comp_targetILNS1_3genE8ELNS1_11target_archE1030ELNS1_3gpuE2ELNS1_3repE0EEENS1_30default_config_static_selectorELNS0_4arch9wavefront6targetE1EEEvSS_.uses_flat_scratch, 0
	.set _ZN7rocprim17ROCPRIM_400000_NS6detail17trampoline_kernelINS0_14default_configENS1_27lower_bound_config_selectorIjlEEZNS1_14transform_implILb0ES3_S5_N6thrust23THRUST_200600_302600_NS6detail15normal_iteratorINS8_7pointerIjNS8_11hip_rocprim5par_tENS8_11use_defaultESE_EEEENSA_INSB_IlSD_SE_SE_EEEEZNS1_13binary_searchIS3_S5_PjSG_SI_NS1_21lower_bound_search_opENS9_16wrapped_functionI11custom_lessbEEEE10hipError_tPvRmT1_T2_T3_mmT4_T5_P12ihipStream_tbEUlRKjE_EESP_ST_SU_mSV_SY_bEUlT_E_NS1_11comp_targetILNS1_3genE8ELNS1_11target_archE1030ELNS1_3gpuE2ELNS1_3repE0EEENS1_30default_config_static_selectorELNS0_4arch9wavefront6targetE1EEEvSS_.has_dyn_sized_stack, 0
	.set _ZN7rocprim17ROCPRIM_400000_NS6detail17trampoline_kernelINS0_14default_configENS1_27lower_bound_config_selectorIjlEEZNS1_14transform_implILb0ES3_S5_N6thrust23THRUST_200600_302600_NS6detail15normal_iteratorINS8_7pointerIjNS8_11hip_rocprim5par_tENS8_11use_defaultESE_EEEENSA_INSB_IlSD_SE_SE_EEEEZNS1_13binary_searchIS3_S5_PjSG_SI_NS1_21lower_bound_search_opENS9_16wrapped_functionI11custom_lessbEEEE10hipError_tPvRmT1_T2_T3_mmT4_T5_P12ihipStream_tbEUlRKjE_EESP_ST_SU_mSV_SY_bEUlT_E_NS1_11comp_targetILNS1_3genE8ELNS1_11target_archE1030ELNS1_3gpuE2ELNS1_3repE0EEENS1_30default_config_static_selectorELNS0_4arch9wavefront6targetE1EEEvSS_.has_recursion, 0
	.set _ZN7rocprim17ROCPRIM_400000_NS6detail17trampoline_kernelINS0_14default_configENS1_27lower_bound_config_selectorIjlEEZNS1_14transform_implILb0ES3_S5_N6thrust23THRUST_200600_302600_NS6detail15normal_iteratorINS8_7pointerIjNS8_11hip_rocprim5par_tENS8_11use_defaultESE_EEEENSA_INSB_IlSD_SE_SE_EEEEZNS1_13binary_searchIS3_S5_PjSG_SI_NS1_21lower_bound_search_opENS9_16wrapped_functionI11custom_lessbEEEE10hipError_tPvRmT1_T2_T3_mmT4_T5_P12ihipStream_tbEUlRKjE_EESP_ST_SU_mSV_SY_bEUlT_E_NS1_11comp_targetILNS1_3genE8ELNS1_11target_archE1030ELNS1_3gpuE2ELNS1_3repE0EEENS1_30default_config_static_selectorELNS0_4arch9wavefront6targetE1EEEvSS_.has_indirect_call, 0
	.section	.AMDGPU.csdata,"",@progbits
; Kernel info:
; codeLenInByte = 0
; TotalNumSgprs: 4
; NumVgprs: 0
; ScratchSize: 0
; MemoryBound: 0
; FloatMode: 240
; IeeeMode: 1
; LDSByteSize: 0 bytes/workgroup (compile time only)
; SGPRBlocks: 0
; VGPRBlocks: 0
; NumSGPRsForWavesPerEU: 4
; NumVGPRsForWavesPerEU: 1
; Occupancy: 10
; WaveLimiterHint : 0
; COMPUTE_PGM_RSRC2:SCRATCH_EN: 0
; COMPUTE_PGM_RSRC2:USER_SGPR: 6
; COMPUTE_PGM_RSRC2:TRAP_HANDLER: 0
; COMPUTE_PGM_RSRC2:TGID_X_EN: 1
; COMPUTE_PGM_RSRC2:TGID_Y_EN: 0
; COMPUTE_PGM_RSRC2:TGID_Z_EN: 0
; COMPUTE_PGM_RSRC2:TIDIG_COMP_CNT: 0
	.section	.text._ZN7rocprim17ROCPRIM_400000_NS6detail17trampoline_kernelINS0_14default_configENS1_27lower_bound_config_selectorIjlEEZNS1_14transform_implILb0ES3_S5_N6thrust23THRUST_200600_302600_NS6detail15normal_iteratorINS8_7pointerIjNS8_11hip_rocprim5par_tENS8_11use_defaultESE_EEEENSA_INSB_IlSD_SE_SE_EEEEZNS1_13binary_searchIS3_S5_PjSG_SI_NS1_21lower_bound_search_opENS9_16wrapped_functionINS8_6system6detail7generic6detail18binary_search_lessEbEEEE10hipError_tPvRmT1_T2_T3_mmT4_T5_P12ihipStream_tbEUlRKjE_EEST_SX_SY_mSZ_S12_bEUlT_E_NS1_11comp_targetILNS1_3genE0ELNS1_11target_archE4294967295ELNS1_3gpuE0ELNS1_3repE0EEENS1_30default_config_static_selectorELNS0_4arch9wavefront6targetE1EEEvSW_,"axG",@progbits,_ZN7rocprim17ROCPRIM_400000_NS6detail17trampoline_kernelINS0_14default_configENS1_27lower_bound_config_selectorIjlEEZNS1_14transform_implILb0ES3_S5_N6thrust23THRUST_200600_302600_NS6detail15normal_iteratorINS8_7pointerIjNS8_11hip_rocprim5par_tENS8_11use_defaultESE_EEEENSA_INSB_IlSD_SE_SE_EEEEZNS1_13binary_searchIS3_S5_PjSG_SI_NS1_21lower_bound_search_opENS9_16wrapped_functionINS8_6system6detail7generic6detail18binary_search_lessEbEEEE10hipError_tPvRmT1_T2_T3_mmT4_T5_P12ihipStream_tbEUlRKjE_EEST_SX_SY_mSZ_S12_bEUlT_E_NS1_11comp_targetILNS1_3genE0ELNS1_11target_archE4294967295ELNS1_3gpuE0ELNS1_3repE0EEENS1_30default_config_static_selectorELNS0_4arch9wavefront6targetE1EEEvSW_,comdat
	.protected	_ZN7rocprim17ROCPRIM_400000_NS6detail17trampoline_kernelINS0_14default_configENS1_27lower_bound_config_selectorIjlEEZNS1_14transform_implILb0ES3_S5_N6thrust23THRUST_200600_302600_NS6detail15normal_iteratorINS8_7pointerIjNS8_11hip_rocprim5par_tENS8_11use_defaultESE_EEEENSA_INSB_IlSD_SE_SE_EEEEZNS1_13binary_searchIS3_S5_PjSG_SI_NS1_21lower_bound_search_opENS9_16wrapped_functionINS8_6system6detail7generic6detail18binary_search_lessEbEEEE10hipError_tPvRmT1_T2_T3_mmT4_T5_P12ihipStream_tbEUlRKjE_EEST_SX_SY_mSZ_S12_bEUlT_E_NS1_11comp_targetILNS1_3genE0ELNS1_11target_archE4294967295ELNS1_3gpuE0ELNS1_3repE0EEENS1_30default_config_static_selectorELNS0_4arch9wavefront6targetE1EEEvSW_ ; -- Begin function _ZN7rocprim17ROCPRIM_400000_NS6detail17trampoline_kernelINS0_14default_configENS1_27lower_bound_config_selectorIjlEEZNS1_14transform_implILb0ES3_S5_N6thrust23THRUST_200600_302600_NS6detail15normal_iteratorINS8_7pointerIjNS8_11hip_rocprim5par_tENS8_11use_defaultESE_EEEENSA_INSB_IlSD_SE_SE_EEEEZNS1_13binary_searchIS3_S5_PjSG_SI_NS1_21lower_bound_search_opENS9_16wrapped_functionINS8_6system6detail7generic6detail18binary_search_lessEbEEEE10hipError_tPvRmT1_T2_T3_mmT4_T5_P12ihipStream_tbEUlRKjE_EEST_SX_SY_mSZ_S12_bEUlT_E_NS1_11comp_targetILNS1_3genE0ELNS1_11target_archE4294967295ELNS1_3gpuE0ELNS1_3repE0EEENS1_30default_config_static_selectorELNS0_4arch9wavefront6targetE1EEEvSW_
	.globl	_ZN7rocprim17ROCPRIM_400000_NS6detail17trampoline_kernelINS0_14default_configENS1_27lower_bound_config_selectorIjlEEZNS1_14transform_implILb0ES3_S5_N6thrust23THRUST_200600_302600_NS6detail15normal_iteratorINS8_7pointerIjNS8_11hip_rocprim5par_tENS8_11use_defaultESE_EEEENSA_INSB_IlSD_SE_SE_EEEEZNS1_13binary_searchIS3_S5_PjSG_SI_NS1_21lower_bound_search_opENS9_16wrapped_functionINS8_6system6detail7generic6detail18binary_search_lessEbEEEE10hipError_tPvRmT1_T2_T3_mmT4_T5_P12ihipStream_tbEUlRKjE_EEST_SX_SY_mSZ_S12_bEUlT_E_NS1_11comp_targetILNS1_3genE0ELNS1_11target_archE4294967295ELNS1_3gpuE0ELNS1_3repE0EEENS1_30default_config_static_selectorELNS0_4arch9wavefront6targetE1EEEvSW_
	.p2align	8
	.type	_ZN7rocprim17ROCPRIM_400000_NS6detail17trampoline_kernelINS0_14default_configENS1_27lower_bound_config_selectorIjlEEZNS1_14transform_implILb0ES3_S5_N6thrust23THRUST_200600_302600_NS6detail15normal_iteratorINS8_7pointerIjNS8_11hip_rocprim5par_tENS8_11use_defaultESE_EEEENSA_INSB_IlSD_SE_SE_EEEEZNS1_13binary_searchIS3_S5_PjSG_SI_NS1_21lower_bound_search_opENS9_16wrapped_functionINS8_6system6detail7generic6detail18binary_search_lessEbEEEE10hipError_tPvRmT1_T2_T3_mmT4_T5_P12ihipStream_tbEUlRKjE_EEST_SX_SY_mSZ_S12_bEUlT_E_NS1_11comp_targetILNS1_3genE0ELNS1_11target_archE4294967295ELNS1_3gpuE0ELNS1_3repE0EEENS1_30default_config_static_selectorELNS0_4arch9wavefront6targetE1EEEvSW_,@function
_ZN7rocprim17ROCPRIM_400000_NS6detail17trampoline_kernelINS0_14default_configENS1_27lower_bound_config_selectorIjlEEZNS1_14transform_implILb0ES3_S5_N6thrust23THRUST_200600_302600_NS6detail15normal_iteratorINS8_7pointerIjNS8_11hip_rocprim5par_tENS8_11use_defaultESE_EEEENSA_INSB_IlSD_SE_SE_EEEEZNS1_13binary_searchIS3_S5_PjSG_SI_NS1_21lower_bound_search_opENS9_16wrapped_functionINS8_6system6detail7generic6detail18binary_search_lessEbEEEE10hipError_tPvRmT1_T2_T3_mmT4_T5_P12ihipStream_tbEUlRKjE_EEST_SX_SY_mSZ_S12_bEUlT_E_NS1_11comp_targetILNS1_3genE0ELNS1_11target_archE4294967295ELNS1_3gpuE0ELNS1_3repE0EEENS1_30default_config_static_selectorELNS0_4arch9wavefront6targetE1EEEvSW_: ; @_ZN7rocprim17ROCPRIM_400000_NS6detail17trampoline_kernelINS0_14default_configENS1_27lower_bound_config_selectorIjlEEZNS1_14transform_implILb0ES3_S5_N6thrust23THRUST_200600_302600_NS6detail15normal_iteratorINS8_7pointerIjNS8_11hip_rocprim5par_tENS8_11use_defaultESE_EEEENSA_INSB_IlSD_SE_SE_EEEEZNS1_13binary_searchIS3_S5_PjSG_SI_NS1_21lower_bound_search_opENS9_16wrapped_functionINS8_6system6detail7generic6detail18binary_search_lessEbEEEE10hipError_tPvRmT1_T2_T3_mmT4_T5_P12ihipStream_tbEUlRKjE_EEST_SX_SY_mSZ_S12_bEUlT_E_NS1_11comp_targetILNS1_3genE0ELNS1_11target_archE4294967295ELNS1_3gpuE0ELNS1_3repE0EEENS1_30default_config_static_selectorELNS0_4arch9wavefront6targetE1EEEvSW_
; %bb.0:
	.section	.rodata,"a",@progbits
	.p2align	6, 0x0
	.amdhsa_kernel _ZN7rocprim17ROCPRIM_400000_NS6detail17trampoline_kernelINS0_14default_configENS1_27lower_bound_config_selectorIjlEEZNS1_14transform_implILb0ES3_S5_N6thrust23THRUST_200600_302600_NS6detail15normal_iteratorINS8_7pointerIjNS8_11hip_rocprim5par_tENS8_11use_defaultESE_EEEENSA_INSB_IlSD_SE_SE_EEEEZNS1_13binary_searchIS3_S5_PjSG_SI_NS1_21lower_bound_search_opENS9_16wrapped_functionINS8_6system6detail7generic6detail18binary_search_lessEbEEEE10hipError_tPvRmT1_T2_T3_mmT4_T5_P12ihipStream_tbEUlRKjE_EEST_SX_SY_mSZ_S12_bEUlT_E_NS1_11comp_targetILNS1_3genE0ELNS1_11target_archE4294967295ELNS1_3gpuE0ELNS1_3repE0EEENS1_30default_config_static_selectorELNS0_4arch9wavefront6targetE1EEEvSW_
		.amdhsa_group_segment_fixed_size 0
		.amdhsa_private_segment_fixed_size 0
		.amdhsa_kernarg_size 56
		.amdhsa_user_sgpr_count 6
		.amdhsa_user_sgpr_private_segment_buffer 1
		.amdhsa_user_sgpr_dispatch_ptr 0
		.amdhsa_user_sgpr_queue_ptr 0
		.amdhsa_user_sgpr_kernarg_segment_ptr 1
		.amdhsa_user_sgpr_dispatch_id 0
		.amdhsa_user_sgpr_flat_scratch_init 0
		.amdhsa_user_sgpr_private_segment_size 0
		.amdhsa_uses_dynamic_stack 0
		.amdhsa_system_sgpr_private_segment_wavefront_offset 0
		.amdhsa_system_sgpr_workgroup_id_x 1
		.amdhsa_system_sgpr_workgroup_id_y 0
		.amdhsa_system_sgpr_workgroup_id_z 0
		.amdhsa_system_sgpr_workgroup_info 0
		.amdhsa_system_vgpr_workitem_id 0
		.amdhsa_next_free_vgpr 1
		.amdhsa_next_free_sgpr 0
		.amdhsa_reserve_vcc 0
		.amdhsa_reserve_flat_scratch 0
		.amdhsa_float_round_mode_32 0
		.amdhsa_float_round_mode_16_64 0
		.amdhsa_float_denorm_mode_32 3
		.amdhsa_float_denorm_mode_16_64 3
		.amdhsa_dx10_clamp 1
		.amdhsa_ieee_mode 1
		.amdhsa_fp16_overflow 0
		.amdhsa_exception_fp_ieee_invalid_op 0
		.amdhsa_exception_fp_denorm_src 0
		.amdhsa_exception_fp_ieee_div_zero 0
		.amdhsa_exception_fp_ieee_overflow 0
		.amdhsa_exception_fp_ieee_underflow 0
		.amdhsa_exception_fp_ieee_inexact 0
		.amdhsa_exception_int_div_zero 0
	.end_amdhsa_kernel
	.section	.text._ZN7rocprim17ROCPRIM_400000_NS6detail17trampoline_kernelINS0_14default_configENS1_27lower_bound_config_selectorIjlEEZNS1_14transform_implILb0ES3_S5_N6thrust23THRUST_200600_302600_NS6detail15normal_iteratorINS8_7pointerIjNS8_11hip_rocprim5par_tENS8_11use_defaultESE_EEEENSA_INSB_IlSD_SE_SE_EEEEZNS1_13binary_searchIS3_S5_PjSG_SI_NS1_21lower_bound_search_opENS9_16wrapped_functionINS8_6system6detail7generic6detail18binary_search_lessEbEEEE10hipError_tPvRmT1_T2_T3_mmT4_T5_P12ihipStream_tbEUlRKjE_EEST_SX_SY_mSZ_S12_bEUlT_E_NS1_11comp_targetILNS1_3genE0ELNS1_11target_archE4294967295ELNS1_3gpuE0ELNS1_3repE0EEENS1_30default_config_static_selectorELNS0_4arch9wavefront6targetE1EEEvSW_,"axG",@progbits,_ZN7rocprim17ROCPRIM_400000_NS6detail17trampoline_kernelINS0_14default_configENS1_27lower_bound_config_selectorIjlEEZNS1_14transform_implILb0ES3_S5_N6thrust23THRUST_200600_302600_NS6detail15normal_iteratorINS8_7pointerIjNS8_11hip_rocprim5par_tENS8_11use_defaultESE_EEEENSA_INSB_IlSD_SE_SE_EEEEZNS1_13binary_searchIS3_S5_PjSG_SI_NS1_21lower_bound_search_opENS9_16wrapped_functionINS8_6system6detail7generic6detail18binary_search_lessEbEEEE10hipError_tPvRmT1_T2_T3_mmT4_T5_P12ihipStream_tbEUlRKjE_EEST_SX_SY_mSZ_S12_bEUlT_E_NS1_11comp_targetILNS1_3genE0ELNS1_11target_archE4294967295ELNS1_3gpuE0ELNS1_3repE0EEENS1_30default_config_static_selectorELNS0_4arch9wavefront6targetE1EEEvSW_,comdat
.Lfunc_end73:
	.size	_ZN7rocprim17ROCPRIM_400000_NS6detail17trampoline_kernelINS0_14default_configENS1_27lower_bound_config_selectorIjlEEZNS1_14transform_implILb0ES3_S5_N6thrust23THRUST_200600_302600_NS6detail15normal_iteratorINS8_7pointerIjNS8_11hip_rocprim5par_tENS8_11use_defaultESE_EEEENSA_INSB_IlSD_SE_SE_EEEEZNS1_13binary_searchIS3_S5_PjSG_SI_NS1_21lower_bound_search_opENS9_16wrapped_functionINS8_6system6detail7generic6detail18binary_search_lessEbEEEE10hipError_tPvRmT1_T2_T3_mmT4_T5_P12ihipStream_tbEUlRKjE_EEST_SX_SY_mSZ_S12_bEUlT_E_NS1_11comp_targetILNS1_3genE0ELNS1_11target_archE4294967295ELNS1_3gpuE0ELNS1_3repE0EEENS1_30default_config_static_selectorELNS0_4arch9wavefront6targetE1EEEvSW_, .Lfunc_end73-_ZN7rocprim17ROCPRIM_400000_NS6detail17trampoline_kernelINS0_14default_configENS1_27lower_bound_config_selectorIjlEEZNS1_14transform_implILb0ES3_S5_N6thrust23THRUST_200600_302600_NS6detail15normal_iteratorINS8_7pointerIjNS8_11hip_rocprim5par_tENS8_11use_defaultESE_EEEENSA_INSB_IlSD_SE_SE_EEEEZNS1_13binary_searchIS3_S5_PjSG_SI_NS1_21lower_bound_search_opENS9_16wrapped_functionINS8_6system6detail7generic6detail18binary_search_lessEbEEEE10hipError_tPvRmT1_T2_T3_mmT4_T5_P12ihipStream_tbEUlRKjE_EEST_SX_SY_mSZ_S12_bEUlT_E_NS1_11comp_targetILNS1_3genE0ELNS1_11target_archE4294967295ELNS1_3gpuE0ELNS1_3repE0EEENS1_30default_config_static_selectorELNS0_4arch9wavefront6targetE1EEEvSW_
                                        ; -- End function
	.set _ZN7rocprim17ROCPRIM_400000_NS6detail17trampoline_kernelINS0_14default_configENS1_27lower_bound_config_selectorIjlEEZNS1_14transform_implILb0ES3_S5_N6thrust23THRUST_200600_302600_NS6detail15normal_iteratorINS8_7pointerIjNS8_11hip_rocprim5par_tENS8_11use_defaultESE_EEEENSA_INSB_IlSD_SE_SE_EEEEZNS1_13binary_searchIS3_S5_PjSG_SI_NS1_21lower_bound_search_opENS9_16wrapped_functionINS8_6system6detail7generic6detail18binary_search_lessEbEEEE10hipError_tPvRmT1_T2_T3_mmT4_T5_P12ihipStream_tbEUlRKjE_EEST_SX_SY_mSZ_S12_bEUlT_E_NS1_11comp_targetILNS1_3genE0ELNS1_11target_archE4294967295ELNS1_3gpuE0ELNS1_3repE0EEENS1_30default_config_static_selectorELNS0_4arch9wavefront6targetE1EEEvSW_.num_vgpr, 0
	.set _ZN7rocprim17ROCPRIM_400000_NS6detail17trampoline_kernelINS0_14default_configENS1_27lower_bound_config_selectorIjlEEZNS1_14transform_implILb0ES3_S5_N6thrust23THRUST_200600_302600_NS6detail15normal_iteratorINS8_7pointerIjNS8_11hip_rocprim5par_tENS8_11use_defaultESE_EEEENSA_INSB_IlSD_SE_SE_EEEEZNS1_13binary_searchIS3_S5_PjSG_SI_NS1_21lower_bound_search_opENS9_16wrapped_functionINS8_6system6detail7generic6detail18binary_search_lessEbEEEE10hipError_tPvRmT1_T2_T3_mmT4_T5_P12ihipStream_tbEUlRKjE_EEST_SX_SY_mSZ_S12_bEUlT_E_NS1_11comp_targetILNS1_3genE0ELNS1_11target_archE4294967295ELNS1_3gpuE0ELNS1_3repE0EEENS1_30default_config_static_selectorELNS0_4arch9wavefront6targetE1EEEvSW_.num_agpr, 0
	.set _ZN7rocprim17ROCPRIM_400000_NS6detail17trampoline_kernelINS0_14default_configENS1_27lower_bound_config_selectorIjlEEZNS1_14transform_implILb0ES3_S5_N6thrust23THRUST_200600_302600_NS6detail15normal_iteratorINS8_7pointerIjNS8_11hip_rocprim5par_tENS8_11use_defaultESE_EEEENSA_INSB_IlSD_SE_SE_EEEEZNS1_13binary_searchIS3_S5_PjSG_SI_NS1_21lower_bound_search_opENS9_16wrapped_functionINS8_6system6detail7generic6detail18binary_search_lessEbEEEE10hipError_tPvRmT1_T2_T3_mmT4_T5_P12ihipStream_tbEUlRKjE_EEST_SX_SY_mSZ_S12_bEUlT_E_NS1_11comp_targetILNS1_3genE0ELNS1_11target_archE4294967295ELNS1_3gpuE0ELNS1_3repE0EEENS1_30default_config_static_selectorELNS0_4arch9wavefront6targetE1EEEvSW_.numbered_sgpr, 0
	.set _ZN7rocprim17ROCPRIM_400000_NS6detail17trampoline_kernelINS0_14default_configENS1_27lower_bound_config_selectorIjlEEZNS1_14transform_implILb0ES3_S5_N6thrust23THRUST_200600_302600_NS6detail15normal_iteratorINS8_7pointerIjNS8_11hip_rocprim5par_tENS8_11use_defaultESE_EEEENSA_INSB_IlSD_SE_SE_EEEEZNS1_13binary_searchIS3_S5_PjSG_SI_NS1_21lower_bound_search_opENS9_16wrapped_functionINS8_6system6detail7generic6detail18binary_search_lessEbEEEE10hipError_tPvRmT1_T2_T3_mmT4_T5_P12ihipStream_tbEUlRKjE_EEST_SX_SY_mSZ_S12_bEUlT_E_NS1_11comp_targetILNS1_3genE0ELNS1_11target_archE4294967295ELNS1_3gpuE0ELNS1_3repE0EEENS1_30default_config_static_selectorELNS0_4arch9wavefront6targetE1EEEvSW_.num_named_barrier, 0
	.set _ZN7rocprim17ROCPRIM_400000_NS6detail17trampoline_kernelINS0_14default_configENS1_27lower_bound_config_selectorIjlEEZNS1_14transform_implILb0ES3_S5_N6thrust23THRUST_200600_302600_NS6detail15normal_iteratorINS8_7pointerIjNS8_11hip_rocprim5par_tENS8_11use_defaultESE_EEEENSA_INSB_IlSD_SE_SE_EEEEZNS1_13binary_searchIS3_S5_PjSG_SI_NS1_21lower_bound_search_opENS9_16wrapped_functionINS8_6system6detail7generic6detail18binary_search_lessEbEEEE10hipError_tPvRmT1_T2_T3_mmT4_T5_P12ihipStream_tbEUlRKjE_EEST_SX_SY_mSZ_S12_bEUlT_E_NS1_11comp_targetILNS1_3genE0ELNS1_11target_archE4294967295ELNS1_3gpuE0ELNS1_3repE0EEENS1_30default_config_static_selectorELNS0_4arch9wavefront6targetE1EEEvSW_.private_seg_size, 0
	.set _ZN7rocprim17ROCPRIM_400000_NS6detail17trampoline_kernelINS0_14default_configENS1_27lower_bound_config_selectorIjlEEZNS1_14transform_implILb0ES3_S5_N6thrust23THRUST_200600_302600_NS6detail15normal_iteratorINS8_7pointerIjNS8_11hip_rocprim5par_tENS8_11use_defaultESE_EEEENSA_INSB_IlSD_SE_SE_EEEEZNS1_13binary_searchIS3_S5_PjSG_SI_NS1_21lower_bound_search_opENS9_16wrapped_functionINS8_6system6detail7generic6detail18binary_search_lessEbEEEE10hipError_tPvRmT1_T2_T3_mmT4_T5_P12ihipStream_tbEUlRKjE_EEST_SX_SY_mSZ_S12_bEUlT_E_NS1_11comp_targetILNS1_3genE0ELNS1_11target_archE4294967295ELNS1_3gpuE0ELNS1_3repE0EEENS1_30default_config_static_selectorELNS0_4arch9wavefront6targetE1EEEvSW_.uses_vcc, 0
	.set _ZN7rocprim17ROCPRIM_400000_NS6detail17trampoline_kernelINS0_14default_configENS1_27lower_bound_config_selectorIjlEEZNS1_14transform_implILb0ES3_S5_N6thrust23THRUST_200600_302600_NS6detail15normal_iteratorINS8_7pointerIjNS8_11hip_rocprim5par_tENS8_11use_defaultESE_EEEENSA_INSB_IlSD_SE_SE_EEEEZNS1_13binary_searchIS3_S5_PjSG_SI_NS1_21lower_bound_search_opENS9_16wrapped_functionINS8_6system6detail7generic6detail18binary_search_lessEbEEEE10hipError_tPvRmT1_T2_T3_mmT4_T5_P12ihipStream_tbEUlRKjE_EEST_SX_SY_mSZ_S12_bEUlT_E_NS1_11comp_targetILNS1_3genE0ELNS1_11target_archE4294967295ELNS1_3gpuE0ELNS1_3repE0EEENS1_30default_config_static_selectorELNS0_4arch9wavefront6targetE1EEEvSW_.uses_flat_scratch, 0
	.set _ZN7rocprim17ROCPRIM_400000_NS6detail17trampoline_kernelINS0_14default_configENS1_27lower_bound_config_selectorIjlEEZNS1_14transform_implILb0ES3_S5_N6thrust23THRUST_200600_302600_NS6detail15normal_iteratorINS8_7pointerIjNS8_11hip_rocprim5par_tENS8_11use_defaultESE_EEEENSA_INSB_IlSD_SE_SE_EEEEZNS1_13binary_searchIS3_S5_PjSG_SI_NS1_21lower_bound_search_opENS9_16wrapped_functionINS8_6system6detail7generic6detail18binary_search_lessEbEEEE10hipError_tPvRmT1_T2_T3_mmT4_T5_P12ihipStream_tbEUlRKjE_EEST_SX_SY_mSZ_S12_bEUlT_E_NS1_11comp_targetILNS1_3genE0ELNS1_11target_archE4294967295ELNS1_3gpuE0ELNS1_3repE0EEENS1_30default_config_static_selectorELNS0_4arch9wavefront6targetE1EEEvSW_.has_dyn_sized_stack, 0
	.set _ZN7rocprim17ROCPRIM_400000_NS6detail17trampoline_kernelINS0_14default_configENS1_27lower_bound_config_selectorIjlEEZNS1_14transform_implILb0ES3_S5_N6thrust23THRUST_200600_302600_NS6detail15normal_iteratorINS8_7pointerIjNS8_11hip_rocprim5par_tENS8_11use_defaultESE_EEEENSA_INSB_IlSD_SE_SE_EEEEZNS1_13binary_searchIS3_S5_PjSG_SI_NS1_21lower_bound_search_opENS9_16wrapped_functionINS8_6system6detail7generic6detail18binary_search_lessEbEEEE10hipError_tPvRmT1_T2_T3_mmT4_T5_P12ihipStream_tbEUlRKjE_EEST_SX_SY_mSZ_S12_bEUlT_E_NS1_11comp_targetILNS1_3genE0ELNS1_11target_archE4294967295ELNS1_3gpuE0ELNS1_3repE0EEENS1_30default_config_static_selectorELNS0_4arch9wavefront6targetE1EEEvSW_.has_recursion, 0
	.set _ZN7rocprim17ROCPRIM_400000_NS6detail17trampoline_kernelINS0_14default_configENS1_27lower_bound_config_selectorIjlEEZNS1_14transform_implILb0ES3_S5_N6thrust23THRUST_200600_302600_NS6detail15normal_iteratorINS8_7pointerIjNS8_11hip_rocprim5par_tENS8_11use_defaultESE_EEEENSA_INSB_IlSD_SE_SE_EEEEZNS1_13binary_searchIS3_S5_PjSG_SI_NS1_21lower_bound_search_opENS9_16wrapped_functionINS8_6system6detail7generic6detail18binary_search_lessEbEEEE10hipError_tPvRmT1_T2_T3_mmT4_T5_P12ihipStream_tbEUlRKjE_EEST_SX_SY_mSZ_S12_bEUlT_E_NS1_11comp_targetILNS1_3genE0ELNS1_11target_archE4294967295ELNS1_3gpuE0ELNS1_3repE0EEENS1_30default_config_static_selectorELNS0_4arch9wavefront6targetE1EEEvSW_.has_indirect_call, 0
	.section	.AMDGPU.csdata,"",@progbits
; Kernel info:
; codeLenInByte = 0
; TotalNumSgprs: 4
; NumVgprs: 0
; ScratchSize: 0
; MemoryBound: 0
; FloatMode: 240
; IeeeMode: 1
; LDSByteSize: 0 bytes/workgroup (compile time only)
; SGPRBlocks: 0
; VGPRBlocks: 0
; NumSGPRsForWavesPerEU: 4
; NumVGPRsForWavesPerEU: 1
; Occupancy: 10
; WaveLimiterHint : 0
; COMPUTE_PGM_RSRC2:SCRATCH_EN: 0
; COMPUTE_PGM_RSRC2:USER_SGPR: 6
; COMPUTE_PGM_RSRC2:TRAP_HANDLER: 0
; COMPUTE_PGM_RSRC2:TGID_X_EN: 1
; COMPUTE_PGM_RSRC2:TGID_Y_EN: 0
; COMPUTE_PGM_RSRC2:TGID_Z_EN: 0
; COMPUTE_PGM_RSRC2:TIDIG_COMP_CNT: 0
	.section	.text._ZN7rocprim17ROCPRIM_400000_NS6detail17trampoline_kernelINS0_14default_configENS1_27lower_bound_config_selectorIjlEEZNS1_14transform_implILb0ES3_S5_N6thrust23THRUST_200600_302600_NS6detail15normal_iteratorINS8_7pointerIjNS8_11hip_rocprim5par_tENS8_11use_defaultESE_EEEENSA_INSB_IlSD_SE_SE_EEEEZNS1_13binary_searchIS3_S5_PjSG_SI_NS1_21lower_bound_search_opENS9_16wrapped_functionINS8_6system6detail7generic6detail18binary_search_lessEbEEEE10hipError_tPvRmT1_T2_T3_mmT4_T5_P12ihipStream_tbEUlRKjE_EEST_SX_SY_mSZ_S12_bEUlT_E_NS1_11comp_targetILNS1_3genE5ELNS1_11target_archE942ELNS1_3gpuE9ELNS1_3repE0EEENS1_30default_config_static_selectorELNS0_4arch9wavefront6targetE1EEEvSW_,"axG",@progbits,_ZN7rocprim17ROCPRIM_400000_NS6detail17trampoline_kernelINS0_14default_configENS1_27lower_bound_config_selectorIjlEEZNS1_14transform_implILb0ES3_S5_N6thrust23THRUST_200600_302600_NS6detail15normal_iteratorINS8_7pointerIjNS8_11hip_rocprim5par_tENS8_11use_defaultESE_EEEENSA_INSB_IlSD_SE_SE_EEEEZNS1_13binary_searchIS3_S5_PjSG_SI_NS1_21lower_bound_search_opENS9_16wrapped_functionINS8_6system6detail7generic6detail18binary_search_lessEbEEEE10hipError_tPvRmT1_T2_T3_mmT4_T5_P12ihipStream_tbEUlRKjE_EEST_SX_SY_mSZ_S12_bEUlT_E_NS1_11comp_targetILNS1_3genE5ELNS1_11target_archE942ELNS1_3gpuE9ELNS1_3repE0EEENS1_30default_config_static_selectorELNS0_4arch9wavefront6targetE1EEEvSW_,comdat
	.protected	_ZN7rocprim17ROCPRIM_400000_NS6detail17trampoline_kernelINS0_14default_configENS1_27lower_bound_config_selectorIjlEEZNS1_14transform_implILb0ES3_S5_N6thrust23THRUST_200600_302600_NS6detail15normal_iteratorINS8_7pointerIjNS8_11hip_rocprim5par_tENS8_11use_defaultESE_EEEENSA_INSB_IlSD_SE_SE_EEEEZNS1_13binary_searchIS3_S5_PjSG_SI_NS1_21lower_bound_search_opENS9_16wrapped_functionINS8_6system6detail7generic6detail18binary_search_lessEbEEEE10hipError_tPvRmT1_T2_T3_mmT4_T5_P12ihipStream_tbEUlRKjE_EEST_SX_SY_mSZ_S12_bEUlT_E_NS1_11comp_targetILNS1_3genE5ELNS1_11target_archE942ELNS1_3gpuE9ELNS1_3repE0EEENS1_30default_config_static_selectorELNS0_4arch9wavefront6targetE1EEEvSW_ ; -- Begin function _ZN7rocprim17ROCPRIM_400000_NS6detail17trampoline_kernelINS0_14default_configENS1_27lower_bound_config_selectorIjlEEZNS1_14transform_implILb0ES3_S5_N6thrust23THRUST_200600_302600_NS6detail15normal_iteratorINS8_7pointerIjNS8_11hip_rocprim5par_tENS8_11use_defaultESE_EEEENSA_INSB_IlSD_SE_SE_EEEEZNS1_13binary_searchIS3_S5_PjSG_SI_NS1_21lower_bound_search_opENS9_16wrapped_functionINS8_6system6detail7generic6detail18binary_search_lessEbEEEE10hipError_tPvRmT1_T2_T3_mmT4_T5_P12ihipStream_tbEUlRKjE_EEST_SX_SY_mSZ_S12_bEUlT_E_NS1_11comp_targetILNS1_3genE5ELNS1_11target_archE942ELNS1_3gpuE9ELNS1_3repE0EEENS1_30default_config_static_selectorELNS0_4arch9wavefront6targetE1EEEvSW_
	.globl	_ZN7rocprim17ROCPRIM_400000_NS6detail17trampoline_kernelINS0_14default_configENS1_27lower_bound_config_selectorIjlEEZNS1_14transform_implILb0ES3_S5_N6thrust23THRUST_200600_302600_NS6detail15normal_iteratorINS8_7pointerIjNS8_11hip_rocprim5par_tENS8_11use_defaultESE_EEEENSA_INSB_IlSD_SE_SE_EEEEZNS1_13binary_searchIS3_S5_PjSG_SI_NS1_21lower_bound_search_opENS9_16wrapped_functionINS8_6system6detail7generic6detail18binary_search_lessEbEEEE10hipError_tPvRmT1_T2_T3_mmT4_T5_P12ihipStream_tbEUlRKjE_EEST_SX_SY_mSZ_S12_bEUlT_E_NS1_11comp_targetILNS1_3genE5ELNS1_11target_archE942ELNS1_3gpuE9ELNS1_3repE0EEENS1_30default_config_static_selectorELNS0_4arch9wavefront6targetE1EEEvSW_
	.p2align	8
	.type	_ZN7rocprim17ROCPRIM_400000_NS6detail17trampoline_kernelINS0_14default_configENS1_27lower_bound_config_selectorIjlEEZNS1_14transform_implILb0ES3_S5_N6thrust23THRUST_200600_302600_NS6detail15normal_iteratorINS8_7pointerIjNS8_11hip_rocprim5par_tENS8_11use_defaultESE_EEEENSA_INSB_IlSD_SE_SE_EEEEZNS1_13binary_searchIS3_S5_PjSG_SI_NS1_21lower_bound_search_opENS9_16wrapped_functionINS8_6system6detail7generic6detail18binary_search_lessEbEEEE10hipError_tPvRmT1_T2_T3_mmT4_T5_P12ihipStream_tbEUlRKjE_EEST_SX_SY_mSZ_S12_bEUlT_E_NS1_11comp_targetILNS1_3genE5ELNS1_11target_archE942ELNS1_3gpuE9ELNS1_3repE0EEENS1_30default_config_static_selectorELNS0_4arch9wavefront6targetE1EEEvSW_,@function
_ZN7rocprim17ROCPRIM_400000_NS6detail17trampoline_kernelINS0_14default_configENS1_27lower_bound_config_selectorIjlEEZNS1_14transform_implILb0ES3_S5_N6thrust23THRUST_200600_302600_NS6detail15normal_iteratorINS8_7pointerIjNS8_11hip_rocprim5par_tENS8_11use_defaultESE_EEEENSA_INSB_IlSD_SE_SE_EEEEZNS1_13binary_searchIS3_S5_PjSG_SI_NS1_21lower_bound_search_opENS9_16wrapped_functionINS8_6system6detail7generic6detail18binary_search_lessEbEEEE10hipError_tPvRmT1_T2_T3_mmT4_T5_P12ihipStream_tbEUlRKjE_EEST_SX_SY_mSZ_S12_bEUlT_E_NS1_11comp_targetILNS1_3genE5ELNS1_11target_archE942ELNS1_3gpuE9ELNS1_3repE0EEENS1_30default_config_static_selectorELNS0_4arch9wavefront6targetE1EEEvSW_: ; @_ZN7rocprim17ROCPRIM_400000_NS6detail17trampoline_kernelINS0_14default_configENS1_27lower_bound_config_selectorIjlEEZNS1_14transform_implILb0ES3_S5_N6thrust23THRUST_200600_302600_NS6detail15normal_iteratorINS8_7pointerIjNS8_11hip_rocprim5par_tENS8_11use_defaultESE_EEEENSA_INSB_IlSD_SE_SE_EEEEZNS1_13binary_searchIS3_S5_PjSG_SI_NS1_21lower_bound_search_opENS9_16wrapped_functionINS8_6system6detail7generic6detail18binary_search_lessEbEEEE10hipError_tPvRmT1_T2_T3_mmT4_T5_P12ihipStream_tbEUlRKjE_EEST_SX_SY_mSZ_S12_bEUlT_E_NS1_11comp_targetILNS1_3genE5ELNS1_11target_archE942ELNS1_3gpuE9ELNS1_3repE0EEENS1_30default_config_static_selectorELNS0_4arch9wavefront6targetE1EEEvSW_
; %bb.0:
	.section	.rodata,"a",@progbits
	.p2align	6, 0x0
	.amdhsa_kernel _ZN7rocprim17ROCPRIM_400000_NS6detail17trampoline_kernelINS0_14default_configENS1_27lower_bound_config_selectorIjlEEZNS1_14transform_implILb0ES3_S5_N6thrust23THRUST_200600_302600_NS6detail15normal_iteratorINS8_7pointerIjNS8_11hip_rocprim5par_tENS8_11use_defaultESE_EEEENSA_INSB_IlSD_SE_SE_EEEEZNS1_13binary_searchIS3_S5_PjSG_SI_NS1_21lower_bound_search_opENS9_16wrapped_functionINS8_6system6detail7generic6detail18binary_search_lessEbEEEE10hipError_tPvRmT1_T2_T3_mmT4_T5_P12ihipStream_tbEUlRKjE_EEST_SX_SY_mSZ_S12_bEUlT_E_NS1_11comp_targetILNS1_3genE5ELNS1_11target_archE942ELNS1_3gpuE9ELNS1_3repE0EEENS1_30default_config_static_selectorELNS0_4arch9wavefront6targetE1EEEvSW_
		.amdhsa_group_segment_fixed_size 0
		.amdhsa_private_segment_fixed_size 0
		.amdhsa_kernarg_size 56
		.amdhsa_user_sgpr_count 6
		.amdhsa_user_sgpr_private_segment_buffer 1
		.amdhsa_user_sgpr_dispatch_ptr 0
		.amdhsa_user_sgpr_queue_ptr 0
		.amdhsa_user_sgpr_kernarg_segment_ptr 1
		.amdhsa_user_sgpr_dispatch_id 0
		.amdhsa_user_sgpr_flat_scratch_init 0
		.amdhsa_user_sgpr_private_segment_size 0
		.amdhsa_uses_dynamic_stack 0
		.amdhsa_system_sgpr_private_segment_wavefront_offset 0
		.amdhsa_system_sgpr_workgroup_id_x 1
		.amdhsa_system_sgpr_workgroup_id_y 0
		.amdhsa_system_sgpr_workgroup_id_z 0
		.amdhsa_system_sgpr_workgroup_info 0
		.amdhsa_system_vgpr_workitem_id 0
		.amdhsa_next_free_vgpr 1
		.amdhsa_next_free_sgpr 0
		.amdhsa_reserve_vcc 0
		.amdhsa_reserve_flat_scratch 0
		.amdhsa_float_round_mode_32 0
		.amdhsa_float_round_mode_16_64 0
		.amdhsa_float_denorm_mode_32 3
		.amdhsa_float_denorm_mode_16_64 3
		.amdhsa_dx10_clamp 1
		.amdhsa_ieee_mode 1
		.amdhsa_fp16_overflow 0
		.amdhsa_exception_fp_ieee_invalid_op 0
		.amdhsa_exception_fp_denorm_src 0
		.amdhsa_exception_fp_ieee_div_zero 0
		.amdhsa_exception_fp_ieee_overflow 0
		.amdhsa_exception_fp_ieee_underflow 0
		.amdhsa_exception_fp_ieee_inexact 0
		.amdhsa_exception_int_div_zero 0
	.end_amdhsa_kernel
	.section	.text._ZN7rocprim17ROCPRIM_400000_NS6detail17trampoline_kernelINS0_14default_configENS1_27lower_bound_config_selectorIjlEEZNS1_14transform_implILb0ES3_S5_N6thrust23THRUST_200600_302600_NS6detail15normal_iteratorINS8_7pointerIjNS8_11hip_rocprim5par_tENS8_11use_defaultESE_EEEENSA_INSB_IlSD_SE_SE_EEEEZNS1_13binary_searchIS3_S5_PjSG_SI_NS1_21lower_bound_search_opENS9_16wrapped_functionINS8_6system6detail7generic6detail18binary_search_lessEbEEEE10hipError_tPvRmT1_T2_T3_mmT4_T5_P12ihipStream_tbEUlRKjE_EEST_SX_SY_mSZ_S12_bEUlT_E_NS1_11comp_targetILNS1_3genE5ELNS1_11target_archE942ELNS1_3gpuE9ELNS1_3repE0EEENS1_30default_config_static_selectorELNS0_4arch9wavefront6targetE1EEEvSW_,"axG",@progbits,_ZN7rocprim17ROCPRIM_400000_NS6detail17trampoline_kernelINS0_14default_configENS1_27lower_bound_config_selectorIjlEEZNS1_14transform_implILb0ES3_S5_N6thrust23THRUST_200600_302600_NS6detail15normal_iteratorINS8_7pointerIjNS8_11hip_rocprim5par_tENS8_11use_defaultESE_EEEENSA_INSB_IlSD_SE_SE_EEEEZNS1_13binary_searchIS3_S5_PjSG_SI_NS1_21lower_bound_search_opENS9_16wrapped_functionINS8_6system6detail7generic6detail18binary_search_lessEbEEEE10hipError_tPvRmT1_T2_T3_mmT4_T5_P12ihipStream_tbEUlRKjE_EEST_SX_SY_mSZ_S12_bEUlT_E_NS1_11comp_targetILNS1_3genE5ELNS1_11target_archE942ELNS1_3gpuE9ELNS1_3repE0EEENS1_30default_config_static_selectorELNS0_4arch9wavefront6targetE1EEEvSW_,comdat
.Lfunc_end74:
	.size	_ZN7rocprim17ROCPRIM_400000_NS6detail17trampoline_kernelINS0_14default_configENS1_27lower_bound_config_selectorIjlEEZNS1_14transform_implILb0ES3_S5_N6thrust23THRUST_200600_302600_NS6detail15normal_iteratorINS8_7pointerIjNS8_11hip_rocprim5par_tENS8_11use_defaultESE_EEEENSA_INSB_IlSD_SE_SE_EEEEZNS1_13binary_searchIS3_S5_PjSG_SI_NS1_21lower_bound_search_opENS9_16wrapped_functionINS8_6system6detail7generic6detail18binary_search_lessEbEEEE10hipError_tPvRmT1_T2_T3_mmT4_T5_P12ihipStream_tbEUlRKjE_EEST_SX_SY_mSZ_S12_bEUlT_E_NS1_11comp_targetILNS1_3genE5ELNS1_11target_archE942ELNS1_3gpuE9ELNS1_3repE0EEENS1_30default_config_static_selectorELNS0_4arch9wavefront6targetE1EEEvSW_, .Lfunc_end74-_ZN7rocprim17ROCPRIM_400000_NS6detail17trampoline_kernelINS0_14default_configENS1_27lower_bound_config_selectorIjlEEZNS1_14transform_implILb0ES3_S5_N6thrust23THRUST_200600_302600_NS6detail15normal_iteratorINS8_7pointerIjNS8_11hip_rocprim5par_tENS8_11use_defaultESE_EEEENSA_INSB_IlSD_SE_SE_EEEEZNS1_13binary_searchIS3_S5_PjSG_SI_NS1_21lower_bound_search_opENS9_16wrapped_functionINS8_6system6detail7generic6detail18binary_search_lessEbEEEE10hipError_tPvRmT1_T2_T3_mmT4_T5_P12ihipStream_tbEUlRKjE_EEST_SX_SY_mSZ_S12_bEUlT_E_NS1_11comp_targetILNS1_3genE5ELNS1_11target_archE942ELNS1_3gpuE9ELNS1_3repE0EEENS1_30default_config_static_selectorELNS0_4arch9wavefront6targetE1EEEvSW_
                                        ; -- End function
	.set _ZN7rocprim17ROCPRIM_400000_NS6detail17trampoline_kernelINS0_14default_configENS1_27lower_bound_config_selectorIjlEEZNS1_14transform_implILb0ES3_S5_N6thrust23THRUST_200600_302600_NS6detail15normal_iteratorINS8_7pointerIjNS8_11hip_rocprim5par_tENS8_11use_defaultESE_EEEENSA_INSB_IlSD_SE_SE_EEEEZNS1_13binary_searchIS3_S5_PjSG_SI_NS1_21lower_bound_search_opENS9_16wrapped_functionINS8_6system6detail7generic6detail18binary_search_lessEbEEEE10hipError_tPvRmT1_T2_T3_mmT4_T5_P12ihipStream_tbEUlRKjE_EEST_SX_SY_mSZ_S12_bEUlT_E_NS1_11comp_targetILNS1_3genE5ELNS1_11target_archE942ELNS1_3gpuE9ELNS1_3repE0EEENS1_30default_config_static_selectorELNS0_4arch9wavefront6targetE1EEEvSW_.num_vgpr, 0
	.set _ZN7rocprim17ROCPRIM_400000_NS6detail17trampoline_kernelINS0_14default_configENS1_27lower_bound_config_selectorIjlEEZNS1_14transform_implILb0ES3_S5_N6thrust23THRUST_200600_302600_NS6detail15normal_iteratorINS8_7pointerIjNS8_11hip_rocprim5par_tENS8_11use_defaultESE_EEEENSA_INSB_IlSD_SE_SE_EEEEZNS1_13binary_searchIS3_S5_PjSG_SI_NS1_21lower_bound_search_opENS9_16wrapped_functionINS8_6system6detail7generic6detail18binary_search_lessEbEEEE10hipError_tPvRmT1_T2_T3_mmT4_T5_P12ihipStream_tbEUlRKjE_EEST_SX_SY_mSZ_S12_bEUlT_E_NS1_11comp_targetILNS1_3genE5ELNS1_11target_archE942ELNS1_3gpuE9ELNS1_3repE0EEENS1_30default_config_static_selectorELNS0_4arch9wavefront6targetE1EEEvSW_.num_agpr, 0
	.set _ZN7rocprim17ROCPRIM_400000_NS6detail17trampoline_kernelINS0_14default_configENS1_27lower_bound_config_selectorIjlEEZNS1_14transform_implILb0ES3_S5_N6thrust23THRUST_200600_302600_NS6detail15normal_iteratorINS8_7pointerIjNS8_11hip_rocprim5par_tENS8_11use_defaultESE_EEEENSA_INSB_IlSD_SE_SE_EEEEZNS1_13binary_searchIS3_S5_PjSG_SI_NS1_21lower_bound_search_opENS9_16wrapped_functionINS8_6system6detail7generic6detail18binary_search_lessEbEEEE10hipError_tPvRmT1_T2_T3_mmT4_T5_P12ihipStream_tbEUlRKjE_EEST_SX_SY_mSZ_S12_bEUlT_E_NS1_11comp_targetILNS1_3genE5ELNS1_11target_archE942ELNS1_3gpuE9ELNS1_3repE0EEENS1_30default_config_static_selectorELNS0_4arch9wavefront6targetE1EEEvSW_.numbered_sgpr, 0
	.set _ZN7rocprim17ROCPRIM_400000_NS6detail17trampoline_kernelINS0_14default_configENS1_27lower_bound_config_selectorIjlEEZNS1_14transform_implILb0ES3_S5_N6thrust23THRUST_200600_302600_NS6detail15normal_iteratorINS8_7pointerIjNS8_11hip_rocprim5par_tENS8_11use_defaultESE_EEEENSA_INSB_IlSD_SE_SE_EEEEZNS1_13binary_searchIS3_S5_PjSG_SI_NS1_21lower_bound_search_opENS9_16wrapped_functionINS8_6system6detail7generic6detail18binary_search_lessEbEEEE10hipError_tPvRmT1_T2_T3_mmT4_T5_P12ihipStream_tbEUlRKjE_EEST_SX_SY_mSZ_S12_bEUlT_E_NS1_11comp_targetILNS1_3genE5ELNS1_11target_archE942ELNS1_3gpuE9ELNS1_3repE0EEENS1_30default_config_static_selectorELNS0_4arch9wavefront6targetE1EEEvSW_.num_named_barrier, 0
	.set _ZN7rocprim17ROCPRIM_400000_NS6detail17trampoline_kernelINS0_14default_configENS1_27lower_bound_config_selectorIjlEEZNS1_14transform_implILb0ES3_S5_N6thrust23THRUST_200600_302600_NS6detail15normal_iteratorINS8_7pointerIjNS8_11hip_rocprim5par_tENS8_11use_defaultESE_EEEENSA_INSB_IlSD_SE_SE_EEEEZNS1_13binary_searchIS3_S5_PjSG_SI_NS1_21lower_bound_search_opENS9_16wrapped_functionINS8_6system6detail7generic6detail18binary_search_lessEbEEEE10hipError_tPvRmT1_T2_T3_mmT4_T5_P12ihipStream_tbEUlRKjE_EEST_SX_SY_mSZ_S12_bEUlT_E_NS1_11comp_targetILNS1_3genE5ELNS1_11target_archE942ELNS1_3gpuE9ELNS1_3repE0EEENS1_30default_config_static_selectorELNS0_4arch9wavefront6targetE1EEEvSW_.private_seg_size, 0
	.set _ZN7rocprim17ROCPRIM_400000_NS6detail17trampoline_kernelINS0_14default_configENS1_27lower_bound_config_selectorIjlEEZNS1_14transform_implILb0ES3_S5_N6thrust23THRUST_200600_302600_NS6detail15normal_iteratorINS8_7pointerIjNS8_11hip_rocprim5par_tENS8_11use_defaultESE_EEEENSA_INSB_IlSD_SE_SE_EEEEZNS1_13binary_searchIS3_S5_PjSG_SI_NS1_21lower_bound_search_opENS9_16wrapped_functionINS8_6system6detail7generic6detail18binary_search_lessEbEEEE10hipError_tPvRmT1_T2_T3_mmT4_T5_P12ihipStream_tbEUlRKjE_EEST_SX_SY_mSZ_S12_bEUlT_E_NS1_11comp_targetILNS1_3genE5ELNS1_11target_archE942ELNS1_3gpuE9ELNS1_3repE0EEENS1_30default_config_static_selectorELNS0_4arch9wavefront6targetE1EEEvSW_.uses_vcc, 0
	.set _ZN7rocprim17ROCPRIM_400000_NS6detail17trampoline_kernelINS0_14default_configENS1_27lower_bound_config_selectorIjlEEZNS1_14transform_implILb0ES3_S5_N6thrust23THRUST_200600_302600_NS6detail15normal_iteratorINS8_7pointerIjNS8_11hip_rocprim5par_tENS8_11use_defaultESE_EEEENSA_INSB_IlSD_SE_SE_EEEEZNS1_13binary_searchIS3_S5_PjSG_SI_NS1_21lower_bound_search_opENS9_16wrapped_functionINS8_6system6detail7generic6detail18binary_search_lessEbEEEE10hipError_tPvRmT1_T2_T3_mmT4_T5_P12ihipStream_tbEUlRKjE_EEST_SX_SY_mSZ_S12_bEUlT_E_NS1_11comp_targetILNS1_3genE5ELNS1_11target_archE942ELNS1_3gpuE9ELNS1_3repE0EEENS1_30default_config_static_selectorELNS0_4arch9wavefront6targetE1EEEvSW_.uses_flat_scratch, 0
	.set _ZN7rocprim17ROCPRIM_400000_NS6detail17trampoline_kernelINS0_14default_configENS1_27lower_bound_config_selectorIjlEEZNS1_14transform_implILb0ES3_S5_N6thrust23THRUST_200600_302600_NS6detail15normal_iteratorINS8_7pointerIjNS8_11hip_rocprim5par_tENS8_11use_defaultESE_EEEENSA_INSB_IlSD_SE_SE_EEEEZNS1_13binary_searchIS3_S5_PjSG_SI_NS1_21lower_bound_search_opENS9_16wrapped_functionINS8_6system6detail7generic6detail18binary_search_lessEbEEEE10hipError_tPvRmT1_T2_T3_mmT4_T5_P12ihipStream_tbEUlRKjE_EEST_SX_SY_mSZ_S12_bEUlT_E_NS1_11comp_targetILNS1_3genE5ELNS1_11target_archE942ELNS1_3gpuE9ELNS1_3repE0EEENS1_30default_config_static_selectorELNS0_4arch9wavefront6targetE1EEEvSW_.has_dyn_sized_stack, 0
	.set _ZN7rocprim17ROCPRIM_400000_NS6detail17trampoline_kernelINS0_14default_configENS1_27lower_bound_config_selectorIjlEEZNS1_14transform_implILb0ES3_S5_N6thrust23THRUST_200600_302600_NS6detail15normal_iteratorINS8_7pointerIjNS8_11hip_rocprim5par_tENS8_11use_defaultESE_EEEENSA_INSB_IlSD_SE_SE_EEEEZNS1_13binary_searchIS3_S5_PjSG_SI_NS1_21lower_bound_search_opENS9_16wrapped_functionINS8_6system6detail7generic6detail18binary_search_lessEbEEEE10hipError_tPvRmT1_T2_T3_mmT4_T5_P12ihipStream_tbEUlRKjE_EEST_SX_SY_mSZ_S12_bEUlT_E_NS1_11comp_targetILNS1_3genE5ELNS1_11target_archE942ELNS1_3gpuE9ELNS1_3repE0EEENS1_30default_config_static_selectorELNS0_4arch9wavefront6targetE1EEEvSW_.has_recursion, 0
	.set _ZN7rocprim17ROCPRIM_400000_NS6detail17trampoline_kernelINS0_14default_configENS1_27lower_bound_config_selectorIjlEEZNS1_14transform_implILb0ES3_S5_N6thrust23THRUST_200600_302600_NS6detail15normal_iteratorINS8_7pointerIjNS8_11hip_rocprim5par_tENS8_11use_defaultESE_EEEENSA_INSB_IlSD_SE_SE_EEEEZNS1_13binary_searchIS3_S5_PjSG_SI_NS1_21lower_bound_search_opENS9_16wrapped_functionINS8_6system6detail7generic6detail18binary_search_lessEbEEEE10hipError_tPvRmT1_T2_T3_mmT4_T5_P12ihipStream_tbEUlRKjE_EEST_SX_SY_mSZ_S12_bEUlT_E_NS1_11comp_targetILNS1_3genE5ELNS1_11target_archE942ELNS1_3gpuE9ELNS1_3repE0EEENS1_30default_config_static_selectorELNS0_4arch9wavefront6targetE1EEEvSW_.has_indirect_call, 0
	.section	.AMDGPU.csdata,"",@progbits
; Kernel info:
; codeLenInByte = 0
; TotalNumSgprs: 4
; NumVgprs: 0
; ScratchSize: 0
; MemoryBound: 0
; FloatMode: 240
; IeeeMode: 1
; LDSByteSize: 0 bytes/workgroup (compile time only)
; SGPRBlocks: 0
; VGPRBlocks: 0
; NumSGPRsForWavesPerEU: 4
; NumVGPRsForWavesPerEU: 1
; Occupancy: 10
; WaveLimiterHint : 0
; COMPUTE_PGM_RSRC2:SCRATCH_EN: 0
; COMPUTE_PGM_RSRC2:USER_SGPR: 6
; COMPUTE_PGM_RSRC2:TRAP_HANDLER: 0
; COMPUTE_PGM_RSRC2:TGID_X_EN: 1
; COMPUTE_PGM_RSRC2:TGID_Y_EN: 0
; COMPUTE_PGM_RSRC2:TGID_Z_EN: 0
; COMPUTE_PGM_RSRC2:TIDIG_COMP_CNT: 0
	.section	.text._ZN7rocprim17ROCPRIM_400000_NS6detail17trampoline_kernelINS0_14default_configENS1_27lower_bound_config_selectorIjlEEZNS1_14transform_implILb0ES3_S5_N6thrust23THRUST_200600_302600_NS6detail15normal_iteratorINS8_7pointerIjNS8_11hip_rocprim5par_tENS8_11use_defaultESE_EEEENSA_INSB_IlSD_SE_SE_EEEEZNS1_13binary_searchIS3_S5_PjSG_SI_NS1_21lower_bound_search_opENS9_16wrapped_functionINS8_6system6detail7generic6detail18binary_search_lessEbEEEE10hipError_tPvRmT1_T2_T3_mmT4_T5_P12ihipStream_tbEUlRKjE_EEST_SX_SY_mSZ_S12_bEUlT_E_NS1_11comp_targetILNS1_3genE4ELNS1_11target_archE910ELNS1_3gpuE8ELNS1_3repE0EEENS1_30default_config_static_selectorELNS0_4arch9wavefront6targetE1EEEvSW_,"axG",@progbits,_ZN7rocprim17ROCPRIM_400000_NS6detail17trampoline_kernelINS0_14default_configENS1_27lower_bound_config_selectorIjlEEZNS1_14transform_implILb0ES3_S5_N6thrust23THRUST_200600_302600_NS6detail15normal_iteratorINS8_7pointerIjNS8_11hip_rocprim5par_tENS8_11use_defaultESE_EEEENSA_INSB_IlSD_SE_SE_EEEEZNS1_13binary_searchIS3_S5_PjSG_SI_NS1_21lower_bound_search_opENS9_16wrapped_functionINS8_6system6detail7generic6detail18binary_search_lessEbEEEE10hipError_tPvRmT1_T2_T3_mmT4_T5_P12ihipStream_tbEUlRKjE_EEST_SX_SY_mSZ_S12_bEUlT_E_NS1_11comp_targetILNS1_3genE4ELNS1_11target_archE910ELNS1_3gpuE8ELNS1_3repE0EEENS1_30default_config_static_selectorELNS0_4arch9wavefront6targetE1EEEvSW_,comdat
	.protected	_ZN7rocprim17ROCPRIM_400000_NS6detail17trampoline_kernelINS0_14default_configENS1_27lower_bound_config_selectorIjlEEZNS1_14transform_implILb0ES3_S5_N6thrust23THRUST_200600_302600_NS6detail15normal_iteratorINS8_7pointerIjNS8_11hip_rocprim5par_tENS8_11use_defaultESE_EEEENSA_INSB_IlSD_SE_SE_EEEEZNS1_13binary_searchIS3_S5_PjSG_SI_NS1_21lower_bound_search_opENS9_16wrapped_functionINS8_6system6detail7generic6detail18binary_search_lessEbEEEE10hipError_tPvRmT1_T2_T3_mmT4_T5_P12ihipStream_tbEUlRKjE_EEST_SX_SY_mSZ_S12_bEUlT_E_NS1_11comp_targetILNS1_3genE4ELNS1_11target_archE910ELNS1_3gpuE8ELNS1_3repE0EEENS1_30default_config_static_selectorELNS0_4arch9wavefront6targetE1EEEvSW_ ; -- Begin function _ZN7rocprim17ROCPRIM_400000_NS6detail17trampoline_kernelINS0_14default_configENS1_27lower_bound_config_selectorIjlEEZNS1_14transform_implILb0ES3_S5_N6thrust23THRUST_200600_302600_NS6detail15normal_iteratorINS8_7pointerIjNS8_11hip_rocprim5par_tENS8_11use_defaultESE_EEEENSA_INSB_IlSD_SE_SE_EEEEZNS1_13binary_searchIS3_S5_PjSG_SI_NS1_21lower_bound_search_opENS9_16wrapped_functionINS8_6system6detail7generic6detail18binary_search_lessEbEEEE10hipError_tPvRmT1_T2_T3_mmT4_T5_P12ihipStream_tbEUlRKjE_EEST_SX_SY_mSZ_S12_bEUlT_E_NS1_11comp_targetILNS1_3genE4ELNS1_11target_archE910ELNS1_3gpuE8ELNS1_3repE0EEENS1_30default_config_static_selectorELNS0_4arch9wavefront6targetE1EEEvSW_
	.globl	_ZN7rocprim17ROCPRIM_400000_NS6detail17trampoline_kernelINS0_14default_configENS1_27lower_bound_config_selectorIjlEEZNS1_14transform_implILb0ES3_S5_N6thrust23THRUST_200600_302600_NS6detail15normal_iteratorINS8_7pointerIjNS8_11hip_rocprim5par_tENS8_11use_defaultESE_EEEENSA_INSB_IlSD_SE_SE_EEEEZNS1_13binary_searchIS3_S5_PjSG_SI_NS1_21lower_bound_search_opENS9_16wrapped_functionINS8_6system6detail7generic6detail18binary_search_lessEbEEEE10hipError_tPvRmT1_T2_T3_mmT4_T5_P12ihipStream_tbEUlRKjE_EEST_SX_SY_mSZ_S12_bEUlT_E_NS1_11comp_targetILNS1_3genE4ELNS1_11target_archE910ELNS1_3gpuE8ELNS1_3repE0EEENS1_30default_config_static_selectorELNS0_4arch9wavefront6targetE1EEEvSW_
	.p2align	8
	.type	_ZN7rocprim17ROCPRIM_400000_NS6detail17trampoline_kernelINS0_14default_configENS1_27lower_bound_config_selectorIjlEEZNS1_14transform_implILb0ES3_S5_N6thrust23THRUST_200600_302600_NS6detail15normal_iteratorINS8_7pointerIjNS8_11hip_rocprim5par_tENS8_11use_defaultESE_EEEENSA_INSB_IlSD_SE_SE_EEEEZNS1_13binary_searchIS3_S5_PjSG_SI_NS1_21lower_bound_search_opENS9_16wrapped_functionINS8_6system6detail7generic6detail18binary_search_lessEbEEEE10hipError_tPvRmT1_T2_T3_mmT4_T5_P12ihipStream_tbEUlRKjE_EEST_SX_SY_mSZ_S12_bEUlT_E_NS1_11comp_targetILNS1_3genE4ELNS1_11target_archE910ELNS1_3gpuE8ELNS1_3repE0EEENS1_30default_config_static_selectorELNS0_4arch9wavefront6targetE1EEEvSW_,@function
_ZN7rocprim17ROCPRIM_400000_NS6detail17trampoline_kernelINS0_14default_configENS1_27lower_bound_config_selectorIjlEEZNS1_14transform_implILb0ES3_S5_N6thrust23THRUST_200600_302600_NS6detail15normal_iteratorINS8_7pointerIjNS8_11hip_rocprim5par_tENS8_11use_defaultESE_EEEENSA_INSB_IlSD_SE_SE_EEEEZNS1_13binary_searchIS3_S5_PjSG_SI_NS1_21lower_bound_search_opENS9_16wrapped_functionINS8_6system6detail7generic6detail18binary_search_lessEbEEEE10hipError_tPvRmT1_T2_T3_mmT4_T5_P12ihipStream_tbEUlRKjE_EEST_SX_SY_mSZ_S12_bEUlT_E_NS1_11comp_targetILNS1_3genE4ELNS1_11target_archE910ELNS1_3gpuE8ELNS1_3repE0EEENS1_30default_config_static_selectorELNS0_4arch9wavefront6targetE1EEEvSW_: ; @_ZN7rocprim17ROCPRIM_400000_NS6detail17trampoline_kernelINS0_14default_configENS1_27lower_bound_config_selectorIjlEEZNS1_14transform_implILb0ES3_S5_N6thrust23THRUST_200600_302600_NS6detail15normal_iteratorINS8_7pointerIjNS8_11hip_rocprim5par_tENS8_11use_defaultESE_EEEENSA_INSB_IlSD_SE_SE_EEEEZNS1_13binary_searchIS3_S5_PjSG_SI_NS1_21lower_bound_search_opENS9_16wrapped_functionINS8_6system6detail7generic6detail18binary_search_lessEbEEEE10hipError_tPvRmT1_T2_T3_mmT4_T5_P12ihipStream_tbEUlRKjE_EEST_SX_SY_mSZ_S12_bEUlT_E_NS1_11comp_targetILNS1_3genE4ELNS1_11target_archE910ELNS1_3gpuE8ELNS1_3repE0EEENS1_30default_config_static_selectorELNS0_4arch9wavefront6targetE1EEEvSW_
; %bb.0:
	.section	.rodata,"a",@progbits
	.p2align	6, 0x0
	.amdhsa_kernel _ZN7rocprim17ROCPRIM_400000_NS6detail17trampoline_kernelINS0_14default_configENS1_27lower_bound_config_selectorIjlEEZNS1_14transform_implILb0ES3_S5_N6thrust23THRUST_200600_302600_NS6detail15normal_iteratorINS8_7pointerIjNS8_11hip_rocprim5par_tENS8_11use_defaultESE_EEEENSA_INSB_IlSD_SE_SE_EEEEZNS1_13binary_searchIS3_S5_PjSG_SI_NS1_21lower_bound_search_opENS9_16wrapped_functionINS8_6system6detail7generic6detail18binary_search_lessEbEEEE10hipError_tPvRmT1_T2_T3_mmT4_T5_P12ihipStream_tbEUlRKjE_EEST_SX_SY_mSZ_S12_bEUlT_E_NS1_11comp_targetILNS1_3genE4ELNS1_11target_archE910ELNS1_3gpuE8ELNS1_3repE0EEENS1_30default_config_static_selectorELNS0_4arch9wavefront6targetE1EEEvSW_
		.amdhsa_group_segment_fixed_size 0
		.amdhsa_private_segment_fixed_size 0
		.amdhsa_kernarg_size 56
		.amdhsa_user_sgpr_count 6
		.amdhsa_user_sgpr_private_segment_buffer 1
		.amdhsa_user_sgpr_dispatch_ptr 0
		.amdhsa_user_sgpr_queue_ptr 0
		.amdhsa_user_sgpr_kernarg_segment_ptr 1
		.amdhsa_user_sgpr_dispatch_id 0
		.amdhsa_user_sgpr_flat_scratch_init 0
		.amdhsa_user_sgpr_private_segment_size 0
		.amdhsa_uses_dynamic_stack 0
		.amdhsa_system_sgpr_private_segment_wavefront_offset 0
		.amdhsa_system_sgpr_workgroup_id_x 1
		.amdhsa_system_sgpr_workgroup_id_y 0
		.amdhsa_system_sgpr_workgroup_id_z 0
		.amdhsa_system_sgpr_workgroup_info 0
		.amdhsa_system_vgpr_workitem_id 0
		.amdhsa_next_free_vgpr 1
		.amdhsa_next_free_sgpr 0
		.amdhsa_reserve_vcc 0
		.amdhsa_reserve_flat_scratch 0
		.amdhsa_float_round_mode_32 0
		.amdhsa_float_round_mode_16_64 0
		.amdhsa_float_denorm_mode_32 3
		.amdhsa_float_denorm_mode_16_64 3
		.amdhsa_dx10_clamp 1
		.amdhsa_ieee_mode 1
		.amdhsa_fp16_overflow 0
		.amdhsa_exception_fp_ieee_invalid_op 0
		.amdhsa_exception_fp_denorm_src 0
		.amdhsa_exception_fp_ieee_div_zero 0
		.amdhsa_exception_fp_ieee_overflow 0
		.amdhsa_exception_fp_ieee_underflow 0
		.amdhsa_exception_fp_ieee_inexact 0
		.amdhsa_exception_int_div_zero 0
	.end_amdhsa_kernel
	.section	.text._ZN7rocprim17ROCPRIM_400000_NS6detail17trampoline_kernelINS0_14default_configENS1_27lower_bound_config_selectorIjlEEZNS1_14transform_implILb0ES3_S5_N6thrust23THRUST_200600_302600_NS6detail15normal_iteratorINS8_7pointerIjNS8_11hip_rocprim5par_tENS8_11use_defaultESE_EEEENSA_INSB_IlSD_SE_SE_EEEEZNS1_13binary_searchIS3_S5_PjSG_SI_NS1_21lower_bound_search_opENS9_16wrapped_functionINS8_6system6detail7generic6detail18binary_search_lessEbEEEE10hipError_tPvRmT1_T2_T3_mmT4_T5_P12ihipStream_tbEUlRKjE_EEST_SX_SY_mSZ_S12_bEUlT_E_NS1_11comp_targetILNS1_3genE4ELNS1_11target_archE910ELNS1_3gpuE8ELNS1_3repE0EEENS1_30default_config_static_selectorELNS0_4arch9wavefront6targetE1EEEvSW_,"axG",@progbits,_ZN7rocprim17ROCPRIM_400000_NS6detail17trampoline_kernelINS0_14default_configENS1_27lower_bound_config_selectorIjlEEZNS1_14transform_implILb0ES3_S5_N6thrust23THRUST_200600_302600_NS6detail15normal_iteratorINS8_7pointerIjNS8_11hip_rocprim5par_tENS8_11use_defaultESE_EEEENSA_INSB_IlSD_SE_SE_EEEEZNS1_13binary_searchIS3_S5_PjSG_SI_NS1_21lower_bound_search_opENS9_16wrapped_functionINS8_6system6detail7generic6detail18binary_search_lessEbEEEE10hipError_tPvRmT1_T2_T3_mmT4_T5_P12ihipStream_tbEUlRKjE_EEST_SX_SY_mSZ_S12_bEUlT_E_NS1_11comp_targetILNS1_3genE4ELNS1_11target_archE910ELNS1_3gpuE8ELNS1_3repE0EEENS1_30default_config_static_selectorELNS0_4arch9wavefront6targetE1EEEvSW_,comdat
.Lfunc_end75:
	.size	_ZN7rocprim17ROCPRIM_400000_NS6detail17trampoline_kernelINS0_14default_configENS1_27lower_bound_config_selectorIjlEEZNS1_14transform_implILb0ES3_S5_N6thrust23THRUST_200600_302600_NS6detail15normal_iteratorINS8_7pointerIjNS8_11hip_rocprim5par_tENS8_11use_defaultESE_EEEENSA_INSB_IlSD_SE_SE_EEEEZNS1_13binary_searchIS3_S5_PjSG_SI_NS1_21lower_bound_search_opENS9_16wrapped_functionINS8_6system6detail7generic6detail18binary_search_lessEbEEEE10hipError_tPvRmT1_T2_T3_mmT4_T5_P12ihipStream_tbEUlRKjE_EEST_SX_SY_mSZ_S12_bEUlT_E_NS1_11comp_targetILNS1_3genE4ELNS1_11target_archE910ELNS1_3gpuE8ELNS1_3repE0EEENS1_30default_config_static_selectorELNS0_4arch9wavefront6targetE1EEEvSW_, .Lfunc_end75-_ZN7rocprim17ROCPRIM_400000_NS6detail17trampoline_kernelINS0_14default_configENS1_27lower_bound_config_selectorIjlEEZNS1_14transform_implILb0ES3_S5_N6thrust23THRUST_200600_302600_NS6detail15normal_iteratorINS8_7pointerIjNS8_11hip_rocprim5par_tENS8_11use_defaultESE_EEEENSA_INSB_IlSD_SE_SE_EEEEZNS1_13binary_searchIS3_S5_PjSG_SI_NS1_21lower_bound_search_opENS9_16wrapped_functionINS8_6system6detail7generic6detail18binary_search_lessEbEEEE10hipError_tPvRmT1_T2_T3_mmT4_T5_P12ihipStream_tbEUlRKjE_EEST_SX_SY_mSZ_S12_bEUlT_E_NS1_11comp_targetILNS1_3genE4ELNS1_11target_archE910ELNS1_3gpuE8ELNS1_3repE0EEENS1_30default_config_static_selectorELNS0_4arch9wavefront6targetE1EEEvSW_
                                        ; -- End function
	.set _ZN7rocprim17ROCPRIM_400000_NS6detail17trampoline_kernelINS0_14default_configENS1_27lower_bound_config_selectorIjlEEZNS1_14transform_implILb0ES3_S5_N6thrust23THRUST_200600_302600_NS6detail15normal_iteratorINS8_7pointerIjNS8_11hip_rocprim5par_tENS8_11use_defaultESE_EEEENSA_INSB_IlSD_SE_SE_EEEEZNS1_13binary_searchIS3_S5_PjSG_SI_NS1_21lower_bound_search_opENS9_16wrapped_functionINS8_6system6detail7generic6detail18binary_search_lessEbEEEE10hipError_tPvRmT1_T2_T3_mmT4_T5_P12ihipStream_tbEUlRKjE_EEST_SX_SY_mSZ_S12_bEUlT_E_NS1_11comp_targetILNS1_3genE4ELNS1_11target_archE910ELNS1_3gpuE8ELNS1_3repE0EEENS1_30default_config_static_selectorELNS0_4arch9wavefront6targetE1EEEvSW_.num_vgpr, 0
	.set _ZN7rocprim17ROCPRIM_400000_NS6detail17trampoline_kernelINS0_14default_configENS1_27lower_bound_config_selectorIjlEEZNS1_14transform_implILb0ES3_S5_N6thrust23THRUST_200600_302600_NS6detail15normal_iteratorINS8_7pointerIjNS8_11hip_rocprim5par_tENS8_11use_defaultESE_EEEENSA_INSB_IlSD_SE_SE_EEEEZNS1_13binary_searchIS3_S5_PjSG_SI_NS1_21lower_bound_search_opENS9_16wrapped_functionINS8_6system6detail7generic6detail18binary_search_lessEbEEEE10hipError_tPvRmT1_T2_T3_mmT4_T5_P12ihipStream_tbEUlRKjE_EEST_SX_SY_mSZ_S12_bEUlT_E_NS1_11comp_targetILNS1_3genE4ELNS1_11target_archE910ELNS1_3gpuE8ELNS1_3repE0EEENS1_30default_config_static_selectorELNS0_4arch9wavefront6targetE1EEEvSW_.num_agpr, 0
	.set _ZN7rocprim17ROCPRIM_400000_NS6detail17trampoline_kernelINS0_14default_configENS1_27lower_bound_config_selectorIjlEEZNS1_14transform_implILb0ES3_S5_N6thrust23THRUST_200600_302600_NS6detail15normal_iteratorINS8_7pointerIjNS8_11hip_rocprim5par_tENS8_11use_defaultESE_EEEENSA_INSB_IlSD_SE_SE_EEEEZNS1_13binary_searchIS3_S5_PjSG_SI_NS1_21lower_bound_search_opENS9_16wrapped_functionINS8_6system6detail7generic6detail18binary_search_lessEbEEEE10hipError_tPvRmT1_T2_T3_mmT4_T5_P12ihipStream_tbEUlRKjE_EEST_SX_SY_mSZ_S12_bEUlT_E_NS1_11comp_targetILNS1_3genE4ELNS1_11target_archE910ELNS1_3gpuE8ELNS1_3repE0EEENS1_30default_config_static_selectorELNS0_4arch9wavefront6targetE1EEEvSW_.numbered_sgpr, 0
	.set _ZN7rocprim17ROCPRIM_400000_NS6detail17trampoline_kernelINS0_14default_configENS1_27lower_bound_config_selectorIjlEEZNS1_14transform_implILb0ES3_S5_N6thrust23THRUST_200600_302600_NS6detail15normal_iteratorINS8_7pointerIjNS8_11hip_rocprim5par_tENS8_11use_defaultESE_EEEENSA_INSB_IlSD_SE_SE_EEEEZNS1_13binary_searchIS3_S5_PjSG_SI_NS1_21lower_bound_search_opENS9_16wrapped_functionINS8_6system6detail7generic6detail18binary_search_lessEbEEEE10hipError_tPvRmT1_T2_T3_mmT4_T5_P12ihipStream_tbEUlRKjE_EEST_SX_SY_mSZ_S12_bEUlT_E_NS1_11comp_targetILNS1_3genE4ELNS1_11target_archE910ELNS1_3gpuE8ELNS1_3repE0EEENS1_30default_config_static_selectorELNS0_4arch9wavefront6targetE1EEEvSW_.num_named_barrier, 0
	.set _ZN7rocprim17ROCPRIM_400000_NS6detail17trampoline_kernelINS0_14default_configENS1_27lower_bound_config_selectorIjlEEZNS1_14transform_implILb0ES3_S5_N6thrust23THRUST_200600_302600_NS6detail15normal_iteratorINS8_7pointerIjNS8_11hip_rocprim5par_tENS8_11use_defaultESE_EEEENSA_INSB_IlSD_SE_SE_EEEEZNS1_13binary_searchIS3_S5_PjSG_SI_NS1_21lower_bound_search_opENS9_16wrapped_functionINS8_6system6detail7generic6detail18binary_search_lessEbEEEE10hipError_tPvRmT1_T2_T3_mmT4_T5_P12ihipStream_tbEUlRKjE_EEST_SX_SY_mSZ_S12_bEUlT_E_NS1_11comp_targetILNS1_3genE4ELNS1_11target_archE910ELNS1_3gpuE8ELNS1_3repE0EEENS1_30default_config_static_selectorELNS0_4arch9wavefront6targetE1EEEvSW_.private_seg_size, 0
	.set _ZN7rocprim17ROCPRIM_400000_NS6detail17trampoline_kernelINS0_14default_configENS1_27lower_bound_config_selectorIjlEEZNS1_14transform_implILb0ES3_S5_N6thrust23THRUST_200600_302600_NS6detail15normal_iteratorINS8_7pointerIjNS8_11hip_rocprim5par_tENS8_11use_defaultESE_EEEENSA_INSB_IlSD_SE_SE_EEEEZNS1_13binary_searchIS3_S5_PjSG_SI_NS1_21lower_bound_search_opENS9_16wrapped_functionINS8_6system6detail7generic6detail18binary_search_lessEbEEEE10hipError_tPvRmT1_T2_T3_mmT4_T5_P12ihipStream_tbEUlRKjE_EEST_SX_SY_mSZ_S12_bEUlT_E_NS1_11comp_targetILNS1_3genE4ELNS1_11target_archE910ELNS1_3gpuE8ELNS1_3repE0EEENS1_30default_config_static_selectorELNS0_4arch9wavefront6targetE1EEEvSW_.uses_vcc, 0
	.set _ZN7rocprim17ROCPRIM_400000_NS6detail17trampoline_kernelINS0_14default_configENS1_27lower_bound_config_selectorIjlEEZNS1_14transform_implILb0ES3_S5_N6thrust23THRUST_200600_302600_NS6detail15normal_iteratorINS8_7pointerIjNS8_11hip_rocprim5par_tENS8_11use_defaultESE_EEEENSA_INSB_IlSD_SE_SE_EEEEZNS1_13binary_searchIS3_S5_PjSG_SI_NS1_21lower_bound_search_opENS9_16wrapped_functionINS8_6system6detail7generic6detail18binary_search_lessEbEEEE10hipError_tPvRmT1_T2_T3_mmT4_T5_P12ihipStream_tbEUlRKjE_EEST_SX_SY_mSZ_S12_bEUlT_E_NS1_11comp_targetILNS1_3genE4ELNS1_11target_archE910ELNS1_3gpuE8ELNS1_3repE0EEENS1_30default_config_static_selectorELNS0_4arch9wavefront6targetE1EEEvSW_.uses_flat_scratch, 0
	.set _ZN7rocprim17ROCPRIM_400000_NS6detail17trampoline_kernelINS0_14default_configENS1_27lower_bound_config_selectorIjlEEZNS1_14transform_implILb0ES3_S5_N6thrust23THRUST_200600_302600_NS6detail15normal_iteratorINS8_7pointerIjNS8_11hip_rocprim5par_tENS8_11use_defaultESE_EEEENSA_INSB_IlSD_SE_SE_EEEEZNS1_13binary_searchIS3_S5_PjSG_SI_NS1_21lower_bound_search_opENS9_16wrapped_functionINS8_6system6detail7generic6detail18binary_search_lessEbEEEE10hipError_tPvRmT1_T2_T3_mmT4_T5_P12ihipStream_tbEUlRKjE_EEST_SX_SY_mSZ_S12_bEUlT_E_NS1_11comp_targetILNS1_3genE4ELNS1_11target_archE910ELNS1_3gpuE8ELNS1_3repE0EEENS1_30default_config_static_selectorELNS0_4arch9wavefront6targetE1EEEvSW_.has_dyn_sized_stack, 0
	.set _ZN7rocprim17ROCPRIM_400000_NS6detail17trampoline_kernelINS0_14default_configENS1_27lower_bound_config_selectorIjlEEZNS1_14transform_implILb0ES3_S5_N6thrust23THRUST_200600_302600_NS6detail15normal_iteratorINS8_7pointerIjNS8_11hip_rocprim5par_tENS8_11use_defaultESE_EEEENSA_INSB_IlSD_SE_SE_EEEEZNS1_13binary_searchIS3_S5_PjSG_SI_NS1_21lower_bound_search_opENS9_16wrapped_functionINS8_6system6detail7generic6detail18binary_search_lessEbEEEE10hipError_tPvRmT1_T2_T3_mmT4_T5_P12ihipStream_tbEUlRKjE_EEST_SX_SY_mSZ_S12_bEUlT_E_NS1_11comp_targetILNS1_3genE4ELNS1_11target_archE910ELNS1_3gpuE8ELNS1_3repE0EEENS1_30default_config_static_selectorELNS0_4arch9wavefront6targetE1EEEvSW_.has_recursion, 0
	.set _ZN7rocprim17ROCPRIM_400000_NS6detail17trampoline_kernelINS0_14default_configENS1_27lower_bound_config_selectorIjlEEZNS1_14transform_implILb0ES3_S5_N6thrust23THRUST_200600_302600_NS6detail15normal_iteratorINS8_7pointerIjNS8_11hip_rocprim5par_tENS8_11use_defaultESE_EEEENSA_INSB_IlSD_SE_SE_EEEEZNS1_13binary_searchIS3_S5_PjSG_SI_NS1_21lower_bound_search_opENS9_16wrapped_functionINS8_6system6detail7generic6detail18binary_search_lessEbEEEE10hipError_tPvRmT1_T2_T3_mmT4_T5_P12ihipStream_tbEUlRKjE_EEST_SX_SY_mSZ_S12_bEUlT_E_NS1_11comp_targetILNS1_3genE4ELNS1_11target_archE910ELNS1_3gpuE8ELNS1_3repE0EEENS1_30default_config_static_selectorELNS0_4arch9wavefront6targetE1EEEvSW_.has_indirect_call, 0
	.section	.AMDGPU.csdata,"",@progbits
; Kernel info:
; codeLenInByte = 0
; TotalNumSgprs: 4
; NumVgprs: 0
; ScratchSize: 0
; MemoryBound: 0
; FloatMode: 240
; IeeeMode: 1
; LDSByteSize: 0 bytes/workgroup (compile time only)
; SGPRBlocks: 0
; VGPRBlocks: 0
; NumSGPRsForWavesPerEU: 4
; NumVGPRsForWavesPerEU: 1
; Occupancy: 10
; WaveLimiterHint : 0
; COMPUTE_PGM_RSRC2:SCRATCH_EN: 0
; COMPUTE_PGM_RSRC2:USER_SGPR: 6
; COMPUTE_PGM_RSRC2:TRAP_HANDLER: 0
; COMPUTE_PGM_RSRC2:TGID_X_EN: 1
; COMPUTE_PGM_RSRC2:TGID_Y_EN: 0
; COMPUTE_PGM_RSRC2:TGID_Z_EN: 0
; COMPUTE_PGM_RSRC2:TIDIG_COMP_CNT: 0
	.section	.text._ZN7rocprim17ROCPRIM_400000_NS6detail17trampoline_kernelINS0_14default_configENS1_27lower_bound_config_selectorIjlEEZNS1_14transform_implILb0ES3_S5_N6thrust23THRUST_200600_302600_NS6detail15normal_iteratorINS8_7pointerIjNS8_11hip_rocprim5par_tENS8_11use_defaultESE_EEEENSA_INSB_IlSD_SE_SE_EEEEZNS1_13binary_searchIS3_S5_PjSG_SI_NS1_21lower_bound_search_opENS9_16wrapped_functionINS8_6system6detail7generic6detail18binary_search_lessEbEEEE10hipError_tPvRmT1_T2_T3_mmT4_T5_P12ihipStream_tbEUlRKjE_EEST_SX_SY_mSZ_S12_bEUlT_E_NS1_11comp_targetILNS1_3genE3ELNS1_11target_archE908ELNS1_3gpuE7ELNS1_3repE0EEENS1_30default_config_static_selectorELNS0_4arch9wavefront6targetE1EEEvSW_,"axG",@progbits,_ZN7rocprim17ROCPRIM_400000_NS6detail17trampoline_kernelINS0_14default_configENS1_27lower_bound_config_selectorIjlEEZNS1_14transform_implILb0ES3_S5_N6thrust23THRUST_200600_302600_NS6detail15normal_iteratorINS8_7pointerIjNS8_11hip_rocprim5par_tENS8_11use_defaultESE_EEEENSA_INSB_IlSD_SE_SE_EEEEZNS1_13binary_searchIS3_S5_PjSG_SI_NS1_21lower_bound_search_opENS9_16wrapped_functionINS8_6system6detail7generic6detail18binary_search_lessEbEEEE10hipError_tPvRmT1_T2_T3_mmT4_T5_P12ihipStream_tbEUlRKjE_EEST_SX_SY_mSZ_S12_bEUlT_E_NS1_11comp_targetILNS1_3genE3ELNS1_11target_archE908ELNS1_3gpuE7ELNS1_3repE0EEENS1_30default_config_static_selectorELNS0_4arch9wavefront6targetE1EEEvSW_,comdat
	.protected	_ZN7rocprim17ROCPRIM_400000_NS6detail17trampoline_kernelINS0_14default_configENS1_27lower_bound_config_selectorIjlEEZNS1_14transform_implILb0ES3_S5_N6thrust23THRUST_200600_302600_NS6detail15normal_iteratorINS8_7pointerIjNS8_11hip_rocprim5par_tENS8_11use_defaultESE_EEEENSA_INSB_IlSD_SE_SE_EEEEZNS1_13binary_searchIS3_S5_PjSG_SI_NS1_21lower_bound_search_opENS9_16wrapped_functionINS8_6system6detail7generic6detail18binary_search_lessEbEEEE10hipError_tPvRmT1_T2_T3_mmT4_T5_P12ihipStream_tbEUlRKjE_EEST_SX_SY_mSZ_S12_bEUlT_E_NS1_11comp_targetILNS1_3genE3ELNS1_11target_archE908ELNS1_3gpuE7ELNS1_3repE0EEENS1_30default_config_static_selectorELNS0_4arch9wavefront6targetE1EEEvSW_ ; -- Begin function _ZN7rocprim17ROCPRIM_400000_NS6detail17trampoline_kernelINS0_14default_configENS1_27lower_bound_config_selectorIjlEEZNS1_14transform_implILb0ES3_S5_N6thrust23THRUST_200600_302600_NS6detail15normal_iteratorINS8_7pointerIjNS8_11hip_rocprim5par_tENS8_11use_defaultESE_EEEENSA_INSB_IlSD_SE_SE_EEEEZNS1_13binary_searchIS3_S5_PjSG_SI_NS1_21lower_bound_search_opENS9_16wrapped_functionINS8_6system6detail7generic6detail18binary_search_lessEbEEEE10hipError_tPvRmT1_T2_T3_mmT4_T5_P12ihipStream_tbEUlRKjE_EEST_SX_SY_mSZ_S12_bEUlT_E_NS1_11comp_targetILNS1_3genE3ELNS1_11target_archE908ELNS1_3gpuE7ELNS1_3repE0EEENS1_30default_config_static_selectorELNS0_4arch9wavefront6targetE1EEEvSW_
	.globl	_ZN7rocprim17ROCPRIM_400000_NS6detail17trampoline_kernelINS0_14default_configENS1_27lower_bound_config_selectorIjlEEZNS1_14transform_implILb0ES3_S5_N6thrust23THRUST_200600_302600_NS6detail15normal_iteratorINS8_7pointerIjNS8_11hip_rocprim5par_tENS8_11use_defaultESE_EEEENSA_INSB_IlSD_SE_SE_EEEEZNS1_13binary_searchIS3_S5_PjSG_SI_NS1_21lower_bound_search_opENS9_16wrapped_functionINS8_6system6detail7generic6detail18binary_search_lessEbEEEE10hipError_tPvRmT1_T2_T3_mmT4_T5_P12ihipStream_tbEUlRKjE_EEST_SX_SY_mSZ_S12_bEUlT_E_NS1_11comp_targetILNS1_3genE3ELNS1_11target_archE908ELNS1_3gpuE7ELNS1_3repE0EEENS1_30default_config_static_selectorELNS0_4arch9wavefront6targetE1EEEvSW_
	.p2align	8
	.type	_ZN7rocprim17ROCPRIM_400000_NS6detail17trampoline_kernelINS0_14default_configENS1_27lower_bound_config_selectorIjlEEZNS1_14transform_implILb0ES3_S5_N6thrust23THRUST_200600_302600_NS6detail15normal_iteratorINS8_7pointerIjNS8_11hip_rocprim5par_tENS8_11use_defaultESE_EEEENSA_INSB_IlSD_SE_SE_EEEEZNS1_13binary_searchIS3_S5_PjSG_SI_NS1_21lower_bound_search_opENS9_16wrapped_functionINS8_6system6detail7generic6detail18binary_search_lessEbEEEE10hipError_tPvRmT1_T2_T3_mmT4_T5_P12ihipStream_tbEUlRKjE_EEST_SX_SY_mSZ_S12_bEUlT_E_NS1_11comp_targetILNS1_3genE3ELNS1_11target_archE908ELNS1_3gpuE7ELNS1_3repE0EEENS1_30default_config_static_selectorELNS0_4arch9wavefront6targetE1EEEvSW_,@function
_ZN7rocprim17ROCPRIM_400000_NS6detail17trampoline_kernelINS0_14default_configENS1_27lower_bound_config_selectorIjlEEZNS1_14transform_implILb0ES3_S5_N6thrust23THRUST_200600_302600_NS6detail15normal_iteratorINS8_7pointerIjNS8_11hip_rocprim5par_tENS8_11use_defaultESE_EEEENSA_INSB_IlSD_SE_SE_EEEEZNS1_13binary_searchIS3_S5_PjSG_SI_NS1_21lower_bound_search_opENS9_16wrapped_functionINS8_6system6detail7generic6detail18binary_search_lessEbEEEE10hipError_tPvRmT1_T2_T3_mmT4_T5_P12ihipStream_tbEUlRKjE_EEST_SX_SY_mSZ_S12_bEUlT_E_NS1_11comp_targetILNS1_3genE3ELNS1_11target_archE908ELNS1_3gpuE7ELNS1_3repE0EEENS1_30default_config_static_selectorELNS0_4arch9wavefront6targetE1EEEvSW_: ; @_ZN7rocprim17ROCPRIM_400000_NS6detail17trampoline_kernelINS0_14default_configENS1_27lower_bound_config_selectorIjlEEZNS1_14transform_implILb0ES3_S5_N6thrust23THRUST_200600_302600_NS6detail15normal_iteratorINS8_7pointerIjNS8_11hip_rocprim5par_tENS8_11use_defaultESE_EEEENSA_INSB_IlSD_SE_SE_EEEEZNS1_13binary_searchIS3_S5_PjSG_SI_NS1_21lower_bound_search_opENS9_16wrapped_functionINS8_6system6detail7generic6detail18binary_search_lessEbEEEE10hipError_tPvRmT1_T2_T3_mmT4_T5_P12ihipStream_tbEUlRKjE_EEST_SX_SY_mSZ_S12_bEUlT_E_NS1_11comp_targetILNS1_3genE3ELNS1_11target_archE908ELNS1_3gpuE7ELNS1_3repE0EEENS1_30default_config_static_selectorELNS0_4arch9wavefront6targetE1EEEvSW_
; %bb.0:
	.section	.rodata,"a",@progbits
	.p2align	6, 0x0
	.amdhsa_kernel _ZN7rocprim17ROCPRIM_400000_NS6detail17trampoline_kernelINS0_14default_configENS1_27lower_bound_config_selectorIjlEEZNS1_14transform_implILb0ES3_S5_N6thrust23THRUST_200600_302600_NS6detail15normal_iteratorINS8_7pointerIjNS8_11hip_rocprim5par_tENS8_11use_defaultESE_EEEENSA_INSB_IlSD_SE_SE_EEEEZNS1_13binary_searchIS3_S5_PjSG_SI_NS1_21lower_bound_search_opENS9_16wrapped_functionINS8_6system6detail7generic6detail18binary_search_lessEbEEEE10hipError_tPvRmT1_T2_T3_mmT4_T5_P12ihipStream_tbEUlRKjE_EEST_SX_SY_mSZ_S12_bEUlT_E_NS1_11comp_targetILNS1_3genE3ELNS1_11target_archE908ELNS1_3gpuE7ELNS1_3repE0EEENS1_30default_config_static_selectorELNS0_4arch9wavefront6targetE1EEEvSW_
		.amdhsa_group_segment_fixed_size 0
		.amdhsa_private_segment_fixed_size 0
		.amdhsa_kernarg_size 56
		.amdhsa_user_sgpr_count 6
		.amdhsa_user_sgpr_private_segment_buffer 1
		.amdhsa_user_sgpr_dispatch_ptr 0
		.amdhsa_user_sgpr_queue_ptr 0
		.amdhsa_user_sgpr_kernarg_segment_ptr 1
		.amdhsa_user_sgpr_dispatch_id 0
		.amdhsa_user_sgpr_flat_scratch_init 0
		.amdhsa_user_sgpr_private_segment_size 0
		.amdhsa_uses_dynamic_stack 0
		.amdhsa_system_sgpr_private_segment_wavefront_offset 0
		.amdhsa_system_sgpr_workgroup_id_x 1
		.amdhsa_system_sgpr_workgroup_id_y 0
		.amdhsa_system_sgpr_workgroup_id_z 0
		.amdhsa_system_sgpr_workgroup_info 0
		.amdhsa_system_vgpr_workitem_id 0
		.amdhsa_next_free_vgpr 1
		.amdhsa_next_free_sgpr 0
		.amdhsa_reserve_vcc 0
		.amdhsa_reserve_flat_scratch 0
		.amdhsa_float_round_mode_32 0
		.amdhsa_float_round_mode_16_64 0
		.amdhsa_float_denorm_mode_32 3
		.amdhsa_float_denorm_mode_16_64 3
		.amdhsa_dx10_clamp 1
		.amdhsa_ieee_mode 1
		.amdhsa_fp16_overflow 0
		.amdhsa_exception_fp_ieee_invalid_op 0
		.amdhsa_exception_fp_denorm_src 0
		.amdhsa_exception_fp_ieee_div_zero 0
		.amdhsa_exception_fp_ieee_overflow 0
		.amdhsa_exception_fp_ieee_underflow 0
		.amdhsa_exception_fp_ieee_inexact 0
		.amdhsa_exception_int_div_zero 0
	.end_amdhsa_kernel
	.section	.text._ZN7rocprim17ROCPRIM_400000_NS6detail17trampoline_kernelINS0_14default_configENS1_27lower_bound_config_selectorIjlEEZNS1_14transform_implILb0ES3_S5_N6thrust23THRUST_200600_302600_NS6detail15normal_iteratorINS8_7pointerIjNS8_11hip_rocprim5par_tENS8_11use_defaultESE_EEEENSA_INSB_IlSD_SE_SE_EEEEZNS1_13binary_searchIS3_S5_PjSG_SI_NS1_21lower_bound_search_opENS9_16wrapped_functionINS8_6system6detail7generic6detail18binary_search_lessEbEEEE10hipError_tPvRmT1_T2_T3_mmT4_T5_P12ihipStream_tbEUlRKjE_EEST_SX_SY_mSZ_S12_bEUlT_E_NS1_11comp_targetILNS1_3genE3ELNS1_11target_archE908ELNS1_3gpuE7ELNS1_3repE0EEENS1_30default_config_static_selectorELNS0_4arch9wavefront6targetE1EEEvSW_,"axG",@progbits,_ZN7rocprim17ROCPRIM_400000_NS6detail17trampoline_kernelINS0_14default_configENS1_27lower_bound_config_selectorIjlEEZNS1_14transform_implILb0ES3_S5_N6thrust23THRUST_200600_302600_NS6detail15normal_iteratorINS8_7pointerIjNS8_11hip_rocprim5par_tENS8_11use_defaultESE_EEEENSA_INSB_IlSD_SE_SE_EEEEZNS1_13binary_searchIS3_S5_PjSG_SI_NS1_21lower_bound_search_opENS9_16wrapped_functionINS8_6system6detail7generic6detail18binary_search_lessEbEEEE10hipError_tPvRmT1_T2_T3_mmT4_T5_P12ihipStream_tbEUlRKjE_EEST_SX_SY_mSZ_S12_bEUlT_E_NS1_11comp_targetILNS1_3genE3ELNS1_11target_archE908ELNS1_3gpuE7ELNS1_3repE0EEENS1_30default_config_static_selectorELNS0_4arch9wavefront6targetE1EEEvSW_,comdat
.Lfunc_end76:
	.size	_ZN7rocprim17ROCPRIM_400000_NS6detail17trampoline_kernelINS0_14default_configENS1_27lower_bound_config_selectorIjlEEZNS1_14transform_implILb0ES3_S5_N6thrust23THRUST_200600_302600_NS6detail15normal_iteratorINS8_7pointerIjNS8_11hip_rocprim5par_tENS8_11use_defaultESE_EEEENSA_INSB_IlSD_SE_SE_EEEEZNS1_13binary_searchIS3_S5_PjSG_SI_NS1_21lower_bound_search_opENS9_16wrapped_functionINS8_6system6detail7generic6detail18binary_search_lessEbEEEE10hipError_tPvRmT1_T2_T3_mmT4_T5_P12ihipStream_tbEUlRKjE_EEST_SX_SY_mSZ_S12_bEUlT_E_NS1_11comp_targetILNS1_3genE3ELNS1_11target_archE908ELNS1_3gpuE7ELNS1_3repE0EEENS1_30default_config_static_selectorELNS0_4arch9wavefront6targetE1EEEvSW_, .Lfunc_end76-_ZN7rocprim17ROCPRIM_400000_NS6detail17trampoline_kernelINS0_14default_configENS1_27lower_bound_config_selectorIjlEEZNS1_14transform_implILb0ES3_S5_N6thrust23THRUST_200600_302600_NS6detail15normal_iteratorINS8_7pointerIjNS8_11hip_rocprim5par_tENS8_11use_defaultESE_EEEENSA_INSB_IlSD_SE_SE_EEEEZNS1_13binary_searchIS3_S5_PjSG_SI_NS1_21lower_bound_search_opENS9_16wrapped_functionINS8_6system6detail7generic6detail18binary_search_lessEbEEEE10hipError_tPvRmT1_T2_T3_mmT4_T5_P12ihipStream_tbEUlRKjE_EEST_SX_SY_mSZ_S12_bEUlT_E_NS1_11comp_targetILNS1_3genE3ELNS1_11target_archE908ELNS1_3gpuE7ELNS1_3repE0EEENS1_30default_config_static_selectorELNS0_4arch9wavefront6targetE1EEEvSW_
                                        ; -- End function
	.set _ZN7rocprim17ROCPRIM_400000_NS6detail17trampoline_kernelINS0_14default_configENS1_27lower_bound_config_selectorIjlEEZNS1_14transform_implILb0ES3_S5_N6thrust23THRUST_200600_302600_NS6detail15normal_iteratorINS8_7pointerIjNS8_11hip_rocprim5par_tENS8_11use_defaultESE_EEEENSA_INSB_IlSD_SE_SE_EEEEZNS1_13binary_searchIS3_S5_PjSG_SI_NS1_21lower_bound_search_opENS9_16wrapped_functionINS8_6system6detail7generic6detail18binary_search_lessEbEEEE10hipError_tPvRmT1_T2_T3_mmT4_T5_P12ihipStream_tbEUlRKjE_EEST_SX_SY_mSZ_S12_bEUlT_E_NS1_11comp_targetILNS1_3genE3ELNS1_11target_archE908ELNS1_3gpuE7ELNS1_3repE0EEENS1_30default_config_static_selectorELNS0_4arch9wavefront6targetE1EEEvSW_.num_vgpr, 0
	.set _ZN7rocprim17ROCPRIM_400000_NS6detail17trampoline_kernelINS0_14default_configENS1_27lower_bound_config_selectorIjlEEZNS1_14transform_implILb0ES3_S5_N6thrust23THRUST_200600_302600_NS6detail15normal_iteratorINS8_7pointerIjNS8_11hip_rocprim5par_tENS8_11use_defaultESE_EEEENSA_INSB_IlSD_SE_SE_EEEEZNS1_13binary_searchIS3_S5_PjSG_SI_NS1_21lower_bound_search_opENS9_16wrapped_functionINS8_6system6detail7generic6detail18binary_search_lessEbEEEE10hipError_tPvRmT1_T2_T3_mmT4_T5_P12ihipStream_tbEUlRKjE_EEST_SX_SY_mSZ_S12_bEUlT_E_NS1_11comp_targetILNS1_3genE3ELNS1_11target_archE908ELNS1_3gpuE7ELNS1_3repE0EEENS1_30default_config_static_selectorELNS0_4arch9wavefront6targetE1EEEvSW_.num_agpr, 0
	.set _ZN7rocprim17ROCPRIM_400000_NS6detail17trampoline_kernelINS0_14default_configENS1_27lower_bound_config_selectorIjlEEZNS1_14transform_implILb0ES3_S5_N6thrust23THRUST_200600_302600_NS6detail15normal_iteratorINS8_7pointerIjNS8_11hip_rocprim5par_tENS8_11use_defaultESE_EEEENSA_INSB_IlSD_SE_SE_EEEEZNS1_13binary_searchIS3_S5_PjSG_SI_NS1_21lower_bound_search_opENS9_16wrapped_functionINS8_6system6detail7generic6detail18binary_search_lessEbEEEE10hipError_tPvRmT1_T2_T3_mmT4_T5_P12ihipStream_tbEUlRKjE_EEST_SX_SY_mSZ_S12_bEUlT_E_NS1_11comp_targetILNS1_3genE3ELNS1_11target_archE908ELNS1_3gpuE7ELNS1_3repE0EEENS1_30default_config_static_selectorELNS0_4arch9wavefront6targetE1EEEvSW_.numbered_sgpr, 0
	.set _ZN7rocprim17ROCPRIM_400000_NS6detail17trampoline_kernelINS0_14default_configENS1_27lower_bound_config_selectorIjlEEZNS1_14transform_implILb0ES3_S5_N6thrust23THRUST_200600_302600_NS6detail15normal_iteratorINS8_7pointerIjNS8_11hip_rocprim5par_tENS8_11use_defaultESE_EEEENSA_INSB_IlSD_SE_SE_EEEEZNS1_13binary_searchIS3_S5_PjSG_SI_NS1_21lower_bound_search_opENS9_16wrapped_functionINS8_6system6detail7generic6detail18binary_search_lessEbEEEE10hipError_tPvRmT1_T2_T3_mmT4_T5_P12ihipStream_tbEUlRKjE_EEST_SX_SY_mSZ_S12_bEUlT_E_NS1_11comp_targetILNS1_3genE3ELNS1_11target_archE908ELNS1_3gpuE7ELNS1_3repE0EEENS1_30default_config_static_selectorELNS0_4arch9wavefront6targetE1EEEvSW_.num_named_barrier, 0
	.set _ZN7rocprim17ROCPRIM_400000_NS6detail17trampoline_kernelINS0_14default_configENS1_27lower_bound_config_selectorIjlEEZNS1_14transform_implILb0ES3_S5_N6thrust23THRUST_200600_302600_NS6detail15normal_iteratorINS8_7pointerIjNS8_11hip_rocprim5par_tENS8_11use_defaultESE_EEEENSA_INSB_IlSD_SE_SE_EEEEZNS1_13binary_searchIS3_S5_PjSG_SI_NS1_21lower_bound_search_opENS9_16wrapped_functionINS8_6system6detail7generic6detail18binary_search_lessEbEEEE10hipError_tPvRmT1_T2_T3_mmT4_T5_P12ihipStream_tbEUlRKjE_EEST_SX_SY_mSZ_S12_bEUlT_E_NS1_11comp_targetILNS1_3genE3ELNS1_11target_archE908ELNS1_3gpuE7ELNS1_3repE0EEENS1_30default_config_static_selectorELNS0_4arch9wavefront6targetE1EEEvSW_.private_seg_size, 0
	.set _ZN7rocprim17ROCPRIM_400000_NS6detail17trampoline_kernelINS0_14default_configENS1_27lower_bound_config_selectorIjlEEZNS1_14transform_implILb0ES3_S5_N6thrust23THRUST_200600_302600_NS6detail15normal_iteratorINS8_7pointerIjNS8_11hip_rocprim5par_tENS8_11use_defaultESE_EEEENSA_INSB_IlSD_SE_SE_EEEEZNS1_13binary_searchIS3_S5_PjSG_SI_NS1_21lower_bound_search_opENS9_16wrapped_functionINS8_6system6detail7generic6detail18binary_search_lessEbEEEE10hipError_tPvRmT1_T2_T3_mmT4_T5_P12ihipStream_tbEUlRKjE_EEST_SX_SY_mSZ_S12_bEUlT_E_NS1_11comp_targetILNS1_3genE3ELNS1_11target_archE908ELNS1_3gpuE7ELNS1_3repE0EEENS1_30default_config_static_selectorELNS0_4arch9wavefront6targetE1EEEvSW_.uses_vcc, 0
	.set _ZN7rocprim17ROCPRIM_400000_NS6detail17trampoline_kernelINS0_14default_configENS1_27lower_bound_config_selectorIjlEEZNS1_14transform_implILb0ES3_S5_N6thrust23THRUST_200600_302600_NS6detail15normal_iteratorINS8_7pointerIjNS8_11hip_rocprim5par_tENS8_11use_defaultESE_EEEENSA_INSB_IlSD_SE_SE_EEEEZNS1_13binary_searchIS3_S5_PjSG_SI_NS1_21lower_bound_search_opENS9_16wrapped_functionINS8_6system6detail7generic6detail18binary_search_lessEbEEEE10hipError_tPvRmT1_T2_T3_mmT4_T5_P12ihipStream_tbEUlRKjE_EEST_SX_SY_mSZ_S12_bEUlT_E_NS1_11comp_targetILNS1_3genE3ELNS1_11target_archE908ELNS1_3gpuE7ELNS1_3repE0EEENS1_30default_config_static_selectorELNS0_4arch9wavefront6targetE1EEEvSW_.uses_flat_scratch, 0
	.set _ZN7rocprim17ROCPRIM_400000_NS6detail17trampoline_kernelINS0_14default_configENS1_27lower_bound_config_selectorIjlEEZNS1_14transform_implILb0ES3_S5_N6thrust23THRUST_200600_302600_NS6detail15normal_iteratorINS8_7pointerIjNS8_11hip_rocprim5par_tENS8_11use_defaultESE_EEEENSA_INSB_IlSD_SE_SE_EEEEZNS1_13binary_searchIS3_S5_PjSG_SI_NS1_21lower_bound_search_opENS9_16wrapped_functionINS8_6system6detail7generic6detail18binary_search_lessEbEEEE10hipError_tPvRmT1_T2_T3_mmT4_T5_P12ihipStream_tbEUlRKjE_EEST_SX_SY_mSZ_S12_bEUlT_E_NS1_11comp_targetILNS1_3genE3ELNS1_11target_archE908ELNS1_3gpuE7ELNS1_3repE0EEENS1_30default_config_static_selectorELNS0_4arch9wavefront6targetE1EEEvSW_.has_dyn_sized_stack, 0
	.set _ZN7rocprim17ROCPRIM_400000_NS6detail17trampoline_kernelINS0_14default_configENS1_27lower_bound_config_selectorIjlEEZNS1_14transform_implILb0ES3_S5_N6thrust23THRUST_200600_302600_NS6detail15normal_iteratorINS8_7pointerIjNS8_11hip_rocprim5par_tENS8_11use_defaultESE_EEEENSA_INSB_IlSD_SE_SE_EEEEZNS1_13binary_searchIS3_S5_PjSG_SI_NS1_21lower_bound_search_opENS9_16wrapped_functionINS8_6system6detail7generic6detail18binary_search_lessEbEEEE10hipError_tPvRmT1_T2_T3_mmT4_T5_P12ihipStream_tbEUlRKjE_EEST_SX_SY_mSZ_S12_bEUlT_E_NS1_11comp_targetILNS1_3genE3ELNS1_11target_archE908ELNS1_3gpuE7ELNS1_3repE0EEENS1_30default_config_static_selectorELNS0_4arch9wavefront6targetE1EEEvSW_.has_recursion, 0
	.set _ZN7rocprim17ROCPRIM_400000_NS6detail17trampoline_kernelINS0_14default_configENS1_27lower_bound_config_selectorIjlEEZNS1_14transform_implILb0ES3_S5_N6thrust23THRUST_200600_302600_NS6detail15normal_iteratorINS8_7pointerIjNS8_11hip_rocprim5par_tENS8_11use_defaultESE_EEEENSA_INSB_IlSD_SE_SE_EEEEZNS1_13binary_searchIS3_S5_PjSG_SI_NS1_21lower_bound_search_opENS9_16wrapped_functionINS8_6system6detail7generic6detail18binary_search_lessEbEEEE10hipError_tPvRmT1_T2_T3_mmT4_T5_P12ihipStream_tbEUlRKjE_EEST_SX_SY_mSZ_S12_bEUlT_E_NS1_11comp_targetILNS1_3genE3ELNS1_11target_archE908ELNS1_3gpuE7ELNS1_3repE0EEENS1_30default_config_static_selectorELNS0_4arch9wavefront6targetE1EEEvSW_.has_indirect_call, 0
	.section	.AMDGPU.csdata,"",@progbits
; Kernel info:
; codeLenInByte = 0
; TotalNumSgprs: 4
; NumVgprs: 0
; ScratchSize: 0
; MemoryBound: 0
; FloatMode: 240
; IeeeMode: 1
; LDSByteSize: 0 bytes/workgroup (compile time only)
; SGPRBlocks: 0
; VGPRBlocks: 0
; NumSGPRsForWavesPerEU: 4
; NumVGPRsForWavesPerEU: 1
; Occupancy: 10
; WaveLimiterHint : 0
; COMPUTE_PGM_RSRC2:SCRATCH_EN: 0
; COMPUTE_PGM_RSRC2:USER_SGPR: 6
; COMPUTE_PGM_RSRC2:TRAP_HANDLER: 0
; COMPUTE_PGM_RSRC2:TGID_X_EN: 1
; COMPUTE_PGM_RSRC2:TGID_Y_EN: 0
; COMPUTE_PGM_RSRC2:TGID_Z_EN: 0
; COMPUTE_PGM_RSRC2:TIDIG_COMP_CNT: 0
	.section	.text._ZN7rocprim17ROCPRIM_400000_NS6detail17trampoline_kernelINS0_14default_configENS1_27lower_bound_config_selectorIjlEEZNS1_14transform_implILb0ES3_S5_N6thrust23THRUST_200600_302600_NS6detail15normal_iteratorINS8_7pointerIjNS8_11hip_rocprim5par_tENS8_11use_defaultESE_EEEENSA_INSB_IlSD_SE_SE_EEEEZNS1_13binary_searchIS3_S5_PjSG_SI_NS1_21lower_bound_search_opENS9_16wrapped_functionINS8_6system6detail7generic6detail18binary_search_lessEbEEEE10hipError_tPvRmT1_T2_T3_mmT4_T5_P12ihipStream_tbEUlRKjE_EEST_SX_SY_mSZ_S12_bEUlT_E_NS1_11comp_targetILNS1_3genE2ELNS1_11target_archE906ELNS1_3gpuE6ELNS1_3repE0EEENS1_30default_config_static_selectorELNS0_4arch9wavefront6targetE1EEEvSW_,"axG",@progbits,_ZN7rocprim17ROCPRIM_400000_NS6detail17trampoline_kernelINS0_14default_configENS1_27lower_bound_config_selectorIjlEEZNS1_14transform_implILb0ES3_S5_N6thrust23THRUST_200600_302600_NS6detail15normal_iteratorINS8_7pointerIjNS8_11hip_rocprim5par_tENS8_11use_defaultESE_EEEENSA_INSB_IlSD_SE_SE_EEEEZNS1_13binary_searchIS3_S5_PjSG_SI_NS1_21lower_bound_search_opENS9_16wrapped_functionINS8_6system6detail7generic6detail18binary_search_lessEbEEEE10hipError_tPvRmT1_T2_T3_mmT4_T5_P12ihipStream_tbEUlRKjE_EEST_SX_SY_mSZ_S12_bEUlT_E_NS1_11comp_targetILNS1_3genE2ELNS1_11target_archE906ELNS1_3gpuE6ELNS1_3repE0EEENS1_30default_config_static_selectorELNS0_4arch9wavefront6targetE1EEEvSW_,comdat
	.protected	_ZN7rocprim17ROCPRIM_400000_NS6detail17trampoline_kernelINS0_14default_configENS1_27lower_bound_config_selectorIjlEEZNS1_14transform_implILb0ES3_S5_N6thrust23THRUST_200600_302600_NS6detail15normal_iteratorINS8_7pointerIjNS8_11hip_rocprim5par_tENS8_11use_defaultESE_EEEENSA_INSB_IlSD_SE_SE_EEEEZNS1_13binary_searchIS3_S5_PjSG_SI_NS1_21lower_bound_search_opENS9_16wrapped_functionINS8_6system6detail7generic6detail18binary_search_lessEbEEEE10hipError_tPvRmT1_T2_T3_mmT4_T5_P12ihipStream_tbEUlRKjE_EEST_SX_SY_mSZ_S12_bEUlT_E_NS1_11comp_targetILNS1_3genE2ELNS1_11target_archE906ELNS1_3gpuE6ELNS1_3repE0EEENS1_30default_config_static_selectorELNS0_4arch9wavefront6targetE1EEEvSW_ ; -- Begin function _ZN7rocprim17ROCPRIM_400000_NS6detail17trampoline_kernelINS0_14default_configENS1_27lower_bound_config_selectorIjlEEZNS1_14transform_implILb0ES3_S5_N6thrust23THRUST_200600_302600_NS6detail15normal_iteratorINS8_7pointerIjNS8_11hip_rocprim5par_tENS8_11use_defaultESE_EEEENSA_INSB_IlSD_SE_SE_EEEEZNS1_13binary_searchIS3_S5_PjSG_SI_NS1_21lower_bound_search_opENS9_16wrapped_functionINS8_6system6detail7generic6detail18binary_search_lessEbEEEE10hipError_tPvRmT1_T2_T3_mmT4_T5_P12ihipStream_tbEUlRKjE_EEST_SX_SY_mSZ_S12_bEUlT_E_NS1_11comp_targetILNS1_3genE2ELNS1_11target_archE906ELNS1_3gpuE6ELNS1_3repE0EEENS1_30default_config_static_selectorELNS0_4arch9wavefront6targetE1EEEvSW_
	.globl	_ZN7rocprim17ROCPRIM_400000_NS6detail17trampoline_kernelINS0_14default_configENS1_27lower_bound_config_selectorIjlEEZNS1_14transform_implILb0ES3_S5_N6thrust23THRUST_200600_302600_NS6detail15normal_iteratorINS8_7pointerIjNS8_11hip_rocprim5par_tENS8_11use_defaultESE_EEEENSA_INSB_IlSD_SE_SE_EEEEZNS1_13binary_searchIS3_S5_PjSG_SI_NS1_21lower_bound_search_opENS9_16wrapped_functionINS8_6system6detail7generic6detail18binary_search_lessEbEEEE10hipError_tPvRmT1_T2_T3_mmT4_T5_P12ihipStream_tbEUlRKjE_EEST_SX_SY_mSZ_S12_bEUlT_E_NS1_11comp_targetILNS1_3genE2ELNS1_11target_archE906ELNS1_3gpuE6ELNS1_3repE0EEENS1_30default_config_static_selectorELNS0_4arch9wavefront6targetE1EEEvSW_
	.p2align	8
	.type	_ZN7rocprim17ROCPRIM_400000_NS6detail17trampoline_kernelINS0_14default_configENS1_27lower_bound_config_selectorIjlEEZNS1_14transform_implILb0ES3_S5_N6thrust23THRUST_200600_302600_NS6detail15normal_iteratorINS8_7pointerIjNS8_11hip_rocprim5par_tENS8_11use_defaultESE_EEEENSA_INSB_IlSD_SE_SE_EEEEZNS1_13binary_searchIS3_S5_PjSG_SI_NS1_21lower_bound_search_opENS9_16wrapped_functionINS8_6system6detail7generic6detail18binary_search_lessEbEEEE10hipError_tPvRmT1_T2_T3_mmT4_T5_P12ihipStream_tbEUlRKjE_EEST_SX_SY_mSZ_S12_bEUlT_E_NS1_11comp_targetILNS1_3genE2ELNS1_11target_archE906ELNS1_3gpuE6ELNS1_3repE0EEENS1_30default_config_static_selectorELNS0_4arch9wavefront6targetE1EEEvSW_,@function
_ZN7rocprim17ROCPRIM_400000_NS6detail17trampoline_kernelINS0_14default_configENS1_27lower_bound_config_selectorIjlEEZNS1_14transform_implILb0ES3_S5_N6thrust23THRUST_200600_302600_NS6detail15normal_iteratorINS8_7pointerIjNS8_11hip_rocprim5par_tENS8_11use_defaultESE_EEEENSA_INSB_IlSD_SE_SE_EEEEZNS1_13binary_searchIS3_S5_PjSG_SI_NS1_21lower_bound_search_opENS9_16wrapped_functionINS8_6system6detail7generic6detail18binary_search_lessEbEEEE10hipError_tPvRmT1_T2_T3_mmT4_T5_P12ihipStream_tbEUlRKjE_EEST_SX_SY_mSZ_S12_bEUlT_E_NS1_11comp_targetILNS1_3genE2ELNS1_11target_archE906ELNS1_3gpuE6ELNS1_3repE0EEENS1_30default_config_static_selectorELNS0_4arch9wavefront6targetE1EEEvSW_: ; @_ZN7rocprim17ROCPRIM_400000_NS6detail17trampoline_kernelINS0_14default_configENS1_27lower_bound_config_selectorIjlEEZNS1_14transform_implILb0ES3_S5_N6thrust23THRUST_200600_302600_NS6detail15normal_iteratorINS8_7pointerIjNS8_11hip_rocprim5par_tENS8_11use_defaultESE_EEEENSA_INSB_IlSD_SE_SE_EEEEZNS1_13binary_searchIS3_S5_PjSG_SI_NS1_21lower_bound_search_opENS9_16wrapped_functionINS8_6system6detail7generic6detail18binary_search_lessEbEEEE10hipError_tPvRmT1_T2_T3_mmT4_T5_P12ihipStream_tbEUlRKjE_EEST_SX_SY_mSZ_S12_bEUlT_E_NS1_11comp_targetILNS1_3genE2ELNS1_11target_archE906ELNS1_3gpuE6ELNS1_3repE0EEENS1_30default_config_static_selectorELNS0_4arch9wavefront6targetE1EEEvSW_
; %bb.0:
	s_load_dwordx4 s[16:19], s[4:5], 0x0
	s_load_dwordx4 s[8:11], s[4:5], 0x18
	s_load_dwordx2 s[12:13], s[4:5], 0x28
	s_load_dword s15, s[4:5], 0x38
	s_waitcnt lgkmcnt(0)
	s_lshl_b64 s[0:1], s[18:19], 2
	s_add_u32 s2, s16, s0
	s_addc_u32 s3, s17, s1
	s_lshl_b64 s[0:1], s[18:19], 3
	s_add_u32 s7, s8, s0
	s_addc_u32 s14, s9, s1
	s_lshl_b32 s8, s6, 8
	s_add_i32 s15, s15, -1
	s_mov_b32 s9, 0
	s_cmp_lg_u32 s6, s15
	s_mov_b64 s[0:1], -1
	s_cbranch_scc0 .LBB77_7
; %bb.1:
	s_cmp_eq_u64 s[12:13], 0
	s_mov_b64 s[0:1], 0
	s_cbranch_scc1 .LBB77_5
; %bb.2:
	s_lshl_b64 s[16:17], s[8:9], 2
	s_add_u32 s6, s2, s16
	s_addc_u32 s15, s3, s17
	v_lshlrev_b32_e32 v1, 2, v0
	v_mov_b32_e32 v2, s15
	v_add_co_u32_e32 v1, vcc, s6, v1
	v_addc_co_u32_e32 v2, vcc, 0, v2, vcc
	flat_load_dword v5, v[1:2]
	v_mov_b32_e32 v1, 0
	v_mov_b32_e32 v3, s12
	;; [unrolled: 1-line block ×5, first 2 shown]
.LBB77_3:                               ; =>This Inner Loop Header: Depth=1
	v_sub_co_u32_e32 v7, vcc, v3, v1
	v_subb_co_u32_e32 v8, vcc, v4, v2, vcc
	v_lshrrev_b64 v[9:10], 1, v[7:8]
	v_lshrrev_b64 v[7:8], 6, v[7:8]
	v_add_co_u32_e32 v9, vcc, v9, v1
	v_addc_co_u32_e32 v10, vcc, v10, v2, vcc
	v_add_co_u32_e32 v7, vcc, v9, v7
	v_addc_co_u32_e32 v8, vcc, v10, v8, vcc
	v_lshlrev_b64 v[9:10], 2, v[7:8]
	v_add_co_u32_e32 v9, vcc, s10, v9
	v_addc_co_u32_e32 v10, vcc, v6, v10, vcc
	global_load_dword v9, v[9:10], off
	v_add_co_u32_e32 v10, vcc, 1, v7
	v_addc_co_u32_e32 v11, vcc, 0, v8, vcc
	s_waitcnt vmcnt(0) lgkmcnt(0)
	v_cmp_lt_u32_e32 vcc, v9, v5
	v_cndmask_b32_e32 v4, v8, v4, vcc
	v_cndmask_b32_e32 v3, v7, v3, vcc
	;; [unrolled: 1-line block ×4, first 2 shown]
	v_cmp_ge_u64_e32 vcc, v[1:2], v[3:4]
	s_or_b64 s[0:1], vcc, s[0:1]
	s_andn2_b64 exec, exec, s[0:1]
	s_cbranch_execnz .LBB77_3
; %bb.4:
	s_or_b64 exec, exec, s[0:1]
	s_branch .LBB77_6
.LBB77_5:
	v_mov_b32_e32 v1, 0
	v_mov_b32_e32 v2, 0
.LBB77_6:
	s_lshl_b64 s[0:1], s[8:9], 3
	s_add_u32 s0, s7, s0
	s_addc_u32 s1, s14, s1
	v_lshlrev_b32_e32 v3, 3, v0
	v_mov_b32_e32 v4, s1
	v_add_co_u32_e32 v3, vcc, s0, v3
	v_addc_co_u32_e32 v4, vcc, 0, v4, vcc
	s_mov_b64 s[0:1], 0
	flat_store_dwordx2 v[3:4], v[1:2]
.LBB77_7:
	s_and_b64 vcc, exec, s[0:1]
	s_cbranch_vccz .LBB77_16
; %bb.8:
	s_load_dword s0, s[4:5], 0x10
                                        ; implicit-def: $vgpr5
	s_waitcnt lgkmcnt(0)
	s_sub_i32 s4, s0, s8
	v_cmp_le_u32_e64 s[0:1], s4, v0
	v_cmp_gt_u32_e32 vcc, s4, v0
	s_and_saveexec_b64 s[4:5], vcc
	s_cbranch_execz .LBB77_10
; %bb.9:
	s_lshl_b64 s[16:17], s[8:9], 2
	s_add_u32 s2, s2, s16
	s_addc_u32 s3, s3, s17
	v_lshlrev_b32_e32 v1, 2, v0
	v_mov_b32_e32 v2, s3
	v_add_co_u32_e64 v1, s[2:3], s2, v1
	v_addc_co_u32_e64 v2, s[2:3], 0, v2, s[2:3]
	flat_load_dword v5, v[1:2]
.LBB77_10:
	s_or_b64 exec, exec, s[4:5]
	s_cmp_lg_u64 s[12:13], 0
	s_cselect_b64 s[4:5], -1, 0
	s_xor_b64 s[0:1], s[0:1], -1
	v_mov_b32_e32 v1, 0
	s_mov_b64 s[2:3], 0
	v_mov_b32_e32 v2, 0
	s_and_b64 s[0:1], s[0:1], s[4:5]
	s_and_saveexec_b64 s[4:5], s[0:1]
	s_cbranch_execz .LBB77_14
; %bb.11:
	v_mov_b32_e32 v1, 0
	v_mov_b32_e32 v3, s12
	;; [unrolled: 1-line block ×5, first 2 shown]
.LBB77_12:                              ; =>This Inner Loop Header: Depth=1
	v_sub_co_u32_e64 v7, s[0:1], v3, v1
	v_subb_co_u32_e64 v8, s[0:1], v4, v2, s[0:1]
	v_lshrrev_b64 v[9:10], 1, v[7:8]
	v_lshrrev_b64 v[7:8], 6, v[7:8]
	v_add_co_u32_e64 v9, s[0:1], v9, v1
	v_addc_co_u32_e64 v10, s[0:1], v10, v2, s[0:1]
	v_add_co_u32_e64 v7, s[0:1], v9, v7
	v_addc_co_u32_e64 v8, s[0:1], v10, v8, s[0:1]
	v_lshlrev_b64 v[9:10], 2, v[7:8]
	v_add_co_u32_e64 v9, s[0:1], s10, v9
	v_addc_co_u32_e64 v10, s[0:1], v6, v10, s[0:1]
	global_load_dword v9, v[9:10], off
	v_add_co_u32_e64 v10, s[0:1], 1, v7
	v_addc_co_u32_e64 v11, s[0:1], 0, v8, s[0:1]
	s_waitcnt vmcnt(0) lgkmcnt(0)
	v_cmp_lt_u32_e64 s[0:1], v9, v5
	v_cndmask_b32_e64 v4, v8, v4, s[0:1]
	v_cndmask_b32_e64 v3, v7, v3, s[0:1]
	;; [unrolled: 1-line block ×4, first 2 shown]
	v_cmp_ge_u64_e64 s[0:1], v[1:2], v[3:4]
	s_or_b64 s[2:3], s[0:1], s[2:3]
	s_andn2_b64 exec, exec, s[2:3]
	s_cbranch_execnz .LBB77_12
; %bb.13:
	s_or_b64 exec, exec, s[2:3]
.LBB77_14:
	s_or_b64 exec, exec, s[4:5]
	s_and_saveexec_b64 s[0:1], vcc
	s_cbranch_execz .LBB77_16
; %bb.15:
	s_lshl_b64 s[0:1], s[8:9], 3
	s_add_u32 s0, s7, s0
	s_addc_u32 s1, s14, s1
	v_lshlrev_b32_e32 v0, 3, v0
	v_mov_b32_e32 v4, s1
	v_add_co_u32_e32 v3, vcc, s0, v0
	v_addc_co_u32_e32 v4, vcc, 0, v4, vcc
	flat_store_dwordx2 v[3:4], v[1:2]
.LBB77_16:
	s_endpgm
	.section	.rodata,"a",@progbits
	.p2align	6, 0x0
	.amdhsa_kernel _ZN7rocprim17ROCPRIM_400000_NS6detail17trampoline_kernelINS0_14default_configENS1_27lower_bound_config_selectorIjlEEZNS1_14transform_implILb0ES3_S5_N6thrust23THRUST_200600_302600_NS6detail15normal_iteratorINS8_7pointerIjNS8_11hip_rocprim5par_tENS8_11use_defaultESE_EEEENSA_INSB_IlSD_SE_SE_EEEEZNS1_13binary_searchIS3_S5_PjSG_SI_NS1_21lower_bound_search_opENS9_16wrapped_functionINS8_6system6detail7generic6detail18binary_search_lessEbEEEE10hipError_tPvRmT1_T2_T3_mmT4_T5_P12ihipStream_tbEUlRKjE_EEST_SX_SY_mSZ_S12_bEUlT_E_NS1_11comp_targetILNS1_3genE2ELNS1_11target_archE906ELNS1_3gpuE6ELNS1_3repE0EEENS1_30default_config_static_selectorELNS0_4arch9wavefront6targetE1EEEvSW_
		.amdhsa_group_segment_fixed_size 0
		.amdhsa_private_segment_fixed_size 0
		.amdhsa_kernarg_size 312
		.amdhsa_user_sgpr_count 6
		.amdhsa_user_sgpr_private_segment_buffer 1
		.amdhsa_user_sgpr_dispatch_ptr 0
		.amdhsa_user_sgpr_queue_ptr 0
		.amdhsa_user_sgpr_kernarg_segment_ptr 1
		.amdhsa_user_sgpr_dispatch_id 0
		.amdhsa_user_sgpr_flat_scratch_init 0
		.amdhsa_user_sgpr_private_segment_size 0
		.amdhsa_uses_dynamic_stack 0
		.amdhsa_system_sgpr_private_segment_wavefront_offset 0
		.amdhsa_system_sgpr_workgroup_id_x 1
		.amdhsa_system_sgpr_workgroup_id_y 0
		.amdhsa_system_sgpr_workgroup_id_z 0
		.amdhsa_system_sgpr_workgroup_info 0
		.amdhsa_system_vgpr_workitem_id 0
		.amdhsa_next_free_vgpr 12
		.amdhsa_next_free_sgpr 20
		.amdhsa_reserve_vcc 1
		.amdhsa_reserve_flat_scratch 0
		.amdhsa_float_round_mode_32 0
		.amdhsa_float_round_mode_16_64 0
		.amdhsa_float_denorm_mode_32 3
		.amdhsa_float_denorm_mode_16_64 3
		.amdhsa_dx10_clamp 1
		.amdhsa_ieee_mode 1
		.amdhsa_fp16_overflow 0
		.amdhsa_exception_fp_ieee_invalid_op 0
		.amdhsa_exception_fp_denorm_src 0
		.amdhsa_exception_fp_ieee_div_zero 0
		.amdhsa_exception_fp_ieee_overflow 0
		.amdhsa_exception_fp_ieee_underflow 0
		.amdhsa_exception_fp_ieee_inexact 0
		.amdhsa_exception_int_div_zero 0
	.end_amdhsa_kernel
	.section	.text._ZN7rocprim17ROCPRIM_400000_NS6detail17trampoline_kernelINS0_14default_configENS1_27lower_bound_config_selectorIjlEEZNS1_14transform_implILb0ES3_S5_N6thrust23THRUST_200600_302600_NS6detail15normal_iteratorINS8_7pointerIjNS8_11hip_rocprim5par_tENS8_11use_defaultESE_EEEENSA_INSB_IlSD_SE_SE_EEEEZNS1_13binary_searchIS3_S5_PjSG_SI_NS1_21lower_bound_search_opENS9_16wrapped_functionINS8_6system6detail7generic6detail18binary_search_lessEbEEEE10hipError_tPvRmT1_T2_T3_mmT4_T5_P12ihipStream_tbEUlRKjE_EEST_SX_SY_mSZ_S12_bEUlT_E_NS1_11comp_targetILNS1_3genE2ELNS1_11target_archE906ELNS1_3gpuE6ELNS1_3repE0EEENS1_30default_config_static_selectorELNS0_4arch9wavefront6targetE1EEEvSW_,"axG",@progbits,_ZN7rocprim17ROCPRIM_400000_NS6detail17trampoline_kernelINS0_14default_configENS1_27lower_bound_config_selectorIjlEEZNS1_14transform_implILb0ES3_S5_N6thrust23THRUST_200600_302600_NS6detail15normal_iteratorINS8_7pointerIjNS8_11hip_rocprim5par_tENS8_11use_defaultESE_EEEENSA_INSB_IlSD_SE_SE_EEEEZNS1_13binary_searchIS3_S5_PjSG_SI_NS1_21lower_bound_search_opENS9_16wrapped_functionINS8_6system6detail7generic6detail18binary_search_lessEbEEEE10hipError_tPvRmT1_T2_T3_mmT4_T5_P12ihipStream_tbEUlRKjE_EEST_SX_SY_mSZ_S12_bEUlT_E_NS1_11comp_targetILNS1_3genE2ELNS1_11target_archE906ELNS1_3gpuE6ELNS1_3repE0EEENS1_30default_config_static_selectorELNS0_4arch9wavefront6targetE1EEEvSW_,comdat
.Lfunc_end77:
	.size	_ZN7rocprim17ROCPRIM_400000_NS6detail17trampoline_kernelINS0_14default_configENS1_27lower_bound_config_selectorIjlEEZNS1_14transform_implILb0ES3_S5_N6thrust23THRUST_200600_302600_NS6detail15normal_iteratorINS8_7pointerIjNS8_11hip_rocprim5par_tENS8_11use_defaultESE_EEEENSA_INSB_IlSD_SE_SE_EEEEZNS1_13binary_searchIS3_S5_PjSG_SI_NS1_21lower_bound_search_opENS9_16wrapped_functionINS8_6system6detail7generic6detail18binary_search_lessEbEEEE10hipError_tPvRmT1_T2_T3_mmT4_T5_P12ihipStream_tbEUlRKjE_EEST_SX_SY_mSZ_S12_bEUlT_E_NS1_11comp_targetILNS1_3genE2ELNS1_11target_archE906ELNS1_3gpuE6ELNS1_3repE0EEENS1_30default_config_static_selectorELNS0_4arch9wavefront6targetE1EEEvSW_, .Lfunc_end77-_ZN7rocprim17ROCPRIM_400000_NS6detail17trampoline_kernelINS0_14default_configENS1_27lower_bound_config_selectorIjlEEZNS1_14transform_implILb0ES3_S5_N6thrust23THRUST_200600_302600_NS6detail15normal_iteratorINS8_7pointerIjNS8_11hip_rocprim5par_tENS8_11use_defaultESE_EEEENSA_INSB_IlSD_SE_SE_EEEEZNS1_13binary_searchIS3_S5_PjSG_SI_NS1_21lower_bound_search_opENS9_16wrapped_functionINS8_6system6detail7generic6detail18binary_search_lessEbEEEE10hipError_tPvRmT1_T2_T3_mmT4_T5_P12ihipStream_tbEUlRKjE_EEST_SX_SY_mSZ_S12_bEUlT_E_NS1_11comp_targetILNS1_3genE2ELNS1_11target_archE906ELNS1_3gpuE6ELNS1_3repE0EEENS1_30default_config_static_selectorELNS0_4arch9wavefront6targetE1EEEvSW_
                                        ; -- End function
	.set _ZN7rocprim17ROCPRIM_400000_NS6detail17trampoline_kernelINS0_14default_configENS1_27lower_bound_config_selectorIjlEEZNS1_14transform_implILb0ES3_S5_N6thrust23THRUST_200600_302600_NS6detail15normal_iteratorINS8_7pointerIjNS8_11hip_rocprim5par_tENS8_11use_defaultESE_EEEENSA_INSB_IlSD_SE_SE_EEEEZNS1_13binary_searchIS3_S5_PjSG_SI_NS1_21lower_bound_search_opENS9_16wrapped_functionINS8_6system6detail7generic6detail18binary_search_lessEbEEEE10hipError_tPvRmT1_T2_T3_mmT4_T5_P12ihipStream_tbEUlRKjE_EEST_SX_SY_mSZ_S12_bEUlT_E_NS1_11comp_targetILNS1_3genE2ELNS1_11target_archE906ELNS1_3gpuE6ELNS1_3repE0EEENS1_30default_config_static_selectorELNS0_4arch9wavefront6targetE1EEEvSW_.num_vgpr, 12
	.set _ZN7rocprim17ROCPRIM_400000_NS6detail17trampoline_kernelINS0_14default_configENS1_27lower_bound_config_selectorIjlEEZNS1_14transform_implILb0ES3_S5_N6thrust23THRUST_200600_302600_NS6detail15normal_iteratorINS8_7pointerIjNS8_11hip_rocprim5par_tENS8_11use_defaultESE_EEEENSA_INSB_IlSD_SE_SE_EEEEZNS1_13binary_searchIS3_S5_PjSG_SI_NS1_21lower_bound_search_opENS9_16wrapped_functionINS8_6system6detail7generic6detail18binary_search_lessEbEEEE10hipError_tPvRmT1_T2_T3_mmT4_T5_P12ihipStream_tbEUlRKjE_EEST_SX_SY_mSZ_S12_bEUlT_E_NS1_11comp_targetILNS1_3genE2ELNS1_11target_archE906ELNS1_3gpuE6ELNS1_3repE0EEENS1_30default_config_static_selectorELNS0_4arch9wavefront6targetE1EEEvSW_.num_agpr, 0
	.set _ZN7rocprim17ROCPRIM_400000_NS6detail17trampoline_kernelINS0_14default_configENS1_27lower_bound_config_selectorIjlEEZNS1_14transform_implILb0ES3_S5_N6thrust23THRUST_200600_302600_NS6detail15normal_iteratorINS8_7pointerIjNS8_11hip_rocprim5par_tENS8_11use_defaultESE_EEEENSA_INSB_IlSD_SE_SE_EEEEZNS1_13binary_searchIS3_S5_PjSG_SI_NS1_21lower_bound_search_opENS9_16wrapped_functionINS8_6system6detail7generic6detail18binary_search_lessEbEEEE10hipError_tPvRmT1_T2_T3_mmT4_T5_P12ihipStream_tbEUlRKjE_EEST_SX_SY_mSZ_S12_bEUlT_E_NS1_11comp_targetILNS1_3genE2ELNS1_11target_archE906ELNS1_3gpuE6ELNS1_3repE0EEENS1_30default_config_static_selectorELNS0_4arch9wavefront6targetE1EEEvSW_.numbered_sgpr, 20
	.set _ZN7rocprim17ROCPRIM_400000_NS6detail17trampoline_kernelINS0_14default_configENS1_27lower_bound_config_selectorIjlEEZNS1_14transform_implILb0ES3_S5_N6thrust23THRUST_200600_302600_NS6detail15normal_iteratorINS8_7pointerIjNS8_11hip_rocprim5par_tENS8_11use_defaultESE_EEEENSA_INSB_IlSD_SE_SE_EEEEZNS1_13binary_searchIS3_S5_PjSG_SI_NS1_21lower_bound_search_opENS9_16wrapped_functionINS8_6system6detail7generic6detail18binary_search_lessEbEEEE10hipError_tPvRmT1_T2_T3_mmT4_T5_P12ihipStream_tbEUlRKjE_EEST_SX_SY_mSZ_S12_bEUlT_E_NS1_11comp_targetILNS1_3genE2ELNS1_11target_archE906ELNS1_3gpuE6ELNS1_3repE0EEENS1_30default_config_static_selectorELNS0_4arch9wavefront6targetE1EEEvSW_.num_named_barrier, 0
	.set _ZN7rocprim17ROCPRIM_400000_NS6detail17trampoline_kernelINS0_14default_configENS1_27lower_bound_config_selectorIjlEEZNS1_14transform_implILb0ES3_S5_N6thrust23THRUST_200600_302600_NS6detail15normal_iteratorINS8_7pointerIjNS8_11hip_rocprim5par_tENS8_11use_defaultESE_EEEENSA_INSB_IlSD_SE_SE_EEEEZNS1_13binary_searchIS3_S5_PjSG_SI_NS1_21lower_bound_search_opENS9_16wrapped_functionINS8_6system6detail7generic6detail18binary_search_lessEbEEEE10hipError_tPvRmT1_T2_T3_mmT4_T5_P12ihipStream_tbEUlRKjE_EEST_SX_SY_mSZ_S12_bEUlT_E_NS1_11comp_targetILNS1_3genE2ELNS1_11target_archE906ELNS1_3gpuE6ELNS1_3repE0EEENS1_30default_config_static_selectorELNS0_4arch9wavefront6targetE1EEEvSW_.private_seg_size, 0
	.set _ZN7rocprim17ROCPRIM_400000_NS6detail17trampoline_kernelINS0_14default_configENS1_27lower_bound_config_selectorIjlEEZNS1_14transform_implILb0ES3_S5_N6thrust23THRUST_200600_302600_NS6detail15normal_iteratorINS8_7pointerIjNS8_11hip_rocprim5par_tENS8_11use_defaultESE_EEEENSA_INSB_IlSD_SE_SE_EEEEZNS1_13binary_searchIS3_S5_PjSG_SI_NS1_21lower_bound_search_opENS9_16wrapped_functionINS8_6system6detail7generic6detail18binary_search_lessEbEEEE10hipError_tPvRmT1_T2_T3_mmT4_T5_P12ihipStream_tbEUlRKjE_EEST_SX_SY_mSZ_S12_bEUlT_E_NS1_11comp_targetILNS1_3genE2ELNS1_11target_archE906ELNS1_3gpuE6ELNS1_3repE0EEENS1_30default_config_static_selectorELNS0_4arch9wavefront6targetE1EEEvSW_.uses_vcc, 1
	.set _ZN7rocprim17ROCPRIM_400000_NS6detail17trampoline_kernelINS0_14default_configENS1_27lower_bound_config_selectorIjlEEZNS1_14transform_implILb0ES3_S5_N6thrust23THRUST_200600_302600_NS6detail15normal_iteratorINS8_7pointerIjNS8_11hip_rocprim5par_tENS8_11use_defaultESE_EEEENSA_INSB_IlSD_SE_SE_EEEEZNS1_13binary_searchIS3_S5_PjSG_SI_NS1_21lower_bound_search_opENS9_16wrapped_functionINS8_6system6detail7generic6detail18binary_search_lessEbEEEE10hipError_tPvRmT1_T2_T3_mmT4_T5_P12ihipStream_tbEUlRKjE_EEST_SX_SY_mSZ_S12_bEUlT_E_NS1_11comp_targetILNS1_3genE2ELNS1_11target_archE906ELNS1_3gpuE6ELNS1_3repE0EEENS1_30default_config_static_selectorELNS0_4arch9wavefront6targetE1EEEvSW_.uses_flat_scratch, 0
	.set _ZN7rocprim17ROCPRIM_400000_NS6detail17trampoline_kernelINS0_14default_configENS1_27lower_bound_config_selectorIjlEEZNS1_14transform_implILb0ES3_S5_N6thrust23THRUST_200600_302600_NS6detail15normal_iteratorINS8_7pointerIjNS8_11hip_rocprim5par_tENS8_11use_defaultESE_EEEENSA_INSB_IlSD_SE_SE_EEEEZNS1_13binary_searchIS3_S5_PjSG_SI_NS1_21lower_bound_search_opENS9_16wrapped_functionINS8_6system6detail7generic6detail18binary_search_lessEbEEEE10hipError_tPvRmT1_T2_T3_mmT4_T5_P12ihipStream_tbEUlRKjE_EEST_SX_SY_mSZ_S12_bEUlT_E_NS1_11comp_targetILNS1_3genE2ELNS1_11target_archE906ELNS1_3gpuE6ELNS1_3repE0EEENS1_30default_config_static_selectorELNS0_4arch9wavefront6targetE1EEEvSW_.has_dyn_sized_stack, 0
	.set _ZN7rocprim17ROCPRIM_400000_NS6detail17trampoline_kernelINS0_14default_configENS1_27lower_bound_config_selectorIjlEEZNS1_14transform_implILb0ES3_S5_N6thrust23THRUST_200600_302600_NS6detail15normal_iteratorINS8_7pointerIjNS8_11hip_rocprim5par_tENS8_11use_defaultESE_EEEENSA_INSB_IlSD_SE_SE_EEEEZNS1_13binary_searchIS3_S5_PjSG_SI_NS1_21lower_bound_search_opENS9_16wrapped_functionINS8_6system6detail7generic6detail18binary_search_lessEbEEEE10hipError_tPvRmT1_T2_T3_mmT4_T5_P12ihipStream_tbEUlRKjE_EEST_SX_SY_mSZ_S12_bEUlT_E_NS1_11comp_targetILNS1_3genE2ELNS1_11target_archE906ELNS1_3gpuE6ELNS1_3repE0EEENS1_30default_config_static_selectorELNS0_4arch9wavefront6targetE1EEEvSW_.has_recursion, 0
	.set _ZN7rocprim17ROCPRIM_400000_NS6detail17trampoline_kernelINS0_14default_configENS1_27lower_bound_config_selectorIjlEEZNS1_14transform_implILb0ES3_S5_N6thrust23THRUST_200600_302600_NS6detail15normal_iteratorINS8_7pointerIjNS8_11hip_rocprim5par_tENS8_11use_defaultESE_EEEENSA_INSB_IlSD_SE_SE_EEEEZNS1_13binary_searchIS3_S5_PjSG_SI_NS1_21lower_bound_search_opENS9_16wrapped_functionINS8_6system6detail7generic6detail18binary_search_lessEbEEEE10hipError_tPvRmT1_T2_T3_mmT4_T5_P12ihipStream_tbEUlRKjE_EEST_SX_SY_mSZ_S12_bEUlT_E_NS1_11comp_targetILNS1_3genE2ELNS1_11target_archE906ELNS1_3gpuE6ELNS1_3repE0EEENS1_30default_config_static_selectorELNS0_4arch9wavefront6targetE1EEEvSW_.has_indirect_call, 0
	.section	.AMDGPU.csdata,"",@progbits
; Kernel info:
; codeLenInByte = 700
; TotalNumSgprs: 24
; NumVgprs: 12
; ScratchSize: 0
; MemoryBound: 0
; FloatMode: 240
; IeeeMode: 1
; LDSByteSize: 0 bytes/workgroup (compile time only)
; SGPRBlocks: 2
; VGPRBlocks: 2
; NumSGPRsForWavesPerEU: 24
; NumVGPRsForWavesPerEU: 12
; Occupancy: 10
; WaveLimiterHint : 0
; COMPUTE_PGM_RSRC2:SCRATCH_EN: 0
; COMPUTE_PGM_RSRC2:USER_SGPR: 6
; COMPUTE_PGM_RSRC2:TRAP_HANDLER: 0
; COMPUTE_PGM_RSRC2:TGID_X_EN: 1
; COMPUTE_PGM_RSRC2:TGID_Y_EN: 0
; COMPUTE_PGM_RSRC2:TGID_Z_EN: 0
; COMPUTE_PGM_RSRC2:TIDIG_COMP_CNT: 0
	.section	.text._ZN7rocprim17ROCPRIM_400000_NS6detail17trampoline_kernelINS0_14default_configENS1_27lower_bound_config_selectorIjlEEZNS1_14transform_implILb0ES3_S5_N6thrust23THRUST_200600_302600_NS6detail15normal_iteratorINS8_7pointerIjNS8_11hip_rocprim5par_tENS8_11use_defaultESE_EEEENSA_INSB_IlSD_SE_SE_EEEEZNS1_13binary_searchIS3_S5_PjSG_SI_NS1_21lower_bound_search_opENS9_16wrapped_functionINS8_6system6detail7generic6detail18binary_search_lessEbEEEE10hipError_tPvRmT1_T2_T3_mmT4_T5_P12ihipStream_tbEUlRKjE_EEST_SX_SY_mSZ_S12_bEUlT_E_NS1_11comp_targetILNS1_3genE10ELNS1_11target_archE1201ELNS1_3gpuE5ELNS1_3repE0EEENS1_30default_config_static_selectorELNS0_4arch9wavefront6targetE1EEEvSW_,"axG",@progbits,_ZN7rocprim17ROCPRIM_400000_NS6detail17trampoline_kernelINS0_14default_configENS1_27lower_bound_config_selectorIjlEEZNS1_14transform_implILb0ES3_S5_N6thrust23THRUST_200600_302600_NS6detail15normal_iteratorINS8_7pointerIjNS8_11hip_rocprim5par_tENS8_11use_defaultESE_EEEENSA_INSB_IlSD_SE_SE_EEEEZNS1_13binary_searchIS3_S5_PjSG_SI_NS1_21lower_bound_search_opENS9_16wrapped_functionINS8_6system6detail7generic6detail18binary_search_lessEbEEEE10hipError_tPvRmT1_T2_T3_mmT4_T5_P12ihipStream_tbEUlRKjE_EEST_SX_SY_mSZ_S12_bEUlT_E_NS1_11comp_targetILNS1_3genE10ELNS1_11target_archE1201ELNS1_3gpuE5ELNS1_3repE0EEENS1_30default_config_static_selectorELNS0_4arch9wavefront6targetE1EEEvSW_,comdat
	.protected	_ZN7rocprim17ROCPRIM_400000_NS6detail17trampoline_kernelINS0_14default_configENS1_27lower_bound_config_selectorIjlEEZNS1_14transform_implILb0ES3_S5_N6thrust23THRUST_200600_302600_NS6detail15normal_iteratorINS8_7pointerIjNS8_11hip_rocprim5par_tENS8_11use_defaultESE_EEEENSA_INSB_IlSD_SE_SE_EEEEZNS1_13binary_searchIS3_S5_PjSG_SI_NS1_21lower_bound_search_opENS9_16wrapped_functionINS8_6system6detail7generic6detail18binary_search_lessEbEEEE10hipError_tPvRmT1_T2_T3_mmT4_T5_P12ihipStream_tbEUlRKjE_EEST_SX_SY_mSZ_S12_bEUlT_E_NS1_11comp_targetILNS1_3genE10ELNS1_11target_archE1201ELNS1_3gpuE5ELNS1_3repE0EEENS1_30default_config_static_selectorELNS0_4arch9wavefront6targetE1EEEvSW_ ; -- Begin function _ZN7rocprim17ROCPRIM_400000_NS6detail17trampoline_kernelINS0_14default_configENS1_27lower_bound_config_selectorIjlEEZNS1_14transform_implILb0ES3_S5_N6thrust23THRUST_200600_302600_NS6detail15normal_iteratorINS8_7pointerIjNS8_11hip_rocprim5par_tENS8_11use_defaultESE_EEEENSA_INSB_IlSD_SE_SE_EEEEZNS1_13binary_searchIS3_S5_PjSG_SI_NS1_21lower_bound_search_opENS9_16wrapped_functionINS8_6system6detail7generic6detail18binary_search_lessEbEEEE10hipError_tPvRmT1_T2_T3_mmT4_T5_P12ihipStream_tbEUlRKjE_EEST_SX_SY_mSZ_S12_bEUlT_E_NS1_11comp_targetILNS1_3genE10ELNS1_11target_archE1201ELNS1_3gpuE5ELNS1_3repE0EEENS1_30default_config_static_selectorELNS0_4arch9wavefront6targetE1EEEvSW_
	.globl	_ZN7rocprim17ROCPRIM_400000_NS6detail17trampoline_kernelINS0_14default_configENS1_27lower_bound_config_selectorIjlEEZNS1_14transform_implILb0ES3_S5_N6thrust23THRUST_200600_302600_NS6detail15normal_iteratorINS8_7pointerIjNS8_11hip_rocprim5par_tENS8_11use_defaultESE_EEEENSA_INSB_IlSD_SE_SE_EEEEZNS1_13binary_searchIS3_S5_PjSG_SI_NS1_21lower_bound_search_opENS9_16wrapped_functionINS8_6system6detail7generic6detail18binary_search_lessEbEEEE10hipError_tPvRmT1_T2_T3_mmT4_T5_P12ihipStream_tbEUlRKjE_EEST_SX_SY_mSZ_S12_bEUlT_E_NS1_11comp_targetILNS1_3genE10ELNS1_11target_archE1201ELNS1_3gpuE5ELNS1_3repE0EEENS1_30default_config_static_selectorELNS0_4arch9wavefront6targetE1EEEvSW_
	.p2align	8
	.type	_ZN7rocprim17ROCPRIM_400000_NS6detail17trampoline_kernelINS0_14default_configENS1_27lower_bound_config_selectorIjlEEZNS1_14transform_implILb0ES3_S5_N6thrust23THRUST_200600_302600_NS6detail15normal_iteratorINS8_7pointerIjNS8_11hip_rocprim5par_tENS8_11use_defaultESE_EEEENSA_INSB_IlSD_SE_SE_EEEEZNS1_13binary_searchIS3_S5_PjSG_SI_NS1_21lower_bound_search_opENS9_16wrapped_functionINS8_6system6detail7generic6detail18binary_search_lessEbEEEE10hipError_tPvRmT1_T2_T3_mmT4_T5_P12ihipStream_tbEUlRKjE_EEST_SX_SY_mSZ_S12_bEUlT_E_NS1_11comp_targetILNS1_3genE10ELNS1_11target_archE1201ELNS1_3gpuE5ELNS1_3repE0EEENS1_30default_config_static_selectorELNS0_4arch9wavefront6targetE1EEEvSW_,@function
_ZN7rocprim17ROCPRIM_400000_NS6detail17trampoline_kernelINS0_14default_configENS1_27lower_bound_config_selectorIjlEEZNS1_14transform_implILb0ES3_S5_N6thrust23THRUST_200600_302600_NS6detail15normal_iteratorINS8_7pointerIjNS8_11hip_rocprim5par_tENS8_11use_defaultESE_EEEENSA_INSB_IlSD_SE_SE_EEEEZNS1_13binary_searchIS3_S5_PjSG_SI_NS1_21lower_bound_search_opENS9_16wrapped_functionINS8_6system6detail7generic6detail18binary_search_lessEbEEEE10hipError_tPvRmT1_T2_T3_mmT4_T5_P12ihipStream_tbEUlRKjE_EEST_SX_SY_mSZ_S12_bEUlT_E_NS1_11comp_targetILNS1_3genE10ELNS1_11target_archE1201ELNS1_3gpuE5ELNS1_3repE0EEENS1_30default_config_static_selectorELNS0_4arch9wavefront6targetE1EEEvSW_: ; @_ZN7rocprim17ROCPRIM_400000_NS6detail17trampoline_kernelINS0_14default_configENS1_27lower_bound_config_selectorIjlEEZNS1_14transform_implILb0ES3_S5_N6thrust23THRUST_200600_302600_NS6detail15normal_iteratorINS8_7pointerIjNS8_11hip_rocprim5par_tENS8_11use_defaultESE_EEEENSA_INSB_IlSD_SE_SE_EEEEZNS1_13binary_searchIS3_S5_PjSG_SI_NS1_21lower_bound_search_opENS9_16wrapped_functionINS8_6system6detail7generic6detail18binary_search_lessEbEEEE10hipError_tPvRmT1_T2_T3_mmT4_T5_P12ihipStream_tbEUlRKjE_EEST_SX_SY_mSZ_S12_bEUlT_E_NS1_11comp_targetILNS1_3genE10ELNS1_11target_archE1201ELNS1_3gpuE5ELNS1_3repE0EEENS1_30default_config_static_selectorELNS0_4arch9wavefront6targetE1EEEvSW_
; %bb.0:
	.section	.rodata,"a",@progbits
	.p2align	6, 0x0
	.amdhsa_kernel _ZN7rocprim17ROCPRIM_400000_NS6detail17trampoline_kernelINS0_14default_configENS1_27lower_bound_config_selectorIjlEEZNS1_14transform_implILb0ES3_S5_N6thrust23THRUST_200600_302600_NS6detail15normal_iteratorINS8_7pointerIjNS8_11hip_rocprim5par_tENS8_11use_defaultESE_EEEENSA_INSB_IlSD_SE_SE_EEEEZNS1_13binary_searchIS3_S5_PjSG_SI_NS1_21lower_bound_search_opENS9_16wrapped_functionINS8_6system6detail7generic6detail18binary_search_lessEbEEEE10hipError_tPvRmT1_T2_T3_mmT4_T5_P12ihipStream_tbEUlRKjE_EEST_SX_SY_mSZ_S12_bEUlT_E_NS1_11comp_targetILNS1_3genE10ELNS1_11target_archE1201ELNS1_3gpuE5ELNS1_3repE0EEENS1_30default_config_static_selectorELNS0_4arch9wavefront6targetE1EEEvSW_
		.amdhsa_group_segment_fixed_size 0
		.amdhsa_private_segment_fixed_size 0
		.amdhsa_kernarg_size 56
		.amdhsa_user_sgpr_count 6
		.amdhsa_user_sgpr_private_segment_buffer 1
		.amdhsa_user_sgpr_dispatch_ptr 0
		.amdhsa_user_sgpr_queue_ptr 0
		.amdhsa_user_sgpr_kernarg_segment_ptr 1
		.amdhsa_user_sgpr_dispatch_id 0
		.amdhsa_user_sgpr_flat_scratch_init 0
		.amdhsa_user_sgpr_private_segment_size 0
		.amdhsa_uses_dynamic_stack 0
		.amdhsa_system_sgpr_private_segment_wavefront_offset 0
		.amdhsa_system_sgpr_workgroup_id_x 1
		.amdhsa_system_sgpr_workgroup_id_y 0
		.amdhsa_system_sgpr_workgroup_id_z 0
		.amdhsa_system_sgpr_workgroup_info 0
		.amdhsa_system_vgpr_workitem_id 0
		.amdhsa_next_free_vgpr 1
		.amdhsa_next_free_sgpr 0
		.amdhsa_reserve_vcc 0
		.amdhsa_reserve_flat_scratch 0
		.amdhsa_float_round_mode_32 0
		.amdhsa_float_round_mode_16_64 0
		.amdhsa_float_denorm_mode_32 3
		.amdhsa_float_denorm_mode_16_64 3
		.amdhsa_dx10_clamp 1
		.amdhsa_ieee_mode 1
		.amdhsa_fp16_overflow 0
		.amdhsa_exception_fp_ieee_invalid_op 0
		.amdhsa_exception_fp_denorm_src 0
		.amdhsa_exception_fp_ieee_div_zero 0
		.amdhsa_exception_fp_ieee_overflow 0
		.amdhsa_exception_fp_ieee_underflow 0
		.amdhsa_exception_fp_ieee_inexact 0
		.amdhsa_exception_int_div_zero 0
	.end_amdhsa_kernel
	.section	.text._ZN7rocprim17ROCPRIM_400000_NS6detail17trampoline_kernelINS0_14default_configENS1_27lower_bound_config_selectorIjlEEZNS1_14transform_implILb0ES3_S5_N6thrust23THRUST_200600_302600_NS6detail15normal_iteratorINS8_7pointerIjNS8_11hip_rocprim5par_tENS8_11use_defaultESE_EEEENSA_INSB_IlSD_SE_SE_EEEEZNS1_13binary_searchIS3_S5_PjSG_SI_NS1_21lower_bound_search_opENS9_16wrapped_functionINS8_6system6detail7generic6detail18binary_search_lessEbEEEE10hipError_tPvRmT1_T2_T3_mmT4_T5_P12ihipStream_tbEUlRKjE_EEST_SX_SY_mSZ_S12_bEUlT_E_NS1_11comp_targetILNS1_3genE10ELNS1_11target_archE1201ELNS1_3gpuE5ELNS1_3repE0EEENS1_30default_config_static_selectorELNS0_4arch9wavefront6targetE1EEEvSW_,"axG",@progbits,_ZN7rocprim17ROCPRIM_400000_NS6detail17trampoline_kernelINS0_14default_configENS1_27lower_bound_config_selectorIjlEEZNS1_14transform_implILb0ES3_S5_N6thrust23THRUST_200600_302600_NS6detail15normal_iteratorINS8_7pointerIjNS8_11hip_rocprim5par_tENS8_11use_defaultESE_EEEENSA_INSB_IlSD_SE_SE_EEEEZNS1_13binary_searchIS3_S5_PjSG_SI_NS1_21lower_bound_search_opENS9_16wrapped_functionINS8_6system6detail7generic6detail18binary_search_lessEbEEEE10hipError_tPvRmT1_T2_T3_mmT4_T5_P12ihipStream_tbEUlRKjE_EEST_SX_SY_mSZ_S12_bEUlT_E_NS1_11comp_targetILNS1_3genE10ELNS1_11target_archE1201ELNS1_3gpuE5ELNS1_3repE0EEENS1_30default_config_static_selectorELNS0_4arch9wavefront6targetE1EEEvSW_,comdat
.Lfunc_end78:
	.size	_ZN7rocprim17ROCPRIM_400000_NS6detail17trampoline_kernelINS0_14default_configENS1_27lower_bound_config_selectorIjlEEZNS1_14transform_implILb0ES3_S5_N6thrust23THRUST_200600_302600_NS6detail15normal_iteratorINS8_7pointerIjNS8_11hip_rocprim5par_tENS8_11use_defaultESE_EEEENSA_INSB_IlSD_SE_SE_EEEEZNS1_13binary_searchIS3_S5_PjSG_SI_NS1_21lower_bound_search_opENS9_16wrapped_functionINS8_6system6detail7generic6detail18binary_search_lessEbEEEE10hipError_tPvRmT1_T2_T3_mmT4_T5_P12ihipStream_tbEUlRKjE_EEST_SX_SY_mSZ_S12_bEUlT_E_NS1_11comp_targetILNS1_3genE10ELNS1_11target_archE1201ELNS1_3gpuE5ELNS1_3repE0EEENS1_30default_config_static_selectorELNS0_4arch9wavefront6targetE1EEEvSW_, .Lfunc_end78-_ZN7rocprim17ROCPRIM_400000_NS6detail17trampoline_kernelINS0_14default_configENS1_27lower_bound_config_selectorIjlEEZNS1_14transform_implILb0ES3_S5_N6thrust23THRUST_200600_302600_NS6detail15normal_iteratorINS8_7pointerIjNS8_11hip_rocprim5par_tENS8_11use_defaultESE_EEEENSA_INSB_IlSD_SE_SE_EEEEZNS1_13binary_searchIS3_S5_PjSG_SI_NS1_21lower_bound_search_opENS9_16wrapped_functionINS8_6system6detail7generic6detail18binary_search_lessEbEEEE10hipError_tPvRmT1_T2_T3_mmT4_T5_P12ihipStream_tbEUlRKjE_EEST_SX_SY_mSZ_S12_bEUlT_E_NS1_11comp_targetILNS1_3genE10ELNS1_11target_archE1201ELNS1_3gpuE5ELNS1_3repE0EEENS1_30default_config_static_selectorELNS0_4arch9wavefront6targetE1EEEvSW_
                                        ; -- End function
	.set _ZN7rocprim17ROCPRIM_400000_NS6detail17trampoline_kernelINS0_14default_configENS1_27lower_bound_config_selectorIjlEEZNS1_14transform_implILb0ES3_S5_N6thrust23THRUST_200600_302600_NS6detail15normal_iteratorINS8_7pointerIjNS8_11hip_rocprim5par_tENS8_11use_defaultESE_EEEENSA_INSB_IlSD_SE_SE_EEEEZNS1_13binary_searchIS3_S5_PjSG_SI_NS1_21lower_bound_search_opENS9_16wrapped_functionINS8_6system6detail7generic6detail18binary_search_lessEbEEEE10hipError_tPvRmT1_T2_T3_mmT4_T5_P12ihipStream_tbEUlRKjE_EEST_SX_SY_mSZ_S12_bEUlT_E_NS1_11comp_targetILNS1_3genE10ELNS1_11target_archE1201ELNS1_3gpuE5ELNS1_3repE0EEENS1_30default_config_static_selectorELNS0_4arch9wavefront6targetE1EEEvSW_.num_vgpr, 0
	.set _ZN7rocprim17ROCPRIM_400000_NS6detail17trampoline_kernelINS0_14default_configENS1_27lower_bound_config_selectorIjlEEZNS1_14transform_implILb0ES3_S5_N6thrust23THRUST_200600_302600_NS6detail15normal_iteratorINS8_7pointerIjNS8_11hip_rocprim5par_tENS8_11use_defaultESE_EEEENSA_INSB_IlSD_SE_SE_EEEEZNS1_13binary_searchIS3_S5_PjSG_SI_NS1_21lower_bound_search_opENS9_16wrapped_functionINS8_6system6detail7generic6detail18binary_search_lessEbEEEE10hipError_tPvRmT1_T2_T3_mmT4_T5_P12ihipStream_tbEUlRKjE_EEST_SX_SY_mSZ_S12_bEUlT_E_NS1_11comp_targetILNS1_3genE10ELNS1_11target_archE1201ELNS1_3gpuE5ELNS1_3repE0EEENS1_30default_config_static_selectorELNS0_4arch9wavefront6targetE1EEEvSW_.num_agpr, 0
	.set _ZN7rocprim17ROCPRIM_400000_NS6detail17trampoline_kernelINS0_14default_configENS1_27lower_bound_config_selectorIjlEEZNS1_14transform_implILb0ES3_S5_N6thrust23THRUST_200600_302600_NS6detail15normal_iteratorINS8_7pointerIjNS8_11hip_rocprim5par_tENS8_11use_defaultESE_EEEENSA_INSB_IlSD_SE_SE_EEEEZNS1_13binary_searchIS3_S5_PjSG_SI_NS1_21lower_bound_search_opENS9_16wrapped_functionINS8_6system6detail7generic6detail18binary_search_lessEbEEEE10hipError_tPvRmT1_T2_T3_mmT4_T5_P12ihipStream_tbEUlRKjE_EEST_SX_SY_mSZ_S12_bEUlT_E_NS1_11comp_targetILNS1_3genE10ELNS1_11target_archE1201ELNS1_3gpuE5ELNS1_3repE0EEENS1_30default_config_static_selectorELNS0_4arch9wavefront6targetE1EEEvSW_.numbered_sgpr, 0
	.set _ZN7rocprim17ROCPRIM_400000_NS6detail17trampoline_kernelINS0_14default_configENS1_27lower_bound_config_selectorIjlEEZNS1_14transform_implILb0ES3_S5_N6thrust23THRUST_200600_302600_NS6detail15normal_iteratorINS8_7pointerIjNS8_11hip_rocprim5par_tENS8_11use_defaultESE_EEEENSA_INSB_IlSD_SE_SE_EEEEZNS1_13binary_searchIS3_S5_PjSG_SI_NS1_21lower_bound_search_opENS9_16wrapped_functionINS8_6system6detail7generic6detail18binary_search_lessEbEEEE10hipError_tPvRmT1_T2_T3_mmT4_T5_P12ihipStream_tbEUlRKjE_EEST_SX_SY_mSZ_S12_bEUlT_E_NS1_11comp_targetILNS1_3genE10ELNS1_11target_archE1201ELNS1_3gpuE5ELNS1_3repE0EEENS1_30default_config_static_selectorELNS0_4arch9wavefront6targetE1EEEvSW_.num_named_barrier, 0
	.set _ZN7rocprim17ROCPRIM_400000_NS6detail17trampoline_kernelINS0_14default_configENS1_27lower_bound_config_selectorIjlEEZNS1_14transform_implILb0ES3_S5_N6thrust23THRUST_200600_302600_NS6detail15normal_iteratorINS8_7pointerIjNS8_11hip_rocprim5par_tENS8_11use_defaultESE_EEEENSA_INSB_IlSD_SE_SE_EEEEZNS1_13binary_searchIS3_S5_PjSG_SI_NS1_21lower_bound_search_opENS9_16wrapped_functionINS8_6system6detail7generic6detail18binary_search_lessEbEEEE10hipError_tPvRmT1_T2_T3_mmT4_T5_P12ihipStream_tbEUlRKjE_EEST_SX_SY_mSZ_S12_bEUlT_E_NS1_11comp_targetILNS1_3genE10ELNS1_11target_archE1201ELNS1_3gpuE5ELNS1_3repE0EEENS1_30default_config_static_selectorELNS0_4arch9wavefront6targetE1EEEvSW_.private_seg_size, 0
	.set _ZN7rocprim17ROCPRIM_400000_NS6detail17trampoline_kernelINS0_14default_configENS1_27lower_bound_config_selectorIjlEEZNS1_14transform_implILb0ES3_S5_N6thrust23THRUST_200600_302600_NS6detail15normal_iteratorINS8_7pointerIjNS8_11hip_rocprim5par_tENS8_11use_defaultESE_EEEENSA_INSB_IlSD_SE_SE_EEEEZNS1_13binary_searchIS3_S5_PjSG_SI_NS1_21lower_bound_search_opENS9_16wrapped_functionINS8_6system6detail7generic6detail18binary_search_lessEbEEEE10hipError_tPvRmT1_T2_T3_mmT4_T5_P12ihipStream_tbEUlRKjE_EEST_SX_SY_mSZ_S12_bEUlT_E_NS1_11comp_targetILNS1_3genE10ELNS1_11target_archE1201ELNS1_3gpuE5ELNS1_3repE0EEENS1_30default_config_static_selectorELNS0_4arch9wavefront6targetE1EEEvSW_.uses_vcc, 0
	.set _ZN7rocprim17ROCPRIM_400000_NS6detail17trampoline_kernelINS0_14default_configENS1_27lower_bound_config_selectorIjlEEZNS1_14transform_implILb0ES3_S5_N6thrust23THRUST_200600_302600_NS6detail15normal_iteratorINS8_7pointerIjNS8_11hip_rocprim5par_tENS8_11use_defaultESE_EEEENSA_INSB_IlSD_SE_SE_EEEEZNS1_13binary_searchIS3_S5_PjSG_SI_NS1_21lower_bound_search_opENS9_16wrapped_functionINS8_6system6detail7generic6detail18binary_search_lessEbEEEE10hipError_tPvRmT1_T2_T3_mmT4_T5_P12ihipStream_tbEUlRKjE_EEST_SX_SY_mSZ_S12_bEUlT_E_NS1_11comp_targetILNS1_3genE10ELNS1_11target_archE1201ELNS1_3gpuE5ELNS1_3repE0EEENS1_30default_config_static_selectorELNS0_4arch9wavefront6targetE1EEEvSW_.uses_flat_scratch, 0
	.set _ZN7rocprim17ROCPRIM_400000_NS6detail17trampoline_kernelINS0_14default_configENS1_27lower_bound_config_selectorIjlEEZNS1_14transform_implILb0ES3_S5_N6thrust23THRUST_200600_302600_NS6detail15normal_iteratorINS8_7pointerIjNS8_11hip_rocprim5par_tENS8_11use_defaultESE_EEEENSA_INSB_IlSD_SE_SE_EEEEZNS1_13binary_searchIS3_S5_PjSG_SI_NS1_21lower_bound_search_opENS9_16wrapped_functionINS8_6system6detail7generic6detail18binary_search_lessEbEEEE10hipError_tPvRmT1_T2_T3_mmT4_T5_P12ihipStream_tbEUlRKjE_EEST_SX_SY_mSZ_S12_bEUlT_E_NS1_11comp_targetILNS1_3genE10ELNS1_11target_archE1201ELNS1_3gpuE5ELNS1_3repE0EEENS1_30default_config_static_selectorELNS0_4arch9wavefront6targetE1EEEvSW_.has_dyn_sized_stack, 0
	.set _ZN7rocprim17ROCPRIM_400000_NS6detail17trampoline_kernelINS0_14default_configENS1_27lower_bound_config_selectorIjlEEZNS1_14transform_implILb0ES3_S5_N6thrust23THRUST_200600_302600_NS6detail15normal_iteratorINS8_7pointerIjNS8_11hip_rocprim5par_tENS8_11use_defaultESE_EEEENSA_INSB_IlSD_SE_SE_EEEEZNS1_13binary_searchIS3_S5_PjSG_SI_NS1_21lower_bound_search_opENS9_16wrapped_functionINS8_6system6detail7generic6detail18binary_search_lessEbEEEE10hipError_tPvRmT1_T2_T3_mmT4_T5_P12ihipStream_tbEUlRKjE_EEST_SX_SY_mSZ_S12_bEUlT_E_NS1_11comp_targetILNS1_3genE10ELNS1_11target_archE1201ELNS1_3gpuE5ELNS1_3repE0EEENS1_30default_config_static_selectorELNS0_4arch9wavefront6targetE1EEEvSW_.has_recursion, 0
	.set _ZN7rocprim17ROCPRIM_400000_NS6detail17trampoline_kernelINS0_14default_configENS1_27lower_bound_config_selectorIjlEEZNS1_14transform_implILb0ES3_S5_N6thrust23THRUST_200600_302600_NS6detail15normal_iteratorINS8_7pointerIjNS8_11hip_rocprim5par_tENS8_11use_defaultESE_EEEENSA_INSB_IlSD_SE_SE_EEEEZNS1_13binary_searchIS3_S5_PjSG_SI_NS1_21lower_bound_search_opENS9_16wrapped_functionINS8_6system6detail7generic6detail18binary_search_lessEbEEEE10hipError_tPvRmT1_T2_T3_mmT4_T5_P12ihipStream_tbEUlRKjE_EEST_SX_SY_mSZ_S12_bEUlT_E_NS1_11comp_targetILNS1_3genE10ELNS1_11target_archE1201ELNS1_3gpuE5ELNS1_3repE0EEENS1_30default_config_static_selectorELNS0_4arch9wavefront6targetE1EEEvSW_.has_indirect_call, 0
	.section	.AMDGPU.csdata,"",@progbits
; Kernel info:
; codeLenInByte = 0
; TotalNumSgprs: 4
; NumVgprs: 0
; ScratchSize: 0
; MemoryBound: 0
; FloatMode: 240
; IeeeMode: 1
; LDSByteSize: 0 bytes/workgroup (compile time only)
; SGPRBlocks: 0
; VGPRBlocks: 0
; NumSGPRsForWavesPerEU: 4
; NumVGPRsForWavesPerEU: 1
; Occupancy: 10
; WaveLimiterHint : 0
; COMPUTE_PGM_RSRC2:SCRATCH_EN: 0
; COMPUTE_PGM_RSRC2:USER_SGPR: 6
; COMPUTE_PGM_RSRC2:TRAP_HANDLER: 0
; COMPUTE_PGM_RSRC2:TGID_X_EN: 1
; COMPUTE_PGM_RSRC2:TGID_Y_EN: 0
; COMPUTE_PGM_RSRC2:TGID_Z_EN: 0
; COMPUTE_PGM_RSRC2:TIDIG_COMP_CNT: 0
	.section	.text._ZN7rocprim17ROCPRIM_400000_NS6detail17trampoline_kernelINS0_14default_configENS1_27lower_bound_config_selectorIjlEEZNS1_14transform_implILb0ES3_S5_N6thrust23THRUST_200600_302600_NS6detail15normal_iteratorINS8_7pointerIjNS8_11hip_rocprim5par_tENS8_11use_defaultESE_EEEENSA_INSB_IlSD_SE_SE_EEEEZNS1_13binary_searchIS3_S5_PjSG_SI_NS1_21lower_bound_search_opENS9_16wrapped_functionINS8_6system6detail7generic6detail18binary_search_lessEbEEEE10hipError_tPvRmT1_T2_T3_mmT4_T5_P12ihipStream_tbEUlRKjE_EEST_SX_SY_mSZ_S12_bEUlT_E_NS1_11comp_targetILNS1_3genE10ELNS1_11target_archE1200ELNS1_3gpuE4ELNS1_3repE0EEENS1_30default_config_static_selectorELNS0_4arch9wavefront6targetE1EEEvSW_,"axG",@progbits,_ZN7rocprim17ROCPRIM_400000_NS6detail17trampoline_kernelINS0_14default_configENS1_27lower_bound_config_selectorIjlEEZNS1_14transform_implILb0ES3_S5_N6thrust23THRUST_200600_302600_NS6detail15normal_iteratorINS8_7pointerIjNS8_11hip_rocprim5par_tENS8_11use_defaultESE_EEEENSA_INSB_IlSD_SE_SE_EEEEZNS1_13binary_searchIS3_S5_PjSG_SI_NS1_21lower_bound_search_opENS9_16wrapped_functionINS8_6system6detail7generic6detail18binary_search_lessEbEEEE10hipError_tPvRmT1_T2_T3_mmT4_T5_P12ihipStream_tbEUlRKjE_EEST_SX_SY_mSZ_S12_bEUlT_E_NS1_11comp_targetILNS1_3genE10ELNS1_11target_archE1200ELNS1_3gpuE4ELNS1_3repE0EEENS1_30default_config_static_selectorELNS0_4arch9wavefront6targetE1EEEvSW_,comdat
	.protected	_ZN7rocprim17ROCPRIM_400000_NS6detail17trampoline_kernelINS0_14default_configENS1_27lower_bound_config_selectorIjlEEZNS1_14transform_implILb0ES3_S5_N6thrust23THRUST_200600_302600_NS6detail15normal_iteratorINS8_7pointerIjNS8_11hip_rocprim5par_tENS8_11use_defaultESE_EEEENSA_INSB_IlSD_SE_SE_EEEEZNS1_13binary_searchIS3_S5_PjSG_SI_NS1_21lower_bound_search_opENS9_16wrapped_functionINS8_6system6detail7generic6detail18binary_search_lessEbEEEE10hipError_tPvRmT1_T2_T3_mmT4_T5_P12ihipStream_tbEUlRKjE_EEST_SX_SY_mSZ_S12_bEUlT_E_NS1_11comp_targetILNS1_3genE10ELNS1_11target_archE1200ELNS1_3gpuE4ELNS1_3repE0EEENS1_30default_config_static_selectorELNS0_4arch9wavefront6targetE1EEEvSW_ ; -- Begin function _ZN7rocprim17ROCPRIM_400000_NS6detail17trampoline_kernelINS0_14default_configENS1_27lower_bound_config_selectorIjlEEZNS1_14transform_implILb0ES3_S5_N6thrust23THRUST_200600_302600_NS6detail15normal_iteratorINS8_7pointerIjNS8_11hip_rocprim5par_tENS8_11use_defaultESE_EEEENSA_INSB_IlSD_SE_SE_EEEEZNS1_13binary_searchIS3_S5_PjSG_SI_NS1_21lower_bound_search_opENS9_16wrapped_functionINS8_6system6detail7generic6detail18binary_search_lessEbEEEE10hipError_tPvRmT1_T2_T3_mmT4_T5_P12ihipStream_tbEUlRKjE_EEST_SX_SY_mSZ_S12_bEUlT_E_NS1_11comp_targetILNS1_3genE10ELNS1_11target_archE1200ELNS1_3gpuE4ELNS1_3repE0EEENS1_30default_config_static_selectorELNS0_4arch9wavefront6targetE1EEEvSW_
	.globl	_ZN7rocprim17ROCPRIM_400000_NS6detail17trampoline_kernelINS0_14default_configENS1_27lower_bound_config_selectorIjlEEZNS1_14transform_implILb0ES3_S5_N6thrust23THRUST_200600_302600_NS6detail15normal_iteratorINS8_7pointerIjNS8_11hip_rocprim5par_tENS8_11use_defaultESE_EEEENSA_INSB_IlSD_SE_SE_EEEEZNS1_13binary_searchIS3_S5_PjSG_SI_NS1_21lower_bound_search_opENS9_16wrapped_functionINS8_6system6detail7generic6detail18binary_search_lessEbEEEE10hipError_tPvRmT1_T2_T3_mmT4_T5_P12ihipStream_tbEUlRKjE_EEST_SX_SY_mSZ_S12_bEUlT_E_NS1_11comp_targetILNS1_3genE10ELNS1_11target_archE1200ELNS1_3gpuE4ELNS1_3repE0EEENS1_30default_config_static_selectorELNS0_4arch9wavefront6targetE1EEEvSW_
	.p2align	8
	.type	_ZN7rocprim17ROCPRIM_400000_NS6detail17trampoline_kernelINS0_14default_configENS1_27lower_bound_config_selectorIjlEEZNS1_14transform_implILb0ES3_S5_N6thrust23THRUST_200600_302600_NS6detail15normal_iteratorINS8_7pointerIjNS8_11hip_rocprim5par_tENS8_11use_defaultESE_EEEENSA_INSB_IlSD_SE_SE_EEEEZNS1_13binary_searchIS3_S5_PjSG_SI_NS1_21lower_bound_search_opENS9_16wrapped_functionINS8_6system6detail7generic6detail18binary_search_lessEbEEEE10hipError_tPvRmT1_T2_T3_mmT4_T5_P12ihipStream_tbEUlRKjE_EEST_SX_SY_mSZ_S12_bEUlT_E_NS1_11comp_targetILNS1_3genE10ELNS1_11target_archE1200ELNS1_3gpuE4ELNS1_3repE0EEENS1_30default_config_static_selectorELNS0_4arch9wavefront6targetE1EEEvSW_,@function
_ZN7rocprim17ROCPRIM_400000_NS6detail17trampoline_kernelINS0_14default_configENS1_27lower_bound_config_selectorIjlEEZNS1_14transform_implILb0ES3_S5_N6thrust23THRUST_200600_302600_NS6detail15normal_iteratorINS8_7pointerIjNS8_11hip_rocprim5par_tENS8_11use_defaultESE_EEEENSA_INSB_IlSD_SE_SE_EEEEZNS1_13binary_searchIS3_S5_PjSG_SI_NS1_21lower_bound_search_opENS9_16wrapped_functionINS8_6system6detail7generic6detail18binary_search_lessEbEEEE10hipError_tPvRmT1_T2_T3_mmT4_T5_P12ihipStream_tbEUlRKjE_EEST_SX_SY_mSZ_S12_bEUlT_E_NS1_11comp_targetILNS1_3genE10ELNS1_11target_archE1200ELNS1_3gpuE4ELNS1_3repE0EEENS1_30default_config_static_selectorELNS0_4arch9wavefront6targetE1EEEvSW_: ; @_ZN7rocprim17ROCPRIM_400000_NS6detail17trampoline_kernelINS0_14default_configENS1_27lower_bound_config_selectorIjlEEZNS1_14transform_implILb0ES3_S5_N6thrust23THRUST_200600_302600_NS6detail15normal_iteratorINS8_7pointerIjNS8_11hip_rocprim5par_tENS8_11use_defaultESE_EEEENSA_INSB_IlSD_SE_SE_EEEEZNS1_13binary_searchIS3_S5_PjSG_SI_NS1_21lower_bound_search_opENS9_16wrapped_functionINS8_6system6detail7generic6detail18binary_search_lessEbEEEE10hipError_tPvRmT1_T2_T3_mmT4_T5_P12ihipStream_tbEUlRKjE_EEST_SX_SY_mSZ_S12_bEUlT_E_NS1_11comp_targetILNS1_3genE10ELNS1_11target_archE1200ELNS1_3gpuE4ELNS1_3repE0EEENS1_30default_config_static_selectorELNS0_4arch9wavefront6targetE1EEEvSW_
; %bb.0:
	.section	.rodata,"a",@progbits
	.p2align	6, 0x0
	.amdhsa_kernel _ZN7rocprim17ROCPRIM_400000_NS6detail17trampoline_kernelINS0_14default_configENS1_27lower_bound_config_selectorIjlEEZNS1_14transform_implILb0ES3_S5_N6thrust23THRUST_200600_302600_NS6detail15normal_iteratorINS8_7pointerIjNS8_11hip_rocprim5par_tENS8_11use_defaultESE_EEEENSA_INSB_IlSD_SE_SE_EEEEZNS1_13binary_searchIS3_S5_PjSG_SI_NS1_21lower_bound_search_opENS9_16wrapped_functionINS8_6system6detail7generic6detail18binary_search_lessEbEEEE10hipError_tPvRmT1_T2_T3_mmT4_T5_P12ihipStream_tbEUlRKjE_EEST_SX_SY_mSZ_S12_bEUlT_E_NS1_11comp_targetILNS1_3genE10ELNS1_11target_archE1200ELNS1_3gpuE4ELNS1_3repE0EEENS1_30default_config_static_selectorELNS0_4arch9wavefront6targetE1EEEvSW_
		.amdhsa_group_segment_fixed_size 0
		.amdhsa_private_segment_fixed_size 0
		.amdhsa_kernarg_size 56
		.amdhsa_user_sgpr_count 6
		.amdhsa_user_sgpr_private_segment_buffer 1
		.amdhsa_user_sgpr_dispatch_ptr 0
		.amdhsa_user_sgpr_queue_ptr 0
		.amdhsa_user_sgpr_kernarg_segment_ptr 1
		.amdhsa_user_sgpr_dispatch_id 0
		.amdhsa_user_sgpr_flat_scratch_init 0
		.amdhsa_user_sgpr_private_segment_size 0
		.amdhsa_uses_dynamic_stack 0
		.amdhsa_system_sgpr_private_segment_wavefront_offset 0
		.amdhsa_system_sgpr_workgroup_id_x 1
		.amdhsa_system_sgpr_workgroup_id_y 0
		.amdhsa_system_sgpr_workgroup_id_z 0
		.amdhsa_system_sgpr_workgroup_info 0
		.amdhsa_system_vgpr_workitem_id 0
		.amdhsa_next_free_vgpr 1
		.amdhsa_next_free_sgpr 0
		.amdhsa_reserve_vcc 0
		.amdhsa_reserve_flat_scratch 0
		.amdhsa_float_round_mode_32 0
		.amdhsa_float_round_mode_16_64 0
		.amdhsa_float_denorm_mode_32 3
		.amdhsa_float_denorm_mode_16_64 3
		.amdhsa_dx10_clamp 1
		.amdhsa_ieee_mode 1
		.amdhsa_fp16_overflow 0
		.amdhsa_exception_fp_ieee_invalid_op 0
		.amdhsa_exception_fp_denorm_src 0
		.amdhsa_exception_fp_ieee_div_zero 0
		.amdhsa_exception_fp_ieee_overflow 0
		.amdhsa_exception_fp_ieee_underflow 0
		.amdhsa_exception_fp_ieee_inexact 0
		.amdhsa_exception_int_div_zero 0
	.end_amdhsa_kernel
	.section	.text._ZN7rocprim17ROCPRIM_400000_NS6detail17trampoline_kernelINS0_14default_configENS1_27lower_bound_config_selectorIjlEEZNS1_14transform_implILb0ES3_S5_N6thrust23THRUST_200600_302600_NS6detail15normal_iteratorINS8_7pointerIjNS8_11hip_rocprim5par_tENS8_11use_defaultESE_EEEENSA_INSB_IlSD_SE_SE_EEEEZNS1_13binary_searchIS3_S5_PjSG_SI_NS1_21lower_bound_search_opENS9_16wrapped_functionINS8_6system6detail7generic6detail18binary_search_lessEbEEEE10hipError_tPvRmT1_T2_T3_mmT4_T5_P12ihipStream_tbEUlRKjE_EEST_SX_SY_mSZ_S12_bEUlT_E_NS1_11comp_targetILNS1_3genE10ELNS1_11target_archE1200ELNS1_3gpuE4ELNS1_3repE0EEENS1_30default_config_static_selectorELNS0_4arch9wavefront6targetE1EEEvSW_,"axG",@progbits,_ZN7rocprim17ROCPRIM_400000_NS6detail17trampoline_kernelINS0_14default_configENS1_27lower_bound_config_selectorIjlEEZNS1_14transform_implILb0ES3_S5_N6thrust23THRUST_200600_302600_NS6detail15normal_iteratorINS8_7pointerIjNS8_11hip_rocprim5par_tENS8_11use_defaultESE_EEEENSA_INSB_IlSD_SE_SE_EEEEZNS1_13binary_searchIS3_S5_PjSG_SI_NS1_21lower_bound_search_opENS9_16wrapped_functionINS8_6system6detail7generic6detail18binary_search_lessEbEEEE10hipError_tPvRmT1_T2_T3_mmT4_T5_P12ihipStream_tbEUlRKjE_EEST_SX_SY_mSZ_S12_bEUlT_E_NS1_11comp_targetILNS1_3genE10ELNS1_11target_archE1200ELNS1_3gpuE4ELNS1_3repE0EEENS1_30default_config_static_selectorELNS0_4arch9wavefront6targetE1EEEvSW_,comdat
.Lfunc_end79:
	.size	_ZN7rocprim17ROCPRIM_400000_NS6detail17trampoline_kernelINS0_14default_configENS1_27lower_bound_config_selectorIjlEEZNS1_14transform_implILb0ES3_S5_N6thrust23THRUST_200600_302600_NS6detail15normal_iteratorINS8_7pointerIjNS8_11hip_rocprim5par_tENS8_11use_defaultESE_EEEENSA_INSB_IlSD_SE_SE_EEEEZNS1_13binary_searchIS3_S5_PjSG_SI_NS1_21lower_bound_search_opENS9_16wrapped_functionINS8_6system6detail7generic6detail18binary_search_lessEbEEEE10hipError_tPvRmT1_T2_T3_mmT4_T5_P12ihipStream_tbEUlRKjE_EEST_SX_SY_mSZ_S12_bEUlT_E_NS1_11comp_targetILNS1_3genE10ELNS1_11target_archE1200ELNS1_3gpuE4ELNS1_3repE0EEENS1_30default_config_static_selectorELNS0_4arch9wavefront6targetE1EEEvSW_, .Lfunc_end79-_ZN7rocprim17ROCPRIM_400000_NS6detail17trampoline_kernelINS0_14default_configENS1_27lower_bound_config_selectorIjlEEZNS1_14transform_implILb0ES3_S5_N6thrust23THRUST_200600_302600_NS6detail15normal_iteratorINS8_7pointerIjNS8_11hip_rocprim5par_tENS8_11use_defaultESE_EEEENSA_INSB_IlSD_SE_SE_EEEEZNS1_13binary_searchIS3_S5_PjSG_SI_NS1_21lower_bound_search_opENS9_16wrapped_functionINS8_6system6detail7generic6detail18binary_search_lessEbEEEE10hipError_tPvRmT1_T2_T3_mmT4_T5_P12ihipStream_tbEUlRKjE_EEST_SX_SY_mSZ_S12_bEUlT_E_NS1_11comp_targetILNS1_3genE10ELNS1_11target_archE1200ELNS1_3gpuE4ELNS1_3repE0EEENS1_30default_config_static_selectorELNS0_4arch9wavefront6targetE1EEEvSW_
                                        ; -- End function
	.set _ZN7rocprim17ROCPRIM_400000_NS6detail17trampoline_kernelINS0_14default_configENS1_27lower_bound_config_selectorIjlEEZNS1_14transform_implILb0ES3_S5_N6thrust23THRUST_200600_302600_NS6detail15normal_iteratorINS8_7pointerIjNS8_11hip_rocprim5par_tENS8_11use_defaultESE_EEEENSA_INSB_IlSD_SE_SE_EEEEZNS1_13binary_searchIS3_S5_PjSG_SI_NS1_21lower_bound_search_opENS9_16wrapped_functionINS8_6system6detail7generic6detail18binary_search_lessEbEEEE10hipError_tPvRmT1_T2_T3_mmT4_T5_P12ihipStream_tbEUlRKjE_EEST_SX_SY_mSZ_S12_bEUlT_E_NS1_11comp_targetILNS1_3genE10ELNS1_11target_archE1200ELNS1_3gpuE4ELNS1_3repE0EEENS1_30default_config_static_selectorELNS0_4arch9wavefront6targetE1EEEvSW_.num_vgpr, 0
	.set _ZN7rocprim17ROCPRIM_400000_NS6detail17trampoline_kernelINS0_14default_configENS1_27lower_bound_config_selectorIjlEEZNS1_14transform_implILb0ES3_S5_N6thrust23THRUST_200600_302600_NS6detail15normal_iteratorINS8_7pointerIjNS8_11hip_rocprim5par_tENS8_11use_defaultESE_EEEENSA_INSB_IlSD_SE_SE_EEEEZNS1_13binary_searchIS3_S5_PjSG_SI_NS1_21lower_bound_search_opENS9_16wrapped_functionINS8_6system6detail7generic6detail18binary_search_lessEbEEEE10hipError_tPvRmT1_T2_T3_mmT4_T5_P12ihipStream_tbEUlRKjE_EEST_SX_SY_mSZ_S12_bEUlT_E_NS1_11comp_targetILNS1_3genE10ELNS1_11target_archE1200ELNS1_3gpuE4ELNS1_3repE0EEENS1_30default_config_static_selectorELNS0_4arch9wavefront6targetE1EEEvSW_.num_agpr, 0
	.set _ZN7rocprim17ROCPRIM_400000_NS6detail17trampoline_kernelINS0_14default_configENS1_27lower_bound_config_selectorIjlEEZNS1_14transform_implILb0ES3_S5_N6thrust23THRUST_200600_302600_NS6detail15normal_iteratorINS8_7pointerIjNS8_11hip_rocprim5par_tENS8_11use_defaultESE_EEEENSA_INSB_IlSD_SE_SE_EEEEZNS1_13binary_searchIS3_S5_PjSG_SI_NS1_21lower_bound_search_opENS9_16wrapped_functionINS8_6system6detail7generic6detail18binary_search_lessEbEEEE10hipError_tPvRmT1_T2_T3_mmT4_T5_P12ihipStream_tbEUlRKjE_EEST_SX_SY_mSZ_S12_bEUlT_E_NS1_11comp_targetILNS1_3genE10ELNS1_11target_archE1200ELNS1_3gpuE4ELNS1_3repE0EEENS1_30default_config_static_selectorELNS0_4arch9wavefront6targetE1EEEvSW_.numbered_sgpr, 0
	.set _ZN7rocprim17ROCPRIM_400000_NS6detail17trampoline_kernelINS0_14default_configENS1_27lower_bound_config_selectorIjlEEZNS1_14transform_implILb0ES3_S5_N6thrust23THRUST_200600_302600_NS6detail15normal_iteratorINS8_7pointerIjNS8_11hip_rocprim5par_tENS8_11use_defaultESE_EEEENSA_INSB_IlSD_SE_SE_EEEEZNS1_13binary_searchIS3_S5_PjSG_SI_NS1_21lower_bound_search_opENS9_16wrapped_functionINS8_6system6detail7generic6detail18binary_search_lessEbEEEE10hipError_tPvRmT1_T2_T3_mmT4_T5_P12ihipStream_tbEUlRKjE_EEST_SX_SY_mSZ_S12_bEUlT_E_NS1_11comp_targetILNS1_3genE10ELNS1_11target_archE1200ELNS1_3gpuE4ELNS1_3repE0EEENS1_30default_config_static_selectorELNS0_4arch9wavefront6targetE1EEEvSW_.num_named_barrier, 0
	.set _ZN7rocprim17ROCPRIM_400000_NS6detail17trampoline_kernelINS0_14default_configENS1_27lower_bound_config_selectorIjlEEZNS1_14transform_implILb0ES3_S5_N6thrust23THRUST_200600_302600_NS6detail15normal_iteratorINS8_7pointerIjNS8_11hip_rocprim5par_tENS8_11use_defaultESE_EEEENSA_INSB_IlSD_SE_SE_EEEEZNS1_13binary_searchIS3_S5_PjSG_SI_NS1_21lower_bound_search_opENS9_16wrapped_functionINS8_6system6detail7generic6detail18binary_search_lessEbEEEE10hipError_tPvRmT1_T2_T3_mmT4_T5_P12ihipStream_tbEUlRKjE_EEST_SX_SY_mSZ_S12_bEUlT_E_NS1_11comp_targetILNS1_3genE10ELNS1_11target_archE1200ELNS1_3gpuE4ELNS1_3repE0EEENS1_30default_config_static_selectorELNS0_4arch9wavefront6targetE1EEEvSW_.private_seg_size, 0
	.set _ZN7rocprim17ROCPRIM_400000_NS6detail17trampoline_kernelINS0_14default_configENS1_27lower_bound_config_selectorIjlEEZNS1_14transform_implILb0ES3_S5_N6thrust23THRUST_200600_302600_NS6detail15normal_iteratorINS8_7pointerIjNS8_11hip_rocprim5par_tENS8_11use_defaultESE_EEEENSA_INSB_IlSD_SE_SE_EEEEZNS1_13binary_searchIS3_S5_PjSG_SI_NS1_21lower_bound_search_opENS9_16wrapped_functionINS8_6system6detail7generic6detail18binary_search_lessEbEEEE10hipError_tPvRmT1_T2_T3_mmT4_T5_P12ihipStream_tbEUlRKjE_EEST_SX_SY_mSZ_S12_bEUlT_E_NS1_11comp_targetILNS1_3genE10ELNS1_11target_archE1200ELNS1_3gpuE4ELNS1_3repE0EEENS1_30default_config_static_selectorELNS0_4arch9wavefront6targetE1EEEvSW_.uses_vcc, 0
	.set _ZN7rocprim17ROCPRIM_400000_NS6detail17trampoline_kernelINS0_14default_configENS1_27lower_bound_config_selectorIjlEEZNS1_14transform_implILb0ES3_S5_N6thrust23THRUST_200600_302600_NS6detail15normal_iteratorINS8_7pointerIjNS8_11hip_rocprim5par_tENS8_11use_defaultESE_EEEENSA_INSB_IlSD_SE_SE_EEEEZNS1_13binary_searchIS3_S5_PjSG_SI_NS1_21lower_bound_search_opENS9_16wrapped_functionINS8_6system6detail7generic6detail18binary_search_lessEbEEEE10hipError_tPvRmT1_T2_T3_mmT4_T5_P12ihipStream_tbEUlRKjE_EEST_SX_SY_mSZ_S12_bEUlT_E_NS1_11comp_targetILNS1_3genE10ELNS1_11target_archE1200ELNS1_3gpuE4ELNS1_3repE0EEENS1_30default_config_static_selectorELNS0_4arch9wavefront6targetE1EEEvSW_.uses_flat_scratch, 0
	.set _ZN7rocprim17ROCPRIM_400000_NS6detail17trampoline_kernelINS0_14default_configENS1_27lower_bound_config_selectorIjlEEZNS1_14transform_implILb0ES3_S5_N6thrust23THRUST_200600_302600_NS6detail15normal_iteratorINS8_7pointerIjNS8_11hip_rocprim5par_tENS8_11use_defaultESE_EEEENSA_INSB_IlSD_SE_SE_EEEEZNS1_13binary_searchIS3_S5_PjSG_SI_NS1_21lower_bound_search_opENS9_16wrapped_functionINS8_6system6detail7generic6detail18binary_search_lessEbEEEE10hipError_tPvRmT1_T2_T3_mmT4_T5_P12ihipStream_tbEUlRKjE_EEST_SX_SY_mSZ_S12_bEUlT_E_NS1_11comp_targetILNS1_3genE10ELNS1_11target_archE1200ELNS1_3gpuE4ELNS1_3repE0EEENS1_30default_config_static_selectorELNS0_4arch9wavefront6targetE1EEEvSW_.has_dyn_sized_stack, 0
	.set _ZN7rocprim17ROCPRIM_400000_NS6detail17trampoline_kernelINS0_14default_configENS1_27lower_bound_config_selectorIjlEEZNS1_14transform_implILb0ES3_S5_N6thrust23THRUST_200600_302600_NS6detail15normal_iteratorINS8_7pointerIjNS8_11hip_rocprim5par_tENS8_11use_defaultESE_EEEENSA_INSB_IlSD_SE_SE_EEEEZNS1_13binary_searchIS3_S5_PjSG_SI_NS1_21lower_bound_search_opENS9_16wrapped_functionINS8_6system6detail7generic6detail18binary_search_lessEbEEEE10hipError_tPvRmT1_T2_T3_mmT4_T5_P12ihipStream_tbEUlRKjE_EEST_SX_SY_mSZ_S12_bEUlT_E_NS1_11comp_targetILNS1_3genE10ELNS1_11target_archE1200ELNS1_3gpuE4ELNS1_3repE0EEENS1_30default_config_static_selectorELNS0_4arch9wavefront6targetE1EEEvSW_.has_recursion, 0
	.set _ZN7rocprim17ROCPRIM_400000_NS6detail17trampoline_kernelINS0_14default_configENS1_27lower_bound_config_selectorIjlEEZNS1_14transform_implILb0ES3_S5_N6thrust23THRUST_200600_302600_NS6detail15normal_iteratorINS8_7pointerIjNS8_11hip_rocprim5par_tENS8_11use_defaultESE_EEEENSA_INSB_IlSD_SE_SE_EEEEZNS1_13binary_searchIS3_S5_PjSG_SI_NS1_21lower_bound_search_opENS9_16wrapped_functionINS8_6system6detail7generic6detail18binary_search_lessEbEEEE10hipError_tPvRmT1_T2_T3_mmT4_T5_P12ihipStream_tbEUlRKjE_EEST_SX_SY_mSZ_S12_bEUlT_E_NS1_11comp_targetILNS1_3genE10ELNS1_11target_archE1200ELNS1_3gpuE4ELNS1_3repE0EEENS1_30default_config_static_selectorELNS0_4arch9wavefront6targetE1EEEvSW_.has_indirect_call, 0
	.section	.AMDGPU.csdata,"",@progbits
; Kernel info:
; codeLenInByte = 0
; TotalNumSgprs: 4
; NumVgprs: 0
; ScratchSize: 0
; MemoryBound: 0
; FloatMode: 240
; IeeeMode: 1
; LDSByteSize: 0 bytes/workgroup (compile time only)
; SGPRBlocks: 0
; VGPRBlocks: 0
; NumSGPRsForWavesPerEU: 4
; NumVGPRsForWavesPerEU: 1
; Occupancy: 10
; WaveLimiterHint : 0
; COMPUTE_PGM_RSRC2:SCRATCH_EN: 0
; COMPUTE_PGM_RSRC2:USER_SGPR: 6
; COMPUTE_PGM_RSRC2:TRAP_HANDLER: 0
; COMPUTE_PGM_RSRC2:TGID_X_EN: 1
; COMPUTE_PGM_RSRC2:TGID_Y_EN: 0
; COMPUTE_PGM_RSRC2:TGID_Z_EN: 0
; COMPUTE_PGM_RSRC2:TIDIG_COMP_CNT: 0
	.section	.text._ZN7rocprim17ROCPRIM_400000_NS6detail17trampoline_kernelINS0_14default_configENS1_27lower_bound_config_selectorIjlEEZNS1_14transform_implILb0ES3_S5_N6thrust23THRUST_200600_302600_NS6detail15normal_iteratorINS8_7pointerIjNS8_11hip_rocprim5par_tENS8_11use_defaultESE_EEEENSA_INSB_IlSD_SE_SE_EEEEZNS1_13binary_searchIS3_S5_PjSG_SI_NS1_21lower_bound_search_opENS9_16wrapped_functionINS8_6system6detail7generic6detail18binary_search_lessEbEEEE10hipError_tPvRmT1_T2_T3_mmT4_T5_P12ihipStream_tbEUlRKjE_EEST_SX_SY_mSZ_S12_bEUlT_E_NS1_11comp_targetILNS1_3genE9ELNS1_11target_archE1100ELNS1_3gpuE3ELNS1_3repE0EEENS1_30default_config_static_selectorELNS0_4arch9wavefront6targetE1EEEvSW_,"axG",@progbits,_ZN7rocprim17ROCPRIM_400000_NS6detail17trampoline_kernelINS0_14default_configENS1_27lower_bound_config_selectorIjlEEZNS1_14transform_implILb0ES3_S5_N6thrust23THRUST_200600_302600_NS6detail15normal_iteratorINS8_7pointerIjNS8_11hip_rocprim5par_tENS8_11use_defaultESE_EEEENSA_INSB_IlSD_SE_SE_EEEEZNS1_13binary_searchIS3_S5_PjSG_SI_NS1_21lower_bound_search_opENS9_16wrapped_functionINS8_6system6detail7generic6detail18binary_search_lessEbEEEE10hipError_tPvRmT1_T2_T3_mmT4_T5_P12ihipStream_tbEUlRKjE_EEST_SX_SY_mSZ_S12_bEUlT_E_NS1_11comp_targetILNS1_3genE9ELNS1_11target_archE1100ELNS1_3gpuE3ELNS1_3repE0EEENS1_30default_config_static_selectorELNS0_4arch9wavefront6targetE1EEEvSW_,comdat
	.protected	_ZN7rocprim17ROCPRIM_400000_NS6detail17trampoline_kernelINS0_14default_configENS1_27lower_bound_config_selectorIjlEEZNS1_14transform_implILb0ES3_S5_N6thrust23THRUST_200600_302600_NS6detail15normal_iteratorINS8_7pointerIjNS8_11hip_rocprim5par_tENS8_11use_defaultESE_EEEENSA_INSB_IlSD_SE_SE_EEEEZNS1_13binary_searchIS3_S5_PjSG_SI_NS1_21lower_bound_search_opENS9_16wrapped_functionINS8_6system6detail7generic6detail18binary_search_lessEbEEEE10hipError_tPvRmT1_T2_T3_mmT4_T5_P12ihipStream_tbEUlRKjE_EEST_SX_SY_mSZ_S12_bEUlT_E_NS1_11comp_targetILNS1_3genE9ELNS1_11target_archE1100ELNS1_3gpuE3ELNS1_3repE0EEENS1_30default_config_static_selectorELNS0_4arch9wavefront6targetE1EEEvSW_ ; -- Begin function _ZN7rocprim17ROCPRIM_400000_NS6detail17trampoline_kernelINS0_14default_configENS1_27lower_bound_config_selectorIjlEEZNS1_14transform_implILb0ES3_S5_N6thrust23THRUST_200600_302600_NS6detail15normal_iteratorINS8_7pointerIjNS8_11hip_rocprim5par_tENS8_11use_defaultESE_EEEENSA_INSB_IlSD_SE_SE_EEEEZNS1_13binary_searchIS3_S5_PjSG_SI_NS1_21lower_bound_search_opENS9_16wrapped_functionINS8_6system6detail7generic6detail18binary_search_lessEbEEEE10hipError_tPvRmT1_T2_T3_mmT4_T5_P12ihipStream_tbEUlRKjE_EEST_SX_SY_mSZ_S12_bEUlT_E_NS1_11comp_targetILNS1_3genE9ELNS1_11target_archE1100ELNS1_3gpuE3ELNS1_3repE0EEENS1_30default_config_static_selectorELNS0_4arch9wavefront6targetE1EEEvSW_
	.globl	_ZN7rocprim17ROCPRIM_400000_NS6detail17trampoline_kernelINS0_14default_configENS1_27lower_bound_config_selectorIjlEEZNS1_14transform_implILb0ES3_S5_N6thrust23THRUST_200600_302600_NS6detail15normal_iteratorINS8_7pointerIjNS8_11hip_rocprim5par_tENS8_11use_defaultESE_EEEENSA_INSB_IlSD_SE_SE_EEEEZNS1_13binary_searchIS3_S5_PjSG_SI_NS1_21lower_bound_search_opENS9_16wrapped_functionINS8_6system6detail7generic6detail18binary_search_lessEbEEEE10hipError_tPvRmT1_T2_T3_mmT4_T5_P12ihipStream_tbEUlRKjE_EEST_SX_SY_mSZ_S12_bEUlT_E_NS1_11comp_targetILNS1_3genE9ELNS1_11target_archE1100ELNS1_3gpuE3ELNS1_3repE0EEENS1_30default_config_static_selectorELNS0_4arch9wavefront6targetE1EEEvSW_
	.p2align	8
	.type	_ZN7rocprim17ROCPRIM_400000_NS6detail17trampoline_kernelINS0_14default_configENS1_27lower_bound_config_selectorIjlEEZNS1_14transform_implILb0ES3_S5_N6thrust23THRUST_200600_302600_NS6detail15normal_iteratorINS8_7pointerIjNS8_11hip_rocprim5par_tENS8_11use_defaultESE_EEEENSA_INSB_IlSD_SE_SE_EEEEZNS1_13binary_searchIS3_S5_PjSG_SI_NS1_21lower_bound_search_opENS9_16wrapped_functionINS8_6system6detail7generic6detail18binary_search_lessEbEEEE10hipError_tPvRmT1_T2_T3_mmT4_T5_P12ihipStream_tbEUlRKjE_EEST_SX_SY_mSZ_S12_bEUlT_E_NS1_11comp_targetILNS1_3genE9ELNS1_11target_archE1100ELNS1_3gpuE3ELNS1_3repE0EEENS1_30default_config_static_selectorELNS0_4arch9wavefront6targetE1EEEvSW_,@function
_ZN7rocprim17ROCPRIM_400000_NS6detail17trampoline_kernelINS0_14default_configENS1_27lower_bound_config_selectorIjlEEZNS1_14transform_implILb0ES3_S5_N6thrust23THRUST_200600_302600_NS6detail15normal_iteratorINS8_7pointerIjNS8_11hip_rocprim5par_tENS8_11use_defaultESE_EEEENSA_INSB_IlSD_SE_SE_EEEEZNS1_13binary_searchIS3_S5_PjSG_SI_NS1_21lower_bound_search_opENS9_16wrapped_functionINS8_6system6detail7generic6detail18binary_search_lessEbEEEE10hipError_tPvRmT1_T2_T3_mmT4_T5_P12ihipStream_tbEUlRKjE_EEST_SX_SY_mSZ_S12_bEUlT_E_NS1_11comp_targetILNS1_3genE9ELNS1_11target_archE1100ELNS1_3gpuE3ELNS1_3repE0EEENS1_30default_config_static_selectorELNS0_4arch9wavefront6targetE1EEEvSW_: ; @_ZN7rocprim17ROCPRIM_400000_NS6detail17trampoline_kernelINS0_14default_configENS1_27lower_bound_config_selectorIjlEEZNS1_14transform_implILb0ES3_S5_N6thrust23THRUST_200600_302600_NS6detail15normal_iteratorINS8_7pointerIjNS8_11hip_rocprim5par_tENS8_11use_defaultESE_EEEENSA_INSB_IlSD_SE_SE_EEEEZNS1_13binary_searchIS3_S5_PjSG_SI_NS1_21lower_bound_search_opENS9_16wrapped_functionINS8_6system6detail7generic6detail18binary_search_lessEbEEEE10hipError_tPvRmT1_T2_T3_mmT4_T5_P12ihipStream_tbEUlRKjE_EEST_SX_SY_mSZ_S12_bEUlT_E_NS1_11comp_targetILNS1_3genE9ELNS1_11target_archE1100ELNS1_3gpuE3ELNS1_3repE0EEENS1_30default_config_static_selectorELNS0_4arch9wavefront6targetE1EEEvSW_
; %bb.0:
	.section	.rodata,"a",@progbits
	.p2align	6, 0x0
	.amdhsa_kernel _ZN7rocprim17ROCPRIM_400000_NS6detail17trampoline_kernelINS0_14default_configENS1_27lower_bound_config_selectorIjlEEZNS1_14transform_implILb0ES3_S5_N6thrust23THRUST_200600_302600_NS6detail15normal_iteratorINS8_7pointerIjNS8_11hip_rocprim5par_tENS8_11use_defaultESE_EEEENSA_INSB_IlSD_SE_SE_EEEEZNS1_13binary_searchIS3_S5_PjSG_SI_NS1_21lower_bound_search_opENS9_16wrapped_functionINS8_6system6detail7generic6detail18binary_search_lessEbEEEE10hipError_tPvRmT1_T2_T3_mmT4_T5_P12ihipStream_tbEUlRKjE_EEST_SX_SY_mSZ_S12_bEUlT_E_NS1_11comp_targetILNS1_3genE9ELNS1_11target_archE1100ELNS1_3gpuE3ELNS1_3repE0EEENS1_30default_config_static_selectorELNS0_4arch9wavefront6targetE1EEEvSW_
		.amdhsa_group_segment_fixed_size 0
		.amdhsa_private_segment_fixed_size 0
		.amdhsa_kernarg_size 56
		.amdhsa_user_sgpr_count 6
		.amdhsa_user_sgpr_private_segment_buffer 1
		.amdhsa_user_sgpr_dispatch_ptr 0
		.amdhsa_user_sgpr_queue_ptr 0
		.amdhsa_user_sgpr_kernarg_segment_ptr 1
		.amdhsa_user_sgpr_dispatch_id 0
		.amdhsa_user_sgpr_flat_scratch_init 0
		.amdhsa_user_sgpr_private_segment_size 0
		.amdhsa_uses_dynamic_stack 0
		.amdhsa_system_sgpr_private_segment_wavefront_offset 0
		.amdhsa_system_sgpr_workgroup_id_x 1
		.amdhsa_system_sgpr_workgroup_id_y 0
		.amdhsa_system_sgpr_workgroup_id_z 0
		.amdhsa_system_sgpr_workgroup_info 0
		.amdhsa_system_vgpr_workitem_id 0
		.amdhsa_next_free_vgpr 1
		.amdhsa_next_free_sgpr 0
		.amdhsa_reserve_vcc 0
		.amdhsa_reserve_flat_scratch 0
		.amdhsa_float_round_mode_32 0
		.amdhsa_float_round_mode_16_64 0
		.amdhsa_float_denorm_mode_32 3
		.amdhsa_float_denorm_mode_16_64 3
		.amdhsa_dx10_clamp 1
		.amdhsa_ieee_mode 1
		.amdhsa_fp16_overflow 0
		.amdhsa_exception_fp_ieee_invalid_op 0
		.amdhsa_exception_fp_denorm_src 0
		.amdhsa_exception_fp_ieee_div_zero 0
		.amdhsa_exception_fp_ieee_overflow 0
		.amdhsa_exception_fp_ieee_underflow 0
		.amdhsa_exception_fp_ieee_inexact 0
		.amdhsa_exception_int_div_zero 0
	.end_amdhsa_kernel
	.section	.text._ZN7rocprim17ROCPRIM_400000_NS6detail17trampoline_kernelINS0_14default_configENS1_27lower_bound_config_selectorIjlEEZNS1_14transform_implILb0ES3_S5_N6thrust23THRUST_200600_302600_NS6detail15normal_iteratorINS8_7pointerIjNS8_11hip_rocprim5par_tENS8_11use_defaultESE_EEEENSA_INSB_IlSD_SE_SE_EEEEZNS1_13binary_searchIS3_S5_PjSG_SI_NS1_21lower_bound_search_opENS9_16wrapped_functionINS8_6system6detail7generic6detail18binary_search_lessEbEEEE10hipError_tPvRmT1_T2_T3_mmT4_T5_P12ihipStream_tbEUlRKjE_EEST_SX_SY_mSZ_S12_bEUlT_E_NS1_11comp_targetILNS1_3genE9ELNS1_11target_archE1100ELNS1_3gpuE3ELNS1_3repE0EEENS1_30default_config_static_selectorELNS0_4arch9wavefront6targetE1EEEvSW_,"axG",@progbits,_ZN7rocprim17ROCPRIM_400000_NS6detail17trampoline_kernelINS0_14default_configENS1_27lower_bound_config_selectorIjlEEZNS1_14transform_implILb0ES3_S5_N6thrust23THRUST_200600_302600_NS6detail15normal_iteratorINS8_7pointerIjNS8_11hip_rocprim5par_tENS8_11use_defaultESE_EEEENSA_INSB_IlSD_SE_SE_EEEEZNS1_13binary_searchIS3_S5_PjSG_SI_NS1_21lower_bound_search_opENS9_16wrapped_functionINS8_6system6detail7generic6detail18binary_search_lessEbEEEE10hipError_tPvRmT1_T2_T3_mmT4_T5_P12ihipStream_tbEUlRKjE_EEST_SX_SY_mSZ_S12_bEUlT_E_NS1_11comp_targetILNS1_3genE9ELNS1_11target_archE1100ELNS1_3gpuE3ELNS1_3repE0EEENS1_30default_config_static_selectorELNS0_4arch9wavefront6targetE1EEEvSW_,comdat
.Lfunc_end80:
	.size	_ZN7rocprim17ROCPRIM_400000_NS6detail17trampoline_kernelINS0_14default_configENS1_27lower_bound_config_selectorIjlEEZNS1_14transform_implILb0ES3_S5_N6thrust23THRUST_200600_302600_NS6detail15normal_iteratorINS8_7pointerIjNS8_11hip_rocprim5par_tENS8_11use_defaultESE_EEEENSA_INSB_IlSD_SE_SE_EEEEZNS1_13binary_searchIS3_S5_PjSG_SI_NS1_21lower_bound_search_opENS9_16wrapped_functionINS8_6system6detail7generic6detail18binary_search_lessEbEEEE10hipError_tPvRmT1_T2_T3_mmT4_T5_P12ihipStream_tbEUlRKjE_EEST_SX_SY_mSZ_S12_bEUlT_E_NS1_11comp_targetILNS1_3genE9ELNS1_11target_archE1100ELNS1_3gpuE3ELNS1_3repE0EEENS1_30default_config_static_selectorELNS0_4arch9wavefront6targetE1EEEvSW_, .Lfunc_end80-_ZN7rocprim17ROCPRIM_400000_NS6detail17trampoline_kernelINS0_14default_configENS1_27lower_bound_config_selectorIjlEEZNS1_14transform_implILb0ES3_S5_N6thrust23THRUST_200600_302600_NS6detail15normal_iteratorINS8_7pointerIjNS8_11hip_rocprim5par_tENS8_11use_defaultESE_EEEENSA_INSB_IlSD_SE_SE_EEEEZNS1_13binary_searchIS3_S5_PjSG_SI_NS1_21lower_bound_search_opENS9_16wrapped_functionINS8_6system6detail7generic6detail18binary_search_lessEbEEEE10hipError_tPvRmT1_T2_T3_mmT4_T5_P12ihipStream_tbEUlRKjE_EEST_SX_SY_mSZ_S12_bEUlT_E_NS1_11comp_targetILNS1_3genE9ELNS1_11target_archE1100ELNS1_3gpuE3ELNS1_3repE0EEENS1_30default_config_static_selectorELNS0_4arch9wavefront6targetE1EEEvSW_
                                        ; -- End function
	.set _ZN7rocprim17ROCPRIM_400000_NS6detail17trampoline_kernelINS0_14default_configENS1_27lower_bound_config_selectorIjlEEZNS1_14transform_implILb0ES3_S5_N6thrust23THRUST_200600_302600_NS6detail15normal_iteratorINS8_7pointerIjNS8_11hip_rocprim5par_tENS8_11use_defaultESE_EEEENSA_INSB_IlSD_SE_SE_EEEEZNS1_13binary_searchIS3_S5_PjSG_SI_NS1_21lower_bound_search_opENS9_16wrapped_functionINS8_6system6detail7generic6detail18binary_search_lessEbEEEE10hipError_tPvRmT1_T2_T3_mmT4_T5_P12ihipStream_tbEUlRKjE_EEST_SX_SY_mSZ_S12_bEUlT_E_NS1_11comp_targetILNS1_3genE9ELNS1_11target_archE1100ELNS1_3gpuE3ELNS1_3repE0EEENS1_30default_config_static_selectorELNS0_4arch9wavefront6targetE1EEEvSW_.num_vgpr, 0
	.set _ZN7rocprim17ROCPRIM_400000_NS6detail17trampoline_kernelINS0_14default_configENS1_27lower_bound_config_selectorIjlEEZNS1_14transform_implILb0ES3_S5_N6thrust23THRUST_200600_302600_NS6detail15normal_iteratorINS8_7pointerIjNS8_11hip_rocprim5par_tENS8_11use_defaultESE_EEEENSA_INSB_IlSD_SE_SE_EEEEZNS1_13binary_searchIS3_S5_PjSG_SI_NS1_21lower_bound_search_opENS9_16wrapped_functionINS8_6system6detail7generic6detail18binary_search_lessEbEEEE10hipError_tPvRmT1_T2_T3_mmT4_T5_P12ihipStream_tbEUlRKjE_EEST_SX_SY_mSZ_S12_bEUlT_E_NS1_11comp_targetILNS1_3genE9ELNS1_11target_archE1100ELNS1_3gpuE3ELNS1_3repE0EEENS1_30default_config_static_selectorELNS0_4arch9wavefront6targetE1EEEvSW_.num_agpr, 0
	.set _ZN7rocprim17ROCPRIM_400000_NS6detail17trampoline_kernelINS0_14default_configENS1_27lower_bound_config_selectorIjlEEZNS1_14transform_implILb0ES3_S5_N6thrust23THRUST_200600_302600_NS6detail15normal_iteratorINS8_7pointerIjNS8_11hip_rocprim5par_tENS8_11use_defaultESE_EEEENSA_INSB_IlSD_SE_SE_EEEEZNS1_13binary_searchIS3_S5_PjSG_SI_NS1_21lower_bound_search_opENS9_16wrapped_functionINS8_6system6detail7generic6detail18binary_search_lessEbEEEE10hipError_tPvRmT1_T2_T3_mmT4_T5_P12ihipStream_tbEUlRKjE_EEST_SX_SY_mSZ_S12_bEUlT_E_NS1_11comp_targetILNS1_3genE9ELNS1_11target_archE1100ELNS1_3gpuE3ELNS1_3repE0EEENS1_30default_config_static_selectorELNS0_4arch9wavefront6targetE1EEEvSW_.numbered_sgpr, 0
	.set _ZN7rocprim17ROCPRIM_400000_NS6detail17trampoline_kernelINS0_14default_configENS1_27lower_bound_config_selectorIjlEEZNS1_14transform_implILb0ES3_S5_N6thrust23THRUST_200600_302600_NS6detail15normal_iteratorINS8_7pointerIjNS8_11hip_rocprim5par_tENS8_11use_defaultESE_EEEENSA_INSB_IlSD_SE_SE_EEEEZNS1_13binary_searchIS3_S5_PjSG_SI_NS1_21lower_bound_search_opENS9_16wrapped_functionINS8_6system6detail7generic6detail18binary_search_lessEbEEEE10hipError_tPvRmT1_T2_T3_mmT4_T5_P12ihipStream_tbEUlRKjE_EEST_SX_SY_mSZ_S12_bEUlT_E_NS1_11comp_targetILNS1_3genE9ELNS1_11target_archE1100ELNS1_3gpuE3ELNS1_3repE0EEENS1_30default_config_static_selectorELNS0_4arch9wavefront6targetE1EEEvSW_.num_named_barrier, 0
	.set _ZN7rocprim17ROCPRIM_400000_NS6detail17trampoline_kernelINS0_14default_configENS1_27lower_bound_config_selectorIjlEEZNS1_14transform_implILb0ES3_S5_N6thrust23THRUST_200600_302600_NS6detail15normal_iteratorINS8_7pointerIjNS8_11hip_rocprim5par_tENS8_11use_defaultESE_EEEENSA_INSB_IlSD_SE_SE_EEEEZNS1_13binary_searchIS3_S5_PjSG_SI_NS1_21lower_bound_search_opENS9_16wrapped_functionINS8_6system6detail7generic6detail18binary_search_lessEbEEEE10hipError_tPvRmT1_T2_T3_mmT4_T5_P12ihipStream_tbEUlRKjE_EEST_SX_SY_mSZ_S12_bEUlT_E_NS1_11comp_targetILNS1_3genE9ELNS1_11target_archE1100ELNS1_3gpuE3ELNS1_3repE0EEENS1_30default_config_static_selectorELNS0_4arch9wavefront6targetE1EEEvSW_.private_seg_size, 0
	.set _ZN7rocprim17ROCPRIM_400000_NS6detail17trampoline_kernelINS0_14default_configENS1_27lower_bound_config_selectorIjlEEZNS1_14transform_implILb0ES3_S5_N6thrust23THRUST_200600_302600_NS6detail15normal_iteratorINS8_7pointerIjNS8_11hip_rocprim5par_tENS8_11use_defaultESE_EEEENSA_INSB_IlSD_SE_SE_EEEEZNS1_13binary_searchIS3_S5_PjSG_SI_NS1_21lower_bound_search_opENS9_16wrapped_functionINS8_6system6detail7generic6detail18binary_search_lessEbEEEE10hipError_tPvRmT1_T2_T3_mmT4_T5_P12ihipStream_tbEUlRKjE_EEST_SX_SY_mSZ_S12_bEUlT_E_NS1_11comp_targetILNS1_3genE9ELNS1_11target_archE1100ELNS1_3gpuE3ELNS1_3repE0EEENS1_30default_config_static_selectorELNS0_4arch9wavefront6targetE1EEEvSW_.uses_vcc, 0
	.set _ZN7rocprim17ROCPRIM_400000_NS6detail17trampoline_kernelINS0_14default_configENS1_27lower_bound_config_selectorIjlEEZNS1_14transform_implILb0ES3_S5_N6thrust23THRUST_200600_302600_NS6detail15normal_iteratorINS8_7pointerIjNS8_11hip_rocprim5par_tENS8_11use_defaultESE_EEEENSA_INSB_IlSD_SE_SE_EEEEZNS1_13binary_searchIS3_S5_PjSG_SI_NS1_21lower_bound_search_opENS9_16wrapped_functionINS8_6system6detail7generic6detail18binary_search_lessEbEEEE10hipError_tPvRmT1_T2_T3_mmT4_T5_P12ihipStream_tbEUlRKjE_EEST_SX_SY_mSZ_S12_bEUlT_E_NS1_11comp_targetILNS1_3genE9ELNS1_11target_archE1100ELNS1_3gpuE3ELNS1_3repE0EEENS1_30default_config_static_selectorELNS0_4arch9wavefront6targetE1EEEvSW_.uses_flat_scratch, 0
	.set _ZN7rocprim17ROCPRIM_400000_NS6detail17trampoline_kernelINS0_14default_configENS1_27lower_bound_config_selectorIjlEEZNS1_14transform_implILb0ES3_S5_N6thrust23THRUST_200600_302600_NS6detail15normal_iteratorINS8_7pointerIjNS8_11hip_rocprim5par_tENS8_11use_defaultESE_EEEENSA_INSB_IlSD_SE_SE_EEEEZNS1_13binary_searchIS3_S5_PjSG_SI_NS1_21lower_bound_search_opENS9_16wrapped_functionINS8_6system6detail7generic6detail18binary_search_lessEbEEEE10hipError_tPvRmT1_T2_T3_mmT4_T5_P12ihipStream_tbEUlRKjE_EEST_SX_SY_mSZ_S12_bEUlT_E_NS1_11comp_targetILNS1_3genE9ELNS1_11target_archE1100ELNS1_3gpuE3ELNS1_3repE0EEENS1_30default_config_static_selectorELNS0_4arch9wavefront6targetE1EEEvSW_.has_dyn_sized_stack, 0
	.set _ZN7rocprim17ROCPRIM_400000_NS6detail17trampoline_kernelINS0_14default_configENS1_27lower_bound_config_selectorIjlEEZNS1_14transform_implILb0ES3_S5_N6thrust23THRUST_200600_302600_NS6detail15normal_iteratorINS8_7pointerIjNS8_11hip_rocprim5par_tENS8_11use_defaultESE_EEEENSA_INSB_IlSD_SE_SE_EEEEZNS1_13binary_searchIS3_S5_PjSG_SI_NS1_21lower_bound_search_opENS9_16wrapped_functionINS8_6system6detail7generic6detail18binary_search_lessEbEEEE10hipError_tPvRmT1_T2_T3_mmT4_T5_P12ihipStream_tbEUlRKjE_EEST_SX_SY_mSZ_S12_bEUlT_E_NS1_11comp_targetILNS1_3genE9ELNS1_11target_archE1100ELNS1_3gpuE3ELNS1_3repE0EEENS1_30default_config_static_selectorELNS0_4arch9wavefront6targetE1EEEvSW_.has_recursion, 0
	.set _ZN7rocprim17ROCPRIM_400000_NS6detail17trampoline_kernelINS0_14default_configENS1_27lower_bound_config_selectorIjlEEZNS1_14transform_implILb0ES3_S5_N6thrust23THRUST_200600_302600_NS6detail15normal_iteratorINS8_7pointerIjNS8_11hip_rocprim5par_tENS8_11use_defaultESE_EEEENSA_INSB_IlSD_SE_SE_EEEEZNS1_13binary_searchIS3_S5_PjSG_SI_NS1_21lower_bound_search_opENS9_16wrapped_functionINS8_6system6detail7generic6detail18binary_search_lessEbEEEE10hipError_tPvRmT1_T2_T3_mmT4_T5_P12ihipStream_tbEUlRKjE_EEST_SX_SY_mSZ_S12_bEUlT_E_NS1_11comp_targetILNS1_3genE9ELNS1_11target_archE1100ELNS1_3gpuE3ELNS1_3repE0EEENS1_30default_config_static_selectorELNS0_4arch9wavefront6targetE1EEEvSW_.has_indirect_call, 0
	.section	.AMDGPU.csdata,"",@progbits
; Kernel info:
; codeLenInByte = 0
; TotalNumSgprs: 4
; NumVgprs: 0
; ScratchSize: 0
; MemoryBound: 0
; FloatMode: 240
; IeeeMode: 1
; LDSByteSize: 0 bytes/workgroup (compile time only)
; SGPRBlocks: 0
; VGPRBlocks: 0
; NumSGPRsForWavesPerEU: 4
; NumVGPRsForWavesPerEU: 1
; Occupancy: 10
; WaveLimiterHint : 0
; COMPUTE_PGM_RSRC2:SCRATCH_EN: 0
; COMPUTE_PGM_RSRC2:USER_SGPR: 6
; COMPUTE_PGM_RSRC2:TRAP_HANDLER: 0
; COMPUTE_PGM_RSRC2:TGID_X_EN: 1
; COMPUTE_PGM_RSRC2:TGID_Y_EN: 0
; COMPUTE_PGM_RSRC2:TGID_Z_EN: 0
; COMPUTE_PGM_RSRC2:TIDIG_COMP_CNT: 0
	.section	.text._ZN7rocprim17ROCPRIM_400000_NS6detail17trampoline_kernelINS0_14default_configENS1_27lower_bound_config_selectorIjlEEZNS1_14transform_implILb0ES3_S5_N6thrust23THRUST_200600_302600_NS6detail15normal_iteratorINS8_7pointerIjNS8_11hip_rocprim5par_tENS8_11use_defaultESE_EEEENSA_INSB_IlSD_SE_SE_EEEEZNS1_13binary_searchIS3_S5_PjSG_SI_NS1_21lower_bound_search_opENS9_16wrapped_functionINS8_6system6detail7generic6detail18binary_search_lessEbEEEE10hipError_tPvRmT1_T2_T3_mmT4_T5_P12ihipStream_tbEUlRKjE_EEST_SX_SY_mSZ_S12_bEUlT_E_NS1_11comp_targetILNS1_3genE8ELNS1_11target_archE1030ELNS1_3gpuE2ELNS1_3repE0EEENS1_30default_config_static_selectorELNS0_4arch9wavefront6targetE1EEEvSW_,"axG",@progbits,_ZN7rocprim17ROCPRIM_400000_NS6detail17trampoline_kernelINS0_14default_configENS1_27lower_bound_config_selectorIjlEEZNS1_14transform_implILb0ES3_S5_N6thrust23THRUST_200600_302600_NS6detail15normal_iteratorINS8_7pointerIjNS8_11hip_rocprim5par_tENS8_11use_defaultESE_EEEENSA_INSB_IlSD_SE_SE_EEEEZNS1_13binary_searchIS3_S5_PjSG_SI_NS1_21lower_bound_search_opENS9_16wrapped_functionINS8_6system6detail7generic6detail18binary_search_lessEbEEEE10hipError_tPvRmT1_T2_T3_mmT4_T5_P12ihipStream_tbEUlRKjE_EEST_SX_SY_mSZ_S12_bEUlT_E_NS1_11comp_targetILNS1_3genE8ELNS1_11target_archE1030ELNS1_3gpuE2ELNS1_3repE0EEENS1_30default_config_static_selectorELNS0_4arch9wavefront6targetE1EEEvSW_,comdat
	.protected	_ZN7rocprim17ROCPRIM_400000_NS6detail17trampoline_kernelINS0_14default_configENS1_27lower_bound_config_selectorIjlEEZNS1_14transform_implILb0ES3_S5_N6thrust23THRUST_200600_302600_NS6detail15normal_iteratorINS8_7pointerIjNS8_11hip_rocprim5par_tENS8_11use_defaultESE_EEEENSA_INSB_IlSD_SE_SE_EEEEZNS1_13binary_searchIS3_S5_PjSG_SI_NS1_21lower_bound_search_opENS9_16wrapped_functionINS8_6system6detail7generic6detail18binary_search_lessEbEEEE10hipError_tPvRmT1_T2_T3_mmT4_T5_P12ihipStream_tbEUlRKjE_EEST_SX_SY_mSZ_S12_bEUlT_E_NS1_11comp_targetILNS1_3genE8ELNS1_11target_archE1030ELNS1_3gpuE2ELNS1_3repE0EEENS1_30default_config_static_selectorELNS0_4arch9wavefront6targetE1EEEvSW_ ; -- Begin function _ZN7rocprim17ROCPRIM_400000_NS6detail17trampoline_kernelINS0_14default_configENS1_27lower_bound_config_selectorIjlEEZNS1_14transform_implILb0ES3_S5_N6thrust23THRUST_200600_302600_NS6detail15normal_iteratorINS8_7pointerIjNS8_11hip_rocprim5par_tENS8_11use_defaultESE_EEEENSA_INSB_IlSD_SE_SE_EEEEZNS1_13binary_searchIS3_S5_PjSG_SI_NS1_21lower_bound_search_opENS9_16wrapped_functionINS8_6system6detail7generic6detail18binary_search_lessEbEEEE10hipError_tPvRmT1_T2_T3_mmT4_T5_P12ihipStream_tbEUlRKjE_EEST_SX_SY_mSZ_S12_bEUlT_E_NS1_11comp_targetILNS1_3genE8ELNS1_11target_archE1030ELNS1_3gpuE2ELNS1_3repE0EEENS1_30default_config_static_selectorELNS0_4arch9wavefront6targetE1EEEvSW_
	.globl	_ZN7rocprim17ROCPRIM_400000_NS6detail17trampoline_kernelINS0_14default_configENS1_27lower_bound_config_selectorIjlEEZNS1_14transform_implILb0ES3_S5_N6thrust23THRUST_200600_302600_NS6detail15normal_iteratorINS8_7pointerIjNS8_11hip_rocprim5par_tENS8_11use_defaultESE_EEEENSA_INSB_IlSD_SE_SE_EEEEZNS1_13binary_searchIS3_S5_PjSG_SI_NS1_21lower_bound_search_opENS9_16wrapped_functionINS8_6system6detail7generic6detail18binary_search_lessEbEEEE10hipError_tPvRmT1_T2_T3_mmT4_T5_P12ihipStream_tbEUlRKjE_EEST_SX_SY_mSZ_S12_bEUlT_E_NS1_11comp_targetILNS1_3genE8ELNS1_11target_archE1030ELNS1_3gpuE2ELNS1_3repE0EEENS1_30default_config_static_selectorELNS0_4arch9wavefront6targetE1EEEvSW_
	.p2align	8
	.type	_ZN7rocprim17ROCPRIM_400000_NS6detail17trampoline_kernelINS0_14default_configENS1_27lower_bound_config_selectorIjlEEZNS1_14transform_implILb0ES3_S5_N6thrust23THRUST_200600_302600_NS6detail15normal_iteratorINS8_7pointerIjNS8_11hip_rocprim5par_tENS8_11use_defaultESE_EEEENSA_INSB_IlSD_SE_SE_EEEEZNS1_13binary_searchIS3_S5_PjSG_SI_NS1_21lower_bound_search_opENS9_16wrapped_functionINS8_6system6detail7generic6detail18binary_search_lessEbEEEE10hipError_tPvRmT1_T2_T3_mmT4_T5_P12ihipStream_tbEUlRKjE_EEST_SX_SY_mSZ_S12_bEUlT_E_NS1_11comp_targetILNS1_3genE8ELNS1_11target_archE1030ELNS1_3gpuE2ELNS1_3repE0EEENS1_30default_config_static_selectorELNS0_4arch9wavefront6targetE1EEEvSW_,@function
_ZN7rocprim17ROCPRIM_400000_NS6detail17trampoline_kernelINS0_14default_configENS1_27lower_bound_config_selectorIjlEEZNS1_14transform_implILb0ES3_S5_N6thrust23THRUST_200600_302600_NS6detail15normal_iteratorINS8_7pointerIjNS8_11hip_rocprim5par_tENS8_11use_defaultESE_EEEENSA_INSB_IlSD_SE_SE_EEEEZNS1_13binary_searchIS3_S5_PjSG_SI_NS1_21lower_bound_search_opENS9_16wrapped_functionINS8_6system6detail7generic6detail18binary_search_lessEbEEEE10hipError_tPvRmT1_T2_T3_mmT4_T5_P12ihipStream_tbEUlRKjE_EEST_SX_SY_mSZ_S12_bEUlT_E_NS1_11comp_targetILNS1_3genE8ELNS1_11target_archE1030ELNS1_3gpuE2ELNS1_3repE0EEENS1_30default_config_static_selectorELNS0_4arch9wavefront6targetE1EEEvSW_: ; @_ZN7rocprim17ROCPRIM_400000_NS6detail17trampoline_kernelINS0_14default_configENS1_27lower_bound_config_selectorIjlEEZNS1_14transform_implILb0ES3_S5_N6thrust23THRUST_200600_302600_NS6detail15normal_iteratorINS8_7pointerIjNS8_11hip_rocprim5par_tENS8_11use_defaultESE_EEEENSA_INSB_IlSD_SE_SE_EEEEZNS1_13binary_searchIS3_S5_PjSG_SI_NS1_21lower_bound_search_opENS9_16wrapped_functionINS8_6system6detail7generic6detail18binary_search_lessEbEEEE10hipError_tPvRmT1_T2_T3_mmT4_T5_P12ihipStream_tbEUlRKjE_EEST_SX_SY_mSZ_S12_bEUlT_E_NS1_11comp_targetILNS1_3genE8ELNS1_11target_archE1030ELNS1_3gpuE2ELNS1_3repE0EEENS1_30default_config_static_selectorELNS0_4arch9wavefront6targetE1EEEvSW_
; %bb.0:
	.section	.rodata,"a",@progbits
	.p2align	6, 0x0
	.amdhsa_kernel _ZN7rocprim17ROCPRIM_400000_NS6detail17trampoline_kernelINS0_14default_configENS1_27lower_bound_config_selectorIjlEEZNS1_14transform_implILb0ES3_S5_N6thrust23THRUST_200600_302600_NS6detail15normal_iteratorINS8_7pointerIjNS8_11hip_rocprim5par_tENS8_11use_defaultESE_EEEENSA_INSB_IlSD_SE_SE_EEEEZNS1_13binary_searchIS3_S5_PjSG_SI_NS1_21lower_bound_search_opENS9_16wrapped_functionINS8_6system6detail7generic6detail18binary_search_lessEbEEEE10hipError_tPvRmT1_T2_T3_mmT4_T5_P12ihipStream_tbEUlRKjE_EEST_SX_SY_mSZ_S12_bEUlT_E_NS1_11comp_targetILNS1_3genE8ELNS1_11target_archE1030ELNS1_3gpuE2ELNS1_3repE0EEENS1_30default_config_static_selectorELNS0_4arch9wavefront6targetE1EEEvSW_
		.amdhsa_group_segment_fixed_size 0
		.amdhsa_private_segment_fixed_size 0
		.amdhsa_kernarg_size 56
		.amdhsa_user_sgpr_count 6
		.amdhsa_user_sgpr_private_segment_buffer 1
		.amdhsa_user_sgpr_dispatch_ptr 0
		.amdhsa_user_sgpr_queue_ptr 0
		.amdhsa_user_sgpr_kernarg_segment_ptr 1
		.amdhsa_user_sgpr_dispatch_id 0
		.amdhsa_user_sgpr_flat_scratch_init 0
		.amdhsa_user_sgpr_private_segment_size 0
		.amdhsa_uses_dynamic_stack 0
		.amdhsa_system_sgpr_private_segment_wavefront_offset 0
		.amdhsa_system_sgpr_workgroup_id_x 1
		.amdhsa_system_sgpr_workgroup_id_y 0
		.amdhsa_system_sgpr_workgroup_id_z 0
		.amdhsa_system_sgpr_workgroup_info 0
		.amdhsa_system_vgpr_workitem_id 0
		.amdhsa_next_free_vgpr 1
		.amdhsa_next_free_sgpr 0
		.amdhsa_reserve_vcc 0
		.amdhsa_reserve_flat_scratch 0
		.amdhsa_float_round_mode_32 0
		.amdhsa_float_round_mode_16_64 0
		.amdhsa_float_denorm_mode_32 3
		.amdhsa_float_denorm_mode_16_64 3
		.amdhsa_dx10_clamp 1
		.amdhsa_ieee_mode 1
		.amdhsa_fp16_overflow 0
		.amdhsa_exception_fp_ieee_invalid_op 0
		.amdhsa_exception_fp_denorm_src 0
		.amdhsa_exception_fp_ieee_div_zero 0
		.amdhsa_exception_fp_ieee_overflow 0
		.amdhsa_exception_fp_ieee_underflow 0
		.amdhsa_exception_fp_ieee_inexact 0
		.amdhsa_exception_int_div_zero 0
	.end_amdhsa_kernel
	.section	.text._ZN7rocprim17ROCPRIM_400000_NS6detail17trampoline_kernelINS0_14default_configENS1_27lower_bound_config_selectorIjlEEZNS1_14transform_implILb0ES3_S5_N6thrust23THRUST_200600_302600_NS6detail15normal_iteratorINS8_7pointerIjNS8_11hip_rocprim5par_tENS8_11use_defaultESE_EEEENSA_INSB_IlSD_SE_SE_EEEEZNS1_13binary_searchIS3_S5_PjSG_SI_NS1_21lower_bound_search_opENS9_16wrapped_functionINS8_6system6detail7generic6detail18binary_search_lessEbEEEE10hipError_tPvRmT1_T2_T3_mmT4_T5_P12ihipStream_tbEUlRKjE_EEST_SX_SY_mSZ_S12_bEUlT_E_NS1_11comp_targetILNS1_3genE8ELNS1_11target_archE1030ELNS1_3gpuE2ELNS1_3repE0EEENS1_30default_config_static_selectorELNS0_4arch9wavefront6targetE1EEEvSW_,"axG",@progbits,_ZN7rocprim17ROCPRIM_400000_NS6detail17trampoline_kernelINS0_14default_configENS1_27lower_bound_config_selectorIjlEEZNS1_14transform_implILb0ES3_S5_N6thrust23THRUST_200600_302600_NS6detail15normal_iteratorINS8_7pointerIjNS8_11hip_rocprim5par_tENS8_11use_defaultESE_EEEENSA_INSB_IlSD_SE_SE_EEEEZNS1_13binary_searchIS3_S5_PjSG_SI_NS1_21lower_bound_search_opENS9_16wrapped_functionINS8_6system6detail7generic6detail18binary_search_lessEbEEEE10hipError_tPvRmT1_T2_T3_mmT4_T5_P12ihipStream_tbEUlRKjE_EEST_SX_SY_mSZ_S12_bEUlT_E_NS1_11comp_targetILNS1_3genE8ELNS1_11target_archE1030ELNS1_3gpuE2ELNS1_3repE0EEENS1_30default_config_static_selectorELNS0_4arch9wavefront6targetE1EEEvSW_,comdat
.Lfunc_end81:
	.size	_ZN7rocprim17ROCPRIM_400000_NS6detail17trampoline_kernelINS0_14default_configENS1_27lower_bound_config_selectorIjlEEZNS1_14transform_implILb0ES3_S5_N6thrust23THRUST_200600_302600_NS6detail15normal_iteratorINS8_7pointerIjNS8_11hip_rocprim5par_tENS8_11use_defaultESE_EEEENSA_INSB_IlSD_SE_SE_EEEEZNS1_13binary_searchIS3_S5_PjSG_SI_NS1_21lower_bound_search_opENS9_16wrapped_functionINS8_6system6detail7generic6detail18binary_search_lessEbEEEE10hipError_tPvRmT1_T2_T3_mmT4_T5_P12ihipStream_tbEUlRKjE_EEST_SX_SY_mSZ_S12_bEUlT_E_NS1_11comp_targetILNS1_3genE8ELNS1_11target_archE1030ELNS1_3gpuE2ELNS1_3repE0EEENS1_30default_config_static_selectorELNS0_4arch9wavefront6targetE1EEEvSW_, .Lfunc_end81-_ZN7rocprim17ROCPRIM_400000_NS6detail17trampoline_kernelINS0_14default_configENS1_27lower_bound_config_selectorIjlEEZNS1_14transform_implILb0ES3_S5_N6thrust23THRUST_200600_302600_NS6detail15normal_iteratorINS8_7pointerIjNS8_11hip_rocprim5par_tENS8_11use_defaultESE_EEEENSA_INSB_IlSD_SE_SE_EEEEZNS1_13binary_searchIS3_S5_PjSG_SI_NS1_21lower_bound_search_opENS9_16wrapped_functionINS8_6system6detail7generic6detail18binary_search_lessEbEEEE10hipError_tPvRmT1_T2_T3_mmT4_T5_P12ihipStream_tbEUlRKjE_EEST_SX_SY_mSZ_S12_bEUlT_E_NS1_11comp_targetILNS1_3genE8ELNS1_11target_archE1030ELNS1_3gpuE2ELNS1_3repE0EEENS1_30default_config_static_selectorELNS0_4arch9wavefront6targetE1EEEvSW_
                                        ; -- End function
	.set _ZN7rocprim17ROCPRIM_400000_NS6detail17trampoline_kernelINS0_14default_configENS1_27lower_bound_config_selectorIjlEEZNS1_14transform_implILb0ES3_S5_N6thrust23THRUST_200600_302600_NS6detail15normal_iteratorINS8_7pointerIjNS8_11hip_rocprim5par_tENS8_11use_defaultESE_EEEENSA_INSB_IlSD_SE_SE_EEEEZNS1_13binary_searchIS3_S5_PjSG_SI_NS1_21lower_bound_search_opENS9_16wrapped_functionINS8_6system6detail7generic6detail18binary_search_lessEbEEEE10hipError_tPvRmT1_T2_T3_mmT4_T5_P12ihipStream_tbEUlRKjE_EEST_SX_SY_mSZ_S12_bEUlT_E_NS1_11comp_targetILNS1_3genE8ELNS1_11target_archE1030ELNS1_3gpuE2ELNS1_3repE0EEENS1_30default_config_static_selectorELNS0_4arch9wavefront6targetE1EEEvSW_.num_vgpr, 0
	.set _ZN7rocprim17ROCPRIM_400000_NS6detail17trampoline_kernelINS0_14default_configENS1_27lower_bound_config_selectorIjlEEZNS1_14transform_implILb0ES3_S5_N6thrust23THRUST_200600_302600_NS6detail15normal_iteratorINS8_7pointerIjNS8_11hip_rocprim5par_tENS8_11use_defaultESE_EEEENSA_INSB_IlSD_SE_SE_EEEEZNS1_13binary_searchIS3_S5_PjSG_SI_NS1_21lower_bound_search_opENS9_16wrapped_functionINS8_6system6detail7generic6detail18binary_search_lessEbEEEE10hipError_tPvRmT1_T2_T3_mmT4_T5_P12ihipStream_tbEUlRKjE_EEST_SX_SY_mSZ_S12_bEUlT_E_NS1_11comp_targetILNS1_3genE8ELNS1_11target_archE1030ELNS1_3gpuE2ELNS1_3repE0EEENS1_30default_config_static_selectorELNS0_4arch9wavefront6targetE1EEEvSW_.num_agpr, 0
	.set _ZN7rocprim17ROCPRIM_400000_NS6detail17trampoline_kernelINS0_14default_configENS1_27lower_bound_config_selectorIjlEEZNS1_14transform_implILb0ES3_S5_N6thrust23THRUST_200600_302600_NS6detail15normal_iteratorINS8_7pointerIjNS8_11hip_rocprim5par_tENS8_11use_defaultESE_EEEENSA_INSB_IlSD_SE_SE_EEEEZNS1_13binary_searchIS3_S5_PjSG_SI_NS1_21lower_bound_search_opENS9_16wrapped_functionINS8_6system6detail7generic6detail18binary_search_lessEbEEEE10hipError_tPvRmT1_T2_T3_mmT4_T5_P12ihipStream_tbEUlRKjE_EEST_SX_SY_mSZ_S12_bEUlT_E_NS1_11comp_targetILNS1_3genE8ELNS1_11target_archE1030ELNS1_3gpuE2ELNS1_3repE0EEENS1_30default_config_static_selectorELNS0_4arch9wavefront6targetE1EEEvSW_.numbered_sgpr, 0
	.set _ZN7rocprim17ROCPRIM_400000_NS6detail17trampoline_kernelINS0_14default_configENS1_27lower_bound_config_selectorIjlEEZNS1_14transform_implILb0ES3_S5_N6thrust23THRUST_200600_302600_NS6detail15normal_iteratorINS8_7pointerIjNS8_11hip_rocprim5par_tENS8_11use_defaultESE_EEEENSA_INSB_IlSD_SE_SE_EEEEZNS1_13binary_searchIS3_S5_PjSG_SI_NS1_21lower_bound_search_opENS9_16wrapped_functionINS8_6system6detail7generic6detail18binary_search_lessEbEEEE10hipError_tPvRmT1_T2_T3_mmT4_T5_P12ihipStream_tbEUlRKjE_EEST_SX_SY_mSZ_S12_bEUlT_E_NS1_11comp_targetILNS1_3genE8ELNS1_11target_archE1030ELNS1_3gpuE2ELNS1_3repE0EEENS1_30default_config_static_selectorELNS0_4arch9wavefront6targetE1EEEvSW_.num_named_barrier, 0
	.set _ZN7rocprim17ROCPRIM_400000_NS6detail17trampoline_kernelINS0_14default_configENS1_27lower_bound_config_selectorIjlEEZNS1_14transform_implILb0ES3_S5_N6thrust23THRUST_200600_302600_NS6detail15normal_iteratorINS8_7pointerIjNS8_11hip_rocprim5par_tENS8_11use_defaultESE_EEEENSA_INSB_IlSD_SE_SE_EEEEZNS1_13binary_searchIS3_S5_PjSG_SI_NS1_21lower_bound_search_opENS9_16wrapped_functionINS8_6system6detail7generic6detail18binary_search_lessEbEEEE10hipError_tPvRmT1_T2_T3_mmT4_T5_P12ihipStream_tbEUlRKjE_EEST_SX_SY_mSZ_S12_bEUlT_E_NS1_11comp_targetILNS1_3genE8ELNS1_11target_archE1030ELNS1_3gpuE2ELNS1_3repE0EEENS1_30default_config_static_selectorELNS0_4arch9wavefront6targetE1EEEvSW_.private_seg_size, 0
	.set _ZN7rocprim17ROCPRIM_400000_NS6detail17trampoline_kernelINS0_14default_configENS1_27lower_bound_config_selectorIjlEEZNS1_14transform_implILb0ES3_S5_N6thrust23THRUST_200600_302600_NS6detail15normal_iteratorINS8_7pointerIjNS8_11hip_rocprim5par_tENS8_11use_defaultESE_EEEENSA_INSB_IlSD_SE_SE_EEEEZNS1_13binary_searchIS3_S5_PjSG_SI_NS1_21lower_bound_search_opENS9_16wrapped_functionINS8_6system6detail7generic6detail18binary_search_lessEbEEEE10hipError_tPvRmT1_T2_T3_mmT4_T5_P12ihipStream_tbEUlRKjE_EEST_SX_SY_mSZ_S12_bEUlT_E_NS1_11comp_targetILNS1_3genE8ELNS1_11target_archE1030ELNS1_3gpuE2ELNS1_3repE0EEENS1_30default_config_static_selectorELNS0_4arch9wavefront6targetE1EEEvSW_.uses_vcc, 0
	.set _ZN7rocprim17ROCPRIM_400000_NS6detail17trampoline_kernelINS0_14default_configENS1_27lower_bound_config_selectorIjlEEZNS1_14transform_implILb0ES3_S5_N6thrust23THRUST_200600_302600_NS6detail15normal_iteratorINS8_7pointerIjNS8_11hip_rocprim5par_tENS8_11use_defaultESE_EEEENSA_INSB_IlSD_SE_SE_EEEEZNS1_13binary_searchIS3_S5_PjSG_SI_NS1_21lower_bound_search_opENS9_16wrapped_functionINS8_6system6detail7generic6detail18binary_search_lessEbEEEE10hipError_tPvRmT1_T2_T3_mmT4_T5_P12ihipStream_tbEUlRKjE_EEST_SX_SY_mSZ_S12_bEUlT_E_NS1_11comp_targetILNS1_3genE8ELNS1_11target_archE1030ELNS1_3gpuE2ELNS1_3repE0EEENS1_30default_config_static_selectorELNS0_4arch9wavefront6targetE1EEEvSW_.uses_flat_scratch, 0
	.set _ZN7rocprim17ROCPRIM_400000_NS6detail17trampoline_kernelINS0_14default_configENS1_27lower_bound_config_selectorIjlEEZNS1_14transform_implILb0ES3_S5_N6thrust23THRUST_200600_302600_NS6detail15normal_iteratorINS8_7pointerIjNS8_11hip_rocprim5par_tENS8_11use_defaultESE_EEEENSA_INSB_IlSD_SE_SE_EEEEZNS1_13binary_searchIS3_S5_PjSG_SI_NS1_21lower_bound_search_opENS9_16wrapped_functionINS8_6system6detail7generic6detail18binary_search_lessEbEEEE10hipError_tPvRmT1_T2_T3_mmT4_T5_P12ihipStream_tbEUlRKjE_EEST_SX_SY_mSZ_S12_bEUlT_E_NS1_11comp_targetILNS1_3genE8ELNS1_11target_archE1030ELNS1_3gpuE2ELNS1_3repE0EEENS1_30default_config_static_selectorELNS0_4arch9wavefront6targetE1EEEvSW_.has_dyn_sized_stack, 0
	.set _ZN7rocprim17ROCPRIM_400000_NS6detail17trampoline_kernelINS0_14default_configENS1_27lower_bound_config_selectorIjlEEZNS1_14transform_implILb0ES3_S5_N6thrust23THRUST_200600_302600_NS6detail15normal_iteratorINS8_7pointerIjNS8_11hip_rocprim5par_tENS8_11use_defaultESE_EEEENSA_INSB_IlSD_SE_SE_EEEEZNS1_13binary_searchIS3_S5_PjSG_SI_NS1_21lower_bound_search_opENS9_16wrapped_functionINS8_6system6detail7generic6detail18binary_search_lessEbEEEE10hipError_tPvRmT1_T2_T3_mmT4_T5_P12ihipStream_tbEUlRKjE_EEST_SX_SY_mSZ_S12_bEUlT_E_NS1_11comp_targetILNS1_3genE8ELNS1_11target_archE1030ELNS1_3gpuE2ELNS1_3repE0EEENS1_30default_config_static_selectorELNS0_4arch9wavefront6targetE1EEEvSW_.has_recursion, 0
	.set _ZN7rocprim17ROCPRIM_400000_NS6detail17trampoline_kernelINS0_14default_configENS1_27lower_bound_config_selectorIjlEEZNS1_14transform_implILb0ES3_S5_N6thrust23THRUST_200600_302600_NS6detail15normal_iteratorINS8_7pointerIjNS8_11hip_rocprim5par_tENS8_11use_defaultESE_EEEENSA_INSB_IlSD_SE_SE_EEEEZNS1_13binary_searchIS3_S5_PjSG_SI_NS1_21lower_bound_search_opENS9_16wrapped_functionINS8_6system6detail7generic6detail18binary_search_lessEbEEEE10hipError_tPvRmT1_T2_T3_mmT4_T5_P12ihipStream_tbEUlRKjE_EEST_SX_SY_mSZ_S12_bEUlT_E_NS1_11comp_targetILNS1_3genE8ELNS1_11target_archE1030ELNS1_3gpuE2ELNS1_3repE0EEENS1_30default_config_static_selectorELNS0_4arch9wavefront6targetE1EEEvSW_.has_indirect_call, 0
	.section	.AMDGPU.csdata,"",@progbits
; Kernel info:
; codeLenInByte = 0
; TotalNumSgprs: 4
; NumVgprs: 0
; ScratchSize: 0
; MemoryBound: 0
; FloatMode: 240
; IeeeMode: 1
; LDSByteSize: 0 bytes/workgroup (compile time only)
; SGPRBlocks: 0
; VGPRBlocks: 0
; NumSGPRsForWavesPerEU: 4
; NumVGPRsForWavesPerEU: 1
; Occupancy: 10
; WaveLimiterHint : 0
; COMPUTE_PGM_RSRC2:SCRATCH_EN: 0
; COMPUTE_PGM_RSRC2:USER_SGPR: 6
; COMPUTE_PGM_RSRC2:TRAP_HANDLER: 0
; COMPUTE_PGM_RSRC2:TGID_X_EN: 1
; COMPUTE_PGM_RSRC2:TGID_Y_EN: 0
; COMPUTE_PGM_RSRC2:TGID_Z_EN: 0
; COMPUTE_PGM_RSRC2:TIDIG_COMP_CNT: 0
	.section	.text._ZN6thrust23THRUST_200600_302600_NS11hip_rocprim14__parallel_for6kernelILj256ENS1_20__uninitialized_fill7functorINS0_10device_ptrItEEtEEmLj1EEEvT0_T1_SA_,"axG",@progbits,_ZN6thrust23THRUST_200600_302600_NS11hip_rocprim14__parallel_for6kernelILj256ENS1_20__uninitialized_fill7functorINS0_10device_ptrItEEtEEmLj1EEEvT0_T1_SA_,comdat
	.protected	_ZN6thrust23THRUST_200600_302600_NS11hip_rocprim14__parallel_for6kernelILj256ENS1_20__uninitialized_fill7functorINS0_10device_ptrItEEtEEmLj1EEEvT0_T1_SA_ ; -- Begin function _ZN6thrust23THRUST_200600_302600_NS11hip_rocprim14__parallel_for6kernelILj256ENS1_20__uninitialized_fill7functorINS0_10device_ptrItEEtEEmLj1EEEvT0_T1_SA_
	.globl	_ZN6thrust23THRUST_200600_302600_NS11hip_rocprim14__parallel_for6kernelILj256ENS1_20__uninitialized_fill7functorINS0_10device_ptrItEEtEEmLj1EEEvT0_T1_SA_
	.p2align	8
	.type	_ZN6thrust23THRUST_200600_302600_NS11hip_rocprim14__parallel_for6kernelILj256ENS1_20__uninitialized_fill7functorINS0_10device_ptrItEEtEEmLj1EEEvT0_T1_SA_,@function
_ZN6thrust23THRUST_200600_302600_NS11hip_rocprim14__parallel_for6kernelILj256ENS1_20__uninitialized_fill7functorINS0_10device_ptrItEEtEEmLj1EEEvT0_T1_SA_: ; @_ZN6thrust23THRUST_200600_302600_NS11hip_rocprim14__parallel_for6kernelILj256ENS1_20__uninitialized_fill7functorINS0_10device_ptrItEEtEEmLj1EEEvT0_T1_SA_
; %bb.0:
	s_load_dwordx4 s[12:15], s[4:5], 0x10
	s_load_dwordx2 s[0:1], s[4:5], 0x0
	s_load_dword s8, s[4:5], 0x8
	s_lshl_b32 s2, s6, 8
	v_mov_b32_e32 v1, 0xff
	s_waitcnt lgkmcnt(0)
	s_add_u32 s2, s14, s2
	s_addc_u32 s3, s15, 0
	s_sub_u32 s4, s12, s2
	v_mov_b32_e32 v2, 0
	s_subb_u32 s5, s13, s3
	v_cmp_gt_u64_e32 vcc, s[4:5], v[1:2]
	s_mov_b64 s[6:7], -1
	s_cbranch_vccz .LBB82_3
; %bb.1:
	s_andn2_b64 vcc, exec, s[6:7]
	s_cbranch_vccz .LBB82_6
.LBB82_2:
	s_endpgm
.LBB82_3:
	v_cmp_gt_u32_e32 vcc, s4, v0
	s_and_saveexec_b64 s[4:5], vcc
	s_cbranch_execz .LBB82_5
; %bb.4:
	s_lshl_b64 s[6:7], s[2:3], 1
	s_add_u32 s6, s0, s6
	s_addc_u32 s7, s1, s7
	v_lshlrev_b32_e32 v1, 1, v0
	v_mov_b32_e32 v2, s7
	v_add_co_u32_e32 v1, vcc, s6, v1
	v_addc_co_u32_e32 v2, vcc, 0, v2, vcc
	v_mov_b32_e32 v3, s8
	flat_store_short v[1:2], v3
.LBB82_5:
	s_or_b64 exec, exec, s[4:5]
	s_cbranch_execnz .LBB82_2
.LBB82_6:
	s_lshl_b64 s[2:3], s[2:3], 1
	s_add_u32 s0, s0, s2
	s_addc_u32 s1, s1, s3
	v_lshlrev_b32_e32 v0, 1, v0
	v_mov_b32_e32 v1, s1
	v_add_co_u32_e32 v0, vcc, s0, v0
	v_addc_co_u32_e32 v1, vcc, 0, v1, vcc
	v_mov_b32_e32 v2, s8
	flat_store_short v[0:1], v2
	s_endpgm
	.section	.rodata,"a",@progbits
	.p2align	6, 0x0
	.amdhsa_kernel _ZN6thrust23THRUST_200600_302600_NS11hip_rocprim14__parallel_for6kernelILj256ENS1_20__uninitialized_fill7functorINS0_10device_ptrItEEtEEmLj1EEEvT0_T1_SA_
		.amdhsa_group_segment_fixed_size 0
		.amdhsa_private_segment_fixed_size 0
		.amdhsa_kernarg_size 32
		.amdhsa_user_sgpr_count 6
		.amdhsa_user_sgpr_private_segment_buffer 1
		.amdhsa_user_sgpr_dispatch_ptr 0
		.amdhsa_user_sgpr_queue_ptr 0
		.amdhsa_user_sgpr_kernarg_segment_ptr 1
		.amdhsa_user_sgpr_dispatch_id 0
		.amdhsa_user_sgpr_flat_scratch_init 0
		.amdhsa_user_sgpr_private_segment_size 0
		.amdhsa_uses_dynamic_stack 0
		.amdhsa_system_sgpr_private_segment_wavefront_offset 0
		.amdhsa_system_sgpr_workgroup_id_x 1
		.amdhsa_system_sgpr_workgroup_id_y 0
		.amdhsa_system_sgpr_workgroup_id_z 0
		.amdhsa_system_sgpr_workgroup_info 0
		.amdhsa_system_vgpr_workitem_id 0
		.amdhsa_next_free_vgpr 4
		.amdhsa_next_free_sgpr 16
		.amdhsa_reserve_vcc 1
		.amdhsa_reserve_flat_scratch 0
		.amdhsa_float_round_mode_32 0
		.amdhsa_float_round_mode_16_64 0
		.amdhsa_float_denorm_mode_32 3
		.amdhsa_float_denorm_mode_16_64 3
		.amdhsa_dx10_clamp 1
		.amdhsa_ieee_mode 1
		.amdhsa_fp16_overflow 0
		.amdhsa_exception_fp_ieee_invalid_op 0
		.amdhsa_exception_fp_denorm_src 0
		.amdhsa_exception_fp_ieee_div_zero 0
		.amdhsa_exception_fp_ieee_overflow 0
		.amdhsa_exception_fp_ieee_underflow 0
		.amdhsa_exception_fp_ieee_inexact 0
		.amdhsa_exception_int_div_zero 0
	.end_amdhsa_kernel
	.section	.text._ZN6thrust23THRUST_200600_302600_NS11hip_rocprim14__parallel_for6kernelILj256ENS1_20__uninitialized_fill7functorINS0_10device_ptrItEEtEEmLj1EEEvT0_T1_SA_,"axG",@progbits,_ZN6thrust23THRUST_200600_302600_NS11hip_rocprim14__parallel_for6kernelILj256ENS1_20__uninitialized_fill7functorINS0_10device_ptrItEEtEEmLj1EEEvT0_T1_SA_,comdat
.Lfunc_end82:
	.size	_ZN6thrust23THRUST_200600_302600_NS11hip_rocprim14__parallel_for6kernelILj256ENS1_20__uninitialized_fill7functorINS0_10device_ptrItEEtEEmLj1EEEvT0_T1_SA_, .Lfunc_end82-_ZN6thrust23THRUST_200600_302600_NS11hip_rocprim14__parallel_for6kernelILj256ENS1_20__uninitialized_fill7functorINS0_10device_ptrItEEtEEmLj1EEEvT0_T1_SA_
                                        ; -- End function
	.set _ZN6thrust23THRUST_200600_302600_NS11hip_rocprim14__parallel_for6kernelILj256ENS1_20__uninitialized_fill7functorINS0_10device_ptrItEEtEEmLj1EEEvT0_T1_SA_.num_vgpr, 4
	.set _ZN6thrust23THRUST_200600_302600_NS11hip_rocprim14__parallel_for6kernelILj256ENS1_20__uninitialized_fill7functorINS0_10device_ptrItEEtEEmLj1EEEvT0_T1_SA_.num_agpr, 0
	.set _ZN6thrust23THRUST_200600_302600_NS11hip_rocprim14__parallel_for6kernelILj256ENS1_20__uninitialized_fill7functorINS0_10device_ptrItEEtEEmLj1EEEvT0_T1_SA_.numbered_sgpr, 16
	.set _ZN6thrust23THRUST_200600_302600_NS11hip_rocprim14__parallel_for6kernelILj256ENS1_20__uninitialized_fill7functorINS0_10device_ptrItEEtEEmLj1EEEvT0_T1_SA_.num_named_barrier, 0
	.set _ZN6thrust23THRUST_200600_302600_NS11hip_rocprim14__parallel_for6kernelILj256ENS1_20__uninitialized_fill7functorINS0_10device_ptrItEEtEEmLj1EEEvT0_T1_SA_.private_seg_size, 0
	.set _ZN6thrust23THRUST_200600_302600_NS11hip_rocprim14__parallel_for6kernelILj256ENS1_20__uninitialized_fill7functorINS0_10device_ptrItEEtEEmLj1EEEvT0_T1_SA_.uses_vcc, 1
	.set _ZN6thrust23THRUST_200600_302600_NS11hip_rocprim14__parallel_for6kernelILj256ENS1_20__uninitialized_fill7functorINS0_10device_ptrItEEtEEmLj1EEEvT0_T1_SA_.uses_flat_scratch, 0
	.set _ZN6thrust23THRUST_200600_302600_NS11hip_rocprim14__parallel_for6kernelILj256ENS1_20__uninitialized_fill7functorINS0_10device_ptrItEEtEEmLj1EEEvT0_T1_SA_.has_dyn_sized_stack, 0
	.set _ZN6thrust23THRUST_200600_302600_NS11hip_rocprim14__parallel_for6kernelILj256ENS1_20__uninitialized_fill7functorINS0_10device_ptrItEEtEEmLj1EEEvT0_T1_SA_.has_recursion, 0
	.set _ZN6thrust23THRUST_200600_302600_NS11hip_rocprim14__parallel_for6kernelILj256ENS1_20__uninitialized_fill7functorINS0_10device_ptrItEEtEEmLj1EEEvT0_T1_SA_.has_indirect_call, 0
	.section	.AMDGPU.csdata,"",@progbits
; Kernel info:
; codeLenInByte = 188
; TotalNumSgprs: 20
; NumVgprs: 4
; ScratchSize: 0
; MemoryBound: 0
; FloatMode: 240
; IeeeMode: 1
; LDSByteSize: 0 bytes/workgroup (compile time only)
; SGPRBlocks: 2
; VGPRBlocks: 0
; NumSGPRsForWavesPerEU: 20
; NumVGPRsForWavesPerEU: 4
; Occupancy: 10
; WaveLimiterHint : 0
; COMPUTE_PGM_RSRC2:SCRATCH_EN: 0
; COMPUTE_PGM_RSRC2:USER_SGPR: 6
; COMPUTE_PGM_RSRC2:TRAP_HANDLER: 0
; COMPUTE_PGM_RSRC2:TGID_X_EN: 1
; COMPUTE_PGM_RSRC2:TGID_Y_EN: 0
; COMPUTE_PGM_RSRC2:TGID_Z_EN: 0
; COMPUTE_PGM_RSRC2:TIDIG_COMP_CNT: 0
	.section	.text._Z18lower_bound_kernelItEvmPT_Pl,"axG",@progbits,_Z18lower_bound_kernelItEvmPT_Pl,comdat
	.protected	_Z18lower_bound_kernelItEvmPT_Pl ; -- Begin function _Z18lower_bound_kernelItEvmPT_Pl
	.globl	_Z18lower_bound_kernelItEvmPT_Pl
	.p2align	8
	.type	_Z18lower_bound_kernelItEvmPT_Pl,@function
_Z18lower_bound_kernelItEvmPT_Pl:       ; @_Z18lower_bound_kernelItEvmPT_Pl
; %bb.0:
	s_load_dwordx4 s[0:3], s[4:5], 0x0
	v_mov_b32_e32 v0, 0
	s_load_dwordx2 s[4:5], s[4:5], 0x10
	v_mov_b32_e32 v1, v0
	s_mov_b64 s[8:9], -1
	s_waitcnt lgkmcnt(0)
	s_lshl_b64 s[0:1], s[0:1], 1
	s_add_u32 s0, s2, s0
	s_addc_u32 s1, s3, s1
	s_sub_u32 s0, s0, s2
	s_subb_u32 s1, s1, s3
	s_ashr_i64 s[6:7], s[0:1], 1
	v_cmp_lt_i64_e64 s[0:1], s[6:7], 1
	global_store_dwordx2 v0, v[0:1], s[4:5]
	s_and_b64 s[0:1], exec, s[0:1]
	s_mov_b64 vcc, s[0:1]
	s_cbranch_vccz .LBB83_2
; %bb.1:
	v_mov_b32_e32 v1, v0
	v_mov_b32_e32 v2, v0
	;; [unrolled: 1-line block ×3, first 2 shown]
	global_store_dwordx4 v0, v[0:3], s[4:5] offset:8
	s_mov_b64 s[8:9], 0
.LBB83_2:
	s_andn2_b64 vcc, exec, s[8:9]
	s_mov_b64 s[8:9], 0
	s_cbranch_vccnz .LBB83_9
; %bb.3:
	v_mov_b32_e32 v0, 0
	s_mov_b64 s[10:11], s[6:7]
.LBB83_4:                               ; =>This Inner Loop Header: Depth=1
	s_sub_u32 s12, s10, s8
	s_subb_u32 s13, s11, s9
	s_lshr_b64 s[12:13], s[12:13], 1
	s_add_u32 s12, s12, s8
	s_addc_u32 s13, s13, s9
	s_lshl_b64 s[14:15], s[12:13], 1
	s_add_u32 s14, s2, s14
	s_addc_u32 s15, s3, s15
	global_load_ushort v1, v0, s[14:15]
	s_waitcnt vmcnt(0)
	v_readfirstlane_b32 s14, v1
	s_and_b32 s14, 0xffff, s14
	s_add_u32 s15, s12, 1
	s_addc_u32 s16, s13, 0
	s_cmp_eq_u32 s14, 0
	s_cselect_b32 s10, s10, s12
	s_cselect_b32 s11, s11, s13
	v_mov_b32_e32 v1, s10
	s_cselect_b32 s9, s16, s9
	s_cselect_b32 s8, s15, s8
	v_mov_b32_e32 v2, s11
	v_cmp_lt_i64_e32 vcc, s[8:9], v[1:2]
	s_cbranch_vccnz .LBB83_4
; %bb.5:
	s_lshl_b64 s[8:9], s[8:9], 1
	s_add_u32 s8, s2, s8
	s_addc_u32 s9, s3, s9
	s_sub_u32 s8, s8, s2
	s_subb_u32 s9, s9, s3
	s_ashr_i64 s[8:9], s[8:9], 1
	v_mov_b32_e32 v1, s8
	v_mov_b32_e32 v0, 0
	;; [unrolled: 1-line block ×3, first 2 shown]
	s_mov_b64 s[8:9], 0
	s_mov_b64 s[10:11], s[6:7]
	global_store_dwordx2 v0, v[1:2], s[4:5] offset:8
.LBB83_6:                               ; =>This Inner Loop Header: Depth=1
	s_sub_u32 s12, s10, s8
	s_subb_u32 s13, s11, s9
	s_lshr_b64 s[12:13], s[12:13], 1
	s_add_u32 s12, s12, s8
	s_addc_u32 s13, s13, s9
	s_lshl_b64 s[14:15], s[12:13], 1
	s_add_u32 s14, s2, s14
	s_addc_u32 s15, s3, s15
	global_load_ushort v1, v0, s[14:15]
	s_waitcnt vmcnt(0)
	v_readfirstlane_b32 s14, v1
	s_and_b32 s14, 0xffff, s14
	s_add_u32 s15, s12, 1
	s_addc_u32 s16, s13, 0
	s_cmp_lt_u32 s14, 2
	s_cselect_b32 s10, s10, s12
	s_cselect_b32 s11, s11, s13
	v_mov_b32_e32 v1, s10
	s_cselect_b32 s9, s16, s9
	s_cselect_b32 s8, s15, s8
	v_mov_b32_e32 v2, s11
	v_cmp_lt_i64_e32 vcc, s[8:9], v[1:2]
	s_cbranch_vccnz .LBB83_6
; %bb.7:
	s_lshl_b64 s[8:9], s[8:9], 1
	s_add_u32 s8, s2, s8
	s_addc_u32 s9, s3, s9
	s_sub_u32 s8, s8, s2
	s_subb_u32 s9, s9, s3
	s_ashr_i64 s[8:9], s[8:9], 1
	v_mov_b32_e32 v1, s8
	v_mov_b32_e32 v0, 0
	;; [unrolled: 1-line block ×3, first 2 shown]
	s_mov_b64 s[8:9], 0
	s_mov_b64 s[10:11], s[6:7]
	global_store_dwordx2 v0, v[1:2], s[4:5] offset:16
.LBB83_8:                               ; =>This Inner Loop Header: Depth=1
	s_sub_u32 s12, s10, s8
	s_subb_u32 s13, s11, s9
	s_lshr_b64 s[12:13], s[12:13], 1
	s_add_u32 s12, s12, s8
	s_addc_u32 s13, s13, s9
	s_lshl_b64 s[14:15], s[12:13], 1
	s_add_u32 s14, s2, s14
	s_addc_u32 s15, s3, s15
	global_load_ushort v1, v0, s[14:15]
	s_waitcnt vmcnt(0)
	v_readfirstlane_b32 s14, v1
	s_and_b32 s14, 0xffff, s14
	s_add_u32 s15, s12, 1
	s_addc_u32 s16, s13, 0
	s_cmp_lt_u32 s14, 3
	s_cselect_b32 s10, s10, s12
	s_cselect_b32 s11, s11, s13
	v_mov_b32_e32 v1, s10
	s_cselect_b32 s9, s16, s9
	s_cselect_b32 s8, s15, s8
	v_mov_b32_e32 v2, s11
	v_cmp_ge_i64_e32 vcc, s[8:9], v[1:2]
	s_cbranch_vccz .LBB83_8
.LBB83_9:
	s_lshl_b64 s[8:9], s[8:9], 1
	s_add_u32 s8, s2, s8
	s_addc_u32 s9, s3, s9
	s_sub_u32 s8, s8, s2
	s_subb_u32 s9, s9, s3
	s_ashr_i64 s[8:9], s[8:9], 1
	v_mov_b32_e32 v1, s8
	v_mov_b32_e32 v0, 0
	;; [unrolled: 1-line block ×3, first 2 shown]
	s_mov_b64 s[8:9], -1
	s_mov_b64 vcc, s[0:1]
	global_store_dwordx2 v0, v[1:2], s[4:5] offset:24
	s_cbranch_vccz .LBB83_11
; %bb.10:
	v_mov_b32_e32 v1, v0
	global_store_dwordx2 v0, v[0:1], s[4:5] offset:32
	s_mov_b64 s[8:9], 0
.LBB83_11:
	s_andn2_b64 vcc, exec, s[8:9]
	s_mov_b64 s[8:9], 0
	s_cbranch_vccnz .LBB83_16
; %bb.12:
	v_mov_b32_e32 v0, 0
	s_mov_b64 s[10:11], s[6:7]
.LBB83_13:                              ; =>This Inner Loop Header: Depth=1
	s_sub_u32 s12, s10, s8
	s_subb_u32 s13, s11, s9
	s_lshr_b64 s[12:13], s[12:13], 1
	s_add_u32 s12, s12, s8
	s_addc_u32 s13, s13, s9
	s_lshl_b64 s[14:15], s[12:13], 1
	s_add_u32 s14, s2, s14
	s_addc_u32 s15, s3, s15
	global_load_ushort v1, v0, s[14:15]
	s_waitcnt vmcnt(0)
	v_readfirstlane_b32 s14, v1
	s_and_b32 s14, 0xffff, s14
	s_add_u32 s15, s12, 1
	s_addc_u32 s16, s13, 0
	s_cmp_lt_u32 s14, 4
	s_cselect_b32 s10, s10, s12
	s_cselect_b32 s11, s11, s13
	v_mov_b32_e32 v1, s10
	s_cselect_b32 s9, s16, s9
	s_cselect_b32 s8, s15, s8
	v_mov_b32_e32 v2, s11
	v_cmp_lt_i64_e32 vcc, s[8:9], v[1:2]
	s_cbranch_vccnz .LBB83_13
; %bb.14:
	s_lshl_b64 s[8:9], s[8:9], 1
	s_add_u32 s8, s2, s8
	s_addc_u32 s9, s3, s9
	s_sub_u32 s8, s8, s2
	s_subb_u32 s9, s9, s3
	s_ashr_i64 s[8:9], s[8:9], 1
	v_mov_b32_e32 v1, s8
	v_mov_b32_e32 v0, 0
	v_mov_b32_e32 v2, s9
	s_mov_b64 s[8:9], 0
	s_mov_b64 s[10:11], s[6:7]
	global_store_dwordx2 v0, v[1:2], s[4:5] offset:32
.LBB83_15:                              ; =>This Inner Loop Header: Depth=1
	s_sub_u32 s12, s10, s8
	s_subb_u32 s13, s11, s9
	s_lshr_b64 s[12:13], s[12:13], 1
	s_add_u32 s12, s12, s8
	s_addc_u32 s13, s13, s9
	s_lshl_b64 s[14:15], s[12:13], 1
	s_add_u32 s14, s2, s14
	s_addc_u32 s15, s3, s15
	global_load_ushort v1, v0, s[14:15]
	s_waitcnt vmcnt(0)
	v_readfirstlane_b32 s14, v1
	s_and_b32 s14, 0xffff, s14
	s_add_u32 s15, s12, 1
	s_addc_u32 s16, s13, 0
	s_cmp_lt_u32 s14, 5
	s_cselect_b32 s10, s10, s12
	s_cselect_b32 s11, s11, s13
	v_mov_b32_e32 v1, s10
	s_cselect_b32 s9, s16, s9
	s_cselect_b32 s8, s15, s8
	v_mov_b32_e32 v2, s11
	v_cmp_ge_i64_e32 vcc, s[8:9], v[1:2]
	s_cbranch_vccz .LBB83_15
.LBB83_16:
	s_lshl_b64 s[8:9], s[8:9], 1
	s_add_u32 s8, s2, s8
	s_addc_u32 s9, s3, s9
	s_sub_u32 s8, s8, s2
	s_subb_u32 s9, s9, s3
	s_ashr_i64 s[8:9], s[8:9], 1
	v_mov_b32_e32 v1, s8
	v_mov_b32_e32 v0, 0
	;; [unrolled: 1-line block ×3, first 2 shown]
	s_mov_b64 s[8:9], -1
	s_mov_b64 vcc, s[0:1]
	global_store_dwordx2 v0, v[1:2], s[4:5] offset:40
	s_cbranch_vccz .LBB83_18
; %bb.17:
	v_mov_b32_e32 v1, v0
	global_store_dwordx2 v0, v[0:1], s[4:5] offset:48
	s_mov_b64 s[8:9], 0
.LBB83_18:
	s_andn2_b64 vcc, exec, s[8:9]
	s_mov_b64 s[8:9], 0
	s_cbranch_vccnz .LBB83_23
; %bb.19:
	v_mov_b32_e32 v0, 0
	s_mov_b64 s[10:11], s[6:7]
.LBB83_20:                              ; =>This Inner Loop Header: Depth=1
	s_sub_u32 s12, s10, s8
	s_subb_u32 s13, s11, s9
	s_lshr_b64 s[12:13], s[12:13], 1
	s_add_u32 s12, s12, s8
	s_addc_u32 s13, s13, s9
	s_lshl_b64 s[14:15], s[12:13], 1
	s_add_u32 s14, s2, s14
	s_addc_u32 s15, s3, s15
	global_load_ushort v1, v0, s[14:15]
	s_waitcnt vmcnt(0)
	v_readfirstlane_b32 s14, v1
	s_and_b32 s14, 0xffff, s14
	s_add_u32 s15, s12, 1
	s_addc_u32 s16, s13, 0
	s_cmp_lt_u32 s14, 6
	s_cselect_b32 s10, s10, s12
	s_cselect_b32 s11, s11, s13
	v_mov_b32_e32 v1, s10
	s_cselect_b32 s9, s16, s9
	s_cselect_b32 s8, s15, s8
	v_mov_b32_e32 v2, s11
	v_cmp_lt_i64_e32 vcc, s[8:9], v[1:2]
	s_cbranch_vccnz .LBB83_20
; %bb.21:
	s_lshl_b64 s[8:9], s[8:9], 1
	s_add_u32 s8, s2, s8
	s_addc_u32 s9, s3, s9
	s_sub_u32 s8, s8, s2
	s_subb_u32 s9, s9, s3
	s_ashr_i64 s[8:9], s[8:9], 1
	v_mov_b32_e32 v1, s8
	v_mov_b32_e32 v0, 0
	;; [unrolled: 1-line block ×3, first 2 shown]
	s_mov_b64 s[8:9], 0
	s_mov_b64 s[10:11], s[6:7]
	global_store_dwordx2 v0, v[1:2], s[4:5] offset:48
.LBB83_22:                              ; =>This Inner Loop Header: Depth=1
	s_sub_u32 s12, s10, s8
	s_subb_u32 s13, s11, s9
	s_lshr_b64 s[12:13], s[12:13], 1
	s_add_u32 s12, s12, s8
	s_addc_u32 s13, s13, s9
	s_lshl_b64 s[14:15], s[12:13], 1
	s_add_u32 s14, s2, s14
	s_addc_u32 s15, s3, s15
	global_load_ushort v1, v0, s[14:15]
	s_waitcnt vmcnt(0)
	v_readfirstlane_b32 s14, v1
	s_and_b32 s14, 0xffff, s14
	s_add_u32 s15, s12, 1
	s_addc_u32 s16, s13, 0
	s_cmp_lt_u32 s14, 7
	s_cselect_b32 s10, s10, s12
	s_cselect_b32 s11, s11, s13
	v_mov_b32_e32 v1, s10
	s_cselect_b32 s9, s16, s9
	s_cselect_b32 s8, s15, s8
	v_mov_b32_e32 v2, s11
	v_cmp_ge_i64_e32 vcc, s[8:9], v[1:2]
	s_cbranch_vccz .LBB83_22
.LBB83_23:
	s_lshl_b64 s[8:9], s[8:9], 1
	s_add_u32 s8, s2, s8
	s_addc_u32 s9, s3, s9
	s_sub_u32 s8, s8, s2
	s_subb_u32 s9, s9, s3
	s_ashr_i64 s[8:9], s[8:9], 1
	v_mov_b32_e32 v1, s8
	v_mov_b32_e32 v0, 0
	;; [unrolled: 1-line block ×3, first 2 shown]
	s_mov_b64 s[8:9], -1
	s_mov_b64 vcc, s[0:1]
	global_store_dwordx2 v0, v[1:2], s[4:5] offset:56
	s_cbranch_vccz .LBB83_25
; %bb.24:
	v_mov_b32_e32 v1, v0
	global_store_dwordx2 v0, v[0:1], s[4:5] offset:64
	s_mov_b64 s[8:9], 0
.LBB83_25:
	s_andn2_b64 vcc, exec, s[8:9]
	s_mov_b64 s[0:1], 0
	s_cbranch_vccnz .LBB83_30
; %bb.26:
	v_mov_b32_e32 v0, 0
	s_mov_b64 s[8:9], s[6:7]
.LBB83_27:                              ; =>This Inner Loop Header: Depth=1
	s_sub_u32 s10, s8, s0
	s_subb_u32 s11, s9, s1
	s_lshr_b64 s[10:11], s[10:11], 1
	s_add_u32 s10, s10, s0
	s_addc_u32 s11, s11, s1
	s_lshl_b64 s[12:13], s[10:11], 1
	s_add_u32 s12, s2, s12
	s_addc_u32 s13, s3, s13
	global_load_ushort v1, v0, s[12:13]
	s_waitcnt vmcnt(0)
	v_readfirstlane_b32 s12, v1
	s_and_b32 s12, 0xffff, s12
	s_add_u32 s13, s10, 1
	s_addc_u32 s14, s11, 0
	s_cmp_lt_u32 s12, 8
	s_cselect_b32 s8, s8, s10
	s_cselect_b32 s9, s9, s11
	v_mov_b32_e32 v1, s8
	s_cselect_b32 s1, s14, s1
	s_cselect_b32 s0, s13, s0
	v_mov_b32_e32 v2, s9
	v_cmp_lt_i64_e32 vcc, s[0:1], v[1:2]
	s_cbranch_vccnz .LBB83_27
; %bb.28:
	s_lshl_b64 s[0:1], s[0:1], 1
	s_add_u32 s0, s2, s0
	s_addc_u32 s1, s3, s1
	s_sub_u32 s0, s0, s2
	s_subb_u32 s1, s1, s3
	s_ashr_i64 s[0:1], s[0:1], 1
	v_mov_b32_e32 v2, s1
	v_mov_b32_e32 v0, 0
	;; [unrolled: 1-line block ×3, first 2 shown]
	s_mov_b64 s[0:1], 0
	global_store_dwordx2 v0, v[1:2], s[4:5] offset:64
.LBB83_29:                              ; =>This Inner Loop Header: Depth=1
	s_sub_u32 s8, s6, s0
	s_subb_u32 s9, s7, s1
	s_lshr_b64 s[8:9], s[8:9], 1
	s_add_u32 s8, s8, s0
	s_addc_u32 s9, s9, s1
	s_lshl_b64 s[10:11], s[8:9], 1
	s_add_u32 s10, s2, s10
	s_addc_u32 s11, s3, s11
	global_load_ushort v1, v0, s[10:11]
	s_waitcnt vmcnt(0)
	v_readfirstlane_b32 s10, v1
	s_and_b32 s10, 0xffff, s10
	s_add_u32 s11, s8, 1
	s_addc_u32 s12, s9, 0
	s_cmp_lt_u32 s10, 9
	s_cselect_b32 s6, s6, s8
	s_cselect_b32 s7, s7, s9
	v_mov_b32_e32 v1, s6
	s_cselect_b32 s1, s12, s1
	s_cselect_b32 s0, s11, s0
	v_mov_b32_e32 v2, s7
	v_cmp_ge_i64_e32 vcc, s[0:1], v[1:2]
	s_cbranch_vccz .LBB83_29
.LBB83_30:
	s_lshl_b64 s[0:1], s[0:1], 1
	s_add_u32 s0, s2, s0
	s_addc_u32 s1, s3, s1
	s_sub_u32 s0, s0, s2
	s_subb_u32 s1, s1, s3
	s_ashr_i64 s[0:1], s[0:1], 1
	v_mov_b32_e32 v0, s0
	v_mov_b32_e32 v2, 0
	;; [unrolled: 1-line block ×3, first 2 shown]
	global_store_dwordx2 v2, v[0:1], s[4:5] offset:72
	s_endpgm
	.section	.rodata,"a",@progbits
	.p2align	6, 0x0
	.amdhsa_kernel _Z18lower_bound_kernelItEvmPT_Pl
		.amdhsa_group_segment_fixed_size 0
		.amdhsa_private_segment_fixed_size 0
		.amdhsa_kernarg_size 24
		.amdhsa_user_sgpr_count 6
		.amdhsa_user_sgpr_private_segment_buffer 1
		.amdhsa_user_sgpr_dispatch_ptr 0
		.amdhsa_user_sgpr_queue_ptr 0
		.amdhsa_user_sgpr_kernarg_segment_ptr 1
		.amdhsa_user_sgpr_dispatch_id 0
		.amdhsa_user_sgpr_flat_scratch_init 0
		.amdhsa_user_sgpr_private_segment_size 0
		.amdhsa_uses_dynamic_stack 0
		.amdhsa_system_sgpr_private_segment_wavefront_offset 0
		.amdhsa_system_sgpr_workgroup_id_x 1
		.amdhsa_system_sgpr_workgroup_id_y 0
		.amdhsa_system_sgpr_workgroup_id_z 0
		.amdhsa_system_sgpr_workgroup_info 0
		.amdhsa_system_vgpr_workitem_id 0
		.amdhsa_next_free_vgpr 4
		.amdhsa_next_free_sgpr 17
		.amdhsa_reserve_vcc 1
		.amdhsa_reserve_flat_scratch 0
		.amdhsa_float_round_mode_32 0
		.amdhsa_float_round_mode_16_64 0
		.amdhsa_float_denorm_mode_32 3
		.amdhsa_float_denorm_mode_16_64 3
		.amdhsa_dx10_clamp 1
		.amdhsa_ieee_mode 1
		.amdhsa_fp16_overflow 0
		.amdhsa_exception_fp_ieee_invalid_op 0
		.amdhsa_exception_fp_denorm_src 0
		.amdhsa_exception_fp_ieee_div_zero 0
		.amdhsa_exception_fp_ieee_overflow 0
		.amdhsa_exception_fp_ieee_underflow 0
		.amdhsa_exception_fp_ieee_inexact 0
		.amdhsa_exception_int_div_zero 0
	.end_amdhsa_kernel
	.section	.text._Z18lower_bound_kernelItEvmPT_Pl,"axG",@progbits,_Z18lower_bound_kernelItEvmPT_Pl,comdat
.Lfunc_end83:
	.size	_Z18lower_bound_kernelItEvmPT_Pl, .Lfunc_end83-_Z18lower_bound_kernelItEvmPT_Pl
                                        ; -- End function
	.set _Z18lower_bound_kernelItEvmPT_Pl.num_vgpr, 4
	.set _Z18lower_bound_kernelItEvmPT_Pl.num_agpr, 0
	.set _Z18lower_bound_kernelItEvmPT_Pl.numbered_sgpr, 17
	.set _Z18lower_bound_kernelItEvmPT_Pl.num_named_barrier, 0
	.set _Z18lower_bound_kernelItEvmPT_Pl.private_seg_size, 0
	.set _Z18lower_bound_kernelItEvmPT_Pl.uses_vcc, 1
	.set _Z18lower_bound_kernelItEvmPT_Pl.uses_flat_scratch, 0
	.set _Z18lower_bound_kernelItEvmPT_Pl.has_dyn_sized_stack, 0
	.set _Z18lower_bound_kernelItEvmPT_Pl.has_recursion, 0
	.set _Z18lower_bound_kernelItEvmPT_Pl.has_indirect_call, 0
	.section	.AMDGPU.csdata,"",@progbits
; Kernel info:
; codeLenInByte = 1608
; TotalNumSgprs: 21
; NumVgprs: 4
; ScratchSize: 0
; MemoryBound: 0
; FloatMode: 240
; IeeeMode: 1
; LDSByteSize: 0 bytes/workgroup (compile time only)
; SGPRBlocks: 2
; VGPRBlocks: 0
; NumSGPRsForWavesPerEU: 21
; NumVGPRsForWavesPerEU: 4
; Occupancy: 10
; WaveLimiterHint : 0
; COMPUTE_PGM_RSRC2:SCRATCH_EN: 0
; COMPUTE_PGM_RSRC2:USER_SGPR: 6
; COMPUTE_PGM_RSRC2:TRAP_HANDLER: 0
; COMPUTE_PGM_RSRC2:TGID_X_EN: 1
; COMPUTE_PGM_RSRC2:TGID_Y_EN: 0
; COMPUTE_PGM_RSRC2:TGID_Z_EN: 0
; COMPUTE_PGM_RSRC2:TIDIG_COMP_CNT: 0
	.section	.text._ZN7rocprim17ROCPRIM_400000_NS6detail17trampoline_kernelINS0_14default_configENS1_27lower_bound_config_selectorItlEEZNS1_14transform_implILb0ES3_S5_N6thrust23THRUST_200600_302600_NS6detail15normal_iteratorINS8_7pointerItNS8_11hip_rocprim5par_tENS8_11use_defaultESE_EEEENSA_INSB_IlSD_SE_SE_EEEEZNS1_13binary_searchIS3_S5_PtSG_SI_NS1_21lower_bound_search_opENS9_16wrapped_functionI11custom_lessbEEEE10hipError_tPvRmT1_T2_T3_mmT4_T5_P12ihipStream_tbEUlRKtE_EESP_ST_SU_mSV_SY_bEUlT_E_NS1_11comp_targetILNS1_3genE0ELNS1_11target_archE4294967295ELNS1_3gpuE0ELNS1_3repE0EEENS1_30default_config_static_selectorELNS0_4arch9wavefront6targetE1EEEvSS_,"axG",@progbits,_ZN7rocprim17ROCPRIM_400000_NS6detail17trampoline_kernelINS0_14default_configENS1_27lower_bound_config_selectorItlEEZNS1_14transform_implILb0ES3_S5_N6thrust23THRUST_200600_302600_NS6detail15normal_iteratorINS8_7pointerItNS8_11hip_rocprim5par_tENS8_11use_defaultESE_EEEENSA_INSB_IlSD_SE_SE_EEEEZNS1_13binary_searchIS3_S5_PtSG_SI_NS1_21lower_bound_search_opENS9_16wrapped_functionI11custom_lessbEEEE10hipError_tPvRmT1_T2_T3_mmT4_T5_P12ihipStream_tbEUlRKtE_EESP_ST_SU_mSV_SY_bEUlT_E_NS1_11comp_targetILNS1_3genE0ELNS1_11target_archE4294967295ELNS1_3gpuE0ELNS1_3repE0EEENS1_30default_config_static_selectorELNS0_4arch9wavefront6targetE1EEEvSS_,comdat
	.protected	_ZN7rocprim17ROCPRIM_400000_NS6detail17trampoline_kernelINS0_14default_configENS1_27lower_bound_config_selectorItlEEZNS1_14transform_implILb0ES3_S5_N6thrust23THRUST_200600_302600_NS6detail15normal_iteratorINS8_7pointerItNS8_11hip_rocprim5par_tENS8_11use_defaultESE_EEEENSA_INSB_IlSD_SE_SE_EEEEZNS1_13binary_searchIS3_S5_PtSG_SI_NS1_21lower_bound_search_opENS9_16wrapped_functionI11custom_lessbEEEE10hipError_tPvRmT1_T2_T3_mmT4_T5_P12ihipStream_tbEUlRKtE_EESP_ST_SU_mSV_SY_bEUlT_E_NS1_11comp_targetILNS1_3genE0ELNS1_11target_archE4294967295ELNS1_3gpuE0ELNS1_3repE0EEENS1_30default_config_static_selectorELNS0_4arch9wavefront6targetE1EEEvSS_ ; -- Begin function _ZN7rocprim17ROCPRIM_400000_NS6detail17trampoline_kernelINS0_14default_configENS1_27lower_bound_config_selectorItlEEZNS1_14transform_implILb0ES3_S5_N6thrust23THRUST_200600_302600_NS6detail15normal_iteratorINS8_7pointerItNS8_11hip_rocprim5par_tENS8_11use_defaultESE_EEEENSA_INSB_IlSD_SE_SE_EEEEZNS1_13binary_searchIS3_S5_PtSG_SI_NS1_21lower_bound_search_opENS9_16wrapped_functionI11custom_lessbEEEE10hipError_tPvRmT1_T2_T3_mmT4_T5_P12ihipStream_tbEUlRKtE_EESP_ST_SU_mSV_SY_bEUlT_E_NS1_11comp_targetILNS1_3genE0ELNS1_11target_archE4294967295ELNS1_3gpuE0ELNS1_3repE0EEENS1_30default_config_static_selectorELNS0_4arch9wavefront6targetE1EEEvSS_
	.globl	_ZN7rocprim17ROCPRIM_400000_NS6detail17trampoline_kernelINS0_14default_configENS1_27lower_bound_config_selectorItlEEZNS1_14transform_implILb0ES3_S5_N6thrust23THRUST_200600_302600_NS6detail15normal_iteratorINS8_7pointerItNS8_11hip_rocprim5par_tENS8_11use_defaultESE_EEEENSA_INSB_IlSD_SE_SE_EEEEZNS1_13binary_searchIS3_S5_PtSG_SI_NS1_21lower_bound_search_opENS9_16wrapped_functionI11custom_lessbEEEE10hipError_tPvRmT1_T2_T3_mmT4_T5_P12ihipStream_tbEUlRKtE_EESP_ST_SU_mSV_SY_bEUlT_E_NS1_11comp_targetILNS1_3genE0ELNS1_11target_archE4294967295ELNS1_3gpuE0ELNS1_3repE0EEENS1_30default_config_static_selectorELNS0_4arch9wavefront6targetE1EEEvSS_
	.p2align	8
	.type	_ZN7rocprim17ROCPRIM_400000_NS6detail17trampoline_kernelINS0_14default_configENS1_27lower_bound_config_selectorItlEEZNS1_14transform_implILb0ES3_S5_N6thrust23THRUST_200600_302600_NS6detail15normal_iteratorINS8_7pointerItNS8_11hip_rocprim5par_tENS8_11use_defaultESE_EEEENSA_INSB_IlSD_SE_SE_EEEEZNS1_13binary_searchIS3_S5_PtSG_SI_NS1_21lower_bound_search_opENS9_16wrapped_functionI11custom_lessbEEEE10hipError_tPvRmT1_T2_T3_mmT4_T5_P12ihipStream_tbEUlRKtE_EESP_ST_SU_mSV_SY_bEUlT_E_NS1_11comp_targetILNS1_3genE0ELNS1_11target_archE4294967295ELNS1_3gpuE0ELNS1_3repE0EEENS1_30default_config_static_selectorELNS0_4arch9wavefront6targetE1EEEvSS_,@function
_ZN7rocprim17ROCPRIM_400000_NS6detail17trampoline_kernelINS0_14default_configENS1_27lower_bound_config_selectorItlEEZNS1_14transform_implILb0ES3_S5_N6thrust23THRUST_200600_302600_NS6detail15normal_iteratorINS8_7pointerItNS8_11hip_rocprim5par_tENS8_11use_defaultESE_EEEENSA_INSB_IlSD_SE_SE_EEEEZNS1_13binary_searchIS3_S5_PtSG_SI_NS1_21lower_bound_search_opENS9_16wrapped_functionI11custom_lessbEEEE10hipError_tPvRmT1_T2_T3_mmT4_T5_P12ihipStream_tbEUlRKtE_EESP_ST_SU_mSV_SY_bEUlT_E_NS1_11comp_targetILNS1_3genE0ELNS1_11target_archE4294967295ELNS1_3gpuE0ELNS1_3repE0EEENS1_30default_config_static_selectorELNS0_4arch9wavefront6targetE1EEEvSS_: ; @_ZN7rocprim17ROCPRIM_400000_NS6detail17trampoline_kernelINS0_14default_configENS1_27lower_bound_config_selectorItlEEZNS1_14transform_implILb0ES3_S5_N6thrust23THRUST_200600_302600_NS6detail15normal_iteratorINS8_7pointerItNS8_11hip_rocprim5par_tENS8_11use_defaultESE_EEEENSA_INSB_IlSD_SE_SE_EEEEZNS1_13binary_searchIS3_S5_PtSG_SI_NS1_21lower_bound_search_opENS9_16wrapped_functionI11custom_lessbEEEE10hipError_tPvRmT1_T2_T3_mmT4_T5_P12ihipStream_tbEUlRKtE_EESP_ST_SU_mSV_SY_bEUlT_E_NS1_11comp_targetILNS1_3genE0ELNS1_11target_archE4294967295ELNS1_3gpuE0ELNS1_3repE0EEENS1_30default_config_static_selectorELNS0_4arch9wavefront6targetE1EEEvSS_
; %bb.0:
	.section	.rodata,"a",@progbits
	.p2align	6, 0x0
	.amdhsa_kernel _ZN7rocprim17ROCPRIM_400000_NS6detail17trampoline_kernelINS0_14default_configENS1_27lower_bound_config_selectorItlEEZNS1_14transform_implILb0ES3_S5_N6thrust23THRUST_200600_302600_NS6detail15normal_iteratorINS8_7pointerItNS8_11hip_rocprim5par_tENS8_11use_defaultESE_EEEENSA_INSB_IlSD_SE_SE_EEEEZNS1_13binary_searchIS3_S5_PtSG_SI_NS1_21lower_bound_search_opENS9_16wrapped_functionI11custom_lessbEEEE10hipError_tPvRmT1_T2_T3_mmT4_T5_P12ihipStream_tbEUlRKtE_EESP_ST_SU_mSV_SY_bEUlT_E_NS1_11comp_targetILNS1_3genE0ELNS1_11target_archE4294967295ELNS1_3gpuE0ELNS1_3repE0EEENS1_30default_config_static_selectorELNS0_4arch9wavefront6targetE1EEEvSS_
		.amdhsa_group_segment_fixed_size 0
		.amdhsa_private_segment_fixed_size 0
		.amdhsa_kernarg_size 56
		.amdhsa_user_sgpr_count 6
		.amdhsa_user_sgpr_private_segment_buffer 1
		.amdhsa_user_sgpr_dispatch_ptr 0
		.amdhsa_user_sgpr_queue_ptr 0
		.amdhsa_user_sgpr_kernarg_segment_ptr 1
		.amdhsa_user_sgpr_dispatch_id 0
		.amdhsa_user_sgpr_flat_scratch_init 0
		.amdhsa_user_sgpr_private_segment_size 0
		.amdhsa_uses_dynamic_stack 0
		.amdhsa_system_sgpr_private_segment_wavefront_offset 0
		.amdhsa_system_sgpr_workgroup_id_x 1
		.amdhsa_system_sgpr_workgroup_id_y 0
		.amdhsa_system_sgpr_workgroup_id_z 0
		.amdhsa_system_sgpr_workgroup_info 0
		.amdhsa_system_vgpr_workitem_id 0
		.amdhsa_next_free_vgpr 1
		.amdhsa_next_free_sgpr 0
		.amdhsa_reserve_vcc 0
		.amdhsa_reserve_flat_scratch 0
		.amdhsa_float_round_mode_32 0
		.amdhsa_float_round_mode_16_64 0
		.amdhsa_float_denorm_mode_32 3
		.amdhsa_float_denorm_mode_16_64 3
		.amdhsa_dx10_clamp 1
		.amdhsa_ieee_mode 1
		.amdhsa_fp16_overflow 0
		.amdhsa_exception_fp_ieee_invalid_op 0
		.amdhsa_exception_fp_denorm_src 0
		.amdhsa_exception_fp_ieee_div_zero 0
		.amdhsa_exception_fp_ieee_overflow 0
		.amdhsa_exception_fp_ieee_underflow 0
		.amdhsa_exception_fp_ieee_inexact 0
		.amdhsa_exception_int_div_zero 0
	.end_amdhsa_kernel
	.section	.text._ZN7rocprim17ROCPRIM_400000_NS6detail17trampoline_kernelINS0_14default_configENS1_27lower_bound_config_selectorItlEEZNS1_14transform_implILb0ES3_S5_N6thrust23THRUST_200600_302600_NS6detail15normal_iteratorINS8_7pointerItNS8_11hip_rocprim5par_tENS8_11use_defaultESE_EEEENSA_INSB_IlSD_SE_SE_EEEEZNS1_13binary_searchIS3_S5_PtSG_SI_NS1_21lower_bound_search_opENS9_16wrapped_functionI11custom_lessbEEEE10hipError_tPvRmT1_T2_T3_mmT4_T5_P12ihipStream_tbEUlRKtE_EESP_ST_SU_mSV_SY_bEUlT_E_NS1_11comp_targetILNS1_3genE0ELNS1_11target_archE4294967295ELNS1_3gpuE0ELNS1_3repE0EEENS1_30default_config_static_selectorELNS0_4arch9wavefront6targetE1EEEvSS_,"axG",@progbits,_ZN7rocprim17ROCPRIM_400000_NS6detail17trampoline_kernelINS0_14default_configENS1_27lower_bound_config_selectorItlEEZNS1_14transform_implILb0ES3_S5_N6thrust23THRUST_200600_302600_NS6detail15normal_iteratorINS8_7pointerItNS8_11hip_rocprim5par_tENS8_11use_defaultESE_EEEENSA_INSB_IlSD_SE_SE_EEEEZNS1_13binary_searchIS3_S5_PtSG_SI_NS1_21lower_bound_search_opENS9_16wrapped_functionI11custom_lessbEEEE10hipError_tPvRmT1_T2_T3_mmT4_T5_P12ihipStream_tbEUlRKtE_EESP_ST_SU_mSV_SY_bEUlT_E_NS1_11comp_targetILNS1_3genE0ELNS1_11target_archE4294967295ELNS1_3gpuE0ELNS1_3repE0EEENS1_30default_config_static_selectorELNS0_4arch9wavefront6targetE1EEEvSS_,comdat
.Lfunc_end84:
	.size	_ZN7rocprim17ROCPRIM_400000_NS6detail17trampoline_kernelINS0_14default_configENS1_27lower_bound_config_selectorItlEEZNS1_14transform_implILb0ES3_S5_N6thrust23THRUST_200600_302600_NS6detail15normal_iteratorINS8_7pointerItNS8_11hip_rocprim5par_tENS8_11use_defaultESE_EEEENSA_INSB_IlSD_SE_SE_EEEEZNS1_13binary_searchIS3_S5_PtSG_SI_NS1_21lower_bound_search_opENS9_16wrapped_functionI11custom_lessbEEEE10hipError_tPvRmT1_T2_T3_mmT4_T5_P12ihipStream_tbEUlRKtE_EESP_ST_SU_mSV_SY_bEUlT_E_NS1_11comp_targetILNS1_3genE0ELNS1_11target_archE4294967295ELNS1_3gpuE0ELNS1_3repE0EEENS1_30default_config_static_selectorELNS0_4arch9wavefront6targetE1EEEvSS_, .Lfunc_end84-_ZN7rocprim17ROCPRIM_400000_NS6detail17trampoline_kernelINS0_14default_configENS1_27lower_bound_config_selectorItlEEZNS1_14transform_implILb0ES3_S5_N6thrust23THRUST_200600_302600_NS6detail15normal_iteratorINS8_7pointerItNS8_11hip_rocprim5par_tENS8_11use_defaultESE_EEEENSA_INSB_IlSD_SE_SE_EEEEZNS1_13binary_searchIS3_S5_PtSG_SI_NS1_21lower_bound_search_opENS9_16wrapped_functionI11custom_lessbEEEE10hipError_tPvRmT1_T2_T3_mmT4_T5_P12ihipStream_tbEUlRKtE_EESP_ST_SU_mSV_SY_bEUlT_E_NS1_11comp_targetILNS1_3genE0ELNS1_11target_archE4294967295ELNS1_3gpuE0ELNS1_3repE0EEENS1_30default_config_static_selectorELNS0_4arch9wavefront6targetE1EEEvSS_
                                        ; -- End function
	.set _ZN7rocprim17ROCPRIM_400000_NS6detail17trampoline_kernelINS0_14default_configENS1_27lower_bound_config_selectorItlEEZNS1_14transform_implILb0ES3_S5_N6thrust23THRUST_200600_302600_NS6detail15normal_iteratorINS8_7pointerItNS8_11hip_rocprim5par_tENS8_11use_defaultESE_EEEENSA_INSB_IlSD_SE_SE_EEEEZNS1_13binary_searchIS3_S5_PtSG_SI_NS1_21lower_bound_search_opENS9_16wrapped_functionI11custom_lessbEEEE10hipError_tPvRmT1_T2_T3_mmT4_T5_P12ihipStream_tbEUlRKtE_EESP_ST_SU_mSV_SY_bEUlT_E_NS1_11comp_targetILNS1_3genE0ELNS1_11target_archE4294967295ELNS1_3gpuE0ELNS1_3repE0EEENS1_30default_config_static_selectorELNS0_4arch9wavefront6targetE1EEEvSS_.num_vgpr, 0
	.set _ZN7rocprim17ROCPRIM_400000_NS6detail17trampoline_kernelINS0_14default_configENS1_27lower_bound_config_selectorItlEEZNS1_14transform_implILb0ES3_S5_N6thrust23THRUST_200600_302600_NS6detail15normal_iteratorINS8_7pointerItNS8_11hip_rocprim5par_tENS8_11use_defaultESE_EEEENSA_INSB_IlSD_SE_SE_EEEEZNS1_13binary_searchIS3_S5_PtSG_SI_NS1_21lower_bound_search_opENS9_16wrapped_functionI11custom_lessbEEEE10hipError_tPvRmT1_T2_T3_mmT4_T5_P12ihipStream_tbEUlRKtE_EESP_ST_SU_mSV_SY_bEUlT_E_NS1_11comp_targetILNS1_3genE0ELNS1_11target_archE4294967295ELNS1_3gpuE0ELNS1_3repE0EEENS1_30default_config_static_selectorELNS0_4arch9wavefront6targetE1EEEvSS_.num_agpr, 0
	.set _ZN7rocprim17ROCPRIM_400000_NS6detail17trampoline_kernelINS0_14default_configENS1_27lower_bound_config_selectorItlEEZNS1_14transform_implILb0ES3_S5_N6thrust23THRUST_200600_302600_NS6detail15normal_iteratorINS8_7pointerItNS8_11hip_rocprim5par_tENS8_11use_defaultESE_EEEENSA_INSB_IlSD_SE_SE_EEEEZNS1_13binary_searchIS3_S5_PtSG_SI_NS1_21lower_bound_search_opENS9_16wrapped_functionI11custom_lessbEEEE10hipError_tPvRmT1_T2_T3_mmT4_T5_P12ihipStream_tbEUlRKtE_EESP_ST_SU_mSV_SY_bEUlT_E_NS1_11comp_targetILNS1_3genE0ELNS1_11target_archE4294967295ELNS1_3gpuE0ELNS1_3repE0EEENS1_30default_config_static_selectorELNS0_4arch9wavefront6targetE1EEEvSS_.numbered_sgpr, 0
	.set _ZN7rocprim17ROCPRIM_400000_NS6detail17trampoline_kernelINS0_14default_configENS1_27lower_bound_config_selectorItlEEZNS1_14transform_implILb0ES3_S5_N6thrust23THRUST_200600_302600_NS6detail15normal_iteratorINS8_7pointerItNS8_11hip_rocprim5par_tENS8_11use_defaultESE_EEEENSA_INSB_IlSD_SE_SE_EEEEZNS1_13binary_searchIS3_S5_PtSG_SI_NS1_21lower_bound_search_opENS9_16wrapped_functionI11custom_lessbEEEE10hipError_tPvRmT1_T2_T3_mmT4_T5_P12ihipStream_tbEUlRKtE_EESP_ST_SU_mSV_SY_bEUlT_E_NS1_11comp_targetILNS1_3genE0ELNS1_11target_archE4294967295ELNS1_3gpuE0ELNS1_3repE0EEENS1_30default_config_static_selectorELNS0_4arch9wavefront6targetE1EEEvSS_.num_named_barrier, 0
	.set _ZN7rocprim17ROCPRIM_400000_NS6detail17trampoline_kernelINS0_14default_configENS1_27lower_bound_config_selectorItlEEZNS1_14transform_implILb0ES3_S5_N6thrust23THRUST_200600_302600_NS6detail15normal_iteratorINS8_7pointerItNS8_11hip_rocprim5par_tENS8_11use_defaultESE_EEEENSA_INSB_IlSD_SE_SE_EEEEZNS1_13binary_searchIS3_S5_PtSG_SI_NS1_21lower_bound_search_opENS9_16wrapped_functionI11custom_lessbEEEE10hipError_tPvRmT1_T2_T3_mmT4_T5_P12ihipStream_tbEUlRKtE_EESP_ST_SU_mSV_SY_bEUlT_E_NS1_11comp_targetILNS1_3genE0ELNS1_11target_archE4294967295ELNS1_3gpuE0ELNS1_3repE0EEENS1_30default_config_static_selectorELNS0_4arch9wavefront6targetE1EEEvSS_.private_seg_size, 0
	.set _ZN7rocprim17ROCPRIM_400000_NS6detail17trampoline_kernelINS0_14default_configENS1_27lower_bound_config_selectorItlEEZNS1_14transform_implILb0ES3_S5_N6thrust23THRUST_200600_302600_NS6detail15normal_iteratorINS8_7pointerItNS8_11hip_rocprim5par_tENS8_11use_defaultESE_EEEENSA_INSB_IlSD_SE_SE_EEEEZNS1_13binary_searchIS3_S5_PtSG_SI_NS1_21lower_bound_search_opENS9_16wrapped_functionI11custom_lessbEEEE10hipError_tPvRmT1_T2_T3_mmT4_T5_P12ihipStream_tbEUlRKtE_EESP_ST_SU_mSV_SY_bEUlT_E_NS1_11comp_targetILNS1_3genE0ELNS1_11target_archE4294967295ELNS1_3gpuE0ELNS1_3repE0EEENS1_30default_config_static_selectorELNS0_4arch9wavefront6targetE1EEEvSS_.uses_vcc, 0
	.set _ZN7rocprim17ROCPRIM_400000_NS6detail17trampoline_kernelINS0_14default_configENS1_27lower_bound_config_selectorItlEEZNS1_14transform_implILb0ES3_S5_N6thrust23THRUST_200600_302600_NS6detail15normal_iteratorINS8_7pointerItNS8_11hip_rocprim5par_tENS8_11use_defaultESE_EEEENSA_INSB_IlSD_SE_SE_EEEEZNS1_13binary_searchIS3_S5_PtSG_SI_NS1_21lower_bound_search_opENS9_16wrapped_functionI11custom_lessbEEEE10hipError_tPvRmT1_T2_T3_mmT4_T5_P12ihipStream_tbEUlRKtE_EESP_ST_SU_mSV_SY_bEUlT_E_NS1_11comp_targetILNS1_3genE0ELNS1_11target_archE4294967295ELNS1_3gpuE0ELNS1_3repE0EEENS1_30default_config_static_selectorELNS0_4arch9wavefront6targetE1EEEvSS_.uses_flat_scratch, 0
	.set _ZN7rocprim17ROCPRIM_400000_NS6detail17trampoline_kernelINS0_14default_configENS1_27lower_bound_config_selectorItlEEZNS1_14transform_implILb0ES3_S5_N6thrust23THRUST_200600_302600_NS6detail15normal_iteratorINS8_7pointerItNS8_11hip_rocprim5par_tENS8_11use_defaultESE_EEEENSA_INSB_IlSD_SE_SE_EEEEZNS1_13binary_searchIS3_S5_PtSG_SI_NS1_21lower_bound_search_opENS9_16wrapped_functionI11custom_lessbEEEE10hipError_tPvRmT1_T2_T3_mmT4_T5_P12ihipStream_tbEUlRKtE_EESP_ST_SU_mSV_SY_bEUlT_E_NS1_11comp_targetILNS1_3genE0ELNS1_11target_archE4294967295ELNS1_3gpuE0ELNS1_3repE0EEENS1_30default_config_static_selectorELNS0_4arch9wavefront6targetE1EEEvSS_.has_dyn_sized_stack, 0
	.set _ZN7rocprim17ROCPRIM_400000_NS6detail17trampoline_kernelINS0_14default_configENS1_27lower_bound_config_selectorItlEEZNS1_14transform_implILb0ES3_S5_N6thrust23THRUST_200600_302600_NS6detail15normal_iteratorINS8_7pointerItNS8_11hip_rocprim5par_tENS8_11use_defaultESE_EEEENSA_INSB_IlSD_SE_SE_EEEEZNS1_13binary_searchIS3_S5_PtSG_SI_NS1_21lower_bound_search_opENS9_16wrapped_functionI11custom_lessbEEEE10hipError_tPvRmT1_T2_T3_mmT4_T5_P12ihipStream_tbEUlRKtE_EESP_ST_SU_mSV_SY_bEUlT_E_NS1_11comp_targetILNS1_3genE0ELNS1_11target_archE4294967295ELNS1_3gpuE0ELNS1_3repE0EEENS1_30default_config_static_selectorELNS0_4arch9wavefront6targetE1EEEvSS_.has_recursion, 0
	.set _ZN7rocprim17ROCPRIM_400000_NS6detail17trampoline_kernelINS0_14default_configENS1_27lower_bound_config_selectorItlEEZNS1_14transform_implILb0ES3_S5_N6thrust23THRUST_200600_302600_NS6detail15normal_iteratorINS8_7pointerItNS8_11hip_rocprim5par_tENS8_11use_defaultESE_EEEENSA_INSB_IlSD_SE_SE_EEEEZNS1_13binary_searchIS3_S5_PtSG_SI_NS1_21lower_bound_search_opENS9_16wrapped_functionI11custom_lessbEEEE10hipError_tPvRmT1_T2_T3_mmT4_T5_P12ihipStream_tbEUlRKtE_EESP_ST_SU_mSV_SY_bEUlT_E_NS1_11comp_targetILNS1_3genE0ELNS1_11target_archE4294967295ELNS1_3gpuE0ELNS1_3repE0EEENS1_30default_config_static_selectorELNS0_4arch9wavefront6targetE1EEEvSS_.has_indirect_call, 0
	.section	.AMDGPU.csdata,"",@progbits
; Kernel info:
; codeLenInByte = 0
; TotalNumSgprs: 4
; NumVgprs: 0
; ScratchSize: 0
; MemoryBound: 0
; FloatMode: 240
; IeeeMode: 1
; LDSByteSize: 0 bytes/workgroup (compile time only)
; SGPRBlocks: 0
; VGPRBlocks: 0
; NumSGPRsForWavesPerEU: 4
; NumVGPRsForWavesPerEU: 1
; Occupancy: 10
; WaveLimiterHint : 0
; COMPUTE_PGM_RSRC2:SCRATCH_EN: 0
; COMPUTE_PGM_RSRC2:USER_SGPR: 6
; COMPUTE_PGM_RSRC2:TRAP_HANDLER: 0
; COMPUTE_PGM_RSRC2:TGID_X_EN: 1
; COMPUTE_PGM_RSRC2:TGID_Y_EN: 0
; COMPUTE_PGM_RSRC2:TGID_Z_EN: 0
; COMPUTE_PGM_RSRC2:TIDIG_COMP_CNT: 0
	.section	.text._ZN7rocprim17ROCPRIM_400000_NS6detail17trampoline_kernelINS0_14default_configENS1_27lower_bound_config_selectorItlEEZNS1_14transform_implILb0ES3_S5_N6thrust23THRUST_200600_302600_NS6detail15normal_iteratorINS8_7pointerItNS8_11hip_rocprim5par_tENS8_11use_defaultESE_EEEENSA_INSB_IlSD_SE_SE_EEEEZNS1_13binary_searchIS3_S5_PtSG_SI_NS1_21lower_bound_search_opENS9_16wrapped_functionI11custom_lessbEEEE10hipError_tPvRmT1_T2_T3_mmT4_T5_P12ihipStream_tbEUlRKtE_EESP_ST_SU_mSV_SY_bEUlT_E_NS1_11comp_targetILNS1_3genE5ELNS1_11target_archE942ELNS1_3gpuE9ELNS1_3repE0EEENS1_30default_config_static_selectorELNS0_4arch9wavefront6targetE1EEEvSS_,"axG",@progbits,_ZN7rocprim17ROCPRIM_400000_NS6detail17trampoline_kernelINS0_14default_configENS1_27lower_bound_config_selectorItlEEZNS1_14transform_implILb0ES3_S5_N6thrust23THRUST_200600_302600_NS6detail15normal_iteratorINS8_7pointerItNS8_11hip_rocprim5par_tENS8_11use_defaultESE_EEEENSA_INSB_IlSD_SE_SE_EEEEZNS1_13binary_searchIS3_S5_PtSG_SI_NS1_21lower_bound_search_opENS9_16wrapped_functionI11custom_lessbEEEE10hipError_tPvRmT1_T2_T3_mmT4_T5_P12ihipStream_tbEUlRKtE_EESP_ST_SU_mSV_SY_bEUlT_E_NS1_11comp_targetILNS1_3genE5ELNS1_11target_archE942ELNS1_3gpuE9ELNS1_3repE0EEENS1_30default_config_static_selectorELNS0_4arch9wavefront6targetE1EEEvSS_,comdat
	.protected	_ZN7rocprim17ROCPRIM_400000_NS6detail17trampoline_kernelINS0_14default_configENS1_27lower_bound_config_selectorItlEEZNS1_14transform_implILb0ES3_S5_N6thrust23THRUST_200600_302600_NS6detail15normal_iteratorINS8_7pointerItNS8_11hip_rocprim5par_tENS8_11use_defaultESE_EEEENSA_INSB_IlSD_SE_SE_EEEEZNS1_13binary_searchIS3_S5_PtSG_SI_NS1_21lower_bound_search_opENS9_16wrapped_functionI11custom_lessbEEEE10hipError_tPvRmT1_T2_T3_mmT4_T5_P12ihipStream_tbEUlRKtE_EESP_ST_SU_mSV_SY_bEUlT_E_NS1_11comp_targetILNS1_3genE5ELNS1_11target_archE942ELNS1_3gpuE9ELNS1_3repE0EEENS1_30default_config_static_selectorELNS0_4arch9wavefront6targetE1EEEvSS_ ; -- Begin function _ZN7rocprim17ROCPRIM_400000_NS6detail17trampoline_kernelINS0_14default_configENS1_27lower_bound_config_selectorItlEEZNS1_14transform_implILb0ES3_S5_N6thrust23THRUST_200600_302600_NS6detail15normal_iteratorINS8_7pointerItNS8_11hip_rocprim5par_tENS8_11use_defaultESE_EEEENSA_INSB_IlSD_SE_SE_EEEEZNS1_13binary_searchIS3_S5_PtSG_SI_NS1_21lower_bound_search_opENS9_16wrapped_functionI11custom_lessbEEEE10hipError_tPvRmT1_T2_T3_mmT4_T5_P12ihipStream_tbEUlRKtE_EESP_ST_SU_mSV_SY_bEUlT_E_NS1_11comp_targetILNS1_3genE5ELNS1_11target_archE942ELNS1_3gpuE9ELNS1_3repE0EEENS1_30default_config_static_selectorELNS0_4arch9wavefront6targetE1EEEvSS_
	.globl	_ZN7rocprim17ROCPRIM_400000_NS6detail17trampoline_kernelINS0_14default_configENS1_27lower_bound_config_selectorItlEEZNS1_14transform_implILb0ES3_S5_N6thrust23THRUST_200600_302600_NS6detail15normal_iteratorINS8_7pointerItNS8_11hip_rocprim5par_tENS8_11use_defaultESE_EEEENSA_INSB_IlSD_SE_SE_EEEEZNS1_13binary_searchIS3_S5_PtSG_SI_NS1_21lower_bound_search_opENS9_16wrapped_functionI11custom_lessbEEEE10hipError_tPvRmT1_T2_T3_mmT4_T5_P12ihipStream_tbEUlRKtE_EESP_ST_SU_mSV_SY_bEUlT_E_NS1_11comp_targetILNS1_3genE5ELNS1_11target_archE942ELNS1_3gpuE9ELNS1_3repE0EEENS1_30default_config_static_selectorELNS0_4arch9wavefront6targetE1EEEvSS_
	.p2align	8
	.type	_ZN7rocprim17ROCPRIM_400000_NS6detail17trampoline_kernelINS0_14default_configENS1_27lower_bound_config_selectorItlEEZNS1_14transform_implILb0ES3_S5_N6thrust23THRUST_200600_302600_NS6detail15normal_iteratorINS8_7pointerItNS8_11hip_rocprim5par_tENS8_11use_defaultESE_EEEENSA_INSB_IlSD_SE_SE_EEEEZNS1_13binary_searchIS3_S5_PtSG_SI_NS1_21lower_bound_search_opENS9_16wrapped_functionI11custom_lessbEEEE10hipError_tPvRmT1_T2_T3_mmT4_T5_P12ihipStream_tbEUlRKtE_EESP_ST_SU_mSV_SY_bEUlT_E_NS1_11comp_targetILNS1_3genE5ELNS1_11target_archE942ELNS1_3gpuE9ELNS1_3repE0EEENS1_30default_config_static_selectorELNS0_4arch9wavefront6targetE1EEEvSS_,@function
_ZN7rocprim17ROCPRIM_400000_NS6detail17trampoline_kernelINS0_14default_configENS1_27lower_bound_config_selectorItlEEZNS1_14transform_implILb0ES3_S5_N6thrust23THRUST_200600_302600_NS6detail15normal_iteratorINS8_7pointerItNS8_11hip_rocprim5par_tENS8_11use_defaultESE_EEEENSA_INSB_IlSD_SE_SE_EEEEZNS1_13binary_searchIS3_S5_PtSG_SI_NS1_21lower_bound_search_opENS9_16wrapped_functionI11custom_lessbEEEE10hipError_tPvRmT1_T2_T3_mmT4_T5_P12ihipStream_tbEUlRKtE_EESP_ST_SU_mSV_SY_bEUlT_E_NS1_11comp_targetILNS1_3genE5ELNS1_11target_archE942ELNS1_3gpuE9ELNS1_3repE0EEENS1_30default_config_static_selectorELNS0_4arch9wavefront6targetE1EEEvSS_: ; @_ZN7rocprim17ROCPRIM_400000_NS6detail17trampoline_kernelINS0_14default_configENS1_27lower_bound_config_selectorItlEEZNS1_14transform_implILb0ES3_S5_N6thrust23THRUST_200600_302600_NS6detail15normal_iteratorINS8_7pointerItNS8_11hip_rocprim5par_tENS8_11use_defaultESE_EEEENSA_INSB_IlSD_SE_SE_EEEEZNS1_13binary_searchIS3_S5_PtSG_SI_NS1_21lower_bound_search_opENS9_16wrapped_functionI11custom_lessbEEEE10hipError_tPvRmT1_T2_T3_mmT4_T5_P12ihipStream_tbEUlRKtE_EESP_ST_SU_mSV_SY_bEUlT_E_NS1_11comp_targetILNS1_3genE5ELNS1_11target_archE942ELNS1_3gpuE9ELNS1_3repE0EEENS1_30default_config_static_selectorELNS0_4arch9wavefront6targetE1EEEvSS_
; %bb.0:
	.section	.rodata,"a",@progbits
	.p2align	6, 0x0
	.amdhsa_kernel _ZN7rocprim17ROCPRIM_400000_NS6detail17trampoline_kernelINS0_14default_configENS1_27lower_bound_config_selectorItlEEZNS1_14transform_implILb0ES3_S5_N6thrust23THRUST_200600_302600_NS6detail15normal_iteratorINS8_7pointerItNS8_11hip_rocprim5par_tENS8_11use_defaultESE_EEEENSA_INSB_IlSD_SE_SE_EEEEZNS1_13binary_searchIS3_S5_PtSG_SI_NS1_21lower_bound_search_opENS9_16wrapped_functionI11custom_lessbEEEE10hipError_tPvRmT1_T2_T3_mmT4_T5_P12ihipStream_tbEUlRKtE_EESP_ST_SU_mSV_SY_bEUlT_E_NS1_11comp_targetILNS1_3genE5ELNS1_11target_archE942ELNS1_3gpuE9ELNS1_3repE0EEENS1_30default_config_static_selectorELNS0_4arch9wavefront6targetE1EEEvSS_
		.amdhsa_group_segment_fixed_size 0
		.amdhsa_private_segment_fixed_size 0
		.amdhsa_kernarg_size 56
		.amdhsa_user_sgpr_count 6
		.amdhsa_user_sgpr_private_segment_buffer 1
		.amdhsa_user_sgpr_dispatch_ptr 0
		.amdhsa_user_sgpr_queue_ptr 0
		.amdhsa_user_sgpr_kernarg_segment_ptr 1
		.amdhsa_user_sgpr_dispatch_id 0
		.amdhsa_user_sgpr_flat_scratch_init 0
		.amdhsa_user_sgpr_private_segment_size 0
		.amdhsa_uses_dynamic_stack 0
		.amdhsa_system_sgpr_private_segment_wavefront_offset 0
		.amdhsa_system_sgpr_workgroup_id_x 1
		.amdhsa_system_sgpr_workgroup_id_y 0
		.amdhsa_system_sgpr_workgroup_id_z 0
		.amdhsa_system_sgpr_workgroup_info 0
		.amdhsa_system_vgpr_workitem_id 0
		.amdhsa_next_free_vgpr 1
		.amdhsa_next_free_sgpr 0
		.amdhsa_reserve_vcc 0
		.amdhsa_reserve_flat_scratch 0
		.amdhsa_float_round_mode_32 0
		.amdhsa_float_round_mode_16_64 0
		.amdhsa_float_denorm_mode_32 3
		.amdhsa_float_denorm_mode_16_64 3
		.amdhsa_dx10_clamp 1
		.amdhsa_ieee_mode 1
		.amdhsa_fp16_overflow 0
		.amdhsa_exception_fp_ieee_invalid_op 0
		.amdhsa_exception_fp_denorm_src 0
		.amdhsa_exception_fp_ieee_div_zero 0
		.amdhsa_exception_fp_ieee_overflow 0
		.amdhsa_exception_fp_ieee_underflow 0
		.amdhsa_exception_fp_ieee_inexact 0
		.amdhsa_exception_int_div_zero 0
	.end_amdhsa_kernel
	.section	.text._ZN7rocprim17ROCPRIM_400000_NS6detail17trampoline_kernelINS0_14default_configENS1_27lower_bound_config_selectorItlEEZNS1_14transform_implILb0ES3_S5_N6thrust23THRUST_200600_302600_NS6detail15normal_iteratorINS8_7pointerItNS8_11hip_rocprim5par_tENS8_11use_defaultESE_EEEENSA_INSB_IlSD_SE_SE_EEEEZNS1_13binary_searchIS3_S5_PtSG_SI_NS1_21lower_bound_search_opENS9_16wrapped_functionI11custom_lessbEEEE10hipError_tPvRmT1_T2_T3_mmT4_T5_P12ihipStream_tbEUlRKtE_EESP_ST_SU_mSV_SY_bEUlT_E_NS1_11comp_targetILNS1_3genE5ELNS1_11target_archE942ELNS1_3gpuE9ELNS1_3repE0EEENS1_30default_config_static_selectorELNS0_4arch9wavefront6targetE1EEEvSS_,"axG",@progbits,_ZN7rocprim17ROCPRIM_400000_NS6detail17trampoline_kernelINS0_14default_configENS1_27lower_bound_config_selectorItlEEZNS1_14transform_implILb0ES3_S5_N6thrust23THRUST_200600_302600_NS6detail15normal_iteratorINS8_7pointerItNS8_11hip_rocprim5par_tENS8_11use_defaultESE_EEEENSA_INSB_IlSD_SE_SE_EEEEZNS1_13binary_searchIS3_S5_PtSG_SI_NS1_21lower_bound_search_opENS9_16wrapped_functionI11custom_lessbEEEE10hipError_tPvRmT1_T2_T3_mmT4_T5_P12ihipStream_tbEUlRKtE_EESP_ST_SU_mSV_SY_bEUlT_E_NS1_11comp_targetILNS1_3genE5ELNS1_11target_archE942ELNS1_3gpuE9ELNS1_3repE0EEENS1_30default_config_static_selectorELNS0_4arch9wavefront6targetE1EEEvSS_,comdat
.Lfunc_end85:
	.size	_ZN7rocprim17ROCPRIM_400000_NS6detail17trampoline_kernelINS0_14default_configENS1_27lower_bound_config_selectorItlEEZNS1_14transform_implILb0ES3_S5_N6thrust23THRUST_200600_302600_NS6detail15normal_iteratorINS8_7pointerItNS8_11hip_rocprim5par_tENS8_11use_defaultESE_EEEENSA_INSB_IlSD_SE_SE_EEEEZNS1_13binary_searchIS3_S5_PtSG_SI_NS1_21lower_bound_search_opENS9_16wrapped_functionI11custom_lessbEEEE10hipError_tPvRmT1_T2_T3_mmT4_T5_P12ihipStream_tbEUlRKtE_EESP_ST_SU_mSV_SY_bEUlT_E_NS1_11comp_targetILNS1_3genE5ELNS1_11target_archE942ELNS1_3gpuE9ELNS1_3repE0EEENS1_30default_config_static_selectorELNS0_4arch9wavefront6targetE1EEEvSS_, .Lfunc_end85-_ZN7rocprim17ROCPRIM_400000_NS6detail17trampoline_kernelINS0_14default_configENS1_27lower_bound_config_selectorItlEEZNS1_14transform_implILb0ES3_S5_N6thrust23THRUST_200600_302600_NS6detail15normal_iteratorINS8_7pointerItNS8_11hip_rocprim5par_tENS8_11use_defaultESE_EEEENSA_INSB_IlSD_SE_SE_EEEEZNS1_13binary_searchIS3_S5_PtSG_SI_NS1_21lower_bound_search_opENS9_16wrapped_functionI11custom_lessbEEEE10hipError_tPvRmT1_T2_T3_mmT4_T5_P12ihipStream_tbEUlRKtE_EESP_ST_SU_mSV_SY_bEUlT_E_NS1_11comp_targetILNS1_3genE5ELNS1_11target_archE942ELNS1_3gpuE9ELNS1_3repE0EEENS1_30default_config_static_selectorELNS0_4arch9wavefront6targetE1EEEvSS_
                                        ; -- End function
	.set _ZN7rocprim17ROCPRIM_400000_NS6detail17trampoline_kernelINS0_14default_configENS1_27lower_bound_config_selectorItlEEZNS1_14transform_implILb0ES3_S5_N6thrust23THRUST_200600_302600_NS6detail15normal_iteratorINS8_7pointerItNS8_11hip_rocprim5par_tENS8_11use_defaultESE_EEEENSA_INSB_IlSD_SE_SE_EEEEZNS1_13binary_searchIS3_S5_PtSG_SI_NS1_21lower_bound_search_opENS9_16wrapped_functionI11custom_lessbEEEE10hipError_tPvRmT1_T2_T3_mmT4_T5_P12ihipStream_tbEUlRKtE_EESP_ST_SU_mSV_SY_bEUlT_E_NS1_11comp_targetILNS1_3genE5ELNS1_11target_archE942ELNS1_3gpuE9ELNS1_3repE0EEENS1_30default_config_static_selectorELNS0_4arch9wavefront6targetE1EEEvSS_.num_vgpr, 0
	.set _ZN7rocprim17ROCPRIM_400000_NS6detail17trampoline_kernelINS0_14default_configENS1_27lower_bound_config_selectorItlEEZNS1_14transform_implILb0ES3_S5_N6thrust23THRUST_200600_302600_NS6detail15normal_iteratorINS8_7pointerItNS8_11hip_rocprim5par_tENS8_11use_defaultESE_EEEENSA_INSB_IlSD_SE_SE_EEEEZNS1_13binary_searchIS3_S5_PtSG_SI_NS1_21lower_bound_search_opENS9_16wrapped_functionI11custom_lessbEEEE10hipError_tPvRmT1_T2_T3_mmT4_T5_P12ihipStream_tbEUlRKtE_EESP_ST_SU_mSV_SY_bEUlT_E_NS1_11comp_targetILNS1_3genE5ELNS1_11target_archE942ELNS1_3gpuE9ELNS1_3repE0EEENS1_30default_config_static_selectorELNS0_4arch9wavefront6targetE1EEEvSS_.num_agpr, 0
	.set _ZN7rocprim17ROCPRIM_400000_NS6detail17trampoline_kernelINS0_14default_configENS1_27lower_bound_config_selectorItlEEZNS1_14transform_implILb0ES3_S5_N6thrust23THRUST_200600_302600_NS6detail15normal_iteratorINS8_7pointerItNS8_11hip_rocprim5par_tENS8_11use_defaultESE_EEEENSA_INSB_IlSD_SE_SE_EEEEZNS1_13binary_searchIS3_S5_PtSG_SI_NS1_21lower_bound_search_opENS9_16wrapped_functionI11custom_lessbEEEE10hipError_tPvRmT1_T2_T3_mmT4_T5_P12ihipStream_tbEUlRKtE_EESP_ST_SU_mSV_SY_bEUlT_E_NS1_11comp_targetILNS1_3genE5ELNS1_11target_archE942ELNS1_3gpuE9ELNS1_3repE0EEENS1_30default_config_static_selectorELNS0_4arch9wavefront6targetE1EEEvSS_.numbered_sgpr, 0
	.set _ZN7rocprim17ROCPRIM_400000_NS6detail17trampoline_kernelINS0_14default_configENS1_27lower_bound_config_selectorItlEEZNS1_14transform_implILb0ES3_S5_N6thrust23THRUST_200600_302600_NS6detail15normal_iteratorINS8_7pointerItNS8_11hip_rocprim5par_tENS8_11use_defaultESE_EEEENSA_INSB_IlSD_SE_SE_EEEEZNS1_13binary_searchIS3_S5_PtSG_SI_NS1_21lower_bound_search_opENS9_16wrapped_functionI11custom_lessbEEEE10hipError_tPvRmT1_T2_T3_mmT4_T5_P12ihipStream_tbEUlRKtE_EESP_ST_SU_mSV_SY_bEUlT_E_NS1_11comp_targetILNS1_3genE5ELNS1_11target_archE942ELNS1_3gpuE9ELNS1_3repE0EEENS1_30default_config_static_selectorELNS0_4arch9wavefront6targetE1EEEvSS_.num_named_barrier, 0
	.set _ZN7rocprim17ROCPRIM_400000_NS6detail17trampoline_kernelINS0_14default_configENS1_27lower_bound_config_selectorItlEEZNS1_14transform_implILb0ES3_S5_N6thrust23THRUST_200600_302600_NS6detail15normal_iteratorINS8_7pointerItNS8_11hip_rocprim5par_tENS8_11use_defaultESE_EEEENSA_INSB_IlSD_SE_SE_EEEEZNS1_13binary_searchIS3_S5_PtSG_SI_NS1_21lower_bound_search_opENS9_16wrapped_functionI11custom_lessbEEEE10hipError_tPvRmT1_T2_T3_mmT4_T5_P12ihipStream_tbEUlRKtE_EESP_ST_SU_mSV_SY_bEUlT_E_NS1_11comp_targetILNS1_3genE5ELNS1_11target_archE942ELNS1_3gpuE9ELNS1_3repE0EEENS1_30default_config_static_selectorELNS0_4arch9wavefront6targetE1EEEvSS_.private_seg_size, 0
	.set _ZN7rocprim17ROCPRIM_400000_NS6detail17trampoline_kernelINS0_14default_configENS1_27lower_bound_config_selectorItlEEZNS1_14transform_implILb0ES3_S5_N6thrust23THRUST_200600_302600_NS6detail15normal_iteratorINS8_7pointerItNS8_11hip_rocprim5par_tENS8_11use_defaultESE_EEEENSA_INSB_IlSD_SE_SE_EEEEZNS1_13binary_searchIS3_S5_PtSG_SI_NS1_21lower_bound_search_opENS9_16wrapped_functionI11custom_lessbEEEE10hipError_tPvRmT1_T2_T3_mmT4_T5_P12ihipStream_tbEUlRKtE_EESP_ST_SU_mSV_SY_bEUlT_E_NS1_11comp_targetILNS1_3genE5ELNS1_11target_archE942ELNS1_3gpuE9ELNS1_3repE0EEENS1_30default_config_static_selectorELNS0_4arch9wavefront6targetE1EEEvSS_.uses_vcc, 0
	.set _ZN7rocprim17ROCPRIM_400000_NS6detail17trampoline_kernelINS0_14default_configENS1_27lower_bound_config_selectorItlEEZNS1_14transform_implILb0ES3_S5_N6thrust23THRUST_200600_302600_NS6detail15normal_iteratorINS8_7pointerItNS8_11hip_rocprim5par_tENS8_11use_defaultESE_EEEENSA_INSB_IlSD_SE_SE_EEEEZNS1_13binary_searchIS3_S5_PtSG_SI_NS1_21lower_bound_search_opENS9_16wrapped_functionI11custom_lessbEEEE10hipError_tPvRmT1_T2_T3_mmT4_T5_P12ihipStream_tbEUlRKtE_EESP_ST_SU_mSV_SY_bEUlT_E_NS1_11comp_targetILNS1_3genE5ELNS1_11target_archE942ELNS1_3gpuE9ELNS1_3repE0EEENS1_30default_config_static_selectorELNS0_4arch9wavefront6targetE1EEEvSS_.uses_flat_scratch, 0
	.set _ZN7rocprim17ROCPRIM_400000_NS6detail17trampoline_kernelINS0_14default_configENS1_27lower_bound_config_selectorItlEEZNS1_14transform_implILb0ES3_S5_N6thrust23THRUST_200600_302600_NS6detail15normal_iteratorINS8_7pointerItNS8_11hip_rocprim5par_tENS8_11use_defaultESE_EEEENSA_INSB_IlSD_SE_SE_EEEEZNS1_13binary_searchIS3_S5_PtSG_SI_NS1_21lower_bound_search_opENS9_16wrapped_functionI11custom_lessbEEEE10hipError_tPvRmT1_T2_T3_mmT4_T5_P12ihipStream_tbEUlRKtE_EESP_ST_SU_mSV_SY_bEUlT_E_NS1_11comp_targetILNS1_3genE5ELNS1_11target_archE942ELNS1_3gpuE9ELNS1_3repE0EEENS1_30default_config_static_selectorELNS0_4arch9wavefront6targetE1EEEvSS_.has_dyn_sized_stack, 0
	.set _ZN7rocprim17ROCPRIM_400000_NS6detail17trampoline_kernelINS0_14default_configENS1_27lower_bound_config_selectorItlEEZNS1_14transform_implILb0ES3_S5_N6thrust23THRUST_200600_302600_NS6detail15normal_iteratorINS8_7pointerItNS8_11hip_rocprim5par_tENS8_11use_defaultESE_EEEENSA_INSB_IlSD_SE_SE_EEEEZNS1_13binary_searchIS3_S5_PtSG_SI_NS1_21lower_bound_search_opENS9_16wrapped_functionI11custom_lessbEEEE10hipError_tPvRmT1_T2_T3_mmT4_T5_P12ihipStream_tbEUlRKtE_EESP_ST_SU_mSV_SY_bEUlT_E_NS1_11comp_targetILNS1_3genE5ELNS1_11target_archE942ELNS1_3gpuE9ELNS1_3repE0EEENS1_30default_config_static_selectorELNS0_4arch9wavefront6targetE1EEEvSS_.has_recursion, 0
	.set _ZN7rocprim17ROCPRIM_400000_NS6detail17trampoline_kernelINS0_14default_configENS1_27lower_bound_config_selectorItlEEZNS1_14transform_implILb0ES3_S5_N6thrust23THRUST_200600_302600_NS6detail15normal_iteratorINS8_7pointerItNS8_11hip_rocprim5par_tENS8_11use_defaultESE_EEEENSA_INSB_IlSD_SE_SE_EEEEZNS1_13binary_searchIS3_S5_PtSG_SI_NS1_21lower_bound_search_opENS9_16wrapped_functionI11custom_lessbEEEE10hipError_tPvRmT1_T2_T3_mmT4_T5_P12ihipStream_tbEUlRKtE_EESP_ST_SU_mSV_SY_bEUlT_E_NS1_11comp_targetILNS1_3genE5ELNS1_11target_archE942ELNS1_3gpuE9ELNS1_3repE0EEENS1_30default_config_static_selectorELNS0_4arch9wavefront6targetE1EEEvSS_.has_indirect_call, 0
	.section	.AMDGPU.csdata,"",@progbits
; Kernel info:
; codeLenInByte = 0
; TotalNumSgprs: 4
; NumVgprs: 0
; ScratchSize: 0
; MemoryBound: 0
; FloatMode: 240
; IeeeMode: 1
; LDSByteSize: 0 bytes/workgroup (compile time only)
; SGPRBlocks: 0
; VGPRBlocks: 0
; NumSGPRsForWavesPerEU: 4
; NumVGPRsForWavesPerEU: 1
; Occupancy: 10
; WaveLimiterHint : 0
; COMPUTE_PGM_RSRC2:SCRATCH_EN: 0
; COMPUTE_PGM_RSRC2:USER_SGPR: 6
; COMPUTE_PGM_RSRC2:TRAP_HANDLER: 0
; COMPUTE_PGM_RSRC2:TGID_X_EN: 1
; COMPUTE_PGM_RSRC2:TGID_Y_EN: 0
; COMPUTE_PGM_RSRC2:TGID_Z_EN: 0
; COMPUTE_PGM_RSRC2:TIDIG_COMP_CNT: 0
	.section	.text._ZN7rocprim17ROCPRIM_400000_NS6detail17trampoline_kernelINS0_14default_configENS1_27lower_bound_config_selectorItlEEZNS1_14transform_implILb0ES3_S5_N6thrust23THRUST_200600_302600_NS6detail15normal_iteratorINS8_7pointerItNS8_11hip_rocprim5par_tENS8_11use_defaultESE_EEEENSA_INSB_IlSD_SE_SE_EEEEZNS1_13binary_searchIS3_S5_PtSG_SI_NS1_21lower_bound_search_opENS9_16wrapped_functionI11custom_lessbEEEE10hipError_tPvRmT1_T2_T3_mmT4_T5_P12ihipStream_tbEUlRKtE_EESP_ST_SU_mSV_SY_bEUlT_E_NS1_11comp_targetILNS1_3genE4ELNS1_11target_archE910ELNS1_3gpuE8ELNS1_3repE0EEENS1_30default_config_static_selectorELNS0_4arch9wavefront6targetE1EEEvSS_,"axG",@progbits,_ZN7rocprim17ROCPRIM_400000_NS6detail17trampoline_kernelINS0_14default_configENS1_27lower_bound_config_selectorItlEEZNS1_14transform_implILb0ES3_S5_N6thrust23THRUST_200600_302600_NS6detail15normal_iteratorINS8_7pointerItNS8_11hip_rocprim5par_tENS8_11use_defaultESE_EEEENSA_INSB_IlSD_SE_SE_EEEEZNS1_13binary_searchIS3_S5_PtSG_SI_NS1_21lower_bound_search_opENS9_16wrapped_functionI11custom_lessbEEEE10hipError_tPvRmT1_T2_T3_mmT4_T5_P12ihipStream_tbEUlRKtE_EESP_ST_SU_mSV_SY_bEUlT_E_NS1_11comp_targetILNS1_3genE4ELNS1_11target_archE910ELNS1_3gpuE8ELNS1_3repE0EEENS1_30default_config_static_selectorELNS0_4arch9wavefront6targetE1EEEvSS_,comdat
	.protected	_ZN7rocprim17ROCPRIM_400000_NS6detail17trampoline_kernelINS0_14default_configENS1_27lower_bound_config_selectorItlEEZNS1_14transform_implILb0ES3_S5_N6thrust23THRUST_200600_302600_NS6detail15normal_iteratorINS8_7pointerItNS8_11hip_rocprim5par_tENS8_11use_defaultESE_EEEENSA_INSB_IlSD_SE_SE_EEEEZNS1_13binary_searchIS3_S5_PtSG_SI_NS1_21lower_bound_search_opENS9_16wrapped_functionI11custom_lessbEEEE10hipError_tPvRmT1_T2_T3_mmT4_T5_P12ihipStream_tbEUlRKtE_EESP_ST_SU_mSV_SY_bEUlT_E_NS1_11comp_targetILNS1_3genE4ELNS1_11target_archE910ELNS1_3gpuE8ELNS1_3repE0EEENS1_30default_config_static_selectorELNS0_4arch9wavefront6targetE1EEEvSS_ ; -- Begin function _ZN7rocprim17ROCPRIM_400000_NS6detail17trampoline_kernelINS0_14default_configENS1_27lower_bound_config_selectorItlEEZNS1_14transform_implILb0ES3_S5_N6thrust23THRUST_200600_302600_NS6detail15normal_iteratorINS8_7pointerItNS8_11hip_rocprim5par_tENS8_11use_defaultESE_EEEENSA_INSB_IlSD_SE_SE_EEEEZNS1_13binary_searchIS3_S5_PtSG_SI_NS1_21lower_bound_search_opENS9_16wrapped_functionI11custom_lessbEEEE10hipError_tPvRmT1_T2_T3_mmT4_T5_P12ihipStream_tbEUlRKtE_EESP_ST_SU_mSV_SY_bEUlT_E_NS1_11comp_targetILNS1_3genE4ELNS1_11target_archE910ELNS1_3gpuE8ELNS1_3repE0EEENS1_30default_config_static_selectorELNS0_4arch9wavefront6targetE1EEEvSS_
	.globl	_ZN7rocprim17ROCPRIM_400000_NS6detail17trampoline_kernelINS0_14default_configENS1_27lower_bound_config_selectorItlEEZNS1_14transform_implILb0ES3_S5_N6thrust23THRUST_200600_302600_NS6detail15normal_iteratorINS8_7pointerItNS8_11hip_rocprim5par_tENS8_11use_defaultESE_EEEENSA_INSB_IlSD_SE_SE_EEEEZNS1_13binary_searchIS3_S5_PtSG_SI_NS1_21lower_bound_search_opENS9_16wrapped_functionI11custom_lessbEEEE10hipError_tPvRmT1_T2_T3_mmT4_T5_P12ihipStream_tbEUlRKtE_EESP_ST_SU_mSV_SY_bEUlT_E_NS1_11comp_targetILNS1_3genE4ELNS1_11target_archE910ELNS1_3gpuE8ELNS1_3repE0EEENS1_30default_config_static_selectorELNS0_4arch9wavefront6targetE1EEEvSS_
	.p2align	8
	.type	_ZN7rocprim17ROCPRIM_400000_NS6detail17trampoline_kernelINS0_14default_configENS1_27lower_bound_config_selectorItlEEZNS1_14transform_implILb0ES3_S5_N6thrust23THRUST_200600_302600_NS6detail15normal_iteratorINS8_7pointerItNS8_11hip_rocprim5par_tENS8_11use_defaultESE_EEEENSA_INSB_IlSD_SE_SE_EEEEZNS1_13binary_searchIS3_S5_PtSG_SI_NS1_21lower_bound_search_opENS9_16wrapped_functionI11custom_lessbEEEE10hipError_tPvRmT1_T2_T3_mmT4_T5_P12ihipStream_tbEUlRKtE_EESP_ST_SU_mSV_SY_bEUlT_E_NS1_11comp_targetILNS1_3genE4ELNS1_11target_archE910ELNS1_3gpuE8ELNS1_3repE0EEENS1_30default_config_static_selectorELNS0_4arch9wavefront6targetE1EEEvSS_,@function
_ZN7rocprim17ROCPRIM_400000_NS6detail17trampoline_kernelINS0_14default_configENS1_27lower_bound_config_selectorItlEEZNS1_14transform_implILb0ES3_S5_N6thrust23THRUST_200600_302600_NS6detail15normal_iteratorINS8_7pointerItNS8_11hip_rocprim5par_tENS8_11use_defaultESE_EEEENSA_INSB_IlSD_SE_SE_EEEEZNS1_13binary_searchIS3_S5_PtSG_SI_NS1_21lower_bound_search_opENS9_16wrapped_functionI11custom_lessbEEEE10hipError_tPvRmT1_T2_T3_mmT4_T5_P12ihipStream_tbEUlRKtE_EESP_ST_SU_mSV_SY_bEUlT_E_NS1_11comp_targetILNS1_3genE4ELNS1_11target_archE910ELNS1_3gpuE8ELNS1_3repE0EEENS1_30default_config_static_selectorELNS0_4arch9wavefront6targetE1EEEvSS_: ; @_ZN7rocprim17ROCPRIM_400000_NS6detail17trampoline_kernelINS0_14default_configENS1_27lower_bound_config_selectorItlEEZNS1_14transform_implILb0ES3_S5_N6thrust23THRUST_200600_302600_NS6detail15normal_iteratorINS8_7pointerItNS8_11hip_rocprim5par_tENS8_11use_defaultESE_EEEENSA_INSB_IlSD_SE_SE_EEEEZNS1_13binary_searchIS3_S5_PtSG_SI_NS1_21lower_bound_search_opENS9_16wrapped_functionI11custom_lessbEEEE10hipError_tPvRmT1_T2_T3_mmT4_T5_P12ihipStream_tbEUlRKtE_EESP_ST_SU_mSV_SY_bEUlT_E_NS1_11comp_targetILNS1_3genE4ELNS1_11target_archE910ELNS1_3gpuE8ELNS1_3repE0EEENS1_30default_config_static_selectorELNS0_4arch9wavefront6targetE1EEEvSS_
; %bb.0:
	.section	.rodata,"a",@progbits
	.p2align	6, 0x0
	.amdhsa_kernel _ZN7rocprim17ROCPRIM_400000_NS6detail17trampoline_kernelINS0_14default_configENS1_27lower_bound_config_selectorItlEEZNS1_14transform_implILb0ES3_S5_N6thrust23THRUST_200600_302600_NS6detail15normal_iteratorINS8_7pointerItNS8_11hip_rocprim5par_tENS8_11use_defaultESE_EEEENSA_INSB_IlSD_SE_SE_EEEEZNS1_13binary_searchIS3_S5_PtSG_SI_NS1_21lower_bound_search_opENS9_16wrapped_functionI11custom_lessbEEEE10hipError_tPvRmT1_T2_T3_mmT4_T5_P12ihipStream_tbEUlRKtE_EESP_ST_SU_mSV_SY_bEUlT_E_NS1_11comp_targetILNS1_3genE4ELNS1_11target_archE910ELNS1_3gpuE8ELNS1_3repE0EEENS1_30default_config_static_selectorELNS0_4arch9wavefront6targetE1EEEvSS_
		.amdhsa_group_segment_fixed_size 0
		.amdhsa_private_segment_fixed_size 0
		.amdhsa_kernarg_size 56
		.amdhsa_user_sgpr_count 6
		.amdhsa_user_sgpr_private_segment_buffer 1
		.amdhsa_user_sgpr_dispatch_ptr 0
		.amdhsa_user_sgpr_queue_ptr 0
		.amdhsa_user_sgpr_kernarg_segment_ptr 1
		.amdhsa_user_sgpr_dispatch_id 0
		.amdhsa_user_sgpr_flat_scratch_init 0
		.amdhsa_user_sgpr_private_segment_size 0
		.amdhsa_uses_dynamic_stack 0
		.amdhsa_system_sgpr_private_segment_wavefront_offset 0
		.amdhsa_system_sgpr_workgroup_id_x 1
		.amdhsa_system_sgpr_workgroup_id_y 0
		.amdhsa_system_sgpr_workgroup_id_z 0
		.amdhsa_system_sgpr_workgroup_info 0
		.amdhsa_system_vgpr_workitem_id 0
		.amdhsa_next_free_vgpr 1
		.amdhsa_next_free_sgpr 0
		.amdhsa_reserve_vcc 0
		.amdhsa_reserve_flat_scratch 0
		.amdhsa_float_round_mode_32 0
		.amdhsa_float_round_mode_16_64 0
		.amdhsa_float_denorm_mode_32 3
		.amdhsa_float_denorm_mode_16_64 3
		.amdhsa_dx10_clamp 1
		.amdhsa_ieee_mode 1
		.amdhsa_fp16_overflow 0
		.amdhsa_exception_fp_ieee_invalid_op 0
		.amdhsa_exception_fp_denorm_src 0
		.amdhsa_exception_fp_ieee_div_zero 0
		.amdhsa_exception_fp_ieee_overflow 0
		.amdhsa_exception_fp_ieee_underflow 0
		.amdhsa_exception_fp_ieee_inexact 0
		.amdhsa_exception_int_div_zero 0
	.end_amdhsa_kernel
	.section	.text._ZN7rocprim17ROCPRIM_400000_NS6detail17trampoline_kernelINS0_14default_configENS1_27lower_bound_config_selectorItlEEZNS1_14transform_implILb0ES3_S5_N6thrust23THRUST_200600_302600_NS6detail15normal_iteratorINS8_7pointerItNS8_11hip_rocprim5par_tENS8_11use_defaultESE_EEEENSA_INSB_IlSD_SE_SE_EEEEZNS1_13binary_searchIS3_S5_PtSG_SI_NS1_21lower_bound_search_opENS9_16wrapped_functionI11custom_lessbEEEE10hipError_tPvRmT1_T2_T3_mmT4_T5_P12ihipStream_tbEUlRKtE_EESP_ST_SU_mSV_SY_bEUlT_E_NS1_11comp_targetILNS1_3genE4ELNS1_11target_archE910ELNS1_3gpuE8ELNS1_3repE0EEENS1_30default_config_static_selectorELNS0_4arch9wavefront6targetE1EEEvSS_,"axG",@progbits,_ZN7rocprim17ROCPRIM_400000_NS6detail17trampoline_kernelINS0_14default_configENS1_27lower_bound_config_selectorItlEEZNS1_14transform_implILb0ES3_S5_N6thrust23THRUST_200600_302600_NS6detail15normal_iteratorINS8_7pointerItNS8_11hip_rocprim5par_tENS8_11use_defaultESE_EEEENSA_INSB_IlSD_SE_SE_EEEEZNS1_13binary_searchIS3_S5_PtSG_SI_NS1_21lower_bound_search_opENS9_16wrapped_functionI11custom_lessbEEEE10hipError_tPvRmT1_T2_T3_mmT4_T5_P12ihipStream_tbEUlRKtE_EESP_ST_SU_mSV_SY_bEUlT_E_NS1_11comp_targetILNS1_3genE4ELNS1_11target_archE910ELNS1_3gpuE8ELNS1_3repE0EEENS1_30default_config_static_selectorELNS0_4arch9wavefront6targetE1EEEvSS_,comdat
.Lfunc_end86:
	.size	_ZN7rocprim17ROCPRIM_400000_NS6detail17trampoline_kernelINS0_14default_configENS1_27lower_bound_config_selectorItlEEZNS1_14transform_implILb0ES3_S5_N6thrust23THRUST_200600_302600_NS6detail15normal_iteratorINS8_7pointerItNS8_11hip_rocprim5par_tENS8_11use_defaultESE_EEEENSA_INSB_IlSD_SE_SE_EEEEZNS1_13binary_searchIS3_S5_PtSG_SI_NS1_21lower_bound_search_opENS9_16wrapped_functionI11custom_lessbEEEE10hipError_tPvRmT1_T2_T3_mmT4_T5_P12ihipStream_tbEUlRKtE_EESP_ST_SU_mSV_SY_bEUlT_E_NS1_11comp_targetILNS1_3genE4ELNS1_11target_archE910ELNS1_3gpuE8ELNS1_3repE0EEENS1_30default_config_static_selectorELNS0_4arch9wavefront6targetE1EEEvSS_, .Lfunc_end86-_ZN7rocprim17ROCPRIM_400000_NS6detail17trampoline_kernelINS0_14default_configENS1_27lower_bound_config_selectorItlEEZNS1_14transform_implILb0ES3_S5_N6thrust23THRUST_200600_302600_NS6detail15normal_iteratorINS8_7pointerItNS8_11hip_rocprim5par_tENS8_11use_defaultESE_EEEENSA_INSB_IlSD_SE_SE_EEEEZNS1_13binary_searchIS3_S5_PtSG_SI_NS1_21lower_bound_search_opENS9_16wrapped_functionI11custom_lessbEEEE10hipError_tPvRmT1_T2_T3_mmT4_T5_P12ihipStream_tbEUlRKtE_EESP_ST_SU_mSV_SY_bEUlT_E_NS1_11comp_targetILNS1_3genE4ELNS1_11target_archE910ELNS1_3gpuE8ELNS1_3repE0EEENS1_30default_config_static_selectorELNS0_4arch9wavefront6targetE1EEEvSS_
                                        ; -- End function
	.set _ZN7rocprim17ROCPRIM_400000_NS6detail17trampoline_kernelINS0_14default_configENS1_27lower_bound_config_selectorItlEEZNS1_14transform_implILb0ES3_S5_N6thrust23THRUST_200600_302600_NS6detail15normal_iteratorINS8_7pointerItNS8_11hip_rocprim5par_tENS8_11use_defaultESE_EEEENSA_INSB_IlSD_SE_SE_EEEEZNS1_13binary_searchIS3_S5_PtSG_SI_NS1_21lower_bound_search_opENS9_16wrapped_functionI11custom_lessbEEEE10hipError_tPvRmT1_T2_T3_mmT4_T5_P12ihipStream_tbEUlRKtE_EESP_ST_SU_mSV_SY_bEUlT_E_NS1_11comp_targetILNS1_3genE4ELNS1_11target_archE910ELNS1_3gpuE8ELNS1_3repE0EEENS1_30default_config_static_selectorELNS0_4arch9wavefront6targetE1EEEvSS_.num_vgpr, 0
	.set _ZN7rocprim17ROCPRIM_400000_NS6detail17trampoline_kernelINS0_14default_configENS1_27lower_bound_config_selectorItlEEZNS1_14transform_implILb0ES3_S5_N6thrust23THRUST_200600_302600_NS6detail15normal_iteratorINS8_7pointerItNS8_11hip_rocprim5par_tENS8_11use_defaultESE_EEEENSA_INSB_IlSD_SE_SE_EEEEZNS1_13binary_searchIS3_S5_PtSG_SI_NS1_21lower_bound_search_opENS9_16wrapped_functionI11custom_lessbEEEE10hipError_tPvRmT1_T2_T3_mmT4_T5_P12ihipStream_tbEUlRKtE_EESP_ST_SU_mSV_SY_bEUlT_E_NS1_11comp_targetILNS1_3genE4ELNS1_11target_archE910ELNS1_3gpuE8ELNS1_3repE0EEENS1_30default_config_static_selectorELNS0_4arch9wavefront6targetE1EEEvSS_.num_agpr, 0
	.set _ZN7rocprim17ROCPRIM_400000_NS6detail17trampoline_kernelINS0_14default_configENS1_27lower_bound_config_selectorItlEEZNS1_14transform_implILb0ES3_S5_N6thrust23THRUST_200600_302600_NS6detail15normal_iteratorINS8_7pointerItNS8_11hip_rocprim5par_tENS8_11use_defaultESE_EEEENSA_INSB_IlSD_SE_SE_EEEEZNS1_13binary_searchIS3_S5_PtSG_SI_NS1_21lower_bound_search_opENS9_16wrapped_functionI11custom_lessbEEEE10hipError_tPvRmT1_T2_T3_mmT4_T5_P12ihipStream_tbEUlRKtE_EESP_ST_SU_mSV_SY_bEUlT_E_NS1_11comp_targetILNS1_3genE4ELNS1_11target_archE910ELNS1_3gpuE8ELNS1_3repE0EEENS1_30default_config_static_selectorELNS0_4arch9wavefront6targetE1EEEvSS_.numbered_sgpr, 0
	.set _ZN7rocprim17ROCPRIM_400000_NS6detail17trampoline_kernelINS0_14default_configENS1_27lower_bound_config_selectorItlEEZNS1_14transform_implILb0ES3_S5_N6thrust23THRUST_200600_302600_NS6detail15normal_iteratorINS8_7pointerItNS8_11hip_rocprim5par_tENS8_11use_defaultESE_EEEENSA_INSB_IlSD_SE_SE_EEEEZNS1_13binary_searchIS3_S5_PtSG_SI_NS1_21lower_bound_search_opENS9_16wrapped_functionI11custom_lessbEEEE10hipError_tPvRmT1_T2_T3_mmT4_T5_P12ihipStream_tbEUlRKtE_EESP_ST_SU_mSV_SY_bEUlT_E_NS1_11comp_targetILNS1_3genE4ELNS1_11target_archE910ELNS1_3gpuE8ELNS1_3repE0EEENS1_30default_config_static_selectorELNS0_4arch9wavefront6targetE1EEEvSS_.num_named_barrier, 0
	.set _ZN7rocprim17ROCPRIM_400000_NS6detail17trampoline_kernelINS0_14default_configENS1_27lower_bound_config_selectorItlEEZNS1_14transform_implILb0ES3_S5_N6thrust23THRUST_200600_302600_NS6detail15normal_iteratorINS8_7pointerItNS8_11hip_rocprim5par_tENS8_11use_defaultESE_EEEENSA_INSB_IlSD_SE_SE_EEEEZNS1_13binary_searchIS3_S5_PtSG_SI_NS1_21lower_bound_search_opENS9_16wrapped_functionI11custom_lessbEEEE10hipError_tPvRmT1_T2_T3_mmT4_T5_P12ihipStream_tbEUlRKtE_EESP_ST_SU_mSV_SY_bEUlT_E_NS1_11comp_targetILNS1_3genE4ELNS1_11target_archE910ELNS1_3gpuE8ELNS1_3repE0EEENS1_30default_config_static_selectorELNS0_4arch9wavefront6targetE1EEEvSS_.private_seg_size, 0
	.set _ZN7rocprim17ROCPRIM_400000_NS6detail17trampoline_kernelINS0_14default_configENS1_27lower_bound_config_selectorItlEEZNS1_14transform_implILb0ES3_S5_N6thrust23THRUST_200600_302600_NS6detail15normal_iteratorINS8_7pointerItNS8_11hip_rocprim5par_tENS8_11use_defaultESE_EEEENSA_INSB_IlSD_SE_SE_EEEEZNS1_13binary_searchIS3_S5_PtSG_SI_NS1_21lower_bound_search_opENS9_16wrapped_functionI11custom_lessbEEEE10hipError_tPvRmT1_T2_T3_mmT4_T5_P12ihipStream_tbEUlRKtE_EESP_ST_SU_mSV_SY_bEUlT_E_NS1_11comp_targetILNS1_3genE4ELNS1_11target_archE910ELNS1_3gpuE8ELNS1_3repE0EEENS1_30default_config_static_selectorELNS0_4arch9wavefront6targetE1EEEvSS_.uses_vcc, 0
	.set _ZN7rocprim17ROCPRIM_400000_NS6detail17trampoline_kernelINS0_14default_configENS1_27lower_bound_config_selectorItlEEZNS1_14transform_implILb0ES3_S5_N6thrust23THRUST_200600_302600_NS6detail15normal_iteratorINS8_7pointerItNS8_11hip_rocprim5par_tENS8_11use_defaultESE_EEEENSA_INSB_IlSD_SE_SE_EEEEZNS1_13binary_searchIS3_S5_PtSG_SI_NS1_21lower_bound_search_opENS9_16wrapped_functionI11custom_lessbEEEE10hipError_tPvRmT1_T2_T3_mmT4_T5_P12ihipStream_tbEUlRKtE_EESP_ST_SU_mSV_SY_bEUlT_E_NS1_11comp_targetILNS1_3genE4ELNS1_11target_archE910ELNS1_3gpuE8ELNS1_3repE0EEENS1_30default_config_static_selectorELNS0_4arch9wavefront6targetE1EEEvSS_.uses_flat_scratch, 0
	.set _ZN7rocprim17ROCPRIM_400000_NS6detail17trampoline_kernelINS0_14default_configENS1_27lower_bound_config_selectorItlEEZNS1_14transform_implILb0ES3_S5_N6thrust23THRUST_200600_302600_NS6detail15normal_iteratorINS8_7pointerItNS8_11hip_rocprim5par_tENS8_11use_defaultESE_EEEENSA_INSB_IlSD_SE_SE_EEEEZNS1_13binary_searchIS3_S5_PtSG_SI_NS1_21lower_bound_search_opENS9_16wrapped_functionI11custom_lessbEEEE10hipError_tPvRmT1_T2_T3_mmT4_T5_P12ihipStream_tbEUlRKtE_EESP_ST_SU_mSV_SY_bEUlT_E_NS1_11comp_targetILNS1_3genE4ELNS1_11target_archE910ELNS1_3gpuE8ELNS1_3repE0EEENS1_30default_config_static_selectorELNS0_4arch9wavefront6targetE1EEEvSS_.has_dyn_sized_stack, 0
	.set _ZN7rocprim17ROCPRIM_400000_NS6detail17trampoline_kernelINS0_14default_configENS1_27lower_bound_config_selectorItlEEZNS1_14transform_implILb0ES3_S5_N6thrust23THRUST_200600_302600_NS6detail15normal_iteratorINS8_7pointerItNS8_11hip_rocprim5par_tENS8_11use_defaultESE_EEEENSA_INSB_IlSD_SE_SE_EEEEZNS1_13binary_searchIS3_S5_PtSG_SI_NS1_21lower_bound_search_opENS9_16wrapped_functionI11custom_lessbEEEE10hipError_tPvRmT1_T2_T3_mmT4_T5_P12ihipStream_tbEUlRKtE_EESP_ST_SU_mSV_SY_bEUlT_E_NS1_11comp_targetILNS1_3genE4ELNS1_11target_archE910ELNS1_3gpuE8ELNS1_3repE0EEENS1_30default_config_static_selectorELNS0_4arch9wavefront6targetE1EEEvSS_.has_recursion, 0
	.set _ZN7rocprim17ROCPRIM_400000_NS6detail17trampoline_kernelINS0_14default_configENS1_27lower_bound_config_selectorItlEEZNS1_14transform_implILb0ES3_S5_N6thrust23THRUST_200600_302600_NS6detail15normal_iteratorINS8_7pointerItNS8_11hip_rocprim5par_tENS8_11use_defaultESE_EEEENSA_INSB_IlSD_SE_SE_EEEEZNS1_13binary_searchIS3_S5_PtSG_SI_NS1_21lower_bound_search_opENS9_16wrapped_functionI11custom_lessbEEEE10hipError_tPvRmT1_T2_T3_mmT4_T5_P12ihipStream_tbEUlRKtE_EESP_ST_SU_mSV_SY_bEUlT_E_NS1_11comp_targetILNS1_3genE4ELNS1_11target_archE910ELNS1_3gpuE8ELNS1_3repE0EEENS1_30default_config_static_selectorELNS0_4arch9wavefront6targetE1EEEvSS_.has_indirect_call, 0
	.section	.AMDGPU.csdata,"",@progbits
; Kernel info:
; codeLenInByte = 0
; TotalNumSgprs: 4
; NumVgprs: 0
; ScratchSize: 0
; MemoryBound: 0
; FloatMode: 240
; IeeeMode: 1
; LDSByteSize: 0 bytes/workgroup (compile time only)
; SGPRBlocks: 0
; VGPRBlocks: 0
; NumSGPRsForWavesPerEU: 4
; NumVGPRsForWavesPerEU: 1
; Occupancy: 10
; WaveLimiterHint : 0
; COMPUTE_PGM_RSRC2:SCRATCH_EN: 0
; COMPUTE_PGM_RSRC2:USER_SGPR: 6
; COMPUTE_PGM_RSRC2:TRAP_HANDLER: 0
; COMPUTE_PGM_RSRC2:TGID_X_EN: 1
; COMPUTE_PGM_RSRC2:TGID_Y_EN: 0
; COMPUTE_PGM_RSRC2:TGID_Z_EN: 0
; COMPUTE_PGM_RSRC2:TIDIG_COMP_CNT: 0
	.section	.text._ZN7rocprim17ROCPRIM_400000_NS6detail17trampoline_kernelINS0_14default_configENS1_27lower_bound_config_selectorItlEEZNS1_14transform_implILb0ES3_S5_N6thrust23THRUST_200600_302600_NS6detail15normal_iteratorINS8_7pointerItNS8_11hip_rocprim5par_tENS8_11use_defaultESE_EEEENSA_INSB_IlSD_SE_SE_EEEEZNS1_13binary_searchIS3_S5_PtSG_SI_NS1_21lower_bound_search_opENS9_16wrapped_functionI11custom_lessbEEEE10hipError_tPvRmT1_T2_T3_mmT4_T5_P12ihipStream_tbEUlRKtE_EESP_ST_SU_mSV_SY_bEUlT_E_NS1_11comp_targetILNS1_3genE3ELNS1_11target_archE908ELNS1_3gpuE7ELNS1_3repE0EEENS1_30default_config_static_selectorELNS0_4arch9wavefront6targetE1EEEvSS_,"axG",@progbits,_ZN7rocprim17ROCPRIM_400000_NS6detail17trampoline_kernelINS0_14default_configENS1_27lower_bound_config_selectorItlEEZNS1_14transform_implILb0ES3_S5_N6thrust23THRUST_200600_302600_NS6detail15normal_iteratorINS8_7pointerItNS8_11hip_rocprim5par_tENS8_11use_defaultESE_EEEENSA_INSB_IlSD_SE_SE_EEEEZNS1_13binary_searchIS3_S5_PtSG_SI_NS1_21lower_bound_search_opENS9_16wrapped_functionI11custom_lessbEEEE10hipError_tPvRmT1_T2_T3_mmT4_T5_P12ihipStream_tbEUlRKtE_EESP_ST_SU_mSV_SY_bEUlT_E_NS1_11comp_targetILNS1_3genE3ELNS1_11target_archE908ELNS1_3gpuE7ELNS1_3repE0EEENS1_30default_config_static_selectorELNS0_4arch9wavefront6targetE1EEEvSS_,comdat
	.protected	_ZN7rocprim17ROCPRIM_400000_NS6detail17trampoline_kernelINS0_14default_configENS1_27lower_bound_config_selectorItlEEZNS1_14transform_implILb0ES3_S5_N6thrust23THRUST_200600_302600_NS6detail15normal_iteratorINS8_7pointerItNS8_11hip_rocprim5par_tENS8_11use_defaultESE_EEEENSA_INSB_IlSD_SE_SE_EEEEZNS1_13binary_searchIS3_S5_PtSG_SI_NS1_21lower_bound_search_opENS9_16wrapped_functionI11custom_lessbEEEE10hipError_tPvRmT1_T2_T3_mmT4_T5_P12ihipStream_tbEUlRKtE_EESP_ST_SU_mSV_SY_bEUlT_E_NS1_11comp_targetILNS1_3genE3ELNS1_11target_archE908ELNS1_3gpuE7ELNS1_3repE0EEENS1_30default_config_static_selectorELNS0_4arch9wavefront6targetE1EEEvSS_ ; -- Begin function _ZN7rocprim17ROCPRIM_400000_NS6detail17trampoline_kernelINS0_14default_configENS1_27lower_bound_config_selectorItlEEZNS1_14transform_implILb0ES3_S5_N6thrust23THRUST_200600_302600_NS6detail15normal_iteratorINS8_7pointerItNS8_11hip_rocprim5par_tENS8_11use_defaultESE_EEEENSA_INSB_IlSD_SE_SE_EEEEZNS1_13binary_searchIS3_S5_PtSG_SI_NS1_21lower_bound_search_opENS9_16wrapped_functionI11custom_lessbEEEE10hipError_tPvRmT1_T2_T3_mmT4_T5_P12ihipStream_tbEUlRKtE_EESP_ST_SU_mSV_SY_bEUlT_E_NS1_11comp_targetILNS1_3genE3ELNS1_11target_archE908ELNS1_3gpuE7ELNS1_3repE0EEENS1_30default_config_static_selectorELNS0_4arch9wavefront6targetE1EEEvSS_
	.globl	_ZN7rocprim17ROCPRIM_400000_NS6detail17trampoline_kernelINS0_14default_configENS1_27lower_bound_config_selectorItlEEZNS1_14transform_implILb0ES3_S5_N6thrust23THRUST_200600_302600_NS6detail15normal_iteratorINS8_7pointerItNS8_11hip_rocprim5par_tENS8_11use_defaultESE_EEEENSA_INSB_IlSD_SE_SE_EEEEZNS1_13binary_searchIS3_S5_PtSG_SI_NS1_21lower_bound_search_opENS9_16wrapped_functionI11custom_lessbEEEE10hipError_tPvRmT1_T2_T3_mmT4_T5_P12ihipStream_tbEUlRKtE_EESP_ST_SU_mSV_SY_bEUlT_E_NS1_11comp_targetILNS1_3genE3ELNS1_11target_archE908ELNS1_3gpuE7ELNS1_3repE0EEENS1_30default_config_static_selectorELNS0_4arch9wavefront6targetE1EEEvSS_
	.p2align	8
	.type	_ZN7rocprim17ROCPRIM_400000_NS6detail17trampoline_kernelINS0_14default_configENS1_27lower_bound_config_selectorItlEEZNS1_14transform_implILb0ES3_S5_N6thrust23THRUST_200600_302600_NS6detail15normal_iteratorINS8_7pointerItNS8_11hip_rocprim5par_tENS8_11use_defaultESE_EEEENSA_INSB_IlSD_SE_SE_EEEEZNS1_13binary_searchIS3_S5_PtSG_SI_NS1_21lower_bound_search_opENS9_16wrapped_functionI11custom_lessbEEEE10hipError_tPvRmT1_T2_T3_mmT4_T5_P12ihipStream_tbEUlRKtE_EESP_ST_SU_mSV_SY_bEUlT_E_NS1_11comp_targetILNS1_3genE3ELNS1_11target_archE908ELNS1_3gpuE7ELNS1_3repE0EEENS1_30default_config_static_selectorELNS0_4arch9wavefront6targetE1EEEvSS_,@function
_ZN7rocprim17ROCPRIM_400000_NS6detail17trampoline_kernelINS0_14default_configENS1_27lower_bound_config_selectorItlEEZNS1_14transform_implILb0ES3_S5_N6thrust23THRUST_200600_302600_NS6detail15normal_iteratorINS8_7pointerItNS8_11hip_rocprim5par_tENS8_11use_defaultESE_EEEENSA_INSB_IlSD_SE_SE_EEEEZNS1_13binary_searchIS3_S5_PtSG_SI_NS1_21lower_bound_search_opENS9_16wrapped_functionI11custom_lessbEEEE10hipError_tPvRmT1_T2_T3_mmT4_T5_P12ihipStream_tbEUlRKtE_EESP_ST_SU_mSV_SY_bEUlT_E_NS1_11comp_targetILNS1_3genE3ELNS1_11target_archE908ELNS1_3gpuE7ELNS1_3repE0EEENS1_30default_config_static_selectorELNS0_4arch9wavefront6targetE1EEEvSS_: ; @_ZN7rocprim17ROCPRIM_400000_NS6detail17trampoline_kernelINS0_14default_configENS1_27lower_bound_config_selectorItlEEZNS1_14transform_implILb0ES3_S5_N6thrust23THRUST_200600_302600_NS6detail15normal_iteratorINS8_7pointerItNS8_11hip_rocprim5par_tENS8_11use_defaultESE_EEEENSA_INSB_IlSD_SE_SE_EEEEZNS1_13binary_searchIS3_S5_PtSG_SI_NS1_21lower_bound_search_opENS9_16wrapped_functionI11custom_lessbEEEE10hipError_tPvRmT1_T2_T3_mmT4_T5_P12ihipStream_tbEUlRKtE_EESP_ST_SU_mSV_SY_bEUlT_E_NS1_11comp_targetILNS1_3genE3ELNS1_11target_archE908ELNS1_3gpuE7ELNS1_3repE0EEENS1_30default_config_static_selectorELNS0_4arch9wavefront6targetE1EEEvSS_
; %bb.0:
	.section	.rodata,"a",@progbits
	.p2align	6, 0x0
	.amdhsa_kernel _ZN7rocprim17ROCPRIM_400000_NS6detail17trampoline_kernelINS0_14default_configENS1_27lower_bound_config_selectorItlEEZNS1_14transform_implILb0ES3_S5_N6thrust23THRUST_200600_302600_NS6detail15normal_iteratorINS8_7pointerItNS8_11hip_rocprim5par_tENS8_11use_defaultESE_EEEENSA_INSB_IlSD_SE_SE_EEEEZNS1_13binary_searchIS3_S5_PtSG_SI_NS1_21lower_bound_search_opENS9_16wrapped_functionI11custom_lessbEEEE10hipError_tPvRmT1_T2_T3_mmT4_T5_P12ihipStream_tbEUlRKtE_EESP_ST_SU_mSV_SY_bEUlT_E_NS1_11comp_targetILNS1_3genE3ELNS1_11target_archE908ELNS1_3gpuE7ELNS1_3repE0EEENS1_30default_config_static_selectorELNS0_4arch9wavefront6targetE1EEEvSS_
		.amdhsa_group_segment_fixed_size 0
		.amdhsa_private_segment_fixed_size 0
		.amdhsa_kernarg_size 56
		.amdhsa_user_sgpr_count 6
		.amdhsa_user_sgpr_private_segment_buffer 1
		.amdhsa_user_sgpr_dispatch_ptr 0
		.amdhsa_user_sgpr_queue_ptr 0
		.amdhsa_user_sgpr_kernarg_segment_ptr 1
		.amdhsa_user_sgpr_dispatch_id 0
		.amdhsa_user_sgpr_flat_scratch_init 0
		.amdhsa_user_sgpr_private_segment_size 0
		.amdhsa_uses_dynamic_stack 0
		.amdhsa_system_sgpr_private_segment_wavefront_offset 0
		.amdhsa_system_sgpr_workgroup_id_x 1
		.amdhsa_system_sgpr_workgroup_id_y 0
		.amdhsa_system_sgpr_workgroup_id_z 0
		.amdhsa_system_sgpr_workgroup_info 0
		.amdhsa_system_vgpr_workitem_id 0
		.amdhsa_next_free_vgpr 1
		.amdhsa_next_free_sgpr 0
		.amdhsa_reserve_vcc 0
		.amdhsa_reserve_flat_scratch 0
		.amdhsa_float_round_mode_32 0
		.amdhsa_float_round_mode_16_64 0
		.amdhsa_float_denorm_mode_32 3
		.amdhsa_float_denorm_mode_16_64 3
		.amdhsa_dx10_clamp 1
		.amdhsa_ieee_mode 1
		.amdhsa_fp16_overflow 0
		.amdhsa_exception_fp_ieee_invalid_op 0
		.amdhsa_exception_fp_denorm_src 0
		.amdhsa_exception_fp_ieee_div_zero 0
		.amdhsa_exception_fp_ieee_overflow 0
		.amdhsa_exception_fp_ieee_underflow 0
		.amdhsa_exception_fp_ieee_inexact 0
		.amdhsa_exception_int_div_zero 0
	.end_amdhsa_kernel
	.section	.text._ZN7rocprim17ROCPRIM_400000_NS6detail17trampoline_kernelINS0_14default_configENS1_27lower_bound_config_selectorItlEEZNS1_14transform_implILb0ES3_S5_N6thrust23THRUST_200600_302600_NS6detail15normal_iteratorINS8_7pointerItNS8_11hip_rocprim5par_tENS8_11use_defaultESE_EEEENSA_INSB_IlSD_SE_SE_EEEEZNS1_13binary_searchIS3_S5_PtSG_SI_NS1_21lower_bound_search_opENS9_16wrapped_functionI11custom_lessbEEEE10hipError_tPvRmT1_T2_T3_mmT4_T5_P12ihipStream_tbEUlRKtE_EESP_ST_SU_mSV_SY_bEUlT_E_NS1_11comp_targetILNS1_3genE3ELNS1_11target_archE908ELNS1_3gpuE7ELNS1_3repE0EEENS1_30default_config_static_selectorELNS0_4arch9wavefront6targetE1EEEvSS_,"axG",@progbits,_ZN7rocprim17ROCPRIM_400000_NS6detail17trampoline_kernelINS0_14default_configENS1_27lower_bound_config_selectorItlEEZNS1_14transform_implILb0ES3_S5_N6thrust23THRUST_200600_302600_NS6detail15normal_iteratorINS8_7pointerItNS8_11hip_rocprim5par_tENS8_11use_defaultESE_EEEENSA_INSB_IlSD_SE_SE_EEEEZNS1_13binary_searchIS3_S5_PtSG_SI_NS1_21lower_bound_search_opENS9_16wrapped_functionI11custom_lessbEEEE10hipError_tPvRmT1_T2_T3_mmT4_T5_P12ihipStream_tbEUlRKtE_EESP_ST_SU_mSV_SY_bEUlT_E_NS1_11comp_targetILNS1_3genE3ELNS1_11target_archE908ELNS1_3gpuE7ELNS1_3repE0EEENS1_30default_config_static_selectorELNS0_4arch9wavefront6targetE1EEEvSS_,comdat
.Lfunc_end87:
	.size	_ZN7rocprim17ROCPRIM_400000_NS6detail17trampoline_kernelINS0_14default_configENS1_27lower_bound_config_selectorItlEEZNS1_14transform_implILb0ES3_S5_N6thrust23THRUST_200600_302600_NS6detail15normal_iteratorINS8_7pointerItNS8_11hip_rocprim5par_tENS8_11use_defaultESE_EEEENSA_INSB_IlSD_SE_SE_EEEEZNS1_13binary_searchIS3_S5_PtSG_SI_NS1_21lower_bound_search_opENS9_16wrapped_functionI11custom_lessbEEEE10hipError_tPvRmT1_T2_T3_mmT4_T5_P12ihipStream_tbEUlRKtE_EESP_ST_SU_mSV_SY_bEUlT_E_NS1_11comp_targetILNS1_3genE3ELNS1_11target_archE908ELNS1_3gpuE7ELNS1_3repE0EEENS1_30default_config_static_selectorELNS0_4arch9wavefront6targetE1EEEvSS_, .Lfunc_end87-_ZN7rocprim17ROCPRIM_400000_NS6detail17trampoline_kernelINS0_14default_configENS1_27lower_bound_config_selectorItlEEZNS1_14transform_implILb0ES3_S5_N6thrust23THRUST_200600_302600_NS6detail15normal_iteratorINS8_7pointerItNS8_11hip_rocprim5par_tENS8_11use_defaultESE_EEEENSA_INSB_IlSD_SE_SE_EEEEZNS1_13binary_searchIS3_S5_PtSG_SI_NS1_21lower_bound_search_opENS9_16wrapped_functionI11custom_lessbEEEE10hipError_tPvRmT1_T2_T3_mmT4_T5_P12ihipStream_tbEUlRKtE_EESP_ST_SU_mSV_SY_bEUlT_E_NS1_11comp_targetILNS1_3genE3ELNS1_11target_archE908ELNS1_3gpuE7ELNS1_3repE0EEENS1_30default_config_static_selectorELNS0_4arch9wavefront6targetE1EEEvSS_
                                        ; -- End function
	.set _ZN7rocprim17ROCPRIM_400000_NS6detail17trampoline_kernelINS0_14default_configENS1_27lower_bound_config_selectorItlEEZNS1_14transform_implILb0ES3_S5_N6thrust23THRUST_200600_302600_NS6detail15normal_iteratorINS8_7pointerItNS8_11hip_rocprim5par_tENS8_11use_defaultESE_EEEENSA_INSB_IlSD_SE_SE_EEEEZNS1_13binary_searchIS3_S5_PtSG_SI_NS1_21lower_bound_search_opENS9_16wrapped_functionI11custom_lessbEEEE10hipError_tPvRmT1_T2_T3_mmT4_T5_P12ihipStream_tbEUlRKtE_EESP_ST_SU_mSV_SY_bEUlT_E_NS1_11comp_targetILNS1_3genE3ELNS1_11target_archE908ELNS1_3gpuE7ELNS1_3repE0EEENS1_30default_config_static_selectorELNS0_4arch9wavefront6targetE1EEEvSS_.num_vgpr, 0
	.set _ZN7rocprim17ROCPRIM_400000_NS6detail17trampoline_kernelINS0_14default_configENS1_27lower_bound_config_selectorItlEEZNS1_14transform_implILb0ES3_S5_N6thrust23THRUST_200600_302600_NS6detail15normal_iteratorINS8_7pointerItNS8_11hip_rocprim5par_tENS8_11use_defaultESE_EEEENSA_INSB_IlSD_SE_SE_EEEEZNS1_13binary_searchIS3_S5_PtSG_SI_NS1_21lower_bound_search_opENS9_16wrapped_functionI11custom_lessbEEEE10hipError_tPvRmT1_T2_T3_mmT4_T5_P12ihipStream_tbEUlRKtE_EESP_ST_SU_mSV_SY_bEUlT_E_NS1_11comp_targetILNS1_3genE3ELNS1_11target_archE908ELNS1_3gpuE7ELNS1_3repE0EEENS1_30default_config_static_selectorELNS0_4arch9wavefront6targetE1EEEvSS_.num_agpr, 0
	.set _ZN7rocprim17ROCPRIM_400000_NS6detail17trampoline_kernelINS0_14default_configENS1_27lower_bound_config_selectorItlEEZNS1_14transform_implILb0ES3_S5_N6thrust23THRUST_200600_302600_NS6detail15normal_iteratorINS8_7pointerItNS8_11hip_rocprim5par_tENS8_11use_defaultESE_EEEENSA_INSB_IlSD_SE_SE_EEEEZNS1_13binary_searchIS3_S5_PtSG_SI_NS1_21lower_bound_search_opENS9_16wrapped_functionI11custom_lessbEEEE10hipError_tPvRmT1_T2_T3_mmT4_T5_P12ihipStream_tbEUlRKtE_EESP_ST_SU_mSV_SY_bEUlT_E_NS1_11comp_targetILNS1_3genE3ELNS1_11target_archE908ELNS1_3gpuE7ELNS1_3repE0EEENS1_30default_config_static_selectorELNS0_4arch9wavefront6targetE1EEEvSS_.numbered_sgpr, 0
	.set _ZN7rocprim17ROCPRIM_400000_NS6detail17trampoline_kernelINS0_14default_configENS1_27lower_bound_config_selectorItlEEZNS1_14transform_implILb0ES3_S5_N6thrust23THRUST_200600_302600_NS6detail15normal_iteratorINS8_7pointerItNS8_11hip_rocprim5par_tENS8_11use_defaultESE_EEEENSA_INSB_IlSD_SE_SE_EEEEZNS1_13binary_searchIS3_S5_PtSG_SI_NS1_21lower_bound_search_opENS9_16wrapped_functionI11custom_lessbEEEE10hipError_tPvRmT1_T2_T3_mmT4_T5_P12ihipStream_tbEUlRKtE_EESP_ST_SU_mSV_SY_bEUlT_E_NS1_11comp_targetILNS1_3genE3ELNS1_11target_archE908ELNS1_3gpuE7ELNS1_3repE0EEENS1_30default_config_static_selectorELNS0_4arch9wavefront6targetE1EEEvSS_.num_named_barrier, 0
	.set _ZN7rocprim17ROCPRIM_400000_NS6detail17trampoline_kernelINS0_14default_configENS1_27lower_bound_config_selectorItlEEZNS1_14transform_implILb0ES3_S5_N6thrust23THRUST_200600_302600_NS6detail15normal_iteratorINS8_7pointerItNS8_11hip_rocprim5par_tENS8_11use_defaultESE_EEEENSA_INSB_IlSD_SE_SE_EEEEZNS1_13binary_searchIS3_S5_PtSG_SI_NS1_21lower_bound_search_opENS9_16wrapped_functionI11custom_lessbEEEE10hipError_tPvRmT1_T2_T3_mmT4_T5_P12ihipStream_tbEUlRKtE_EESP_ST_SU_mSV_SY_bEUlT_E_NS1_11comp_targetILNS1_3genE3ELNS1_11target_archE908ELNS1_3gpuE7ELNS1_3repE0EEENS1_30default_config_static_selectorELNS0_4arch9wavefront6targetE1EEEvSS_.private_seg_size, 0
	.set _ZN7rocprim17ROCPRIM_400000_NS6detail17trampoline_kernelINS0_14default_configENS1_27lower_bound_config_selectorItlEEZNS1_14transform_implILb0ES3_S5_N6thrust23THRUST_200600_302600_NS6detail15normal_iteratorINS8_7pointerItNS8_11hip_rocprim5par_tENS8_11use_defaultESE_EEEENSA_INSB_IlSD_SE_SE_EEEEZNS1_13binary_searchIS3_S5_PtSG_SI_NS1_21lower_bound_search_opENS9_16wrapped_functionI11custom_lessbEEEE10hipError_tPvRmT1_T2_T3_mmT4_T5_P12ihipStream_tbEUlRKtE_EESP_ST_SU_mSV_SY_bEUlT_E_NS1_11comp_targetILNS1_3genE3ELNS1_11target_archE908ELNS1_3gpuE7ELNS1_3repE0EEENS1_30default_config_static_selectorELNS0_4arch9wavefront6targetE1EEEvSS_.uses_vcc, 0
	.set _ZN7rocprim17ROCPRIM_400000_NS6detail17trampoline_kernelINS0_14default_configENS1_27lower_bound_config_selectorItlEEZNS1_14transform_implILb0ES3_S5_N6thrust23THRUST_200600_302600_NS6detail15normal_iteratorINS8_7pointerItNS8_11hip_rocprim5par_tENS8_11use_defaultESE_EEEENSA_INSB_IlSD_SE_SE_EEEEZNS1_13binary_searchIS3_S5_PtSG_SI_NS1_21lower_bound_search_opENS9_16wrapped_functionI11custom_lessbEEEE10hipError_tPvRmT1_T2_T3_mmT4_T5_P12ihipStream_tbEUlRKtE_EESP_ST_SU_mSV_SY_bEUlT_E_NS1_11comp_targetILNS1_3genE3ELNS1_11target_archE908ELNS1_3gpuE7ELNS1_3repE0EEENS1_30default_config_static_selectorELNS0_4arch9wavefront6targetE1EEEvSS_.uses_flat_scratch, 0
	.set _ZN7rocprim17ROCPRIM_400000_NS6detail17trampoline_kernelINS0_14default_configENS1_27lower_bound_config_selectorItlEEZNS1_14transform_implILb0ES3_S5_N6thrust23THRUST_200600_302600_NS6detail15normal_iteratorINS8_7pointerItNS8_11hip_rocprim5par_tENS8_11use_defaultESE_EEEENSA_INSB_IlSD_SE_SE_EEEEZNS1_13binary_searchIS3_S5_PtSG_SI_NS1_21lower_bound_search_opENS9_16wrapped_functionI11custom_lessbEEEE10hipError_tPvRmT1_T2_T3_mmT4_T5_P12ihipStream_tbEUlRKtE_EESP_ST_SU_mSV_SY_bEUlT_E_NS1_11comp_targetILNS1_3genE3ELNS1_11target_archE908ELNS1_3gpuE7ELNS1_3repE0EEENS1_30default_config_static_selectorELNS0_4arch9wavefront6targetE1EEEvSS_.has_dyn_sized_stack, 0
	.set _ZN7rocprim17ROCPRIM_400000_NS6detail17trampoline_kernelINS0_14default_configENS1_27lower_bound_config_selectorItlEEZNS1_14transform_implILb0ES3_S5_N6thrust23THRUST_200600_302600_NS6detail15normal_iteratorINS8_7pointerItNS8_11hip_rocprim5par_tENS8_11use_defaultESE_EEEENSA_INSB_IlSD_SE_SE_EEEEZNS1_13binary_searchIS3_S5_PtSG_SI_NS1_21lower_bound_search_opENS9_16wrapped_functionI11custom_lessbEEEE10hipError_tPvRmT1_T2_T3_mmT4_T5_P12ihipStream_tbEUlRKtE_EESP_ST_SU_mSV_SY_bEUlT_E_NS1_11comp_targetILNS1_3genE3ELNS1_11target_archE908ELNS1_3gpuE7ELNS1_3repE0EEENS1_30default_config_static_selectorELNS0_4arch9wavefront6targetE1EEEvSS_.has_recursion, 0
	.set _ZN7rocprim17ROCPRIM_400000_NS6detail17trampoline_kernelINS0_14default_configENS1_27lower_bound_config_selectorItlEEZNS1_14transform_implILb0ES3_S5_N6thrust23THRUST_200600_302600_NS6detail15normal_iteratorINS8_7pointerItNS8_11hip_rocprim5par_tENS8_11use_defaultESE_EEEENSA_INSB_IlSD_SE_SE_EEEEZNS1_13binary_searchIS3_S5_PtSG_SI_NS1_21lower_bound_search_opENS9_16wrapped_functionI11custom_lessbEEEE10hipError_tPvRmT1_T2_T3_mmT4_T5_P12ihipStream_tbEUlRKtE_EESP_ST_SU_mSV_SY_bEUlT_E_NS1_11comp_targetILNS1_3genE3ELNS1_11target_archE908ELNS1_3gpuE7ELNS1_3repE0EEENS1_30default_config_static_selectorELNS0_4arch9wavefront6targetE1EEEvSS_.has_indirect_call, 0
	.section	.AMDGPU.csdata,"",@progbits
; Kernel info:
; codeLenInByte = 0
; TotalNumSgprs: 4
; NumVgprs: 0
; ScratchSize: 0
; MemoryBound: 0
; FloatMode: 240
; IeeeMode: 1
; LDSByteSize: 0 bytes/workgroup (compile time only)
; SGPRBlocks: 0
; VGPRBlocks: 0
; NumSGPRsForWavesPerEU: 4
; NumVGPRsForWavesPerEU: 1
; Occupancy: 10
; WaveLimiterHint : 0
; COMPUTE_PGM_RSRC2:SCRATCH_EN: 0
; COMPUTE_PGM_RSRC2:USER_SGPR: 6
; COMPUTE_PGM_RSRC2:TRAP_HANDLER: 0
; COMPUTE_PGM_RSRC2:TGID_X_EN: 1
; COMPUTE_PGM_RSRC2:TGID_Y_EN: 0
; COMPUTE_PGM_RSRC2:TGID_Z_EN: 0
; COMPUTE_PGM_RSRC2:TIDIG_COMP_CNT: 0
	.section	.text._ZN7rocprim17ROCPRIM_400000_NS6detail17trampoline_kernelINS0_14default_configENS1_27lower_bound_config_selectorItlEEZNS1_14transform_implILb0ES3_S5_N6thrust23THRUST_200600_302600_NS6detail15normal_iteratorINS8_7pointerItNS8_11hip_rocprim5par_tENS8_11use_defaultESE_EEEENSA_INSB_IlSD_SE_SE_EEEEZNS1_13binary_searchIS3_S5_PtSG_SI_NS1_21lower_bound_search_opENS9_16wrapped_functionI11custom_lessbEEEE10hipError_tPvRmT1_T2_T3_mmT4_T5_P12ihipStream_tbEUlRKtE_EESP_ST_SU_mSV_SY_bEUlT_E_NS1_11comp_targetILNS1_3genE2ELNS1_11target_archE906ELNS1_3gpuE6ELNS1_3repE0EEENS1_30default_config_static_selectorELNS0_4arch9wavefront6targetE1EEEvSS_,"axG",@progbits,_ZN7rocprim17ROCPRIM_400000_NS6detail17trampoline_kernelINS0_14default_configENS1_27lower_bound_config_selectorItlEEZNS1_14transform_implILb0ES3_S5_N6thrust23THRUST_200600_302600_NS6detail15normal_iteratorINS8_7pointerItNS8_11hip_rocprim5par_tENS8_11use_defaultESE_EEEENSA_INSB_IlSD_SE_SE_EEEEZNS1_13binary_searchIS3_S5_PtSG_SI_NS1_21lower_bound_search_opENS9_16wrapped_functionI11custom_lessbEEEE10hipError_tPvRmT1_T2_T3_mmT4_T5_P12ihipStream_tbEUlRKtE_EESP_ST_SU_mSV_SY_bEUlT_E_NS1_11comp_targetILNS1_3genE2ELNS1_11target_archE906ELNS1_3gpuE6ELNS1_3repE0EEENS1_30default_config_static_selectorELNS0_4arch9wavefront6targetE1EEEvSS_,comdat
	.protected	_ZN7rocprim17ROCPRIM_400000_NS6detail17trampoline_kernelINS0_14default_configENS1_27lower_bound_config_selectorItlEEZNS1_14transform_implILb0ES3_S5_N6thrust23THRUST_200600_302600_NS6detail15normal_iteratorINS8_7pointerItNS8_11hip_rocprim5par_tENS8_11use_defaultESE_EEEENSA_INSB_IlSD_SE_SE_EEEEZNS1_13binary_searchIS3_S5_PtSG_SI_NS1_21lower_bound_search_opENS9_16wrapped_functionI11custom_lessbEEEE10hipError_tPvRmT1_T2_T3_mmT4_T5_P12ihipStream_tbEUlRKtE_EESP_ST_SU_mSV_SY_bEUlT_E_NS1_11comp_targetILNS1_3genE2ELNS1_11target_archE906ELNS1_3gpuE6ELNS1_3repE0EEENS1_30default_config_static_selectorELNS0_4arch9wavefront6targetE1EEEvSS_ ; -- Begin function _ZN7rocprim17ROCPRIM_400000_NS6detail17trampoline_kernelINS0_14default_configENS1_27lower_bound_config_selectorItlEEZNS1_14transform_implILb0ES3_S5_N6thrust23THRUST_200600_302600_NS6detail15normal_iteratorINS8_7pointerItNS8_11hip_rocprim5par_tENS8_11use_defaultESE_EEEENSA_INSB_IlSD_SE_SE_EEEEZNS1_13binary_searchIS3_S5_PtSG_SI_NS1_21lower_bound_search_opENS9_16wrapped_functionI11custom_lessbEEEE10hipError_tPvRmT1_T2_T3_mmT4_T5_P12ihipStream_tbEUlRKtE_EESP_ST_SU_mSV_SY_bEUlT_E_NS1_11comp_targetILNS1_3genE2ELNS1_11target_archE906ELNS1_3gpuE6ELNS1_3repE0EEENS1_30default_config_static_selectorELNS0_4arch9wavefront6targetE1EEEvSS_
	.globl	_ZN7rocprim17ROCPRIM_400000_NS6detail17trampoline_kernelINS0_14default_configENS1_27lower_bound_config_selectorItlEEZNS1_14transform_implILb0ES3_S5_N6thrust23THRUST_200600_302600_NS6detail15normal_iteratorINS8_7pointerItNS8_11hip_rocprim5par_tENS8_11use_defaultESE_EEEENSA_INSB_IlSD_SE_SE_EEEEZNS1_13binary_searchIS3_S5_PtSG_SI_NS1_21lower_bound_search_opENS9_16wrapped_functionI11custom_lessbEEEE10hipError_tPvRmT1_T2_T3_mmT4_T5_P12ihipStream_tbEUlRKtE_EESP_ST_SU_mSV_SY_bEUlT_E_NS1_11comp_targetILNS1_3genE2ELNS1_11target_archE906ELNS1_3gpuE6ELNS1_3repE0EEENS1_30default_config_static_selectorELNS0_4arch9wavefront6targetE1EEEvSS_
	.p2align	8
	.type	_ZN7rocprim17ROCPRIM_400000_NS6detail17trampoline_kernelINS0_14default_configENS1_27lower_bound_config_selectorItlEEZNS1_14transform_implILb0ES3_S5_N6thrust23THRUST_200600_302600_NS6detail15normal_iteratorINS8_7pointerItNS8_11hip_rocprim5par_tENS8_11use_defaultESE_EEEENSA_INSB_IlSD_SE_SE_EEEEZNS1_13binary_searchIS3_S5_PtSG_SI_NS1_21lower_bound_search_opENS9_16wrapped_functionI11custom_lessbEEEE10hipError_tPvRmT1_T2_T3_mmT4_T5_P12ihipStream_tbEUlRKtE_EESP_ST_SU_mSV_SY_bEUlT_E_NS1_11comp_targetILNS1_3genE2ELNS1_11target_archE906ELNS1_3gpuE6ELNS1_3repE0EEENS1_30default_config_static_selectorELNS0_4arch9wavefront6targetE1EEEvSS_,@function
_ZN7rocprim17ROCPRIM_400000_NS6detail17trampoline_kernelINS0_14default_configENS1_27lower_bound_config_selectorItlEEZNS1_14transform_implILb0ES3_S5_N6thrust23THRUST_200600_302600_NS6detail15normal_iteratorINS8_7pointerItNS8_11hip_rocprim5par_tENS8_11use_defaultESE_EEEENSA_INSB_IlSD_SE_SE_EEEEZNS1_13binary_searchIS3_S5_PtSG_SI_NS1_21lower_bound_search_opENS9_16wrapped_functionI11custom_lessbEEEE10hipError_tPvRmT1_T2_T3_mmT4_T5_P12ihipStream_tbEUlRKtE_EESP_ST_SU_mSV_SY_bEUlT_E_NS1_11comp_targetILNS1_3genE2ELNS1_11target_archE906ELNS1_3gpuE6ELNS1_3repE0EEENS1_30default_config_static_selectorELNS0_4arch9wavefront6targetE1EEEvSS_: ; @_ZN7rocprim17ROCPRIM_400000_NS6detail17trampoline_kernelINS0_14default_configENS1_27lower_bound_config_selectorItlEEZNS1_14transform_implILb0ES3_S5_N6thrust23THRUST_200600_302600_NS6detail15normal_iteratorINS8_7pointerItNS8_11hip_rocprim5par_tENS8_11use_defaultESE_EEEENSA_INSB_IlSD_SE_SE_EEEEZNS1_13binary_searchIS3_S5_PtSG_SI_NS1_21lower_bound_search_opENS9_16wrapped_functionI11custom_lessbEEEE10hipError_tPvRmT1_T2_T3_mmT4_T5_P12ihipStream_tbEUlRKtE_EESP_ST_SU_mSV_SY_bEUlT_E_NS1_11comp_targetILNS1_3genE2ELNS1_11target_archE906ELNS1_3gpuE6ELNS1_3repE0EEENS1_30default_config_static_selectorELNS0_4arch9wavefront6targetE1EEEvSS_
; %bb.0:
	s_load_dwordx8 s[8:15], s[4:5], 0x0
	s_load_dwordx4 s[16:19], s[4:5], 0x20
	s_load_dword s2, s[4:5], 0x38
	s_waitcnt lgkmcnt(0)
	s_lshl_b64 s[0:1], s[10:11], 1
	s_add_u32 s3, s8, s0
	s_addc_u32 s4, s9, s1
	s_lshl_b64 s[0:1], s[10:11], 3
	s_add_u32 s20, s14, s0
	s_addc_u32 s21, s15, s1
	s_lshl_b32 s8, s6, 10
	s_mov_b32 s9, 0
	s_add_i32 s2, s2, -1
	s_lshl_b64 s[0:1], s[8:9], 1
	s_add_u32 s13, s3, s0
	s_addc_u32 s14, s4, s1
	s_cmp_lg_u32 s6, s2
	s_cbranch_scc0 .LBB88_14
; %bb.1:
	v_lshlrev_b32_e32 v1, 1, v0
	v_mov_b32_e32 v2, s14
	v_add_co_u32_e32 v1, vcc, s13, v1
	v_addc_co_u32_e32 v2, vcc, 0, v2, vcc
	flat_load_ushort v7, v[1:2] offset:512
	flat_load_ushort v9, v[1:2] offset:1024
	;; [unrolled: 1-line block ×3, first 2 shown]
	s_cmp_lg_u64 s[18:19], 0
	s_cselect_b64 s[2:3], -1, 0
	s_cmp_eq_u64 s[18:19], 0
	s_mov_b64 s[0:1], 0
	s_cbranch_scc1 .LBB88_15
; %bb.2:
	flat_load_ushort v5, v[1:2]
	v_mov_b32_e32 v1, 0
	v_mov_b32_e32 v3, s18
	;; [unrolled: 1-line block ×5, first 2 shown]
.LBB88_3:                               ; =>This Inner Loop Header: Depth=1
	v_sub_co_u32_e32 v12, vcc, v3, v1
	v_subb_co_u32_e32 v13, vcc, v4, v2, vcc
	v_lshrrev_b64 v[14:15], 1, v[12:13]
	v_lshrrev_b64 v[12:13], 6, v[12:13]
	v_add_co_u32_e32 v8, vcc, v14, v1
	v_addc_co_u32_e32 v10, vcc, v15, v2, vcc
	v_add_co_u32_e32 v12, vcc, v8, v12
	v_addc_co_u32_e32 v13, vcc, v10, v13, vcc
	v_lshlrev_b64 v[14:15], 1, v[12:13]
	v_add_co_u32_e32 v14, vcc, s16, v14
	v_addc_co_u32_e32 v15, vcc, v6, v15, vcc
	global_load_ushort v8, v[14:15], off
	v_add_co_u32_e32 v10, vcc, 1, v12
	v_addc_co_u32_e32 v14, vcc, 0, v13, vcc
	s_waitcnt vmcnt(0) lgkmcnt(0)
	v_cmp_lt_u16_e32 vcc, v8, v5
	v_cndmask_b32_e32 v4, v13, v4, vcc
	v_cndmask_b32_e32 v3, v12, v3, vcc
	;; [unrolled: 1-line block ×4, first 2 shown]
	v_cmp_ge_u64_e32 vcc, v[1:2], v[3:4]
	s_or_b64 s[0:1], vcc, s[0:1]
	s_andn2_b64 exec, exec, s[0:1]
	s_cbranch_execnz .LBB88_3
; %bb.4:
	s_or_b64 exec, exec, s[0:1]
	v_cndmask_b32_e64 v3, 0, 1, s[2:3]
	v_cmp_ne_u32_e64 s[0:1], 1, v3
	s_andn2_b64 vcc, exec, s[2:3]
	s_cbranch_vccnz .LBB88_16
.LBB88_5:
	v_mov_b32_e32 v3, 0
	v_mov_b32_e32 v5, s18
	s_mov_b64 s[2:3], 0
	v_mov_b32_e32 v4, 0
	v_mov_b32_e32 v6, s19
	;; [unrolled: 1-line block ×3, first 2 shown]
.LBB88_6:                               ; =>This Inner Loop Header: Depth=1
	v_sub_co_u32_e32 v12, vcc, v5, v3
	v_subb_co_u32_e32 v13, vcc, v6, v4, vcc
	v_lshrrev_b64 v[14:15], 1, v[12:13]
	v_lshrrev_b64 v[12:13], 6, v[12:13]
	v_add_co_u32_e32 v10, vcc, v14, v3
	v_addc_co_u32_e32 v14, vcc, v15, v4, vcc
	v_add_co_u32_e32 v12, vcc, v10, v12
	v_addc_co_u32_e32 v13, vcc, v14, v13, vcc
	v_lshlrev_b64 v[14:15], 1, v[12:13]
	v_add_co_u32_e32 v14, vcc, s16, v14
	v_addc_co_u32_e32 v15, vcc, v8, v15, vcc
	global_load_ushort v10, v[14:15], off
	v_add_co_u32_e32 v14, vcc, 1, v12
	v_addc_co_u32_e32 v15, vcc, 0, v13, vcc
	s_waitcnt vmcnt(0) lgkmcnt(0)
	v_cmp_lt_u16_e32 vcc, v10, v7
	v_cndmask_b32_e32 v6, v13, v6, vcc
	v_cndmask_b32_e32 v5, v12, v5, vcc
	;; [unrolled: 1-line block ×4, first 2 shown]
	v_cmp_ge_u64_e32 vcc, v[3:4], v[5:6]
	s_or_b64 s[2:3], vcc, s[2:3]
	s_andn2_b64 exec, exec, s[2:3]
	s_cbranch_execnz .LBB88_6
; %bb.7:
	s_or_b64 exec, exec, s[2:3]
	s_and_b64 vcc, exec, s[0:1]
	s_cbranch_vccnz .LBB88_17
.LBB88_8:
	v_mov_b32_e32 v5, 0
	s_waitcnt vmcnt(0) lgkmcnt(0)
	v_mov_b32_e32 v7, s18
	s_mov_b64 s[2:3], 0
	v_mov_b32_e32 v6, 0
	v_mov_b32_e32 v8, s19
	;; [unrolled: 1-line block ×3, first 2 shown]
.LBB88_9:                               ; =>This Inner Loop Header: Depth=1
	v_sub_co_u32_e32 v12, vcc, v7, v5
	v_subb_co_u32_e32 v13, vcc, v8, v6, vcc
	v_lshrrev_b64 v[14:15], 1, v[12:13]
	v_lshrrev_b64 v[12:13], 6, v[12:13]
	v_add_co_u32_e32 v14, vcc, v14, v5
	v_addc_co_u32_e32 v15, vcc, v15, v6, vcc
	v_add_co_u32_e32 v12, vcc, v14, v12
	v_addc_co_u32_e32 v13, vcc, v15, v13, vcc
	v_lshlrev_b64 v[14:15], 1, v[12:13]
	v_add_co_u32_e32 v14, vcc, s16, v14
	v_addc_co_u32_e32 v15, vcc, v10, v15, vcc
	global_load_ushort v14, v[14:15], off
	v_add_co_u32_e32 v15, vcc, 1, v12
	v_addc_co_u32_e32 v16, vcc, 0, v13, vcc
	s_waitcnt vmcnt(0)
	v_cmp_lt_u16_e32 vcc, v14, v9
	v_cndmask_b32_e32 v8, v13, v8, vcc
	v_cndmask_b32_e32 v7, v12, v7, vcc
	;; [unrolled: 1-line block ×4, first 2 shown]
	v_cmp_ge_u64_e32 vcc, v[5:6], v[7:8]
	s_or_b64 s[2:3], vcc, s[2:3]
	s_andn2_b64 exec, exec, s[2:3]
	s_cbranch_execnz .LBB88_9
; %bb.10:
	s_or_b64 exec, exec, s[2:3]
	s_and_b64 vcc, exec, s[0:1]
	s_cbranch_vccnz .LBB88_18
.LBB88_11:
	s_waitcnt vmcnt(0) lgkmcnt(0)
	v_mov_b32_e32 v7, 0
	v_mov_b32_e32 v9, s18
	s_mov_b64 s[0:1], 0
	v_mov_b32_e32 v8, 0
	v_mov_b32_e32 v10, s19
	;; [unrolled: 1-line block ×3, first 2 shown]
.LBB88_12:                              ; =>This Inner Loop Header: Depth=1
	v_sub_co_u32_e32 v13, vcc, v9, v7
	v_subb_co_u32_e32 v14, vcc, v10, v8, vcc
	v_lshrrev_b64 v[15:16], 1, v[13:14]
	v_lshrrev_b64 v[13:14], 6, v[13:14]
	v_add_co_u32_e32 v15, vcc, v15, v7
	v_addc_co_u32_e32 v16, vcc, v16, v8, vcc
	v_add_co_u32_e32 v13, vcc, v15, v13
	v_addc_co_u32_e32 v14, vcc, v16, v14, vcc
	v_lshlrev_b64 v[15:16], 1, v[13:14]
	v_add_co_u32_e32 v15, vcc, s16, v15
	v_addc_co_u32_e32 v16, vcc, v12, v16, vcc
	global_load_ushort v15, v[15:16], off
	v_add_co_u32_e32 v16, vcc, 1, v13
	v_addc_co_u32_e32 v17, vcc, 0, v14, vcc
	s_waitcnt vmcnt(0)
	v_cmp_lt_u16_e32 vcc, v15, v11
	v_cndmask_b32_e32 v10, v14, v10, vcc
	v_cndmask_b32_e32 v9, v13, v9, vcc
	;; [unrolled: 1-line block ×4, first 2 shown]
	v_cmp_ge_u64_e32 vcc, v[7:8], v[9:10]
	s_or_b64 s[0:1], vcc, s[0:1]
	s_andn2_b64 exec, exec, s[0:1]
	s_cbranch_execnz .LBB88_12
; %bb.13:
	s_or_b64 exec, exec, s[0:1]
	s_branch .LBB88_19
.LBB88_14:
	s_mov_b64 s[6:7], 0
                                        ; implicit-def: $vgpr7_vgpr8
                                        ; implicit-def: $vgpr11_vgpr12
	s_cbranch_execnz .LBB88_20
	s_branch .LBB88_59
.LBB88_15:
	v_mov_b32_e32 v1, 0
	v_mov_b32_e32 v2, 0
	v_cndmask_b32_e64 v3, 0, 1, s[2:3]
	v_cmp_ne_u32_e64 s[0:1], 1, v3
	s_andn2_b64 vcc, exec, s[2:3]
	s_cbranch_vccz .LBB88_5
.LBB88_16:
	v_mov_b32_e32 v3, 0
	v_mov_b32_e32 v4, 0
	s_and_b64 vcc, exec, s[0:1]
	s_cbranch_vccz .LBB88_8
.LBB88_17:
	v_mov_b32_e32 v5, 0
	v_mov_b32_e32 v6, 0
	s_and_b64 vcc, exec, s[0:1]
	s_cbranch_vccz .LBB88_11
.LBB88_18:
	s_waitcnt vmcnt(0) lgkmcnt(0)
	v_mov_b32_e32 v7, 0
	v_mov_b32_e32 v8, 0
.LBB88_19:
	s_lshl_b64 s[0:1], s[8:9], 3
	s_add_u32 s0, s20, s0
	s_addc_u32 s1, s21, s1
	v_lshlrev_b32_e32 v9, 3, v0
	v_mov_b32_e32 v10, s1
	v_add_co_u32_e32 v11, vcc, s0, v9
	v_addc_co_u32_e32 v12, vcc, 0, v10, vcc
	flat_store_dwordx2 v[11:12], v[1:2]
	flat_store_dwordx2 v[11:12], v[3:4] offset:2048
	v_add_co_u32_e32 v1, vcc, 0x1000, v11
	v_addc_co_u32_e32 v2, vcc, 0, v12, vcc
	flat_store_dwordx2 v[1:2], v[5:6]
	s_mov_b64 s[6:7], -1
	s_branch .LBB88_59
.LBB88_20:
	s_sub_i32 s10, s12, s8
	v_mov_b32_e32 v1, 0
	v_cmp_gt_u32_e64 s[0:1], s10, v0
	v_mov_b32_e32 v2, v1
	s_and_saveexec_b64 s[2:3], s[0:1]
	s_cbranch_execz .LBB88_22
; %bb.21:
	v_lshlrev_b32_e32 v2, 1, v0
	v_mov_b32_e32 v3, s14
	v_add_co_u32_e32 v2, vcc, s13, v2
	v_addc_co_u32_e32 v3, vcc, 0, v3, vcc
	flat_load_ushort v2, v[2:3]
	v_mov_b32_e32 v3, v1
	s_waitcnt vmcnt(0) lgkmcnt(0)
	v_and_b32_e32 v2, 0xffff, v2
	v_mov_b32_e32 v1, v2
	v_mov_b32_e32 v2, v3
.LBB88_22:
	s_or_b64 exec, exec, s[2:3]
	v_or_b32_e32 v3, 0x100, v0
	v_cmp_gt_u32_e64 s[2:3], s10, v3
	s_and_saveexec_b64 s[4:5], s[2:3]
	s_cbranch_execz .LBB88_24
; %bb.23:
	v_lshlrev_b32_e32 v3, 1, v0
	v_mov_b32_e32 v4, s14
	v_add_co_u32_e32 v3, vcc, s13, v3
	v_addc_co_u32_e32 v4, vcc, 0, v4, vcc
	flat_load_ushort v3, v[3:4] offset:512
	s_mov_b32 s6, 0x5040100
	s_waitcnt vmcnt(0) lgkmcnt(0)
	v_perm_b32 v1, v3, v1, s6
.LBB88_24:
	s_or_b64 exec, exec, s[4:5]
	v_or_b32_e32 v3, 0x200, v0
	v_cmp_gt_u32_e64 s[4:5], s10, v3
	s_and_saveexec_b64 s[6:7], s[4:5]
	s_cbranch_execz .LBB88_26
; %bb.25:
	v_lshlrev_b32_e32 v3, 1, v0
	v_mov_b32_e32 v4, s14
	v_add_co_u32_e32 v3, vcc, s13, v3
	v_addc_co_u32_e32 v4, vcc, 0, v4, vcc
	flat_load_ushort v3, v[3:4] offset:1024
	s_mov_b32 s11, 0xffff
	s_waitcnt vmcnt(0) lgkmcnt(0)
	v_bfi_b32 v2, s11, v3, v2
.LBB88_26:
	s_or_b64 exec, exec, s[6:7]
	v_or_b32_e32 v3, 0x300, v0
	v_cmp_gt_u32_e64 s[6:7], s10, v3
	s_and_saveexec_b64 s[10:11], s[6:7]
	s_cbranch_execz .LBB88_28
; %bb.27:
	v_lshlrev_b32_e32 v3, 1, v0
	v_mov_b32_e32 v4, s14
	v_add_co_u32_e32 v3, vcc, s13, v3
	v_addc_co_u32_e32 v4, vcc, 0, v4, vcc
	flat_load_ushort v3, v[3:4] offset:1536
	s_mov_b32 s12, 0x5040100
	s_waitcnt vmcnt(0) lgkmcnt(0)
	v_perm_b32 v2, v3, v2, s12
.LBB88_28:
	s_or_b64 exec, exec, s[10:11]
	s_cmp_lg_u64 s[18:19], 0
	s_cselect_b64 s[10:11], -1, 0
                                        ; implicit-def: $vgpr3_vgpr4
	s_and_saveexec_b64 s[12:13], s[0:1]
	s_cbranch_execnz .LBB88_32
; %bb.29:
	s_or_b64 exec, exec, s[12:13]
                                        ; implicit-def: $vgpr5_vgpr6
	s_and_saveexec_b64 s[12:13], s[2:3]
	s_cbranch_execnz .LBB88_37
.LBB88_30:
	s_or_b64 exec, exec, s[12:13]
                                        ; implicit-def: $vgpr9_vgpr10
	s_and_saveexec_b64 s[12:13], s[4:5]
	s_cbranch_execnz .LBB88_42
.LBB88_31:
	s_or_b64 exec, exec, s[12:13]
                                        ; implicit-def: $vgpr7_vgpr8
	s_and_saveexec_b64 s[12:13], s[6:7]
	s_cbranch_execnz .LBB88_47
	s_branch .LBB88_52
.LBB88_32:
	s_andn2_b64 vcc, exec, s[10:11]
	s_cbranch_vccnz .LBB88_36
; %bb.33:
	v_mov_b32_e32 v3, 0
	v_mov_b32_e32 v5, s18
	s_mov_b64 s[14:15], 0
	v_mov_b32_e32 v4, 0
	v_mov_b32_e32 v6, s19
	;; [unrolled: 1-line block ×3, first 2 shown]
.LBB88_34:                              ; =>This Inner Loop Header: Depth=1
	v_sub_co_u32_e32 v8, vcc, v5, v3
	v_subb_co_u32_e32 v9, vcc, v6, v4, vcc
	v_lshrrev_b64 v[10:11], 1, v[8:9]
	v_lshrrev_b64 v[8:9], 6, v[8:9]
	v_add_co_u32_e32 v10, vcc, v10, v3
	v_addc_co_u32_e32 v11, vcc, v11, v4, vcc
	v_add_co_u32_e32 v8, vcc, v10, v8
	v_addc_co_u32_e32 v9, vcc, v11, v9, vcc
	v_lshlrev_b64 v[10:11], 1, v[8:9]
	v_add_co_u32_e32 v10, vcc, s16, v10
	v_addc_co_u32_e32 v11, vcc, v7, v11, vcc
	global_load_ushort v10, v[10:11], off
	v_add_co_u32_e32 v11, vcc, 1, v8
	v_addc_co_u32_e32 v12, vcc, 0, v9, vcc
	s_waitcnt vmcnt(0)
	v_cmp_lt_u16_e32 vcc, v10, v1
	v_cndmask_b32_e32 v6, v9, v6, vcc
	v_cndmask_b32_e32 v5, v8, v5, vcc
	;; [unrolled: 1-line block ×4, first 2 shown]
	v_cmp_ge_u64_e32 vcc, v[3:4], v[5:6]
	s_or_b64 s[14:15], vcc, s[14:15]
	s_andn2_b64 exec, exec, s[14:15]
	s_cbranch_execnz .LBB88_34
; %bb.35:
	s_or_b64 exec, exec, s[14:15]
	s_or_b64 exec, exec, s[12:13]
                                        ; implicit-def: $vgpr5_vgpr6
	s_and_saveexec_b64 s[12:13], s[2:3]
	s_cbranch_execz .LBB88_30
	s_branch .LBB88_37
.LBB88_36:
	v_mov_b32_e32 v3, 0
	v_mov_b32_e32 v4, 0
	s_or_b64 exec, exec, s[12:13]
                                        ; implicit-def: $vgpr5_vgpr6
	s_and_saveexec_b64 s[12:13], s[2:3]
	s_cbranch_execz .LBB88_30
.LBB88_37:
	s_andn2_b64 vcc, exec, s[10:11]
	s_cbranch_vccnz .LBB88_41
; %bb.38:
	v_mov_b32_e32 v5, 0
	v_mov_b32_e32 v7, s18
	s_mov_b64 s[14:15], 0
	v_mov_b32_e32 v6, 0
	v_mov_b32_e32 v8, s19
	;; [unrolled: 1-line block ×3, first 2 shown]
.LBB88_39:                              ; =>This Inner Loop Header: Depth=1
	v_sub_co_u32_e32 v10, vcc, v7, v5
	v_subb_co_u32_e32 v11, vcc, v8, v6, vcc
	v_lshrrev_b64 v[12:13], 1, v[10:11]
	v_lshrrev_b64 v[10:11], 6, v[10:11]
	v_add_co_u32_e32 v12, vcc, v12, v5
	v_addc_co_u32_e32 v13, vcc, v13, v6, vcc
	v_add_co_u32_e32 v10, vcc, v12, v10
	v_addc_co_u32_e32 v11, vcc, v13, v11, vcc
	v_lshlrev_b64 v[12:13], 1, v[10:11]
	v_add_co_u32_e32 v12, vcc, s16, v12
	v_addc_co_u32_e32 v13, vcc, v9, v13, vcc
	global_load_ushort v12, v[12:13], off
	v_add_co_u32_e32 v13, vcc, 1, v10
	v_addc_co_u32_e32 v14, vcc, 0, v11, vcc
	s_waitcnt vmcnt(0)
	v_cmp_lt_u16_sdwa vcc, v12, v1 src0_sel:DWORD src1_sel:WORD_1
	v_cndmask_b32_e32 v8, v11, v8, vcc
	v_cndmask_b32_e32 v7, v10, v7, vcc
	;; [unrolled: 1-line block ×4, first 2 shown]
	v_cmp_ge_u64_e32 vcc, v[5:6], v[7:8]
	s_or_b64 s[14:15], vcc, s[14:15]
	s_andn2_b64 exec, exec, s[14:15]
	s_cbranch_execnz .LBB88_39
; %bb.40:
	s_or_b64 exec, exec, s[14:15]
	s_or_b64 exec, exec, s[12:13]
                                        ; implicit-def: $vgpr9_vgpr10
	s_and_saveexec_b64 s[12:13], s[4:5]
	s_cbranch_execz .LBB88_31
	s_branch .LBB88_42
.LBB88_41:
	v_mov_b32_e32 v5, 0
	v_mov_b32_e32 v6, 0
	s_or_b64 exec, exec, s[12:13]
                                        ; implicit-def: $vgpr9_vgpr10
	s_and_saveexec_b64 s[12:13], s[4:5]
	s_cbranch_execz .LBB88_31
.LBB88_42:
	s_andn2_b64 vcc, exec, s[10:11]
	s_cbranch_vccnz .LBB88_46
; %bb.43:
	v_mov_b32_e32 v9, 0
	v_mov_b32_e32 v7, s18
	s_mov_b64 s[14:15], 0
	v_mov_b32_e32 v10, 0
	v_mov_b32_e32 v8, s19
	;; [unrolled: 1-line block ×3, first 2 shown]
.LBB88_44:                              ; =>This Inner Loop Header: Depth=1
	v_sub_co_u32_e32 v11, vcc, v7, v9
	v_subb_co_u32_e32 v12, vcc, v8, v10, vcc
	v_lshrrev_b64 v[13:14], 1, v[11:12]
	v_lshrrev_b64 v[11:12], 6, v[11:12]
	v_add_co_u32_e32 v13, vcc, v13, v9
	v_addc_co_u32_e32 v14, vcc, v14, v10, vcc
	v_add_co_u32_e32 v11, vcc, v13, v11
	v_addc_co_u32_e32 v12, vcc, v14, v12, vcc
	v_lshlrev_b64 v[13:14], 1, v[11:12]
	v_add_co_u32_e32 v13, vcc, s16, v13
	v_addc_co_u32_e32 v14, vcc, v1, v14, vcc
	global_load_ushort v13, v[13:14], off
	v_add_co_u32_e32 v14, vcc, 1, v11
	v_addc_co_u32_e32 v15, vcc, 0, v12, vcc
	s_waitcnt vmcnt(0)
	v_cmp_lt_u16_e32 vcc, v13, v2
	v_cndmask_b32_e32 v8, v12, v8, vcc
	v_cndmask_b32_e32 v7, v11, v7, vcc
	;; [unrolled: 1-line block ×4, first 2 shown]
	v_cmp_ge_u64_e32 vcc, v[9:10], v[7:8]
	s_or_b64 s[14:15], vcc, s[14:15]
	s_andn2_b64 exec, exec, s[14:15]
	s_cbranch_execnz .LBB88_44
; %bb.45:
	s_or_b64 exec, exec, s[14:15]
	s_or_b64 exec, exec, s[12:13]
                                        ; implicit-def: $vgpr7_vgpr8
	s_and_saveexec_b64 s[12:13], s[6:7]
	s_cbranch_execnz .LBB88_47
	s_branch .LBB88_52
.LBB88_46:
	v_mov_b32_e32 v9, 0
	v_mov_b32_e32 v10, 0
	s_or_b64 exec, exec, s[12:13]
                                        ; implicit-def: $vgpr7_vgpr8
	s_and_saveexec_b64 s[12:13], s[6:7]
	s_cbranch_execz .LBB88_52
.LBB88_47:
	s_andn2_b64 vcc, exec, s[10:11]
	s_cbranch_vccnz .LBB88_51
; %bb.48:
	v_mov_b32_e32 v7, 0
	v_mov_b32_e32 v11, s18
	s_mov_b64 s[10:11], 0
	v_mov_b32_e32 v8, 0
	v_mov_b32_e32 v12, s19
	;; [unrolled: 1-line block ×3, first 2 shown]
.LBB88_49:                              ; =>This Inner Loop Header: Depth=1
	v_sub_co_u32_e32 v13, vcc, v11, v7
	v_subb_co_u32_e32 v14, vcc, v12, v8, vcc
	v_lshrrev_b64 v[15:16], 1, v[13:14]
	v_lshrrev_b64 v[13:14], 6, v[13:14]
	v_add_co_u32_e32 v15, vcc, v15, v7
	v_addc_co_u32_e32 v16, vcc, v16, v8, vcc
	v_add_co_u32_e32 v13, vcc, v15, v13
	v_addc_co_u32_e32 v14, vcc, v16, v14, vcc
	v_lshlrev_b64 v[15:16], 1, v[13:14]
	v_add_co_u32_e32 v15, vcc, s16, v15
	v_addc_co_u32_e32 v16, vcc, v1, v16, vcc
	global_load_ushort v15, v[15:16], off
	v_add_co_u32_e32 v16, vcc, 1, v13
	v_addc_co_u32_e32 v17, vcc, 0, v14, vcc
	s_waitcnt vmcnt(0)
	v_cmp_lt_u16_sdwa vcc, v15, v2 src0_sel:DWORD src1_sel:WORD_1
	v_cndmask_b32_e32 v12, v14, v12, vcc
	v_cndmask_b32_e32 v11, v13, v11, vcc
	;; [unrolled: 1-line block ×4, first 2 shown]
	v_cmp_ge_u64_e32 vcc, v[7:8], v[11:12]
	s_or_b64 s[10:11], vcc, s[10:11]
	s_andn2_b64 exec, exec, s[10:11]
	s_cbranch_execnz .LBB88_49
; %bb.50:
	s_or_b64 exec, exec, s[10:11]
	s_branch .LBB88_52
.LBB88_51:
	v_mov_b32_e32 v7, 0
	v_mov_b32_e32 v8, 0
.LBB88_52:
	s_or_b64 exec, exec, s[12:13]
	s_lshl_b64 s[8:9], s[8:9], 3
	s_add_u32 s8, s20, s8
	s_addc_u32 s9, s21, s9
	v_lshlrev_b32_e32 v0, 3, v0
	v_mov_b32_e32 v1, s9
	v_add_co_u32_e32 v11, vcc, s8, v0
	v_addc_co_u32_e32 v12, vcc, 0, v1, vcc
	s_and_saveexec_b64 s[8:9], s[0:1]
	s_xor_b64 s[0:1], exec, s[8:9]
	s_cbranch_execz .LBB88_54
; %bb.53:
	flat_store_dwordx2 v[11:12], v[3:4]
.LBB88_54:
	s_or_b64 exec, exec, s[0:1]
	s_and_saveexec_b64 s[0:1], s[2:3]
	s_cbranch_execz .LBB88_56
; %bb.55:
	flat_store_dwordx2 v[11:12], v[5:6] offset:2048
.LBB88_56:
	s_or_b64 exec, exec, s[0:1]
	s_and_saveexec_b64 s[0:1], s[4:5]
	s_cbranch_execz .LBB88_58
; %bb.57:
	v_add_co_u32_e32 v0, vcc, 0x1000, v11
	v_addc_co_u32_e32 v1, vcc, 0, v12, vcc
	flat_store_dwordx2 v[0:1], v[9:10]
.LBB88_58:
	s_or_b64 exec, exec, s[0:1]
.LBB88_59:
	s_and_saveexec_b64 s[0:1], s[6:7]
	s_cbranch_execnz .LBB88_61
; %bb.60:
	s_endpgm
.LBB88_61:
	v_add_co_u32_e32 v0, vcc, 0x1000, v11
	v_addc_co_u32_e32 v1, vcc, 0, v12, vcc
	flat_store_dwordx2 v[0:1], v[7:8] offset:2048
	s_endpgm
	.section	.rodata,"a",@progbits
	.p2align	6, 0x0
	.amdhsa_kernel _ZN7rocprim17ROCPRIM_400000_NS6detail17trampoline_kernelINS0_14default_configENS1_27lower_bound_config_selectorItlEEZNS1_14transform_implILb0ES3_S5_N6thrust23THRUST_200600_302600_NS6detail15normal_iteratorINS8_7pointerItNS8_11hip_rocprim5par_tENS8_11use_defaultESE_EEEENSA_INSB_IlSD_SE_SE_EEEEZNS1_13binary_searchIS3_S5_PtSG_SI_NS1_21lower_bound_search_opENS9_16wrapped_functionI11custom_lessbEEEE10hipError_tPvRmT1_T2_T3_mmT4_T5_P12ihipStream_tbEUlRKtE_EESP_ST_SU_mSV_SY_bEUlT_E_NS1_11comp_targetILNS1_3genE2ELNS1_11target_archE906ELNS1_3gpuE6ELNS1_3repE0EEENS1_30default_config_static_selectorELNS0_4arch9wavefront6targetE1EEEvSS_
		.amdhsa_group_segment_fixed_size 0
		.amdhsa_private_segment_fixed_size 0
		.amdhsa_kernarg_size 312
		.amdhsa_user_sgpr_count 6
		.amdhsa_user_sgpr_private_segment_buffer 1
		.amdhsa_user_sgpr_dispatch_ptr 0
		.amdhsa_user_sgpr_queue_ptr 0
		.amdhsa_user_sgpr_kernarg_segment_ptr 1
		.amdhsa_user_sgpr_dispatch_id 0
		.amdhsa_user_sgpr_flat_scratch_init 0
		.amdhsa_user_sgpr_private_segment_size 0
		.amdhsa_uses_dynamic_stack 0
		.amdhsa_system_sgpr_private_segment_wavefront_offset 0
		.amdhsa_system_sgpr_workgroup_id_x 1
		.amdhsa_system_sgpr_workgroup_id_y 0
		.amdhsa_system_sgpr_workgroup_id_z 0
		.amdhsa_system_sgpr_workgroup_info 0
		.amdhsa_system_vgpr_workitem_id 0
		.amdhsa_next_free_vgpr 18
		.amdhsa_next_free_sgpr 22
		.amdhsa_reserve_vcc 1
		.amdhsa_reserve_flat_scratch 0
		.amdhsa_float_round_mode_32 0
		.amdhsa_float_round_mode_16_64 0
		.amdhsa_float_denorm_mode_32 3
		.amdhsa_float_denorm_mode_16_64 3
		.amdhsa_dx10_clamp 1
		.amdhsa_ieee_mode 1
		.amdhsa_fp16_overflow 0
		.amdhsa_exception_fp_ieee_invalid_op 0
		.amdhsa_exception_fp_denorm_src 0
		.amdhsa_exception_fp_ieee_div_zero 0
		.amdhsa_exception_fp_ieee_overflow 0
		.amdhsa_exception_fp_ieee_underflow 0
		.amdhsa_exception_fp_ieee_inexact 0
		.amdhsa_exception_int_div_zero 0
	.end_amdhsa_kernel
	.section	.text._ZN7rocprim17ROCPRIM_400000_NS6detail17trampoline_kernelINS0_14default_configENS1_27lower_bound_config_selectorItlEEZNS1_14transform_implILb0ES3_S5_N6thrust23THRUST_200600_302600_NS6detail15normal_iteratorINS8_7pointerItNS8_11hip_rocprim5par_tENS8_11use_defaultESE_EEEENSA_INSB_IlSD_SE_SE_EEEEZNS1_13binary_searchIS3_S5_PtSG_SI_NS1_21lower_bound_search_opENS9_16wrapped_functionI11custom_lessbEEEE10hipError_tPvRmT1_T2_T3_mmT4_T5_P12ihipStream_tbEUlRKtE_EESP_ST_SU_mSV_SY_bEUlT_E_NS1_11comp_targetILNS1_3genE2ELNS1_11target_archE906ELNS1_3gpuE6ELNS1_3repE0EEENS1_30default_config_static_selectorELNS0_4arch9wavefront6targetE1EEEvSS_,"axG",@progbits,_ZN7rocprim17ROCPRIM_400000_NS6detail17trampoline_kernelINS0_14default_configENS1_27lower_bound_config_selectorItlEEZNS1_14transform_implILb0ES3_S5_N6thrust23THRUST_200600_302600_NS6detail15normal_iteratorINS8_7pointerItNS8_11hip_rocprim5par_tENS8_11use_defaultESE_EEEENSA_INSB_IlSD_SE_SE_EEEEZNS1_13binary_searchIS3_S5_PtSG_SI_NS1_21lower_bound_search_opENS9_16wrapped_functionI11custom_lessbEEEE10hipError_tPvRmT1_T2_T3_mmT4_T5_P12ihipStream_tbEUlRKtE_EESP_ST_SU_mSV_SY_bEUlT_E_NS1_11comp_targetILNS1_3genE2ELNS1_11target_archE906ELNS1_3gpuE6ELNS1_3repE0EEENS1_30default_config_static_selectorELNS0_4arch9wavefront6targetE1EEEvSS_,comdat
.Lfunc_end88:
	.size	_ZN7rocprim17ROCPRIM_400000_NS6detail17trampoline_kernelINS0_14default_configENS1_27lower_bound_config_selectorItlEEZNS1_14transform_implILb0ES3_S5_N6thrust23THRUST_200600_302600_NS6detail15normal_iteratorINS8_7pointerItNS8_11hip_rocprim5par_tENS8_11use_defaultESE_EEEENSA_INSB_IlSD_SE_SE_EEEEZNS1_13binary_searchIS3_S5_PtSG_SI_NS1_21lower_bound_search_opENS9_16wrapped_functionI11custom_lessbEEEE10hipError_tPvRmT1_T2_T3_mmT4_T5_P12ihipStream_tbEUlRKtE_EESP_ST_SU_mSV_SY_bEUlT_E_NS1_11comp_targetILNS1_3genE2ELNS1_11target_archE906ELNS1_3gpuE6ELNS1_3repE0EEENS1_30default_config_static_selectorELNS0_4arch9wavefront6targetE1EEEvSS_, .Lfunc_end88-_ZN7rocprim17ROCPRIM_400000_NS6detail17trampoline_kernelINS0_14default_configENS1_27lower_bound_config_selectorItlEEZNS1_14transform_implILb0ES3_S5_N6thrust23THRUST_200600_302600_NS6detail15normal_iteratorINS8_7pointerItNS8_11hip_rocprim5par_tENS8_11use_defaultESE_EEEENSA_INSB_IlSD_SE_SE_EEEEZNS1_13binary_searchIS3_S5_PtSG_SI_NS1_21lower_bound_search_opENS9_16wrapped_functionI11custom_lessbEEEE10hipError_tPvRmT1_T2_T3_mmT4_T5_P12ihipStream_tbEUlRKtE_EESP_ST_SU_mSV_SY_bEUlT_E_NS1_11comp_targetILNS1_3genE2ELNS1_11target_archE906ELNS1_3gpuE6ELNS1_3repE0EEENS1_30default_config_static_selectorELNS0_4arch9wavefront6targetE1EEEvSS_
                                        ; -- End function
	.set _ZN7rocprim17ROCPRIM_400000_NS6detail17trampoline_kernelINS0_14default_configENS1_27lower_bound_config_selectorItlEEZNS1_14transform_implILb0ES3_S5_N6thrust23THRUST_200600_302600_NS6detail15normal_iteratorINS8_7pointerItNS8_11hip_rocprim5par_tENS8_11use_defaultESE_EEEENSA_INSB_IlSD_SE_SE_EEEEZNS1_13binary_searchIS3_S5_PtSG_SI_NS1_21lower_bound_search_opENS9_16wrapped_functionI11custom_lessbEEEE10hipError_tPvRmT1_T2_T3_mmT4_T5_P12ihipStream_tbEUlRKtE_EESP_ST_SU_mSV_SY_bEUlT_E_NS1_11comp_targetILNS1_3genE2ELNS1_11target_archE906ELNS1_3gpuE6ELNS1_3repE0EEENS1_30default_config_static_selectorELNS0_4arch9wavefront6targetE1EEEvSS_.num_vgpr, 18
	.set _ZN7rocprim17ROCPRIM_400000_NS6detail17trampoline_kernelINS0_14default_configENS1_27lower_bound_config_selectorItlEEZNS1_14transform_implILb0ES3_S5_N6thrust23THRUST_200600_302600_NS6detail15normal_iteratorINS8_7pointerItNS8_11hip_rocprim5par_tENS8_11use_defaultESE_EEEENSA_INSB_IlSD_SE_SE_EEEEZNS1_13binary_searchIS3_S5_PtSG_SI_NS1_21lower_bound_search_opENS9_16wrapped_functionI11custom_lessbEEEE10hipError_tPvRmT1_T2_T3_mmT4_T5_P12ihipStream_tbEUlRKtE_EESP_ST_SU_mSV_SY_bEUlT_E_NS1_11comp_targetILNS1_3genE2ELNS1_11target_archE906ELNS1_3gpuE6ELNS1_3repE0EEENS1_30default_config_static_selectorELNS0_4arch9wavefront6targetE1EEEvSS_.num_agpr, 0
	.set _ZN7rocprim17ROCPRIM_400000_NS6detail17trampoline_kernelINS0_14default_configENS1_27lower_bound_config_selectorItlEEZNS1_14transform_implILb0ES3_S5_N6thrust23THRUST_200600_302600_NS6detail15normal_iteratorINS8_7pointerItNS8_11hip_rocprim5par_tENS8_11use_defaultESE_EEEENSA_INSB_IlSD_SE_SE_EEEEZNS1_13binary_searchIS3_S5_PtSG_SI_NS1_21lower_bound_search_opENS9_16wrapped_functionI11custom_lessbEEEE10hipError_tPvRmT1_T2_T3_mmT4_T5_P12ihipStream_tbEUlRKtE_EESP_ST_SU_mSV_SY_bEUlT_E_NS1_11comp_targetILNS1_3genE2ELNS1_11target_archE906ELNS1_3gpuE6ELNS1_3repE0EEENS1_30default_config_static_selectorELNS0_4arch9wavefront6targetE1EEEvSS_.numbered_sgpr, 22
	.set _ZN7rocprim17ROCPRIM_400000_NS6detail17trampoline_kernelINS0_14default_configENS1_27lower_bound_config_selectorItlEEZNS1_14transform_implILb0ES3_S5_N6thrust23THRUST_200600_302600_NS6detail15normal_iteratorINS8_7pointerItNS8_11hip_rocprim5par_tENS8_11use_defaultESE_EEEENSA_INSB_IlSD_SE_SE_EEEEZNS1_13binary_searchIS3_S5_PtSG_SI_NS1_21lower_bound_search_opENS9_16wrapped_functionI11custom_lessbEEEE10hipError_tPvRmT1_T2_T3_mmT4_T5_P12ihipStream_tbEUlRKtE_EESP_ST_SU_mSV_SY_bEUlT_E_NS1_11comp_targetILNS1_3genE2ELNS1_11target_archE906ELNS1_3gpuE6ELNS1_3repE0EEENS1_30default_config_static_selectorELNS0_4arch9wavefront6targetE1EEEvSS_.num_named_barrier, 0
	.set _ZN7rocprim17ROCPRIM_400000_NS6detail17trampoline_kernelINS0_14default_configENS1_27lower_bound_config_selectorItlEEZNS1_14transform_implILb0ES3_S5_N6thrust23THRUST_200600_302600_NS6detail15normal_iteratorINS8_7pointerItNS8_11hip_rocprim5par_tENS8_11use_defaultESE_EEEENSA_INSB_IlSD_SE_SE_EEEEZNS1_13binary_searchIS3_S5_PtSG_SI_NS1_21lower_bound_search_opENS9_16wrapped_functionI11custom_lessbEEEE10hipError_tPvRmT1_T2_T3_mmT4_T5_P12ihipStream_tbEUlRKtE_EESP_ST_SU_mSV_SY_bEUlT_E_NS1_11comp_targetILNS1_3genE2ELNS1_11target_archE906ELNS1_3gpuE6ELNS1_3repE0EEENS1_30default_config_static_selectorELNS0_4arch9wavefront6targetE1EEEvSS_.private_seg_size, 0
	.set _ZN7rocprim17ROCPRIM_400000_NS6detail17trampoline_kernelINS0_14default_configENS1_27lower_bound_config_selectorItlEEZNS1_14transform_implILb0ES3_S5_N6thrust23THRUST_200600_302600_NS6detail15normal_iteratorINS8_7pointerItNS8_11hip_rocprim5par_tENS8_11use_defaultESE_EEEENSA_INSB_IlSD_SE_SE_EEEEZNS1_13binary_searchIS3_S5_PtSG_SI_NS1_21lower_bound_search_opENS9_16wrapped_functionI11custom_lessbEEEE10hipError_tPvRmT1_T2_T3_mmT4_T5_P12ihipStream_tbEUlRKtE_EESP_ST_SU_mSV_SY_bEUlT_E_NS1_11comp_targetILNS1_3genE2ELNS1_11target_archE906ELNS1_3gpuE6ELNS1_3repE0EEENS1_30default_config_static_selectorELNS0_4arch9wavefront6targetE1EEEvSS_.uses_vcc, 1
	.set _ZN7rocprim17ROCPRIM_400000_NS6detail17trampoline_kernelINS0_14default_configENS1_27lower_bound_config_selectorItlEEZNS1_14transform_implILb0ES3_S5_N6thrust23THRUST_200600_302600_NS6detail15normal_iteratorINS8_7pointerItNS8_11hip_rocprim5par_tENS8_11use_defaultESE_EEEENSA_INSB_IlSD_SE_SE_EEEEZNS1_13binary_searchIS3_S5_PtSG_SI_NS1_21lower_bound_search_opENS9_16wrapped_functionI11custom_lessbEEEE10hipError_tPvRmT1_T2_T3_mmT4_T5_P12ihipStream_tbEUlRKtE_EESP_ST_SU_mSV_SY_bEUlT_E_NS1_11comp_targetILNS1_3genE2ELNS1_11target_archE906ELNS1_3gpuE6ELNS1_3repE0EEENS1_30default_config_static_selectorELNS0_4arch9wavefront6targetE1EEEvSS_.uses_flat_scratch, 0
	.set _ZN7rocprim17ROCPRIM_400000_NS6detail17trampoline_kernelINS0_14default_configENS1_27lower_bound_config_selectorItlEEZNS1_14transform_implILb0ES3_S5_N6thrust23THRUST_200600_302600_NS6detail15normal_iteratorINS8_7pointerItNS8_11hip_rocprim5par_tENS8_11use_defaultESE_EEEENSA_INSB_IlSD_SE_SE_EEEEZNS1_13binary_searchIS3_S5_PtSG_SI_NS1_21lower_bound_search_opENS9_16wrapped_functionI11custom_lessbEEEE10hipError_tPvRmT1_T2_T3_mmT4_T5_P12ihipStream_tbEUlRKtE_EESP_ST_SU_mSV_SY_bEUlT_E_NS1_11comp_targetILNS1_3genE2ELNS1_11target_archE906ELNS1_3gpuE6ELNS1_3repE0EEENS1_30default_config_static_selectorELNS0_4arch9wavefront6targetE1EEEvSS_.has_dyn_sized_stack, 0
	.set _ZN7rocprim17ROCPRIM_400000_NS6detail17trampoline_kernelINS0_14default_configENS1_27lower_bound_config_selectorItlEEZNS1_14transform_implILb0ES3_S5_N6thrust23THRUST_200600_302600_NS6detail15normal_iteratorINS8_7pointerItNS8_11hip_rocprim5par_tENS8_11use_defaultESE_EEEENSA_INSB_IlSD_SE_SE_EEEEZNS1_13binary_searchIS3_S5_PtSG_SI_NS1_21lower_bound_search_opENS9_16wrapped_functionI11custom_lessbEEEE10hipError_tPvRmT1_T2_T3_mmT4_T5_P12ihipStream_tbEUlRKtE_EESP_ST_SU_mSV_SY_bEUlT_E_NS1_11comp_targetILNS1_3genE2ELNS1_11target_archE906ELNS1_3gpuE6ELNS1_3repE0EEENS1_30default_config_static_selectorELNS0_4arch9wavefront6targetE1EEEvSS_.has_recursion, 0
	.set _ZN7rocprim17ROCPRIM_400000_NS6detail17trampoline_kernelINS0_14default_configENS1_27lower_bound_config_selectorItlEEZNS1_14transform_implILb0ES3_S5_N6thrust23THRUST_200600_302600_NS6detail15normal_iteratorINS8_7pointerItNS8_11hip_rocprim5par_tENS8_11use_defaultESE_EEEENSA_INSB_IlSD_SE_SE_EEEEZNS1_13binary_searchIS3_S5_PtSG_SI_NS1_21lower_bound_search_opENS9_16wrapped_functionI11custom_lessbEEEE10hipError_tPvRmT1_T2_T3_mmT4_T5_P12ihipStream_tbEUlRKtE_EESP_ST_SU_mSV_SY_bEUlT_E_NS1_11comp_targetILNS1_3genE2ELNS1_11target_archE906ELNS1_3gpuE6ELNS1_3repE0EEENS1_30default_config_static_selectorELNS0_4arch9wavefront6targetE1EEEvSS_.has_indirect_call, 0
	.section	.AMDGPU.csdata,"",@progbits
; Kernel info:
; codeLenInByte = 2136
; TotalNumSgprs: 26
; NumVgprs: 18
; ScratchSize: 0
; MemoryBound: 0
; FloatMode: 240
; IeeeMode: 1
; LDSByteSize: 0 bytes/workgroup (compile time only)
; SGPRBlocks: 3
; VGPRBlocks: 4
; NumSGPRsForWavesPerEU: 26
; NumVGPRsForWavesPerEU: 18
; Occupancy: 10
; WaveLimiterHint : 1
; COMPUTE_PGM_RSRC2:SCRATCH_EN: 0
; COMPUTE_PGM_RSRC2:USER_SGPR: 6
; COMPUTE_PGM_RSRC2:TRAP_HANDLER: 0
; COMPUTE_PGM_RSRC2:TGID_X_EN: 1
; COMPUTE_PGM_RSRC2:TGID_Y_EN: 0
; COMPUTE_PGM_RSRC2:TGID_Z_EN: 0
; COMPUTE_PGM_RSRC2:TIDIG_COMP_CNT: 0
	.section	.text._ZN7rocprim17ROCPRIM_400000_NS6detail17trampoline_kernelINS0_14default_configENS1_27lower_bound_config_selectorItlEEZNS1_14transform_implILb0ES3_S5_N6thrust23THRUST_200600_302600_NS6detail15normal_iteratorINS8_7pointerItNS8_11hip_rocprim5par_tENS8_11use_defaultESE_EEEENSA_INSB_IlSD_SE_SE_EEEEZNS1_13binary_searchIS3_S5_PtSG_SI_NS1_21lower_bound_search_opENS9_16wrapped_functionI11custom_lessbEEEE10hipError_tPvRmT1_T2_T3_mmT4_T5_P12ihipStream_tbEUlRKtE_EESP_ST_SU_mSV_SY_bEUlT_E_NS1_11comp_targetILNS1_3genE10ELNS1_11target_archE1201ELNS1_3gpuE5ELNS1_3repE0EEENS1_30default_config_static_selectorELNS0_4arch9wavefront6targetE1EEEvSS_,"axG",@progbits,_ZN7rocprim17ROCPRIM_400000_NS6detail17trampoline_kernelINS0_14default_configENS1_27lower_bound_config_selectorItlEEZNS1_14transform_implILb0ES3_S5_N6thrust23THRUST_200600_302600_NS6detail15normal_iteratorINS8_7pointerItNS8_11hip_rocprim5par_tENS8_11use_defaultESE_EEEENSA_INSB_IlSD_SE_SE_EEEEZNS1_13binary_searchIS3_S5_PtSG_SI_NS1_21lower_bound_search_opENS9_16wrapped_functionI11custom_lessbEEEE10hipError_tPvRmT1_T2_T3_mmT4_T5_P12ihipStream_tbEUlRKtE_EESP_ST_SU_mSV_SY_bEUlT_E_NS1_11comp_targetILNS1_3genE10ELNS1_11target_archE1201ELNS1_3gpuE5ELNS1_3repE0EEENS1_30default_config_static_selectorELNS0_4arch9wavefront6targetE1EEEvSS_,comdat
	.protected	_ZN7rocprim17ROCPRIM_400000_NS6detail17trampoline_kernelINS0_14default_configENS1_27lower_bound_config_selectorItlEEZNS1_14transform_implILb0ES3_S5_N6thrust23THRUST_200600_302600_NS6detail15normal_iteratorINS8_7pointerItNS8_11hip_rocprim5par_tENS8_11use_defaultESE_EEEENSA_INSB_IlSD_SE_SE_EEEEZNS1_13binary_searchIS3_S5_PtSG_SI_NS1_21lower_bound_search_opENS9_16wrapped_functionI11custom_lessbEEEE10hipError_tPvRmT1_T2_T3_mmT4_T5_P12ihipStream_tbEUlRKtE_EESP_ST_SU_mSV_SY_bEUlT_E_NS1_11comp_targetILNS1_3genE10ELNS1_11target_archE1201ELNS1_3gpuE5ELNS1_3repE0EEENS1_30default_config_static_selectorELNS0_4arch9wavefront6targetE1EEEvSS_ ; -- Begin function _ZN7rocprim17ROCPRIM_400000_NS6detail17trampoline_kernelINS0_14default_configENS1_27lower_bound_config_selectorItlEEZNS1_14transform_implILb0ES3_S5_N6thrust23THRUST_200600_302600_NS6detail15normal_iteratorINS8_7pointerItNS8_11hip_rocprim5par_tENS8_11use_defaultESE_EEEENSA_INSB_IlSD_SE_SE_EEEEZNS1_13binary_searchIS3_S5_PtSG_SI_NS1_21lower_bound_search_opENS9_16wrapped_functionI11custom_lessbEEEE10hipError_tPvRmT1_T2_T3_mmT4_T5_P12ihipStream_tbEUlRKtE_EESP_ST_SU_mSV_SY_bEUlT_E_NS1_11comp_targetILNS1_3genE10ELNS1_11target_archE1201ELNS1_3gpuE5ELNS1_3repE0EEENS1_30default_config_static_selectorELNS0_4arch9wavefront6targetE1EEEvSS_
	.globl	_ZN7rocprim17ROCPRIM_400000_NS6detail17trampoline_kernelINS0_14default_configENS1_27lower_bound_config_selectorItlEEZNS1_14transform_implILb0ES3_S5_N6thrust23THRUST_200600_302600_NS6detail15normal_iteratorINS8_7pointerItNS8_11hip_rocprim5par_tENS8_11use_defaultESE_EEEENSA_INSB_IlSD_SE_SE_EEEEZNS1_13binary_searchIS3_S5_PtSG_SI_NS1_21lower_bound_search_opENS9_16wrapped_functionI11custom_lessbEEEE10hipError_tPvRmT1_T2_T3_mmT4_T5_P12ihipStream_tbEUlRKtE_EESP_ST_SU_mSV_SY_bEUlT_E_NS1_11comp_targetILNS1_3genE10ELNS1_11target_archE1201ELNS1_3gpuE5ELNS1_3repE0EEENS1_30default_config_static_selectorELNS0_4arch9wavefront6targetE1EEEvSS_
	.p2align	8
	.type	_ZN7rocprim17ROCPRIM_400000_NS6detail17trampoline_kernelINS0_14default_configENS1_27lower_bound_config_selectorItlEEZNS1_14transform_implILb0ES3_S5_N6thrust23THRUST_200600_302600_NS6detail15normal_iteratorINS8_7pointerItNS8_11hip_rocprim5par_tENS8_11use_defaultESE_EEEENSA_INSB_IlSD_SE_SE_EEEEZNS1_13binary_searchIS3_S5_PtSG_SI_NS1_21lower_bound_search_opENS9_16wrapped_functionI11custom_lessbEEEE10hipError_tPvRmT1_T2_T3_mmT4_T5_P12ihipStream_tbEUlRKtE_EESP_ST_SU_mSV_SY_bEUlT_E_NS1_11comp_targetILNS1_3genE10ELNS1_11target_archE1201ELNS1_3gpuE5ELNS1_3repE0EEENS1_30default_config_static_selectorELNS0_4arch9wavefront6targetE1EEEvSS_,@function
_ZN7rocprim17ROCPRIM_400000_NS6detail17trampoline_kernelINS0_14default_configENS1_27lower_bound_config_selectorItlEEZNS1_14transform_implILb0ES3_S5_N6thrust23THRUST_200600_302600_NS6detail15normal_iteratorINS8_7pointerItNS8_11hip_rocprim5par_tENS8_11use_defaultESE_EEEENSA_INSB_IlSD_SE_SE_EEEEZNS1_13binary_searchIS3_S5_PtSG_SI_NS1_21lower_bound_search_opENS9_16wrapped_functionI11custom_lessbEEEE10hipError_tPvRmT1_T2_T3_mmT4_T5_P12ihipStream_tbEUlRKtE_EESP_ST_SU_mSV_SY_bEUlT_E_NS1_11comp_targetILNS1_3genE10ELNS1_11target_archE1201ELNS1_3gpuE5ELNS1_3repE0EEENS1_30default_config_static_selectorELNS0_4arch9wavefront6targetE1EEEvSS_: ; @_ZN7rocprim17ROCPRIM_400000_NS6detail17trampoline_kernelINS0_14default_configENS1_27lower_bound_config_selectorItlEEZNS1_14transform_implILb0ES3_S5_N6thrust23THRUST_200600_302600_NS6detail15normal_iteratorINS8_7pointerItNS8_11hip_rocprim5par_tENS8_11use_defaultESE_EEEENSA_INSB_IlSD_SE_SE_EEEEZNS1_13binary_searchIS3_S5_PtSG_SI_NS1_21lower_bound_search_opENS9_16wrapped_functionI11custom_lessbEEEE10hipError_tPvRmT1_T2_T3_mmT4_T5_P12ihipStream_tbEUlRKtE_EESP_ST_SU_mSV_SY_bEUlT_E_NS1_11comp_targetILNS1_3genE10ELNS1_11target_archE1201ELNS1_3gpuE5ELNS1_3repE0EEENS1_30default_config_static_selectorELNS0_4arch9wavefront6targetE1EEEvSS_
; %bb.0:
	.section	.rodata,"a",@progbits
	.p2align	6, 0x0
	.amdhsa_kernel _ZN7rocprim17ROCPRIM_400000_NS6detail17trampoline_kernelINS0_14default_configENS1_27lower_bound_config_selectorItlEEZNS1_14transform_implILb0ES3_S5_N6thrust23THRUST_200600_302600_NS6detail15normal_iteratorINS8_7pointerItNS8_11hip_rocprim5par_tENS8_11use_defaultESE_EEEENSA_INSB_IlSD_SE_SE_EEEEZNS1_13binary_searchIS3_S5_PtSG_SI_NS1_21lower_bound_search_opENS9_16wrapped_functionI11custom_lessbEEEE10hipError_tPvRmT1_T2_T3_mmT4_T5_P12ihipStream_tbEUlRKtE_EESP_ST_SU_mSV_SY_bEUlT_E_NS1_11comp_targetILNS1_3genE10ELNS1_11target_archE1201ELNS1_3gpuE5ELNS1_3repE0EEENS1_30default_config_static_selectorELNS0_4arch9wavefront6targetE1EEEvSS_
		.amdhsa_group_segment_fixed_size 0
		.amdhsa_private_segment_fixed_size 0
		.amdhsa_kernarg_size 56
		.amdhsa_user_sgpr_count 6
		.amdhsa_user_sgpr_private_segment_buffer 1
		.amdhsa_user_sgpr_dispatch_ptr 0
		.amdhsa_user_sgpr_queue_ptr 0
		.amdhsa_user_sgpr_kernarg_segment_ptr 1
		.amdhsa_user_sgpr_dispatch_id 0
		.amdhsa_user_sgpr_flat_scratch_init 0
		.amdhsa_user_sgpr_private_segment_size 0
		.amdhsa_uses_dynamic_stack 0
		.amdhsa_system_sgpr_private_segment_wavefront_offset 0
		.amdhsa_system_sgpr_workgroup_id_x 1
		.amdhsa_system_sgpr_workgroup_id_y 0
		.amdhsa_system_sgpr_workgroup_id_z 0
		.amdhsa_system_sgpr_workgroup_info 0
		.amdhsa_system_vgpr_workitem_id 0
		.amdhsa_next_free_vgpr 1
		.amdhsa_next_free_sgpr 0
		.amdhsa_reserve_vcc 0
		.amdhsa_reserve_flat_scratch 0
		.amdhsa_float_round_mode_32 0
		.amdhsa_float_round_mode_16_64 0
		.amdhsa_float_denorm_mode_32 3
		.amdhsa_float_denorm_mode_16_64 3
		.amdhsa_dx10_clamp 1
		.amdhsa_ieee_mode 1
		.amdhsa_fp16_overflow 0
		.amdhsa_exception_fp_ieee_invalid_op 0
		.amdhsa_exception_fp_denorm_src 0
		.amdhsa_exception_fp_ieee_div_zero 0
		.amdhsa_exception_fp_ieee_overflow 0
		.amdhsa_exception_fp_ieee_underflow 0
		.amdhsa_exception_fp_ieee_inexact 0
		.amdhsa_exception_int_div_zero 0
	.end_amdhsa_kernel
	.section	.text._ZN7rocprim17ROCPRIM_400000_NS6detail17trampoline_kernelINS0_14default_configENS1_27lower_bound_config_selectorItlEEZNS1_14transform_implILb0ES3_S5_N6thrust23THRUST_200600_302600_NS6detail15normal_iteratorINS8_7pointerItNS8_11hip_rocprim5par_tENS8_11use_defaultESE_EEEENSA_INSB_IlSD_SE_SE_EEEEZNS1_13binary_searchIS3_S5_PtSG_SI_NS1_21lower_bound_search_opENS9_16wrapped_functionI11custom_lessbEEEE10hipError_tPvRmT1_T2_T3_mmT4_T5_P12ihipStream_tbEUlRKtE_EESP_ST_SU_mSV_SY_bEUlT_E_NS1_11comp_targetILNS1_3genE10ELNS1_11target_archE1201ELNS1_3gpuE5ELNS1_3repE0EEENS1_30default_config_static_selectorELNS0_4arch9wavefront6targetE1EEEvSS_,"axG",@progbits,_ZN7rocprim17ROCPRIM_400000_NS6detail17trampoline_kernelINS0_14default_configENS1_27lower_bound_config_selectorItlEEZNS1_14transform_implILb0ES3_S5_N6thrust23THRUST_200600_302600_NS6detail15normal_iteratorINS8_7pointerItNS8_11hip_rocprim5par_tENS8_11use_defaultESE_EEEENSA_INSB_IlSD_SE_SE_EEEEZNS1_13binary_searchIS3_S5_PtSG_SI_NS1_21lower_bound_search_opENS9_16wrapped_functionI11custom_lessbEEEE10hipError_tPvRmT1_T2_T3_mmT4_T5_P12ihipStream_tbEUlRKtE_EESP_ST_SU_mSV_SY_bEUlT_E_NS1_11comp_targetILNS1_3genE10ELNS1_11target_archE1201ELNS1_3gpuE5ELNS1_3repE0EEENS1_30default_config_static_selectorELNS0_4arch9wavefront6targetE1EEEvSS_,comdat
.Lfunc_end89:
	.size	_ZN7rocprim17ROCPRIM_400000_NS6detail17trampoline_kernelINS0_14default_configENS1_27lower_bound_config_selectorItlEEZNS1_14transform_implILb0ES3_S5_N6thrust23THRUST_200600_302600_NS6detail15normal_iteratorINS8_7pointerItNS8_11hip_rocprim5par_tENS8_11use_defaultESE_EEEENSA_INSB_IlSD_SE_SE_EEEEZNS1_13binary_searchIS3_S5_PtSG_SI_NS1_21lower_bound_search_opENS9_16wrapped_functionI11custom_lessbEEEE10hipError_tPvRmT1_T2_T3_mmT4_T5_P12ihipStream_tbEUlRKtE_EESP_ST_SU_mSV_SY_bEUlT_E_NS1_11comp_targetILNS1_3genE10ELNS1_11target_archE1201ELNS1_3gpuE5ELNS1_3repE0EEENS1_30default_config_static_selectorELNS0_4arch9wavefront6targetE1EEEvSS_, .Lfunc_end89-_ZN7rocprim17ROCPRIM_400000_NS6detail17trampoline_kernelINS0_14default_configENS1_27lower_bound_config_selectorItlEEZNS1_14transform_implILb0ES3_S5_N6thrust23THRUST_200600_302600_NS6detail15normal_iteratorINS8_7pointerItNS8_11hip_rocprim5par_tENS8_11use_defaultESE_EEEENSA_INSB_IlSD_SE_SE_EEEEZNS1_13binary_searchIS3_S5_PtSG_SI_NS1_21lower_bound_search_opENS9_16wrapped_functionI11custom_lessbEEEE10hipError_tPvRmT1_T2_T3_mmT4_T5_P12ihipStream_tbEUlRKtE_EESP_ST_SU_mSV_SY_bEUlT_E_NS1_11comp_targetILNS1_3genE10ELNS1_11target_archE1201ELNS1_3gpuE5ELNS1_3repE0EEENS1_30default_config_static_selectorELNS0_4arch9wavefront6targetE1EEEvSS_
                                        ; -- End function
	.set _ZN7rocprim17ROCPRIM_400000_NS6detail17trampoline_kernelINS0_14default_configENS1_27lower_bound_config_selectorItlEEZNS1_14transform_implILb0ES3_S5_N6thrust23THRUST_200600_302600_NS6detail15normal_iteratorINS8_7pointerItNS8_11hip_rocprim5par_tENS8_11use_defaultESE_EEEENSA_INSB_IlSD_SE_SE_EEEEZNS1_13binary_searchIS3_S5_PtSG_SI_NS1_21lower_bound_search_opENS9_16wrapped_functionI11custom_lessbEEEE10hipError_tPvRmT1_T2_T3_mmT4_T5_P12ihipStream_tbEUlRKtE_EESP_ST_SU_mSV_SY_bEUlT_E_NS1_11comp_targetILNS1_3genE10ELNS1_11target_archE1201ELNS1_3gpuE5ELNS1_3repE0EEENS1_30default_config_static_selectorELNS0_4arch9wavefront6targetE1EEEvSS_.num_vgpr, 0
	.set _ZN7rocprim17ROCPRIM_400000_NS6detail17trampoline_kernelINS0_14default_configENS1_27lower_bound_config_selectorItlEEZNS1_14transform_implILb0ES3_S5_N6thrust23THRUST_200600_302600_NS6detail15normal_iteratorINS8_7pointerItNS8_11hip_rocprim5par_tENS8_11use_defaultESE_EEEENSA_INSB_IlSD_SE_SE_EEEEZNS1_13binary_searchIS3_S5_PtSG_SI_NS1_21lower_bound_search_opENS9_16wrapped_functionI11custom_lessbEEEE10hipError_tPvRmT1_T2_T3_mmT4_T5_P12ihipStream_tbEUlRKtE_EESP_ST_SU_mSV_SY_bEUlT_E_NS1_11comp_targetILNS1_3genE10ELNS1_11target_archE1201ELNS1_3gpuE5ELNS1_3repE0EEENS1_30default_config_static_selectorELNS0_4arch9wavefront6targetE1EEEvSS_.num_agpr, 0
	.set _ZN7rocprim17ROCPRIM_400000_NS6detail17trampoline_kernelINS0_14default_configENS1_27lower_bound_config_selectorItlEEZNS1_14transform_implILb0ES3_S5_N6thrust23THRUST_200600_302600_NS6detail15normal_iteratorINS8_7pointerItNS8_11hip_rocprim5par_tENS8_11use_defaultESE_EEEENSA_INSB_IlSD_SE_SE_EEEEZNS1_13binary_searchIS3_S5_PtSG_SI_NS1_21lower_bound_search_opENS9_16wrapped_functionI11custom_lessbEEEE10hipError_tPvRmT1_T2_T3_mmT4_T5_P12ihipStream_tbEUlRKtE_EESP_ST_SU_mSV_SY_bEUlT_E_NS1_11comp_targetILNS1_3genE10ELNS1_11target_archE1201ELNS1_3gpuE5ELNS1_3repE0EEENS1_30default_config_static_selectorELNS0_4arch9wavefront6targetE1EEEvSS_.numbered_sgpr, 0
	.set _ZN7rocprim17ROCPRIM_400000_NS6detail17trampoline_kernelINS0_14default_configENS1_27lower_bound_config_selectorItlEEZNS1_14transform_implILb0ES3_S5_N6thrust23THRUST_200600_302600_NS6detail15normal_iteratorINS8_7pointerItNS8_11hip_rocprim5par_tENS8_11use_defaultESE_EEEENSA_INSB_IlSD_SE_SE_EEEEZNS1_13binary_searchIS3_S5_PtSG_SI_NS1_21lower_bound_search_opENS9_16wrapped_functionI11custom_lessbEEEE10hipError_tPvRmT1_T2_T3_mmT4_T5_P12ihipStream_tbEUlRKtE_EESP_ST_SU_mSV_SY_bEUlT_E_NS1_11comp_targetILNS1_3genE10ELNS1_11target_archE1201ELNS1_3gpuE5ELNS1_3repE0EEENS1_30default_config_static_selectorELNS0_4arch9wavefront6targetE1EEEvSS_.num_named_barrier, 0
	.set _ZN7rocprim17ROCPRIM_400000_NS6detail17trampoline_kernelINS0_14default_configENS1_27lower_bound_config_selectorItlEEZNS1_14transform_implILb0ES3_S5_N6thrust23THRUST_200600_302600_NS6detail15normal_iteratorINS8_7pointerItNS8_11hip_rocprim5par_tENS8_11use_defaultESE_EEEENSA_INSB_IlSD_SE_SE_EEEEZNS1_13binary_searchIS3_S5_PtSG_SI_NS1_21lower_bound_search_opENS9_16wrapped_functionI11custom_lessbEEEE10hipError_tPvRmT1_T2_T3_mmT4_T5_P12ihipStream_tbEUlRKtE_EESP_ST_SU_mSV_SY_bEUlT_E_NS1_11comp_targetILNS1_3genE10ELNS1_11target_archE1201ELNS1_3gpuE5ELNS1_3repE0EEENS1_30default_config_static_selectorELNS0_4arch9wavefront6targetE1EEEvSS_.private_seg_size, 0
	.set _ZN7rocprim17ROCPRIM_400000_NS6detail17trampoline_kernelINS0_14default_configENS1_27lower_bound_config_selectorItlEEZNS1_14transform_implILb0ES3_S5_N6thrust23THRUST_200600_302600_NS6detail15normal_iteratorINS8_7pointerItNS8_11hip_rocprim5par_tENS8_11use_defaultESE_EEEENSA_INSB_IlSD_SE_SE_EEEEZNS1_13binary_searchIS3_S5_PtSG_SI_NS1_21lower_bound_search_opENS9_16wrapped_functionI11custom_lessbEEEE10hipError_tPvRmT1_T2_T3_mmT4_T5_P12ihipStream_tbEUlRKtE_EESP_ST_SU_mSV_SY_bEUlT_E_NS1_11comp_targetILNS1_3genE10ELNS1_11target_archE1201ELNS1_3gpuE5ELNS1_3repE0EEENS1_30default_config_static_selectorELNS0_4arch9wavefront6targetE1EEEvSS_.uses_vcc, 0
	.set _ZN7rocprim17ROCPRIM_400000_NS6detail17trampoline_kernelINS0_14default_configENS1_27lower_bound_config_selectorItlEEZNS1_14transform_implILb0ES3_S5_N6thrust23THRUST_200600_302600_NS6detail15normal_iteratorINS8_7pointerItNS8_11hip_rocprim5par_tENS8_11use_defaultESE_EEEENSA_INSB_IlSD_SE_SE_EEEEZNS1_13binary_searchIS3_S5_PtSG_SI_NS1_21lower_bound_search_opENS9_16wrapped_functionI11custom_lessbEEEE10hipError_tPvRmT1_T2_T3_mmT4_T5_P12ihipStream_tbEUlRKtE_EESP_ST_SU_mSV_SY_bEUlT_E_NS1_11comp_targetILNS1_3genE10ELNS1_11target_archE1201ELNS1_3gpuE5ELNS1_3repE0EEENS1_30default_config_static_selectorELNS0_4arch9wavefront6targetE1EEEvSS_.uses_flat_scratch, 0
	.set _ZN7rocprim17ROCPRIM_400000_NS6detail17trampoline_kernelINS0_14default_configENS1_27lower_bound_config_selectorItlEEZNS1_14transform_implILb0ES3_S5_N6thrust23THRUST_200600_302600_NS6detail15normal_iteratorINS8_7pointerItNS8_11hip_rocprim5par_tENS8_11use_defaultESE_EEEENSA_INSB_IlSD_SE_SE_EEEEZNS1_13binary_searchIS3_S5_PtSG_SI_NS1_21lower_bound_search_opENS9_16wrapped_functionI11custom_lessbEEEE10hipError_tPvRmT1_T2_T3_mmT4_T5_P12ihipStream_tbEUlRKtE_EESP_ST_SU_mSV_SY_bEUlT_E_NS1_11comp_targetILNS1_3genE10ELNS1_11target_archE1201ELNS1_3gpuE5ELNS1_3repE0EEENS1_30default_config_static_selectorELNS0_4arch9wavefront6targetE1EEEvSS_.has_dyn_sized_stack, 0
	.set _ZN7rocprim17ROCPRIM_400000_NS6detail17trampoline_kernelINS0_14default_configENS1_27lower_bound_config_selectorItlEEZNS1_14transform_implILb0ES3_S5_N6thrust23THRUST_200600_302600_NS6detail15normal_iteratorINS8_7pointerItNS8_11hip_rocprim5par_tENS8_11use_defaultESE_EEEENSA_INSB_IlSD_SE_SE_EEEEZNS1_13binary_searchIS3_S5_PtSG_SI_NS1_21lower_bound_search_opENS9_16wrapped_functionI11custom_lessbEEEE10hipError_tPvRmT1_T2_T3_mmT4_T5_P12ihipStream_tbEUlRKtE_EESP_ST_SU_mSV_SY_bEUlT_E_NS1_11comp_targetILNS1_3genE10ELNS1_11target_archE1201ELNS1_3gpuE5ELNS1_3repE0EEENS1_30default_config_static_selectorELNS0_4arch9wavefront6targetE1EEEvSS_.has_recursion, 0
	.set _ZN7rocprim17ROCPRIM_400000_NS6detail17trampoline_kernelINS0_14default_configENS1_27lower_bound_config_selectorItlEEZNS1_14transform_implILb0ES3_S5_N6thrust23THRUST_200600_302600_NS6detail15normal_iteratorINS8_7pointerItNS8_11hip_rocprim5par_tENS8_11use_defaultESE_EEEENSA_INSB_IlSD_SE_SE_EEEEZNS1_13binary_searchIS3_S5_PtSG_SI_NS1_21lower_bound_search_opENS9_16wrapped_functionI11custom_lessbEEEE10hipError_tPvRmT1_T2_T3_mmT4_T5_P12ihipStream_tbEUlRKtE_EESP_ST_SU_mSV_SY_bEUlT_E_NS1_11comp_targetILNS1_3genE10ELNS1_11target_archE1201ELNS1_3gpuE5ELNS1_3repE0EEENS1_30default_config_static_selectorELNS0_4arch9wavefront6targetE1EEEvSS_.has_indirect_call, 0
	.section	.AMDGPU.csdata,"",@progbits
; Kernel info:
; codeLenInByte = 0
; TotalNumSgprs: 4
; NumVgprs: 0
; ScratchSize: 0
; MemoryBound: 0
; FloatMode: 240
; IeeeMode: 1
; LDSByteSize: 0 bytes/workgroup (compile time only)
; SGPRBlocks: 0
; VGPRBlocks: 0
; NumSGPRsForWavesPerEU: 4
; NumVGPRsForWavesPerEU: 1
; Occupancy: 10
; WaveLimiterHint : 0
; COMPUTE_PGM_RSRC2:SCRATCH_EN: 0
; COMPUTE_PGM_RSRC2:USER_SGPR: 6
; COMPUTE_PGM_RSRC2:TRAP_HANDLER: 0
; COMPUTE_PGM_RSRC2:TGID_X_EN: 1
; COMPUTE_PGM_RSRC2:TGID_Y_EN: 0
; COMPUTE_PGM_RSRC2:TGID_Z_EN: 0
; COMPUTE_PGM_RSRC2:TIDIG_COMP_CNT: 0
	.section	.text._ZN7rocprim17ROCPRIM_400000_NS6detail17trampoline_kernelINS0_14default_configENS1_27lower_bound_config_selectorItlEEZNS1_14transform_implILb0ES3_S5_N6thrust23THRUST_200600_302600_NS6detail15normal_iteratorINS8_7pointerItNS8_11hip_rocprim5par_tENS8_11use_defaultESE_EEEENSA_INSB_IlSD_SE_SE_EEEEZNS1_13binary_searchIS3_S5_PtSG_SI_NS1_21lower_bound_search_opENS9_16wrapped_functionI11custom_lessbEEEE10hipError_tPvRmT1_T2_T3_mmT4_T5_P12ihipStream_tbEUlRKtE_EESP_ST_SU_mSV_SY_bEUlT_E_NS1_11comp_targetILNS1_3genE10ELNS1_11target_archE1200ELNS1_3gpuE4ELNS1_3repE0EEENS1_30default_config_static_selectorELNS0_4arch9wavefront6targetE1EEEvSS_,"axG",@progbits,_ZN7rocprim17ROCPRIM_400000_NS6detail17trampoline_kernelINS0_14default_configENS1_27lower_bound_config_selectorItlEEZNS1_14transform_implILb0ES3_S5_N6thrust23THRUST_200600_302600_NS6detail15normal_iteratorINS8_7pointerItNS8_11hip_rocprim5par_tENS8_11use_defaultESE_EEEENSA_INSB_IlSD_SE_SE_EEEEZNS1_13binary_searchIS3_S5_PtSG_SI_NS1_21lower_bound_search_opENS9_16wrapped_functionI11custom_lessbEEEE10hipError_tPvRmT1_T2_T3_mmT4_T5_P12ihipStream_tbEUlRKtE_EESP_ST_SU_mSV_SY_bEUlT_E_NS1_11comp_targetILNS1_3genE10ELNS1_11target_archE1200ELNS1_3gpuE4ELNS1_3repE0EEENS1_30default_config_static_selectorELNS0_4arch9wavefront6targetE1EEEvSS_,comdat
	.protected	_ZN7rocprim17ROCPRIM_400000_NS6detail17trampoline_kernelINS0_14default_configENS1_27lower_bound_config_selectorItlEEZNS1_14transform_implILb0ES3_S5_N6thrust23THRUST_200600_302600_NS6detail15normal_iteratorINS8_7pointerItNS8_11hip_rocprim5par_tENS8_11use_defaultESE_EEEENSA_INSB_IlSD_SE_SE_EEEEZNS1_13binary_searchIS3_S5_PtSG_SI_NS1_21lower_bound_search_opENS9_16wrapped_functionI11custom_lessbEEEE10hipError_tPvRmT1_T2_T3_mmT4_T5_P12ihipStream_tbEUlRKtE_EESP_ST_SU_mSV_SY_bEUlT_E_NS1_11comp_targetILNS1_3genE10ELNS1_11target_archE1200ELNS1_3gpuE4ELNS1_3repE0EEENS1_30default_config_static_selectorELNS0_4arch9wavefront6targetE1EEEvSS_ ; -- Begin function _ZN7rocprim17ROCPRIM_400000_NS6detail17trampoline_kernelINS0_14default_configENS1_27lower_bound_config_selectorItlEEZNS1_14transform_implILb0ES3_S5_N6thrust23THRUST_200600_302600_NS6detail15normal_iteratorINS8_7pointerItNS8_11hip_rocprim5par_tENS8_11use_defaultESE_EEEENSA_INSB_IlSD_SE_SE_EEEEZNS1_13binary_searchIS3_S5_PtSG_SI_NS1_21lower_bound_search_opENS9_16wrapped_functionI11custom_lessbEEEE10hipError_tPvRmT1_T2_T3_mmT4_T5_P12ihipStream_tbEUlRKtE_EESP_ST_SU_mSV_SY_bEUlT_E_NS1_11comp_targetILNS1_3genE10ELNS1_11target_archE1200ELNS1_3gpuE4ELNS1_3repE0EEENS1_30default_config_static_selectorELNS0_4arch9wavefront6targetE1EEEvSS_
	.globl	_ZN7rocprim17ROCPRIM_400000_NS6detail17trampoline_kernelINS0_14default_configENS1_27lower_bound_config_selectorItlEEZNS1_14transform_implILb0ES3_S5_N6thrust23THRUST_200600_302600_NS6detail15normal_iteratorINS8_7pointerItNS8_11hip_rocprim5par_tENS8_11use_defaultESE_EEEENSA_INSB_IlSD_SE_SE_EEEEZNS1_13binary_searchIS3_S5_PtSG_SI_NS1_21lower_bound_search_opENS9_16wrapped_functionI11custom_lessbEEEE10hipError_tPvRmT1_T2_T3_mmT4_T5_P12ihipStream_tbEUlRKtE_EESP_ST_SU_mSV_SY_bEUlT_E_NS1_11comp_targetILNS1_3genE10ELNS1_11target_archE1200ELNS1_3gpuE4ELNS1_3repE0EEENS1_30default_config_static_selectorELNS0_4arch9wavefront6targetE1EEEvSS_
	.p2align	8
	.type	_ZN7rocprim17ROCPRIM_400000_NS6detail17trampoline_kernelINS0_14default_configENS1_27lower_bound_config_selectorItlEEZNS1_14transform_implILb0ES3_S5_N6thrust23THRUST_200600_302600_NS6detail15normal_iteratorINS8_7pointerItNS8_11hip_rocprim5par_tENS8_11use_defaultESE_EEEENSA_INSB_IlSD_SE_SE_EEEEZNS1_13binary_searchIS3_S5_PtSG_SI_NS1_21lower_bound_search_opENS9_16wrapped_functionI11custom_lessbEEEE10hipError_tPvRmT1_T2_T3_mmT4_T5_P12ihipStream_tbEUlRKtE_EESP_ST_SU_mSV_SY_bEUlT_E_NS1_11comp_targetILNS1_3genE10ELNS1_11target_archE1200ELNS1_3gpuE4ELNS1_3repE0EEENS1_30default_config_static_selectorELNS0_4arch9wavefront6targetE1EEEvSS_,@function
_ZN7rocprim17ROCPRIM_400000_NS6detail17trampoline_kernelINS0_14default_configENS1_27lower_bound_config_selectorItlEEZNS1_14transform_implILb0ES3_S5_N6thrust23THRUST_200600_302600_NS6detail15normal_iteratorINS8_7pointerItNS8_11hip_rocprim5par_tENS8_11use_defaultESE_EEEENSA_INSB_IlSD_SE_SE_EEEEZNS1_13binary_searchIS3_S5_PtSG_SI_NS1_21lower_bound_search_opENS9_16wrapped_functionI11custom_lessbEEEE10hipError_tPvRmT1_T2_T3_mmT4_T5_P12ihipStream_tbEUlRKtE_EESP_ST_SU_mSV_SY_bEUlT_E_NS1_11comp_targetILNS1_3genE10ELNS1_11target_archE1200ELNS1_3gpuE4ELNS1_3repE0EEENS1_30default_config_static_selectorELNS0_4arch9wavefront6targetE1EEEvSS_: ; @_ZN7rocprim17ROCPRIM_400000_NS6detail17trampoline_kernelINS0_14default_configENS1_27lower_bound_config_selectorItlEEZNS1_14transform_implILb0ES3_S5_N6thrust23THRUST_200600_302600_NS6detail15normal_iteratorINS8_7pointerItNS8_11hip_rocprim5par_tENS8_11use_defaultESE_EEEENSA_INSB_IlSD_SE_SE_EEEEZNS1_13binary_searchIS3_S5_PtSG_SI_NS1_21lower_bound_search_opENS9_16wrapped_functionI11custom_lessbEEEE10hipError_tPvRmT1_T2_T3_mmT4_T5_P12ihipStream_tbEUlRKtE_EESP_ST_SU_mSV_SY_bEUlT_E_NS1_11comp_targetILNS1_3genE10ELNS1_11target_archE1200ELNS1_3gpuE4ELNS1_3repE0EEENS1_30default_config_static_selectorELNS0_4arch9wavefront6targetE1EEEvSS_
; %bb.0:
	.section	.rodata,"a",@progbits
	.p2align	6, 0x0
	.amdhsa_kernel _ZN7rocprim17ROCPRIM_400000_NS6detail17trampoline_kernelINS0_14default_configENS1_27lower_bound_config_selectorItlEEZNS1_14transform_implILb0ES3_S5_N6thrust23THRUST_200600_302600_NS6detail15normal_iteratorINS8_7pointerItNS8_11hip_rocprim5par_tENS8_11use_defaultESE_EEEENSA_INSB_IlSD_SE_SE_EEEEZNS1_13binary_searchIS3_S5_PtSG_SI_NS1_21lower_bound_search_opENS9_16wrapped_functionI11custom_lessbEEEE10hipError_tPvRmT1_T2_T3_mmT4_T5_P12ihipStream_tbEUlRKtE_EESP_ST_SU_mSV_SY_bEUlT_E_NS1_11comp_targetILNS1_3genE10ELNS1_11target_archE1200ELNS1_3gpuE4ELNS1_3repE0EEENS1_30default_config_static_selectorELNS0_4arch9wavefront6targetE1EEEvSS_
		.amdhsa_group_segment_fixed_size 0
		.amdhsa_private_segment_fixed_size 0
		.amdhsa_kernarg_size 56
		.amdhsa_user_sgpr_count 6
		.amdhsa_user_sgpr_private_segment_buffer 1
		.amdhsa_user_sgpr_dispatch_ptr 0
		.amdhsa_user_sgpr_queue_ptr 0
		.amdhsa_user_sgpr_kernarg_segment_ptr 1
		.amdhsa_user_sgpr_dispatch_id 0
		.amdhsa_user_sgpr_flat_scratch_init 0
		.amdhsa_user_sgpr_private_segment_size 0
		.amdhsa_uses_dynamic_stack 0
		.amdhsa_system_sgpr_private_segment_wavefront_offset 0
		.amdhsa_system_sgpr_workgroup_id_x 1
		.amdhsa_system_sgpr_workgroup_id_y 0
		.amdhsa_system_sgpr_workgroup_id_z 0
		.amdhsa_system_sgpr_workgroup_info 0
		.amdhsa_system_vgpr_workitem_id 0
		.amdhsa_next_free_vgpr 1
		.amdhsa_next_free_sgpr 0
		.amdhsa_reserve_vcc 0
		.amdhsa_reserve_flat_scratch 0
		.amdhsa_float_round_mode_32 0
		.amdhsa_float_round_mode_16_64 0
		.amdhsa_float_denorm_mode_32 3
		.amdhsa_float_denorm_mode_16_64 3
		.amdhsa_dx10_clamp 1
		.amdhsa_ieee_mode 1
		.amdhsa_fp16_overflow 0
		.amdhsa_exception_fp_ieee_invalid_op 0
		.amdhsa_exception_fp_denorm_src 0
		.amdhsa_exception_fp_ieee_div_zero 0
		.amdhsa_exception_fp_ieee_overflow 0
		.amdhsa_exception_fp_ieee_underflow 0
		.amdhsa_exception_fp_ieee_inexact 0
		.amdhsa_exception_int_div_zero 0
	.end_amdhsa_kernel
	.section	.text._ZN7rocprim17ROCPRIM_400000_NS6detail17trampoline_kernelINS0_14default_configENS1_27lower_bound_config_selectorItlEEZNS1_14transform_implILb0ES3_S5_N6thrust23THRUST_200600_302600_NS6detail15normal_iteratorINS8_7pointerItNS8_11hip_rocprim5par_tENS8_11use_defaultESE_EEEENSA_INSB_IlSD_SE_SE_EEEEZNS1_13binary_searchIS3_S5_PtSG_SI_NS1_21lower_bound_search_opENS9_16wrapped_functionI11custom_lessbEEEE10hipError_tPvRmT1_T2_T3_mmT4_T5_P12ihipStream_tbEUlRKtE_EESP_ST_SU_mSV_SY_bEUlT_E_NS1_11comp_targetILNS1_3genE10ELNS1_11target_archE1200ELNS1_3gpuE4ELNS1_3repE0EEENS1_30default_config_static_selectorELNS0_4arch9wavefront6targetE1EEEvSS_,"axG",@progbits,_ZN7rocprim17ROCPRIM_400000_NS6detail17trampoline_kernelINS0_14default_configENS1_27lower_bound_config_selectorItlEEZNS1_14transform_implILb0ES3_S5_N6thrust23THRUST_200600_302600_NS6detail15normal_iteratorINS8_7pointerItNS8_11hip_rocprim5par_tENS8_11use_defaultESE_EEEENSA_INSB_IlSD_SE_SE_EEEEZNS1_13binary_searchIS3_S5_PtSG_SI_NS1_21lower_bound_search_opENS9_16wrapped_functionI11custom_lessbEEEE10hipError_tPvRmT1_T2_T3_mmT4_T5_P12ihipStream_tbEUlRKtE_EESP_ST_SU_mSV_SY_bEUlT_E_NS1_11comp_targetILNS1_3genE10ELNS1_11target_archE1200ELNS1_3gpuE4ELNS1_3repE0EEENS1_30default_config_static_selectorELNS0_4arch9wavefront6targetE1EEEvSS_,comdat
.Lfunc_end90:
	.size	_ZN7rocprim17ROCPRIM_400000_NS6detail17trampoline_kernelINS0_14default_configENS1_27lower_bound_config_selectorItlEEZNS1_14transform_implILb0ES3_S5_N6thrust23THRUST_200600_302600_NS6detail15normal_iteratorINS8_7pointerItNS8_11hip_rocprim5par_tENS8_11use_defaultESE_EEEENSA_INSB_IlSD_SE_SE_EEEEZNS1_13binary_searchIS3_S5_PtSG_SI_NS1_21lower_bound_search_opENS9_16wrapped_functionI11custom_lessbEEEE10hipError_tPvRmT1_T2_T3_mmT4_T5_P12ihipStream_tbEUlRKtE_EESP_ST_SU_mSV_SY_bEUlT_E_NS1_11comp_targetILNS1_3genE10ELNS1_11target_archE1200ELNS1_3gpuE4ELNS1_3repE0EEENS1_30default_config_static_selectorELNS0_4arch9wavefront6targetE1EEEvSS_, .Lfunc_end90-_ZN7rocprim17ROCPRIM_400000_NS6detail17trampoline_kernelINS0_14default_configENS1_27lower_bound_config_selectorItlEEZNS1_14transform_implILb0ES3_S5_N6thrust23THRUST_200600_302600_NS6detail15normal_iteratorINS8_7pointerItNS8_11hip_rocprim5par_tENS8_11use_defaultESE_EEEENSA_INSB_IlSD_SE_SE_EEEEZNS1_13binary_searchIS3_S5_PtSG_SI_NS1_21lower_bound_search_opENS9_16wrapped_functionI11custom_lessbEEEE10hipError_tPvRmT1_T2_T3_mmT4_T5_P12ihipStream_tbEUlRKtE_EESP_ST_SU_mSV_SY_bEUlT_E_NS1_11comp_targetILNS1_3genE10ELNS1_11target_archE1200ELNS1_3gpuE4ELNS1_3repE0EEENS1_30default_config_static_selectorELNS0_4arch9wavefront6targetE1EEEvSS_
                                        ; -- End function
	.set _ZN7rocprim17ROCPRIM_400000_NS6detail17trampoline_kernelINS0_14default_configENS1_27lower_bound_config_selectorItlEEZNS1_14transform_implILb0ES3_S5_N6thrust23THRUST_200600_302600_NS6detail15normal_iteratorINS8_7pointerItNS8_11hip_rocprim5par_tENS8_11use_defaultESE_EEEENSA_INSB_IlSD_SE_SE_EEEEZNS1_13binary_searchIS3_S5_PtSG_SI_NS1_21lower_bound_search_opENS9_16wrapped_functionI11custom_lessbEEEE10hipError_tPvRmT1_T2_T3_mmT4_T5_P12ihipStream_tbEUlRKtE_EESP_ST_SU_mSV_SY_bEUlT_E_NS1_11comp_targetILNS1_3genE10ELNS1_11target_archE1200ELNS1_3gpuE4ELNS1_3repE0EEENS1_30default_config_static_selectorELNS0_4arch9wavefront6targetE1EEEvSS_.num_vgpr, 0
	.set _ZN7rocprim17ROCPRIM_400000_NS6detail17trampoline_kernelINS0_14default_configENS1_27lower_bound_config_selectorItlEEZNS1_14transform_implILb0ES3_S5_N6thrust23THRUST_200600_302600_NS6detail15normal_iteratorINS8_7pointerItNS8_11hip_rocprim5par_tENS8_11use_defaultESE_EEEENSA_INSB_IlSD_SE_SE_EEEEZNS1_13binary_searchIS3_S5_PtSG_SI_NS1_21lower_bound_search_opENS9_16wrapped_functionI11custom_lessbEEEE10hipError_tPvRmT1_T2_T3_mmT4_T5_P12ihipStream_tbEUlRKtE_EESP_ST_SU_mSV_SY_bEUlT_E_NS1_11comp_targetILNS1_3genE10ELNS1_11target_archE1200ELNS1_3gpuE4ELNS1_3repE0EEENS1_30default_config_static_selectorELNS0_4arch9wavefront6targetE1EEEvSS_.num_agpr, 0
	.set _ZN7rocprim17ROCPRIM_400000_NS6detail17trampoline_kernelINS0_14default_configENS1_27lower_bound_config_selectorItlEEZNS1_14transform_implILb0ES3_S5_N6thrust23THRUST_200600_302600_NS6detail15normal_iteratorINS8_7pointerItNS8_11hip_rocprim5par_tENS8_11use_defaultESE_EEEENSA_INSB_IlSD_SE_SE_EEEEZNS1_13binary_searchIS3_S5_PtSG_SI_NS1_21lower_bound_search_opENS9_16wrapped_functionI11custom_lessbEEEE10hipError_tPvRmT1_T2_T3_mmT4_T5_P12ihipStream_tbEUlRKtE_EESP_ST_SU_mSV_SY_bEUlT_E_NS1_11comp_targetILNS1_3genE10ELNS1_11target_archE1200ELNS1_3gpuE4ELNS1_3repE0EEENS1_30default_config_static_selectorELNS0_4arch9wavefront6targetE1EEEvSS_.numbered_sgpr, 0
	.set _ZN7rocprim17ROCPRIM_400000_NS6detail17trampoline_kernelINS0_14default_configENS1_27lower_bound_config_selectorItlEEZNS1_14transform_implILb0ES3_S5_N6thrust23THRUST_200600_302600_NS6detail15normal_iteratorINS8_7pointerItNS8_11hip_rocprim5par_tENS8_11use_defaultESE_EEEENSA_INSB_IlSD_SE_SE_EEEEZNS1_13binary_searchIS3_S5_PtSG_SI_NS1_21lower_bound_search_opENS9_16wrapped_functionI11custom_lessbEEEE10hipError_tPvRmT1_T2_T3_mmT4_T5_P12ihipStream_tbEUlRKtE_EESP_ST_SU_mSV_SY_bEUlT_E_NS1_11comp_targetILNS1_3genE10ELNS1_11target_archE1200ELNS1_3gpuE4ELNS1_3repE0EEENS1_30default_config_static_selectorELNS0_4arch9wavefront6targetE1EEEvSS_.num_named_barrier, 0
	.set _ZN7rocprim17ROCPRIM_400000_NS6detail17trampoline_kernelINS0_14default_configENS1_27lower_bound_config_selectorItlEEZNS1_14transform_implILb0ES3_S5_N6thrust23THRUST_200600_302600_NS6detail15normal_iteratorINS8_7pointerItNS8_11hip_rocprim5par_tENS8_11use_defaultESE_EEEENSA_INSB_IlSD_SE_SE_EEEEZNS1_13binary_searchIS3_S5_PtSG_SI_NS1_21lower_bound_search_opENS9_16wrapped_functionI11custom_lessbEEEE10hipError_tPvRmT1_T2_T3_mmT4_T5_P12ihipStream_tbEUlRKtE_EESP_ST_SU_mSV_SY_bEUlT_E_NS1_11comp_targetILNS1_3genE10ELNS1_11target_archE1200ELNS1_3gpuE4ELNS1_3repE0EEENS1_30default_config_static_selectorELNS0_4arch9wavefront6targetE1EEEvSS_.private_seg_size, 0
	.set _ZN7rocprim17ROCPRIM_400000_NS6detail17trampoline_kernelINS0_14default_configENS1_27lower_bound_config_selectorItlEEZNS1_14transform_implILb0ES3_S5_N6thrust23THRUST_200600_302600_NS6detail15normal_iteratorINS8_7pointerItNS8_11hip_rocprim5par_tENS8_11use_defaultESE_EEEENSA_INSB_IlSD_SE_SE_EEEEZNS1_13binary_searchIS3_S5_PtSG_SI_NS1_21lower_bound_search_opENS9_16wrapped_functionI11custom_lessbEEEE10hipError_tPvRmT1_T2_T3_mmT4_T5_P12ihipStream_tbEUlRKtE_EESP_ST_SU_mSV_SY_bEUlT_E_NS1_11comp_targetILNS1_3genE10ELNS1_11target_archE1200ELNS1_3gpuE4ELNS1_3repE0EEENS1_30default_config_static_selectorELNS0_4arch9wavefront6targetE1EEEvSS_.uses_vcc, 0
	.set _ZN7rocprim17ROCPRIM_400000_NS6detail17trampoline_kernelINS0_14default_configENS1_27lower_bound_config_selectorItlEEZNS1_14transform_implILb0ES3_S5_N6thrust23THRUST_200600_302600_NS6detail15normal_iteratorINS8_7pointerItNS8_11hip_rocprim5par_tENS8_11use_defaultESE_EEEENSA_INSB_IlSD_SE_SE_EEEEZNS1_13binary_searchIS3_S5_PtSG_SI_NS1_21lower_bound_search_opENS9_16wrapped_functionI11custom_lessbEEEE10hipError_tPvRmT1_T2_T3_mmT4_T5_P12ihipStream_tbEUlRKtE_EESP_ST_SU_mSV_SY_bEUlT_E_NS1_11comp_targetILNS1_3genE10ELNS1_11target_archE1200ELNS1_3gpuE4ELNS1_3repE0EEENS1_30default_config_static_selectorELNS0_4arch9wavefront6targetE1EEEvSS_.uses_flat_scratch, 0
	.set _ZN7rocprim17ROCPRIM_400000_NS6detail17trampoline_kernelINS0_14default_configENS1_27lower_bound_config_selectorItlEEZNS1_14transform_implILb0ES3_S5_N6thrust23THRUST_200600_302600_NS6detail15normal_iteratorINS8_7pointerItNS8_11hip_rocprim5par_tENS8_11use_defaultESE_EEEENSA_INSB_IlSD_SE_SE_EEEEZNS1_13binary_searchIS3_S5_PtSG_SI_NS1_21lower_bound_search_opENS9_16wrapped_functionI11custom_lessbEEEE10hipError_tPvRmT1_T2_T3_mmT4_T5_P12ihipStream_tbEUlRKtE_EESP_ST_SU_mSV_SY_bEUlT_E_NS1_11comp_targetILNS1_3genE10ELNS1_11target_archE1200ELNS1_3gpuE4ELNS1_3repE0EEENS1_30default_config_static_selectorELNS0_4arch9wavefront6targetE1EEEvSS_.has_dyn_sized_stack, 0
	.set _ZN7rocprim17ROCPRIM_400000_NS6detail17trampoline_kernelINS0_14default_configENS1_27lower_bound_config_selectorItlEEZNS1_14transform_implILb0ES3_S5_N6thrust23THRUST_200600_302600_NS6detail15normal_iteratorINS8_7pointerItNS8_11hip_rocprim5par_tENS8_11use_defaultESE_EEEENSA_INSB_IlSD_SE_SE_EEEEZNS1_13binary_searchIS3_S5_PtSG_SI_NS1_21lower_bound_search_opENS9_16wrapped_functionI11custom_lessbEEEE10hipError_tPvRmT1_T2_T3_mmT4_T5_P12ihipStream_tbEUlRKtE_EESP_ST_SU_mSV_SY_bEUlT_E_NS1_11comp_targetILNS1_3genE10ELNS1_11target_archE1200ELNS1_3gpuE4ELNS1_3repE0EEENS1_30default_config_static_selectorELNS0_4arch9wavefront6targetE1EEEvSS_.has_recursion, 0
	.set _ZN7rocprim17ROCPRIM_400000_NS6detail17trampoline_kernelINS0_14default_configENS1_27lower_bound_config_selectorItlEEZNS1_14transform_implILb0ES3_S5_N6thrust23THRUST_200600_302600_NS6detail15normal_iteratorINS8_7pointerItNS8_11hip_rocprim5par_tENS8_11use_defaultESE_EEEENSA_INSB_IlSD_SE_SE_EEEEZNS1_13binary_searchIS3_S5_PtSG_SI_NS1_21lower_bound_search_opENS9_16wrapped_functionI11custom_lessbEEEE10hipError_tPvRmT1_T2_T3_mmT4_T5_P12ihipStream_tbEUlRKtE_EESP_ST_SU_mSV_SY_bEUlT_E_NS1_11comp_targetILNS1_3genE10ELNS1_11target_archE1200ELNS1_3gpuE4ELNS1_3repE0EEENS1_30default_config_static_selectorELNS0_4arch9wavefront6targetE1EEEvSS_.has_indirect_call, 0
	.section	.AMDGPU.csdata,"",@progbits
; Kernel info:
; codeLenInByte = 0
; TotalNumSgprs: 4
; NumVgprs: 0
; ScratchSize: 0
; MemoryBound: 0
; FloatMode: 240
; IeeeMode: 1
; LDSByteSize: 0 bytes/workgroup (compile time only)
; SGPRBlocks: 0
; VGPRBlocks: 0
; NumSGPRsForWavesPerEU: 4
; NumVGPRsForWavesPerEU: 1
; Occupancy: 10
; WaveLimiterHint : 0
; COMPUTE_PGM_RSRC2:SCRATCH_EN: 0
; COMPUTE_PGM_RSRC2:USER_SGPR: 6
; COMPUTE_PGM_RSRC2:TRAP_HANDLER: 0
; COMPUTE_PGM_RSRC2:TGID_X_EN: 1
; COMPUTE_PGM_RSRC2:TGID_Y_EN: 0
; COMPUTE_PGM_RSRC2:TGID_Z_EN: 0
; COMPUTE_PGM_RSRC2:TIDIG_COMP_CNT: 0
	.section	.text._ZN7rocprim17ROCPRIM_400000_NS6detail17trampoline_kernelINS0_14default_configENS1_27lower_bound_config_selectorItlEEZNS1_14transform_implILb0ES3_S5_N6thrust23THRUST_200600_302600_NS6detail15normal_iteratorINS8_7pointerItNS8_11hip_rocprim5par_tENS8_11use_defaultESE_EEEENSA_INSB_IlSD_SE_SE_EEEEZNS1_13binary_searchIS3_S5_PtSG_SI_NS1_21lower_bound_search_opENS9_16wrapped_functionI11custom_lessbEEEE10hipError_tPvRmT1_T2_T3_mmT4_T5_P12ihipStream_tbEUlRKtE_EESP_ST_SU_mSV_SY_bEUlT_E_NS1_11comp_targetILNS1_3genE9ELNS1_11target_archE1100ELNS1_3gpuE3ELNS1_3repE0EEENS1_30default_config_static_selectorELNS0_4arch9wavefront6targetE1EEEvSS_,"axG",@progbits,_ZN7rocprim17ROCPRIM_400000_NS6detail17trampoline_kernelINS0_14default_configENS1_27lower_bound_config_selectorItlEEZNS1_14transform_implILb0ES3_S5_N6thrust23THRUST_200600_302600_NS6detail15normal_iteratorINS8_7pointerItNS8_11hip_rocprim5par_tENS8_11use_defaultESE_EEEENSA_INSB_IlSD_SE_SE_EEEEZNS1_13binary_searchIS3_S5_PtSG_SI_NS1_21lower_bound_search_opENS9_16wrapped_functionI11custom_lessbEEEE10hipError_tPvRmT1_T2_T3_mmT4_T5_P12ihipStream_tbEUlRKtE_EESP_ST_SU_mSV_SY_bEUlT_E_NS1_11comp_targetILNS1_3genE9ELNS1_11target_archE1100ELNS1_3gpuE3ELNS1_3repE0EEENS1_30default_config_static_selectorELNS0_4arch9wavefront6targetE1EEEvSS_,comdat
	.protected	_ZN7rocprim17ROCPRIM_400000_NS6detail17trampoline_kernelINS0_14default_configENS1_27lower_bound_config_selectorItlEEZNS1_14transform_implILb0ES3_S5_N6thrust23THRUST_200600_302600_NS6detail15normal_iteratorINS8_7pointerItNS8_11hip_rocprim5par_tENS8_11use_defaultESE_EEEENSA_INSB_IlSD_SE_SE_EEEEZNS1_13binary_searchIS3_S5_PtSG_SI_NS1_21lower_bound_search_opENS9_16wrapped_functionI11custom_lessbEEEE10hipError_tPvRmT1_T2_T3_mmT4_T5_P12ihipStream_tbEUlRKtE_EESP_ST_SU_mSV_SY_bEUlT_E_NS1_11comp_targetILNS1_3genE9ELNS1_11target_archE1100ELNS1_3gpuE3ELNS1_3repE0EEENS1_30default_config_static_selectorELNS0_4arch9wavefront6targetE1EEEvSS_ ; -- Begin function _ZN7rocprim17ROCPRIM_400000_NS6detail17trampoline_kernelINS0_14default_configENS1_27lower_bound_config_selectorItlEEZNS1_14transform_implILb0ES3_S5_N6thrust23THRUST_200600_302600_NS6detail15normal_iteratorINS8_7pointerItNS8_11hip_rocprim5par_tENS8_11use_defaultESE_EEEENSA_INSB_IlSD_SE_SE_EEEEZNS1_13binary_searchIS3_S5_PtSG_SI_NS1_21lower_bound_search_opENS9_16wrapped_functionI11custom_lessbEEEE10hipError_tPvRmT1_T2_T3_mmT4_T5_P12ihipStream_tbEUlRKtE_EESP_ST_SU_mSV_SY_bEUlT_E_NS1_11comp_targetILNS1_3genE9ELNS1_11target_archE1100ELNS1_3gpuE3ELNS1_3repE0EEENS1_30default_config_static_selectorELNS0_4arch9wavefront6targetE1EEEvSS_
	.globl	_ZN7rocprim17ROCPRIM_400000_NS6detail17trampoline_kernelINS0_14default_configENS1_27lower_bound_config_selectorItlEEZNS1_14transform_implILb0ES3_S5_N6thrust23THRUST_200600_302600_NS6detail15normal_iteratorINS8_7pointerItNS8_11hip_rocprim5par_tENS8_11use_defaultESE_EEEENSA_INSB_IlSD_SE_SE_EEEEZNS1_13binary_searchIS3_S5_PtSG_SI_NS1_21lower_bound_search_opENS9_16wrapped_functionI11custom_lessbEEEE10hipError_tPvRmT1_T2_T3_mmT4_T5_P12ihipStream_tbEUlRKtE_EESP_ST_SU_mSV_SY_bEUlT_E_NS1_11comp_targetILNS1_3genE9ELNS1_11target_archE1100ELNS1_3gpuE3ELNS1_3repE0EEENS1_30default_config_static_selectorELNS0_4arch9wavefront6targetE1EEEvSS_
	.p2align	8
	.type	_ZN7rocprim17ROCPRIM_400000_NS6detail17trampoline_kernelINS0_14default_configENS1_27lower_bound_config_selectorItlEEZNS1_14transform_implILb0ES3_S5_N6thrust23THRUST_200600_302600_NS6detail15normal_iteratorINS8_7pointerItNS8_11hip_rocprim5par_tENS8_11use_defaultESE_EEEENSA_INSB_IlSD_SE_SE_EEEEZNS1_13binary_searchIS3_S5_PtSG_SI_NS1_21lower_bound_search_opENS9_16wrapped_functionI11custom_lessbEEEE10hipError_tPvRmT1_T2_T3_mmT4_T5_P12ihipStream_tbEUlRKtE_EESP_ST_SU_mSV_SY_bEUlT_E_NS1_11comp_targetILNS1_3genE9ELNS1_11target_archE1100ELNS1_3gpuE3ELNS1_3repE0EEENS1_30default_config_static_selectorELNS0_4arch9wavefront6targetE1EEEvSS_,@function
_ZN7rocprim17ROCPRIM_400000_NS6detail17trampoline_kernelINS0_14default_configENS1_27lower_bound_config_selectorItlEEZNS1_14transform_implILb0ES3_S5_N6thrust23THRUST_200600_302600_NS6detail15normal_iteratorINS8_7pointerItNS8_11hip_rocprim5par_tENS8_11use_defaultESE_EEEENSA_INSB_IlSD_SE_SE_EEEEZNS1_13binary_searchIS3_S5_PtSG_SI_NS1_21lower_bound_search_opENS9_16wrapped_functionI11custom_lessbEEEE10hipError_tPvRmT1_T2_T3_mmT4_T5_P12ihipStream_tbEUlRKtE_EESP_ST_SU_mSV_SY_bEUlT_E_NS1_11comp_targetILNS1_3genE9ELNS1_11target_archE1100ELNS1_3gpuE3ELNS1_3repE0EEENS1_30default_config_static_selectorELNS0_4arch9wavefront6targetE1EEEvSS_: ; @_ZN7rocprim17ROCPRIM_400000_NS6detail17trampoline_kernelINS0_14default_configENS1_27lower_bound_config_selectorItlEEZNS1_14transform_implILb0ES3_S5_N6thrust23THRUST_200600_302600_NS6detail15normal_iteratorINS8_7pointerItNS8_11hip_rocprim5par_tENS8_11use_defaultESE_EEEENSA_INSB_IlSD_SE_SE_EEEEZNS1_13binary_searchIS3_S5_PtSG_SI_NS1_21lower_bound_search_opENS9_16wrapped_functionI11custom_lessbEEEE10hipError_tPvRmT1_T2_T3_mmT4_T5_P12ihipStream_tbEUlRKtE_EESP_ST_SU_mSV_SY_bEUlT_E_NS1_11comp_targetILNS1_3genE9ELNS1_11target_archE1100ELNS1_3gpuE3ELNS1_3repE0EEENS1_30default_config_static_selectorELNS0_4arch9wavefront6targetE1EEEvSS_
; %bb.0:
	.section	.rodata,"a",@progbits
	.p2align	6, 0x0
	.amdhsa_kernel _ZN7rocprim17ROCPRIM_400000_NS6detail17trampoline_kernelINS0_14default_configENS1_27lower_bound_config_selectorItlEEZNS1_14transform_implILb0ES3_S5_N6thrust23THRUST_200600_302600_NS6detail15normal_iteratorINS8_7pointerItNS8_11hip_rocprim5par_tENS8_11use_defaultESE_EEEENSA_INSB_IlSD_SE_SE_EEEEZNS1_13binary_searchIS3_S5_PtSG_SI_NS1_21lower_bound_search_opENS9_16wrapped_functionI11custom_lessbEEEE10hipError_tPvRmT1_T2_T3_mmT4_T5_P12ihipStream_tbEUlRKtE_EESP_ST_SU_mSV_SY_bEUlT_E_NS1_11comp_targetILNS1_3genE9ELNS1_11target_archE1100ELNS1_3gpuE3ELNS1_3repE0EEENS1_30default_config_static_selectorELNS0_4arch9wavefront6targetE1EEEvSS_
		.amdhsa_group_segment_fixed_size 0
		.amdhsa_private_segment_fixed_size 0
		.amdhsa_kernarg_size 56
		.amdhsa_user_sgpr_count 6
		.amdhsa_user_sgpr_private_segment_buffer 1
		.amdhsa_user_sgpr_dispatch_ptr 0
		.amdhsa_user_sgpr_queue_ptr 0
		.amdhsa_user_sgpr_kernarg_segment_ptr 1
		.amdhsa_user_sgpr_dispatch_id 0
		.amdhsa_user_sgpr_flat_scratch_init 0
		.amdhsa_user_sgpr_private_segment_size 0
		.amdhsa_uses_dynamic_stack 0
		.amdhsa_system_sgpr_private_segment_wavefront_offset 0
		.amdhsa_system_sgpr_workgroup_id_x 1
		.amdhsa_system_sgpr_workgroup_id_y 0
		.amdhsa_system_sgpr_workgroup_id_z 0
		.amdhsa_system_sgpr_workgroup_info 0
		.amdhsa_system_vgpr_workitem_id 0
		.amdhsa_next_free_vgpr 1
		.amdhsa_next_free_sgpr 0
		.amdhsa_reserve_vcc 0
		.amdhsa_reserve_flat_scratch 0
		.amdhsa_float_round_mode_32 0
		.amdhsa_float_round_mode_16_64 0
		.amdhsa_float_denorm_mode_32 3
		.amdhsa_float_denorm_mode_16_64 3
		.amdhsa_dx10_clamp 1
		.amdhsa_ieee_mode 1
		.amdhsa_fp16_overflow 0
		.amdhsa_exception_fp_ieee_invalid_op 0
		.amdhsa_exception_fp_denorm_src 0
		.amdhsa_exception_fp_ieee_div_zero 0
		.amdhsa_exception_fp_ieee_overflow 0
		.amdhsa_exception_fp_ieee_underflow 0
		.amdhsa_exception_fp_ieee_inexact 0
		.amdhsa_exception_int_div_zero 0
	.end_amdhsa_kernel
	.section	.text._ZN7rocprim17ROCPRIM_400000_NS6detail17trampoline_kernelINS0_14default_configENS1_27lower_bound_config_selectorItlEEZNS1_14transform_implILb0ES3_S5_N6thrust23THRUST_200600_302600_NS6detail15normal_iteratorINS8_7pointerItNS8_11hip_rocprim5par_tENS8_11use_defaultESE_EEEENSA_INSB_IlSD_SE_SE_EEEEZNS1_13binary_searchIS3_S5_PtSG_SI_NS1_21lower_bound_search_opENS9_16wrapped_functionI11custom_lessbEEEE10hipError_tPvRmT1_T2_T3_mmT4_T5_P12ihipStream_tbEUlRKtE_EESP_ST_SU_mSV_SY_bEUlT_E_NS1_11comp_targetILNS1_3genE9ELNS1_11target_archE1100ELNS1_3gpuE3ELNS1_3repE0EEENS1_30default_config_static_selectorELNS0_4arch9wavefront6targetE1EEEvSS_,"axG",@progbits,_ZN7rocprim17ROCPRIM_400000_NS6detail17trampoline_kernelINS0_14default_configENS1_27lower_bound_config_selectorItlEEZNS1_14transform_implILb0ES3_S5_N6thrust23THRUST_200600_302600_NS6detail15normal_iteratorINS8_7pointerItNS8_11hip_rocprim5par_tENS8_11use_defaultESE_EEEENSA_INSB_IlSD_SE_SE_EEEEZNS1_13binary_searchIS3_S5_PtSG_SI_NS1_21lower_bound_search_opENS9_16wrapped_functionI11custom_lessbEEEE10hipError_tPvRmT1_T2_T3_mmT4_T5_P12ihipStream_tbEUlRKtE_EESP_ST_SU_mSV_SY_bEUlT_E_NS1_11comp_targetILNS1_3genE9ELNS1_11target_archE1100ELNS1_3gpuE3ELNS1_3repE0EEENS1_30default_config_static_selectorELNS0_4arch9wavefront6targetE1EEEvSS_,comdat
.Lfunc_end91:
	.size	_ZN7rocprim17ROCPRIM_400000_NS6detail17trampoline_kernelINS0_14default_configENS1_27lower_bound_config_selectorItlEEZNS1_14transform_implILb0ES3_S5_N6thrust23THRUST_200600_302600_NS6detail15normal_iteratorINS8_7pointerItNS8_11hip_rocprim5par_tENS8_11use_defaultESE_EEEENSA_INSB_IlSD_SE_SE_EEEEZNS1_13binary_searchIS3_S5_PtSG_SI_NS1_21lower_bound_search_opENS9_16wrapped_functionI11custom_lessbEEEE10hipError_tPvRmT1_T2_T3_mmT4_T5_P12ihipStream_tbEUlRKtE_EESP_ST_SU_mSV_SY_bEUlT_E_NS1_11comp_targetILNS1_3genE9ELNS1_11target_archE1100ELNS1_3gpuE3ELNS1_3repE0EEENS1_30default_config_static_selectorELNS0_4arch9wavefront6targetE1EEEvSS_, .Lfunc_end91-_ZN7rocprim17ROCPRIM_400000_NS6detail17trampoline_kernelINS0_14default_configENS1_27lower_bound_config_selectorItlEEZNS1_14transform_implILb0ES3_S5_N6thrust23THRUST_200600_302600_NS6detail15normal_iteratorINS8_7pointerItNS8_11hip_rocprim5par_tENS8_11use_defaultESE_EEEENSA_INSB_IlSD_SE_SE_EEEEZNS1_13binary_searchIS3_S5_PtSG_SI_NS1_21lower_bound_search_opENS9_16wrapped_functionI11custom_lessbEEEE10hipError_tPvRmT1_T2_T3_mmT4_T5_P12ihipStream_tbEUlRKtE_EESP_ST_SU_mSV_SY_bEUlT_E_NS1_11comp_targetILNS1_3genE9ELNS1_11target_archE1100ELNS1_3gpuE3ELNS1_3repE0EEENS1_30default_config_static_selectorELNS0_4arch9wavefront6targetE1EEEvSS_
                                        ; -- End function
	.set _ZN7rocprim17ROCPRIM_400000_NS6detail17trampoline_kernelINS0_14default_configENS1_27lower_bound_config_selectorItlEEZNS1_14transform_implILb0ES3_S5_N6thrust23THRUST_200600_302600_NS6detail15normal_iteratorINS8_7pointerItNS8_11hip_rocprim5par_tENS8_11use_defaultESE_EEEENSA_INSB_IlSD_SE_SE_EEEEZNS1_13binary_searchIS3_S5_PtSG_SI_NS1_21lower_bound_search_opENS9_16wrapped_functionI11custom_lessbEEEE10hipError_tPvRmT1_T2_T3_mmT4_T5_P12ihipStream_tbEUlRKtE_EESP_ST_SU_mSV_SY_bEUlT_E_NS1_11comp_targetILNS1_3genE9ELNS1_11target_archE1100ELNS1_3gpuE3ELNS1_3repE0EEENS1_30default_config_static_selectorELNS0_4arch9wavefront6targetE1EEEvSS_.num_vgpr, 0
	.set _ZN7rocprim17ROCPRIM_400000_NS6detail17trampoline_kernelINS0_14default_configENS1_27lower_bound_config_selectorItlEEZNS1_14transform_implILb0ES3_S5_N6thrust23THRUST_200600_302600_NS6detail15normal_iteratorINS8_7pointerItNS8_11hip_rocprim5par_tENS8_11use_defaultESE_EEEENSA_INSB_IlSD_SE_SE_EEEEZNS1_13binary_searchIS3_S5_PtSG_SI_NS1_21lower_bound_search_opENS9_16wrapped_functionI11custom_lessbEEEE10hipError_tPvRmT1_T2_T3_mmT4_T5_P12ihipStream_tbEUlRKtE_EESP_ST_SU_mSV_SY_bEUlT_E_NS1_11comp_targetILNS1_3genE9ELNS1_11target_archE1100ELNS1_3gpuE3ELNS1_3repE0EEENS1_30default_config_static_selectorELNS0_4arch9wavefront6targetE1EEEvSS_.num_agpr, 0
	.set _ZN7rocprim17ROCPRIM_400000_NS6detail17trampoline_kernelINS0_14default_configENS1_27lower_bound_config_selectorItlEEZNS1_14transform_implILb0ES3_S5_N6thrust23THRUST_200600_302600_NS6detail15normal_iteratorINS8_7pointerItNS8_11hip_rocprim5par_tENS8_11use_defaultESE_EEEENSA_INSB_IlSD_SE_SE_EEEEZNS1_13binary_searchIS3_S5_PtSG_SI_NS1_21lower_bound_search_opENS9_16wrapped_functionI11custom_lessbEEEE10hipError_tPvRmT1_T2_T3_mmT4_T5_P12ihipStream_tbEUlRKtE_EESP_ST_SU_mSV_SY_bEUlT_E_NS1_11comp_targetILNS1_3genE9ELNS1_11target_archE1100ELNS1_3gpuE3ELNS1_3repE0EEENS1_30default_config_static_selectorELNS0_4arch9wavefront6targetE1EEEvSS_.numbered_sgpr, 0
	.set _ZN7rocprim17ROCPRIM_400000_NS6detail17trampoline_kernelINS0_14default_configENS1_27lower_bound_config_selectorItlEEZNS1_14transform_implILb0ES3_S5_N6thrust23THRUST_200600_302600_NS6detail15normal_iteratorINS8_7pointerItNS8_11hip_rocprim5par_tENS8_11use_defaultESE_EEEENSA_INSB_IlSD_SE_SE_EEEEZNS1_13binary_searchIS3_S5_PtSG_SI_NS1_21lower_bound_search_opENS9_16wrapped_functionI11custom_lessbEEEE10hipError_tPvRmT1_T2_T3_mmT4_T5_P12ihipStream_tbEUlRKtE_EESP_ST_SU_mSV_SY_bEUlT_E_NS1_11comp_targetILNS1_3genE9ELNS1_11target_archE1100ELNS1_3gpuE3ELNS1_3repE0EEENS1_30default_config_static_selectorELNS0_4arch9wavefront6targetE1EEEvSS_.num_named_barrier, 0
	.set _ZN7rocprim17ROCPRIM_400000_NS6detail17trampoline_kernelINS0_14default_configENS1_27lower_bound_config_selectorItlEEZNS1_14transform_implILb0ES3_S5_N6thrust23THRUST_200600_302600_NS6detail15normal_iteratorINS8_7pointerItNS8_11hip_rocprim5par_tENS8_11use_defaultESE_EEEENSA_INSB_IlSD_SE_SE_EEEEZNS1_13binary_searchIS3_S5_PtSG_SI_NS1_21lower_bound_search_opENS9_16wrapped_functionI11custom_lessbEEEE10hipError_tPvRmT1_T2_T3_mmT4_T5_P12ihipStream_tbEUlRKtE_EESP_ST_SU_mSV_SY_bEUlT_E_NS1_11comp_targetILNS1_3genE9ELNS1_11target_archE1100ELNS1_3gpuE3ELNS1_3repE0EEENS1_30default_config_static_selectorELNS0_4arch9wavefront6targetE1EEEvSS_.private_seg_size, 0
	.set _ZN7rocprim17ROCPRIM_400000_NS6detail17trampoline_kernelINS0_14default_configENS1_27lower_bound_config_selectorItlEEZNS1_14transform_implILb0ES3_S5_N6thrust23THRUST_200600_302600_NS6detail15normal_iteratorINS8_7pointerItNS8_11hip_rocprim5par_tENS8_11use_defaultESE_EEEENSA_INSB_IlSD_SE_SE_EEEEZNS1_13binary_searchIS3_S5_PtSG_SI_NS1_21lower_bound_search_opENS9_16wrapped_functionI11custom_lessbEEEE10hipError_tPvRmT1_T2_T3_mmT4_T5_P12ihipStream_tbEUlRKtE_EESP_ST_SU_mSV_SY_bEUlT_E_NS1_11comp_targetILNS1_3genE9ELNS1_11target_archE1100ELNS1_3gpuE3ELNS1_3repE0EEENS1_30default_config_static_selectorELNS0_4arch9wavefront6targetE1EEEvSS_.uses_vcc, 0
	.set _ZN7rocprim17ROCPRIM_400000_NS6detail17trampoline_kernelINS0_14default_configENS1_27lower_bound_config_selectorItlEEZNS1_14transform_implILb0ES3_S5_N6thrust23THRUST_200600_302600_NS6detail15normal_iteratorINS8_7pointerItNS8_11hip_rocprim5par_tENS8_11use_defaultESE_EEEENSA_INSB_IlSD_SE_SE_EEEEZNS1_13binary_searchIS3_S5_PtSG_SI_NS1_21lower_bound_search_opENS9_16wrapped_functionI11custom_lessbEEEE10hipError_tPvRmT1_T2_T3_mmT4_T5_P12ihipStream_tbEUlRKtE_EESP_ST_SU_mSV_SY_bEUlT_E_NS1_11comp_targetILNS1_3genE9ELNS1_11target_archE1100ELNS1_3gpuE3ELNS1_3repE0EEENS1_30default_config_static_selectorELNS0_4arch9wavefront6targetE1EEEvSS_.uses_flat_scratch, 0
	.set _ZN7rocprim17ROCPRIM_400000_NS6detail17trampoline_kernelINS0_14default_configENS1_27lower_bound_config_selectorItlEEZNS1_14transform_implILb0ES3_S5_N6thrust23THRUST_200600_302600_NS6detail15normal_iteratorINS8_7pointerItNS8_11hip_rocprim5par_tENS8_11use_defaultESE_EEEENSA_INSB_IlSD_SE_SE_EEEEZNS1_13binary_searchIS3_S5_PtSG_SI_NS1_21lower_bound_search_opENS9_16wrapped_functionI11custom_lessbEEEE10hipError_tPvRmT1_T2_T3_mmT4_T5_P12ihipStream_tbEUlRKtE_EESP_ST_SU_mSV_SY_bEUlT_E_NS1_11comp_targetILNS1_3genE9ELNS1_11target_archE1100ELNS1_3gpuE3ELNS1_3repE0EEENS1_30default_config_static_selectorELNS0_4arch9wavefront6targetE1EEEvSS_.has_dyn_sized_stack, 0
	.set _ZN7rocprim17ROCPRIM_400000_NS6detail17trampoline_kernelINS0_14default_configENS1_27lower_bound_config_selectorItlEEZNS1_14transform_implILb0ES3_S5_N6thrust23THRUST_200600_302600_NS6detail15normal_iteratorINS8_7pointerItNS8_11hip_rocprim5par_tENS8_11use_defaultESE_EEEENSA_INSB_IlSD_SE_SE_EEEEZNS1_13binary_searchIS3_S5_PtSG_SI_NS1_21lower_bound_search_opENS9_16wrapped_functionI11custom_lessbEEEE10hipError_tPvRmT1_T2_T3_mmT4_T5_P12ihipStream_tbEUlRKtE_EESP_ST_SU_mSV_SY_bEUlT_E_NS1_11comp_targetILNS1_3genE9ELNS1_11target_archE1100ELNS1_3gpuE3ELNS1_3repE0EEENS1_30default_config_static_selectorELNS0_4arch9wavefront6targetE1EEEvSS_.has_recursion, 0
	.set _ZN7rocprim17ROCPRIM_400000_NS6detail17trampoline_kernelINS0_14default_configENS1_27lower_bound_config_selectorItlEEZNS1_14transform_implILb0ES3_S5_N6thrust23THRUST_200600_302600_NS6detail15normal_iteratorINS8_7pointerItNS8_11hip_rocprim5par_tENS8_11use_defaultESE_EEEENSA_INSB_IlSD_SE_SE_EEEEZNS1_13binary_searchIS3_S5_PtSG_SI_NS1_21lower_bound_search_opENS9_16wrapped_functionI11custom_lessbEEEE10hipError_tPvRmT1_T2_T3_mmT4_T5_P12ihipStream_tbEUlRKtE_EESP_ST_SU_mSV_SY_bEUlT_E_NS1_11comp_targetILNS1_3genE9ELNS1_11target_archE1100ELNS1_3gpuE3ELNS1_3repE0EEENS1_30default_config_static_selectorELNS0_4arch9wavefront6targetE1EEEvSS_.has_indirect_call, 0
	.section	.AMDGPU.csdata,"",@progbits
; Kernel info:
; codeLenInByte = 0
; TotalNumSgprs: 4
; NumVgprs: 0
; ScratchSize: 0
; MemoryBound: 0
; FloatMode: 240
; IeeeMode: 1
; LDSByteSize: 0 bytes/workgroup (compile time only)
; SGPRBlocks: 0
; VGPRBlocks: 0
; NumSGPRsForWavesPerEU: 4
; NumVGPRsForWavesPerEU: 1
; Occupancy: 10
; WaveLimiterHint : 0
; COMPUTE_PGM_RSRC2:SCRATCH_EN: 0
; COMPUTE_PGM_RSRC2:USER_SGPR: 6
; COMPUTE_PGM_RSRC2:TRAP_HANDLER: 0
; COMPUTE_PGM_RSRC2:TGID_X_EN: 1
; COMPUTE_PGM_RSRC2:TGID_Y_EN: 0
; COMPUTE_PGM_RSRC2:TGID_Z_EN: 0
; COMPUTE_PGM_RSRC2:TIDIG_COMP_CNT: 0
	.section	.text._ZN7rocprim17ROCPRIM_400000_NS6detail17trampoline_kernelINS0_14default_configENS1_27lower_bound_config_selectorItlEEZNS1_14transform_implILb0ES3_S5_N6thrust23THRUST_200600_302600_NS6detail15normal_iteratorINS8_7pointerItNS8_11hip_rocprim5par_tENS8_11use_defaultESE_EEEENSA_INSB_IlSD_SE_SE_EEEEZNS1_13binary_searchIS3_S5_PtSG_SI_NS1_21lower_bound_search_opENS9_16wrapped_functionI11custom_lessbEEEE10hipError_tPvRmT1_T2_T3_mmT4_T5_P12ihipStream_tbEUlRKtE_EESP_ST_SU_mSV_SY_bEUlT_E_NS1_11comp_targetILNS1_3genE8ELNS1_11target_archE1030ELNS1_3gpuE2ELNS1_3repE0EEENS1_30default_config_static_selectorELNS0_4arch9wavefront6targetE1EEEvSS_,"axG",@progbits,_ZN7rocprim17ROCPRIM_400000_NS6detail17trampoline_kernelINS0_14default_configENS1_27lower_bound_config_selectorItlEEZNS1_14transform_implILb0ES3_S5_N6thrust23THRUST_200600_302600_NS6detail15normal_iteratorINS8_7pointerItNS8_11hip_rocprim5par_tENS8_11use_defaultESE_EEEENSA_INSB_IlSD_SE_SE_EEEEZNS1_13binary_searchIS3_S5_PtSG_SI_NS1_21lower_bound_search_opENS9_16wrapped_functionI11custom_lessbEEEE10hipError_tPvRmT1_T2_T3_mmT4_T5_P12ihipStream_tbEUlRKtE_EESP_ST_SU_mSV_SY_bEUlT_E_NS1_11comp_targetILNS1_3genE8ELNS1_11target_archE1030ELNS1_3gpuE2ELNS1_3repE0EEENS1_30default_config_static_selectorELNS0_4arch9wavefront6targetE1EEEvSS_,comdat
	.protected	_ZN7rocprim17ROCPRIM_400000_NS6detail17trampoline_kernelINS0_14default_configENS1_27lower_bound_config_selectorItlEEZNS1_14transform_implILb0ES3_S5_N6thrust23THRUST_200600_302600_NS6detail15normal_iteratorINS8_7pointerItNS8_11hip_rocprim5par_tENS8_11use_defaultESE_EEEENSA_INSB_IlSD_SE_SE_EEEEZNS1_13binary_searchIS3_S5_PtSG_SI_NS1_21lower_bound_search_opENS9_16wrapped_functionI11custom_lessbEEEE10hipError_tPvRmT1_T2_T3_mmT4_T5_P12ihipStream_tbEUlRKtE_EESP_ST_SU_mSV_SY_bEUlT_E_NS1_11comp_targetILNS1_3genE8ELNS1_11target_archE1030ELNS1_3gpuE2ELNS1_3repE0EEENS1_30default_config_static_selectorELNS0_4arch9wavefront6targetE1EEEvSS_ ; -- Begin function _ZN7rocprim17ROCPRIM_400000_NS6detail17trampoline_kernelINS0_14default_configENS1_27lower_bound_config_selectorItlEEZNS1_14transform_implILb0ES3_S5_N6thrust23THRUST_200600_302600_NS6detail15normal_iteratorINS8_7pointerItNS8_11hip_rocprim5par_tENS8_11use_defaultESE_EEEENSA_INSB_IlSD_SE_SE_EEEEZNS1_13binary_searchIS3_S5_PtSG_SI_NS1_21lower_bound_search_opENS9_16wrapped_functionI11custom_lessbEEEE10hipError_tPvRmT1_T2_T3_mmT4_T5_P12ihipStream_tbEUlRKtE_EESP_ST_SU_mSV_SY_bEUlT_E_NS1_11comp_targetILNS1_3genE8ELNS1_11target_archE1030ELNS1_3gpuE2ELNS1_3repE0EEENS1_30default_config_static_selectorELNS0_4arch9wavefront6targetE1EEEvSS_
	.globl	_ZN7rocprim17ROCPRIM_400000_NS6detail17trampoline_kernelINS0_14default_configENS1_27lower_bound_config_selectorItlEEZNS1_14transform_implILb0ES3_S5_N6thrust23THRUST_200600_302600_NS6detail15normal_iteratorINS8_7pointerItNS8_11hip_rocprim5par_tENS8_11use_defaultESE_EEEENSA_INSB_IlSD_SE_SE_EEEEZNS1_13binary_searchIS3_S5_PtSG_SI_NS1_21lower_bound_search_opENS9_16wrapped_functionI11custom_lessbEEEE10hipError_tPvRmT1_T2_T3_mmT4_T5_P12ihipStream_tbEUlRKtE_EESP_ST_SU_mSV_SY_bEUlT_E_NS1_11comp_targetILNS1_3genE8ELNS1_11target_archE1030ELNS1_3gpuE2ELNS1_3repE0EEENS1_30default_config_static_selectorELNS0_4arch9wavefront6targetE1EEEvSS_
	.p2align	8
	.type	_ZN7rocprim17ROCPRIM_400000_NS6detail17trampoline_kernelINS0_14default_configENS1_27lower_bound_config_selectorItlEEZNS1_14transform_implILb0ES3_S5_N6thrust23THRUST_200600_302600_NS6detail15normal_iteratorINS8_7pointerItNS8_11hip_rocprim5par_tENS8_11use_defaultESE_EEEENSA_INSB_IlSD_SE_SE_EEEEZNS1_13binary_searchIS3_S5_PtSG_SI_NS1_21lower_bound_search_opENS9_16wrapped_functionI11custom_lessbEEEE10hipError_tPvRmT1_T2_T3_mmT4_T5_P12ihipStream_tbEUlRKtE_EESP_ST_SU_mSV_SY_bEUlT_E_NS1_11comp_targetILNS1_3genE8ELNS1_11target_archE1030ELNS1_3gpuE2ELNS1_3repE0EEENS1_30default_config_static_selectorELNS0_4arch9wavefront6targetE1EEEvSS_,@function
_ZN7rocprim17ROCPRIM_400000_NS6detail17trampoline_kernelINS0_14default_configENS1_27lower_bound_config_selectorItlEEZNS1_14transform_implILb0ES3_S5_N6thrust23THRUST_200600_302600_NS6detail15normal_iteratorINS8_7pointerItNS8_11hip_rocprim5par_tENS8_11use_defaultESE_EEEENSA_INSB_IlSD_SE_SE_EEEEZNS1_13binary_searchIS3_S5_PtSG_SI_NS1_21lower_bound_search_opENS9_16wrapped_functionI11custom_lessbEEEE10hipError_tPvRmT1_T2_T3_mmT4_T5_P12ihipStream_tbEUlRKtE_EESP_ST_SU_mSV_SY_bEUlT_E_NS1_11comp_targetILNS1_3genE8ELNS1_11target_archE1030ELNS1_3gpuE2ELNS1_3repE0EEENS1_30default_config_static_selectorELNS0_4arch9wavefront6targetE1EEEvSS_: ; @_ZN7rocprim17ROCPRIM_400000_NS6detail17trampoline_kernelINS0_14default_configENS1_27lower_bound_config_selectorItlEEZNS1_14transform_implILb0ES3_S5_N6thrust23THRUST_200600_302600_NS6detail15normal_iteratorINS8_7pointerItNS8_11hip_rocprim5par_tENS8_11use_defaultESE_EEEENSA_INSB_IlSD_SE_SE_EEEEZNS1_13binary_searchIS3_S5_PtSG_SI_NS1_21lower_bound_search_opENS9_16wrapped_functionI11custom_lessbEEEE10hipError_tPvRmT1_T2_T3_mmT4_T5_P12ihipStream_tbEUlRKtE_EESP_ST_SU_mSV_SY_bEUlT_E_NS1_11comp_targetILNS1_3genE8ELNS1_11target_archE1030ELNS1_3gpuE2ELNS1_3repE0EEENS1_30default_config_static_selectorELNS0_4arch9wavefront6targetE1EEEvSS_
; %bb.0:
	.section	.rodata,"a",@progbits
	.p2align	6, 0x0
	.amdhsa_kernel _ZN7rocprim17ROCPRIM_400000_NS6detail17trampoline_kernelINS0_14default_configENS1_27lower_bound_config_selectorItlEEZNS1_14transform_implILb0ES3_S5_N6thrust23THRUST_200600_302600_NS6detail15normal_iteratorINS8_7pointerItNS8_11hip_rocprim5par_tENS8_11use_defaultESE_EEEENSA_INSB_IlSD_SE_SE_EEEEZNS1_13binary_searchIS3_S5_PtSG_SI_NS1_21lower_bound_search_opENS9_16wrapped_functionI11custom_lessbEEEE10hipError_tPvRmT1_T2_T3_mmT4_T5_P12ihipStream_tbEUlRKtE_EESP_ST_SU_mSV_SY_bEUlT_E_NS1_11comp_targetILNS1_3genE8ELNS1_11target_archE1030ELNS1_3gpuE2ELNS1_3repE0EEENS1_30default_config_static_selectorELNS0_4arch9wavefront6targetE1EEEvSS_
		.amdhsa_group_segment_fixed_size 0
		.amdhsa_private_segment_fixed_size 0
		.amdhsa_kernarg_size 56
		.amdhsa_user_sgpr_count 6
		.amdhsa_user_sgpr_private_segment_buffer 1
		.amdhsa_user_sgpr_dispatch_ptr 0
		.amdhsa_user_sgpr_queue_ptr 0
		.amdhsa_user_sgpr_kernarg_segment_ptr 1
		.amdhsa_user_sgpr_dispatch_id 0
		.amdhsa_user_sgpr_flat_scratch_init 0
		.amdhsa_user_sgpr_private_segment_size 0
		.amdhsa_uses_dynamic_stack 0
		.amdhsa_system_sgpr_private_segment_wavefront_offset 0
		.amdhsa_system_sgpr_workgroup_id_x 1
		.amdhsa_system_sgpr_workgroup_id_y 0
		.amdhsa_system_sgpr_workgroup_id_z 0
		.amdhsa_system_sgpr_workgroup_info 0
		.amdhsa_system_vgpr_workitem_id 0
		.amdhsa_next_free_vgpr 1
		.amdhsa_next_free_sgpr 0
		.amdhsa_reserve_vcc 0
		.amdhsa_reserve_flat_scratch 0
		.amdhsa_float_round_mode_32 0
		.amdhsa_float_round_mode_16_64 0
		.amdhsa_float_denorm_mode_32 3
		.amdhsa_float_denorm_mode_16_64 3
		.amdhsa_dx10_clamp 1
		.amdhsa_ieee_mode 1
		.amdhsa_fp16_overflow 0
		.amdhsa_exception_fp_ieee_invalid_op 0
		.amdhsa_exception_fp_denorm_src 0
		.amdhsa_exception_fp_ieee_div_zero 0
		.amdhsa_exception_fp_ieee_overflow 0
		.amdhsa_exception_fp_ieee_underflow 0
		.amdhsa_exception_fp_ieee_inexact 0
		.amdhsa_exception_int_div_zero 0
	.end_amdhsa_kernel
	.section	.text._ZN7rocprim17ROCPRIM_400000_NS6detail17trampoline_kernelINS0_14default_configENS1_27lower_bound_config_selectorItlEEZNS1_14transform_implILb0ES3_S5_N6thrust23THRUST_200600_302600_NS6detail15normal_iteratorINS8_7pointerItNS8_11hip_rocprim5par_tENS8_11use_defaultESE_EEEENSA_INSB_IlSD_SE_SE_EEEEZNS1_13binary_searchIS3_S5_PtSG_SI_NS1_21lower_bound_search_opENS9_16wrapped_functionI11custom_lessbEEEE10hipError_tPvRmT1_T2_T3_mmT4_T5_P12ihipStream_tbEUlRKtE_EESP_ST_SU_mSV_SY_bEUlT_E_NS1_11comp_targetILNS1_3genE8ELNS1_11target_archE1030ELNS1_3gpuE2ELNS1_3repE0EEENS1_30default_config_static_selectorELNS0_4arch9wavefront6targetE1EEEvSS_,"axG",@progbits,_ZN7rocprim17ROCPRIM_400000_NS6detail17trampoline_kernelINS0_14default_configENS1_27lower_bound_config_selectorItlEEZNS1_14transform_implILb0ES3_S5_N6thrust23THRUST_200600_302600_NS6detail15normal_iteratorINS8_7pointerItNS8_11hip_rocprim5par_tENS8_11use_defaultESE_EEEENSA_INSB_IlSD_SE_SE_EEEEZNS1_13binary_searchIS3_S5_PtSG_SI_NS1_21lower_bound_search_opENS9_16wrapped_functionI11custom_lessbEEEE10hipError_tPvRmT1_T2_T3_mmT4_T5_P12ihipStream_tbEUlRKtE_EESP_ST_SU_mSV_SY_bEUlT_E_NS1_11comp_targetILNS1_3genE8ELNS1_11target_archE1030ELNS1_3gpuE2ELNS1_3repE0EEENS1_30default_config_static_selectorELNS0_4arch9wavefront6targetE1EEEvSS_,comdat
.Lfunc_end92:
	.size	_ZN7rocprim17ROCPRIM_400000_NS6detail17trampoline_kernelINS0_14default_configENS1_27lower_bound_config_selectorItlEEZNS1_14transform_implILb0ES3_S5_N6thrust23THRUST_200600_302600_NS6detail15normal_iteratorINS8_7pointerItNS8_11hip_rocprim5par_tENS8_11use_defaultESE_EEEENSA_INSB_IlSD_SE_SE_EEEEZNS1_13binary_searchIS3_S5_PtSG_SI_NS1_21lower_bound_search_opENS9_16wrapped_functionI11custom_lessbEEEE10hipError_tPvRmT1_T2_T3_mmT4_T5_P12ihipStream_tbEUlRKtE_EESP_ST_SU_mSV_SY_bEUlT_E_NS1_11comp_targetILNS1_3genE8ELNS1_11target_archE1030ELNS1_3gpuE2ELNS1_3repE0EEENS1_30default_config_static_selectorELNS0_4arch9wavefront6targetE1EEEvSS_, .Lfunc_end92-_ZN7rocprim17ROCPRIM_400000_NS6detail17trampoline_kernelINS0_14default_configENS1_27lower_bound_config_selectorItlEEZNS1_14transform_implILb0ES3_S5_N6thrust23THRUST_200600_302600_NS6detail15normal_iteratorINS8_7pointerItNS8_11hip_rocprim5par_tENS8_11use_defaultESE_EEEENSA_INSB_IlSD_SE_SE_EEEEZNS1_13binary_searchIS3_S5_PtSG_SI_NS1_21lower_bound_search_opENS9_16wrapped_functionI11custom_lessbEEEE10hipError_tPvRmT1_T2_T3_mmT4_T5_P12ihipStream_tbEUlRKtE_EESP_ST_SU_mSV_SY_bEUlT_E_NS1_11comp_targetILNS1_3genE8ELNS1_11target_archE1030ELNS1_3gpuE2ELNS1_3repE0EEENS1_30default_config_static_selectorELNS0_4arch9wavefront6targetE1EEEvSS_
                                        ; -- End function
	.set _ZN7rocprim17ROCPRIM_400000_NS6detail17trampoline_kernelINS0_14default_configENS1_27lower_bound_config_selectorItlEEZNS1_14transform_implILb0ES3_S5_N6thrust23THRUST_200600_302600_NS6detail15normal_iteratorINS8_7pointerItNS8_11hip_rocprim5par_tENS8_11use_defaultESE_EEEENSA_INSB_IlSD_SE_SE_EEEEZNS1_13binary_searchIS3_S5_PtSG_SI_NS1_21lower_bound_search_opENS9_16wrapped_functionI11custom_lessbEEEE10hipError_tPvRmT1_T2_T3_mmT4_T5_P12ihipStream_tbEUlRKtE_EESP_ST_SU_mSV_SY_bEUlT_E_NS1_11comp_targetILNS1_3genE8ELNS1_11target_archE1030ELNS1_3gpuE2ELNS1_3repE0EEENS1_30default_config_static_selectorELNS0_4arch9wavefront6targetE1EEEvSS_.num_vgpr, 0
	.set _ZN7rocprim17ROCPRIM_400000_NS6detail17trampoline_kernelINS0_14default_configENS1_27lower_bound_config_selectorItlEEZNS1_14transform_implILb0ES3_S5_N6thrust23THRUST_200600_302600_NS6detail15normal_iteratorINS8_7pointerItNS8_11hip_rocprim5par_tENS8_11use_defaultESE_EEEENSA_INSB_IlSD_SE_SE_EEEEZNS1_13binary_searchIS3_S5_PtSG_SI_NS1_21lower_bound_search_opENS9_16wrapped_functionI11custom_lessbEEEE10hipError_tPvRmT1_T2_T3_mmT4_T5_P12ihipStream_tbEUlRKtE_EESP_ST_SU_mSV_SY_bEUlT_E_NS1_11comp_targetILNS1_3genE8ELNS1_11target_archE1030ELNS1_3gpuE2ELNS1_3repE0EEENS1_30default_config_static_selectorELNS0_4arch9wavefront6targetE1EEEvSS_.num_agpr, 0
	.set _ZN7rocprim17ROCPRIM_400000_NS6detail17trampoline_kernelINS0_14default_configENS1_27lower_bound_config_selectorItlEEZNS1_14transform_implILb0ES3_S5_N6thrust23THRUST_200600_302600_NS6detail15normal_iteratorINS8_7pointerItNS8_11hip_rocprim5par_tENS8_11use_defaultESE_EEEENSA_INSB_IlSD_SE_SE_EEEEZNS1_13binary_searchIS3_S5_PtSG_SI_NS1_21lower_bound_search_opENS9_16wrapped_functionI11custom_lessbEEEE10hipError_tPvRmT1_T2_T3_mmT4_T5_P12ihipStream_tbEUlRKtE_EESP_ST_SU_mSV_SY_bEUlT_E_NS1_11comp_targetILNS1_3genE8ELNS1_11target_archE1030ELNS1_3gpuE2ELNS1_3repE0EEENS1_30default_config_static_selectorELNS0_4arch9wavefront6targetE1EEEvSS_.numbered_sgpr, 0
	.set _ZN7rocprim17ROCPRIM_400000_NS6detail17trampoline_kernelINS0_14default_configENS1_27lower_bound_config_selectorItlEEZNS1_14transform_implILb0ES3_S5_N6thrust23THRUST_200600_302600_NS6detail15normal_iteratorINS8_7pointerItNS8_11hip_rocprim5par_tENS8_11use_defaultESE_EEEENSA_INSB_IlSD_SE_SE_EEEEZNS1_13binary_searchIS3_S5_PtSG_SI_NS1_21lower_bound_search_opENS9_16wrapped_functionI11custom_lessbEEEE10hipError_tPvRmT1_T2_T3_mmT4_T5_P12ihipStream_tbEUlRKtE_EESP_ST_SU_mSV_SY_bEUlT_E_NS1_11comp_targetILNS1_3genE8ELNS1_11target_archE1030ELNS1_3gpuE2ELNS1_3repE0EEENS1_30default_config_static_selectorELNS0_4arch9wavefront6targetE1EEEvSS_.num_named_barrier, 0
	.set _ZN7rocprim17ROCPRIM_400000_NS6detail17trampoline_kernelINS0_14default_configENS1_27lower_bound_config_selectorItlEEZNS1_14transform_implILb0ES3_S5_N6thrust23THRUST_200600_302600_NS6detail15normal_iteratorINS8_7pointerItNS8_11hip_rocprim5par_tENS8_11use_defaultESE_EEEENSA_INSB_IlSD_SE_SE_EEEEZNS1_13binary_searchIS3_S5_PtSG_SI_NS1_21lower_bound_search_opENS9_16wrapped_functionI11custom_lessbEEEE10hipError_tPvRmT1_T2_T3_mmT4_T5_P12ihipStream_tbEUlRKtE_EESP_ST_SU_mSV_SY_bEUlT_E_NS1_11comp_targetILNS1_3genE8ELNS1_11target_archE1030ELNS1_3gpuE2ELNS1_3repE0EEENS1_30default_config_static_selectorELNS0_4arch9wavefront6targetE1EEEvSS_.private_seg_size, 0
	.set _ZN7rocprim17ROCPRIM_400000_NS6detail17trampoline_kernelINS0_14default_configENS1_27lower_bound_config_selectorItlEEZNS1_14transform_implILb0ES3_S5_N6thrust23THRUST_200600_302600_NS6detail15normal_iteratorINS8_7pointerItNS8_11hip_rocprim5par_tENS8_11use_defaultESE_EEEENSA_INSB_IlSD_SE_SE_EEEEZNS1_13binary_searchIS3_S5_PtSG_SI_NS1_21lower_bound_search_opENS9_16wrapped_functionI11custom_lessbEEEE10hipError_tPvRmT1_T2_T3_mmT4_T5_P12ihipStream_tbEUlRKtE_EESP_ST_SU_mSV_SY_bEUlT_E_NS1_11comp_targetILNS1_3genE8ELNS1_11target_archE1030ELNS1_3gpuE2ELNS1_3repE0EEENS1_30default_config_static_selectorELNS0_4arch9wavefront6targetE1EEEvSS_.uses_vcc, 0
	.set _ZN7rocprim17ROCPRIM_400000_NS6detail17trampoline_kernelINS0_14default_configENS1_27lower_bound_config_selectorItlEEZNS1_14transform_implILb0ES3_S5_N6thrust23THRUST_200600_302600_NS6detail15normal_iteratorINS8_7pointerItNS8_11hip_rocprim5par_tENS8_11use_defaultESE_EEEENSA_INSB_IlSD_SE_SE_EEEEZNS1_13binary_searchIS3_S5_PtSG_SI_NS1_21lower_bound_search_opENS9_16wrapped_functionI11custom_lessbEEEE10hipError_tPvRmT1_T2_T3_mmT4_T5_P12ihipStream_tbEUlRKtE_EESP_ST_SU_mSV_SY_bEUlT_E_NS1_11comp_targetILNS1_3genE8ELNS1_11target_archE1030ELNS1_3gpuE2ELNS1_3repE0EEENS1_30default_config_static_selectorELNS0_4arch9wavefront6targetE1EEEvSS_.uses_flat_scratch, 0
	.set _ZN7rocprim17ROCPRIM_400000_NS6detail17trampoline_kernelINS0_14default_configENS1_27lower_bound_config_selectorItlEEZNS1_14transform_implILb0ES3_S5_N6thrust23THRUST_200600_302600_NS6detail15normal_iteratorINS8_7pointerItNS8_11hip_rocprim5par_tENS8_11use_defaultESE_EEEENSA_INSB_IlSD_SE_SE_EEEEZNS1_13binary_searchIS3_S5_PtSG_SI_NS1_21lower_bound_search_opENS9_16wrapped_functionI11custom_lessbEEEE10hipError_tPvRmT1_T2_T3_mmT4_T5_P12ihipStream_tbEUlRKtE_EESP_ST_SU_mSV_SY_bEUlT_E_NS1_11comp_targetILNS1_3genE8ELNS1_11target_archE1030ELNS1_3gpuE2ELNS1_3repE0EEENS1_30default_config_static_selectorELNS0_4arch9wavefront6targetE1EEEvSS_.has_dyn_sized_stack, 0
	.set _ZN7rocprim17ROCPRIM_400000_NS6detail17trampoline_kernelINS0_14default_configENS1_27lower_bound_config_selectorItlEEZNS1_14transform_implILb0ES3_S5_N6thrust23THRUST_200600_302600_NS6detail15normal_iteratorINS8_7pointerItNS8_11hip_rocprim5par_tENS8_11use_defaultESE_EEEENSA_INSB_IlSD_SE_SE_EEEEZNS1_13binary_searchIS3_S5_PtSG_SI_NS1_21lower_bound_search_opENS9_16wrapped_functionI11custom_lessbEEEE10hipError_tPvRmT1_T2_T3_mmT4_T5_P12ihipStream_tbEUlRKtE_EESP_ST_SU_mSV_SY_bEUlT_E_NS1_11comp_targetILNS1_3genE8ELNS1_11target_archE1030ELNS1_3gpuE2ELNS1_3repE0EEENS1_30default_config_static_selectorELNS0_4arch9wavefront6targetE1EEEvSS_.has_recursion, 0
	.set _ZN7rocprim17ROCPRIM_400000_NS6detail17trampoline_kernelINS0_14default_configENS1_27lower_bound_config_selectorItlEEZNS1_14transform_implILb0ES3_S5_N6thrust23THRUST_200600_302600_NS6detail15normal_iteratorINS8_7pointerItNS8_11hip_rocprim5par_tENS8_11use_defaultESE_EEEENSA_INSB_IlSD_SE_SE_EEEEZNS1_13binary_searchIS3_S5_PtSG_SI_NS1_21lower_bound_search_opENS9_16wrapped_functionI11custom_lessbEEEE10hipError_tPvRmT1_T2_T3_mmT4_T5_P12ihipStream_tbEUlRKtE_EESP_ST_SU_mSV_SY_bEUlT_E_NS1_11comp_targetILNS1_3genE8ELNS1_11target_archE1030ELNS1_3gpuE2ELNS1_3repE0EEENS1_30default_config_static_selectorELNS0_4arch9wavefront6targetE1EEEvSS_.has_indirect_call, 0
	.section	.AMDGPU.csdata,"",@progbits
; Kernel info:
; codeLenInByte = 0
; TotalNumSgprs: 4
; NumVgprs: 0
; ScratchSize: 0
; MemoryBound: 0
; FloatMode: 240
; IeeeMode: 1
; LDSByteSize: 0 bytes/workgroup (compile time only)
; SGPRBlocks: 0
; VGPRBlocks: 0
; NumSGPRsForWavesPerEU: 4
; NumVGPRsForWavesPerEU: 1
; Occupancy: 10
; WaveLimiterHint : 0
; COMPUTE_PGM_RSRC2:SCRATCH_EN: 0
; COMPUTE_PGM_RSRC2:USER_SGPR: 6
; COMPUTE_PGM_RSRC2:TRAP_HANDLER: 0
; COMPUTE_PGM_RSRC2:TGID_X_EN: 1
; COMPUTE_PGM_RSRC2:TGID_Y_EN: 0
; COMPUTE_PGM_RSRC2:TGID_Z_EN: 0
; COMPUTE_PGM_RSRC2:TIDIG_COMP_CNT: 0
	.section	.text._ZN7rocprim17ROCPRIM_400000_NS6detail17trampoline_kernelINS0_14default_configENS1_27lower_bound_config_selectorItlEEZNS1_14transform_implILb0ES3_S5_N6thrust23THRUST_200600_302600_NS6detail15normal_iteratorINS8_7pointerItNS8_11hip_rocprim5par_tENS8_11use_defaultESE_EEEENSA_INSB_IlSD_SE_SE_EEEEZNS1_13binary_searchIS3_S5_PtSG_SI_NS1_21lower_bound_search_opENS9_16wrapped_functionINS8_6system6detail7generic6detail18binary_search_lessEbEEEE10hipError_tPvRmT1_T2_T3_mmT4_T5_P12ihipStream_tbEUlRKtE_EEST_SX_SY_mSZ_S12_bEUlT_E_NS1_11comp_targetILNS1_3genE0ELNS1_11target_archE4294967295ELNS1_3gpuE0ELNS1_3repE0EEENS1_30default_config_static_selectorELNS0_4arch9wavefront6targetE1EEEvSW_,"axG",@progbits,_ZN7rocprim17ROCPRIM_400000_NS6detail17trampoline_kernelINS0_14default_configENS1_27lower_bound_config_selectorItlEEZNS1_14transform_implILb0ES3_S5_N6thrust23THRUST_200600_302600_NS6detail15normal_iteratorINS8_7pointerItNS8_11hip_rocprim5par_tENS8_11use_defaultESE_EEEENSA_INSB_IlSD_SE_SE_EEEEZNS1_13binary_searchIS3_S5_PtSG_SI_NS1_21lower_bound_search_opENS9_16wrapped_functionINS8_6system6detail7generic6detail18binary_search_lessEbEEEE10hipError_tPvRmT1_T2_T3_mmT4_T5_P12ihipStream_tbEUlRKtE_EEST_SX_SY_mSZ_S12_bEUlT_E_NS1_11comp_targetILNS1_3genE0ELNS1_11target_archE4294967295ELNS1_3gpuE0ELNS1_3repE0EEENS1_30default_config_static_selectorELNS0_4arch9wavefront6targetE1EEEvSW_,comdat
	.protected	_ZN7rocprim17ROCPRIM_400000_NS6detail17trampoline_kernelINS0_14default_configENS1_27lower_bound_config_selectorItlEEZNS1_14transform_implILb0ES3_S5_N6thrust23THRUST_200600_302600_NS6detail15normal_iteratorINS8_7pointerItNS8_11hip_rocprim5par_tENS8_11use_defaultESE_EEEENSA_INSB_IlSD_SE_SE_EEEEZNS1_13binary_searchIS3_S5_PtSG_SI_NS1_21lower_bound_search_opENS9_16wrapped_functionINS8_6system6detail7generic6detail18binary_search_lessEbEEEE10hipError_tPvRmT1_T2_T3_mmT4_T5_P12ihipStream_tbEUlRKtE_EEST_SX_SY_mSZ_S12_bEUlT_E_NS1_11comp_targetILNS1_3genE0ELNS1_11target_archE4294967295ELNS1_3gpuE0ELNS1_3repE0EEENS1_30default_config_static_selectorELNS0_4arch9wavefront6targetE1EEEvSW_ ; -- Begin function _ZN7rocprim17ROCPRIM_400000_NS6detail17trampoline_kernelINS0_14default_configENS1_27lower_bound_config_selectorItlEEZNS1_14transform_implILb0ES3_S5_N6thrust23THRUST_200600_302600_NS6detail15normal_iteratorINS8_7pointerItNS8_11hip_rocprim5par_tENS8_11use_defaultESE_EEEENSA_INSB_IlSD_SE_SE_EEEEZNS1_13binary_searchIS3_S5_PtSG_SI_NS1_21lower_bound_search_opENS9_16wrapped_functionINS8_6system6detail7generic6detail18binary_search_lessEbEEEE10hipError_tPvRmT1_T2_T3_mmT4_T5_P12ihipStream_tbEUlRKtE_EEST_SX_SY_mSZ_S12_bEUlT_E_NS1_11comp_targetILNS1_3genE0ELNS1_11target_archE4294967295ELNS1_3gpuE0ELNS1_3repE0EEENS1_30default_config_static_selectorELNS0_4arch9wavefront6targetE1EEEvSW_
	.globl	_ZN7rocprim17ROCPRIM_400000_NS6detail17trampoline_kernelINS0_14default_configENS1_27lower_bound_config_selectorItlEEZNS1_14transform_implILb0ES3_S5_N6thrust23THRUST_200600_302600_NS6detail15normal_iteratorINS8_7pointerItNS8_11hip_rocprim5par_tENS8_11use_defaultESE_EEEENSA_INSB_IlSD_SE_SE_EEEEZNS1_13binary_searchIS3_S5_PtSG_SI_NS1_21lower_bound_search_opENS9_16wrapped_functionINS8_6system6detail7generic6detail18binary_search_lessEbEEEE10hipError_tPvRmT1_T2_T3_mmT4_T5_P12ihipStream_tbEUlRKtE_EEST_SX_SY_mSZ_S12_bEUlT_E_NS1_11comp_targetILNS1_3genE0ELNS1_11target_archE4294967295ELNS1_3gpuE0ELNS1_3repE0EEENS1_30default_config_static_selectorELNS0_4arch9wavefront6targetE1EEEvSW_
	.p2align	8
	.type	_ZN7rocprim17ROCPRIM_400000_NS6detail17trampoline_kernelINS0_14default_configENS1_27lower_bound_config_selectorItlEEZNS1_14transform_implILb0ES3_S5_N6thrust23THRUST_200600_302600_NS6detail15normal_iteratorINS8_7pointerItNS8_11hip_rocprim5par_tENS8_11use_defaultESE_EEEENSA_INSB_IlSD_SE_SE_EEEEZNS1_13binary_searchIS3_S5_PtSG_SI_NS1_21lower_bound_search_opENS9_16wrapped_functionINS8_6system6detail7generic6detail18binary_search_lessEbEEEE10hipError_tPvRmT1_T2_T3_mmT4_T5_P12ihipStream_tbEUlRKtE_EEST_SX_SY_mSZ_S12_bEUlT_E_NS1_11comp_targetILNS1_3genE0ELNS1_11target_archE4294967295ELNS1_3gpuE0ELNS1_3repE0EEENS1_30default_config_static_selectorELNS0_4arch9wavefront6targetE1EEEvSW_,@function
_ZN7rocprim17ROCPRIM_400000_NS6detail17trampoline_kernelINS0_14default_configENS1_27lower_bound_config_selectorItlEEZNS1_14transform_implILb0ES3_S5_N6thrust23THRUST_200600_302600_NS6detail15normal_iteratorINS8_7pointerItNS8_11hip_rocprim5par_tENS8_11use_defaultESE_EEEENSA_INSB_IlSD_SE_SE_EEEEZNS1_13binary_searchIS3_S5_PtSG_SI_NS1_21lower_bound_search_opENS9_16wrapped_functionINS8_6system6detail7generic6detail18binary_search_lessEbEEEE10hipError_tPvRmT1_T2_T3_mmT4_T5_P12ihipStream_tbEUlRKtE_EEST_SX_SY_mSZ_S12_bEUlT_E_NS1_11comp_targetILNS1_3genE0ELNS1_11target_archE4294967295ELNS1_3gpuE0ELNS1_3repE0EEENS1_30default_config_static_selectorELNS0_4arch9wavefront6targetE1EEEvSW_: ; @_ZN7rocprim17ROCPRIM_400000_NS6detail17trampoline_kernelINS0_14default_configENS1_27lower_bound_config_selectorItlEEZNS1_14transform_implILb0ES3_S5_N6thrust23THRUST_200600_302600_NS6detail15normal_iteratorINS8_7pointerItNS8_11hip_rocprim5par_tENS8_11use_defaultESE_EEEENSA_INSB_IlSD_SE_SE_EEEEZNS1_13binary_searchIS3_S5_PtSG_SI_NS1_21lower_bound_search_opENS9_16wrapped_functionINS8_6system6detail7generic6detail18binary_search_lessEbEEEE10hipError_tPvRmT1_T2_T3_mmT4_T5_P12ihipStream_tbEUlRKtE_EEST_SX_SY_mSZ_S12_bEUlT_E_NS1_11comp_targetILNS1_3genE0ELNS1_11target_archE4294967295ELNS1_3gpuE0ELNS1_3repE0EEENS1_30default_config_static_selectorELNS0_4arch9wavefront6targetE1EEEvSW_
; %bb.0:
	.section	.rodata,"a",@progbits
	.p2align	6, 0x0
	.amdhsa_kernel _ZN7rocprim17ROCPRIM_400000_NS6detail17trampoline_kernelINS0_14default_configENS1_27lower_bound_config_selectorItlEEZNS1_14transform_implILb0ES3_S5_N6thrust23THRUST_200600_302600_NS6detail15normal_iteratorINS8_7pointerItNS8_11hip_rocprim5par_tENS8_11use_defaultESE_EEEENSA_INSB_IlSD_SE_SE_EEEEZNS1_13binary_searchIS3_S5_PtSG_SI_NS1_21lower_bound_search_opENS9_16wrapped_functionINS8_6system6detail7generic6detail18binary_search_lessEbEEEE10hipError_tPvRmT1_T2_T3_mmT4_T5_P12ihipStream_tbEUlRKtE_EEST_SX_SY_mSZ_S12_bEUlT_E_NS1_11comp_targetILNS1_3genE0ELNS1_11target_archE4294967295ELNS1_3gpuE0ELNS1_3repE0EEENS1_30default_config_static_selectorELNS0_4arch9wavefront6targetE1EEEvSW_
		.amdhsa_group_segment_fixed_size 0
		.amdhsa_private_segment_fixed_size 0
		.amdhsa_kernarg_size 56
		.amdhsa_user_sgpr_count 6
		.amdhsa_user_sgpr_private_segment_buffer 1
		.amdhsa_user_sgpr_dispatch_ptr 0
		.amdhsa_user_sgpr_queue_ptr 0
		.amdhsa_user_sgpr_kernarg_segment_ptr 1
		.amdhsa_user_sgpr_dispatch_id 0
		.amdhsa_user_sgpr_flat_scratch_init 0
		.amdhsa_user_sgpr_private_segment_size 0
		.amdhsa_uses_dynamic_stack 0
		.amdhsa_system_sgpr_private_segment_wavefront_offset 0
		.amdhsa_system_sgpr_workgroup_id_x 1
		.amdhsa_system_sgpr_workgroup_id_y 0
		.amdhsa_system_sgpr_workgroup_id_z 0
		.amdhsa_system_sgpr_workgroup_info 0
		.amdhsa_system_vgpr_workitem_id 0
		.amdhsa_next_free_vgpr 1
		.amdhsa_next_free_sgpr 0
		.amdhsa_reserve_vcc 0
		.amdhsa_reserve_flat_scratch 0
		.amdhsa_float_round_mode_32 0
		.amdhsa_float_round_mode_16_64 0
		.amdhsa_float_denorm_mode_32 3
		.amdhsa_float_denorm_mode_16_64 3
		.amdhsa_dx10_clamp 1
		.amdhsa_ieee_mode 1
		.amdhsa_fp16_overflow 0
		.amdhsa_exception_fp_ieee_invalid_op 0
		.amdhsa_exception_fp_denorm_src 0
		.amdhsa_exception_fp_ieee_div_zero 0
		.amdhsa_exception_fp_ieee_overflow 0
		.amdhsa_exception_fp_ieee_underflow 0
		.amdhsa_exception_fp_ieee_inexact 0
		.amdhsa_exception_int_div_zero 0
	.end_amdhsa_kernel
	.section	.text._ZN7rocprim17ROCPRIM_400000_NS6detail17trampoline_kernelINS0_14default_configENS1_27lower_bound_config_selectorItlEEZNS1_14transform_implILb0ES3_S5_N6thrust23THRUST_200600_302600_NS6detail15normal_iteratorINS8_7pointerItNS8_11hip_rocprim5par_tENS8_11use_defaultESE_EEEENSA_INSB_IlSD_SE_SE_EEEEZNS1_13binary_searchIS3_S5_PtSG_SI_NS1_21lower_bound_search_opENS9_16wrapped_functionINS8_6system6detail7generic6detail18binary_search_lessEbEEEE10hipError_tPvRmT1_T2_T3_mmT4_T5_P12ihipStream_tbEUlRKtE_EEST_SX_SY_mSZ_S12_bEUlT_E_NS1_11comp_targetILNS1_3genE0ELNS1_11target_archE4294967295ELNS1_3gpuE0ELNS1_3repE0EEENS1_30default_config_static_selectorELNS0_4arch9wavefront6targetE1EEEvSW_,"axG",@progbits,_ZN7rocprim17ROCPRIM_400000_NS6detail17trampoline_kernelINS0_14default_configENS1_27lower_bound_config_selectorItlEEZNS1_14transform_implILb0ES3_S5_N6thrust23THRUST_200600_302600_NS6detail15normal_iteratorINS8_7pointerItNS8_11hip_rocprim5par_tENS8_11use_defaultESE_EEEENSA_INSB_IlSD_SE_SE_EEEEZNS1_13binary_searchIS3_S5_PtSG_SI_NS1_21lower_bound_search_opENS9_16wrapped_functionINS8_6system6detail7generic6detail18binary_search_lessEbEEEE10hipError_tPvRmT1_T2_T3_mmT4_T5_P12ihipStream_tbEUlRKtE_EEST_SX_SY_mSZ_S12_bEUlT_E_NS1_11comp_targetILNS1_3genE0ELNS1_11target_archE4294967295ELNS1_3gpuE0ELNS1_3repE0EEENS1_30default_config_static_selectorELNS0_4arch9wavefront6targetE1EEEvSW_,comdat
.Lfunc_end93:
	.size	_ZN7rocprim17ROCPRIM_400000_NS6detail17trampoline_kernelINS0_14default_configENS1_27lower_bound_config_selectorItlEEZNS1_14transform_implILb0ES3_S5_N6thrust23THRUST_200600_302600_NS6detail15normal_iteratorINS8_7pointerItNS8_11hip_rocprim5par_tENS8_11use_defaultESE_EEEENSA_INSB_IlSD_SE_SE_EEEEZNS1_13binary_searchIS3_S5_PtSG_SI_NS1_21lower_bound_search_opENS9_16wrapped_functionINS8_6system6detail7generic6detail18binary_search_lessEbEEEE10hipError_tPvRmT1_T2_T3_mmT4_T5_P12ihipStream_tbEUlRKtE_EEST_SX_SY_mSZ_S12_bEUlT_E_NS1_11comp_targetILNS1_3genE0ELNS1_11target_archE4294967295ELNS1_3gpuE0ELNS1_3repE0EEENS1_30default_config_static_selectorELNS0_4arch9wavefront6targetE1EEEvSW_, .Lfunc_end93-_ZN7rocprim17ROCPRIM_400000_NS6detail17trampoline_kernelINS0_14default_configENS1_27lower_bound_config_selectorItlEEZNS1_14transform_implILb0ES3_S5_N6thrust23THRUST_200600_302600_NS6detail15normal_iteratorINS8_7pointerItNS8_11hip_rocprim5par_tENS8_11use_defaultESE_EEEENSA_INSB_IlSD_SE_SE_EEEEZNS1_13binary_searchIS3_S5_PtSG_SI_NS1_21lower_bound_search_opENS9_16wrapped_functionINS8_6system6detail7generic6detail18binary_search_lessEbEEEE10hipError_tPvRmT1_T2_T3_mmT4_T5_P12ihipStream_tbEUlRKtE_EEST_SX_SY_mSZ_S12_bEUlT_E_NS1_11comp_targetILNS1_3genE0ELNS1_11target_archE4294967295ELNS1_3gpuE0ELNS1_3repE0EEENS1_30default_config_static_selectorELNS0_4arch9wavefront6targetE1EEEvSW_
                                        ; -- End function
	.set _ZN7rocprim17ROCPRIM_400000_NS6detail17trampoline_kernelINS0_14default_configENS1_27lower_bound_config_selectorItlEEZNS1_14transform_implILb0ES3_S5_N6thrust23THRUST_200600_302600_NS6detail15normal_iteratorINS8_7pointerItNS8_11hip_rocprim5par_tENS8_11use_defaultESE_EEEENSA_INSB_IlSD_SE_SE_EEEEZNS1_13binary_searchIS3_S5_PtSG_SI_NS1_21lower_bound_search_opENS9_16wrapped_functionINS8_6system6detail7generic6detail18binary_search_lessEbEEEE10hipError_tPvRmT1_T2_T3_mmT4_T5_P12ihipStream_tbEUlRKtE_EEST_SX_SY_mSZ_S12_bEUlT_E_NS1_11comp_targetILNS1_3genE0ELNS1_11target_archE4294967295ELNS1_3gpuE0ELNS1_3repE0EEENS1_30default_config_static_selectorELNS0_4arch9wavefront6targetE1EEEvSW_.num_vgpr, 0
	.set _ZN7rocprim17ROCPRIM_400000_NS6detail17trampoline_kernelINS0_14default_configENS1_27lower_bound_config_selectorItlEEZNS1_14transform_implILb0ES3_S5_N6thrust23THRUST_200600_302600_NS6detail15normal_iteratorINS8_7pointerItNS8_11hip_rocprim5par_tENS8_11use_defaultESE_EEEENSA_INSB_IlSD_SE_SE_EEEEZNS1_13binary_searchIS3_S5_PtSG_SI_NS1_21lower_bound_search_opENS9_16wrapped_functionINS8_6system6detail7generic6detail18binary_search_lessEbEEEE10hipError_tPvRmT1_T2_T3_mmT4_T5_P12ihipStream_tbEUlRKtE_EEST_SX_SY_mSZ_S12_bEUlT_E_NS1_11comp_targetILNS1_3genE0ELNS1_11target_archE4294967295ELNS1_3gpuE0ELNS1_3repE0EEENS1_30default_config_static_selectorELNS0_4arch9wavefront6targetE1EEEvSW_.num_agpr, 0
	.set _ZN7rocprim17ROCPRIM_400000_NS6detail17trampoline_kernelINS0_14default_configENS1_27lower_bound_config_selectorItlEEZNS1_14transform_implILb0ES3_S5_N6thrust23THRUST_200600_302600_NS6detail15normal_iteratorINS8_7pointerItNS8_11hip_rocprim5par_tENS8_11use_defaultESE_EEEENSA_INSB_IlSD_SE_SE_EEEEZNS1_13binary_searchIS3_S5_PtSG_SI_NS1_21lower_bound_search_opENS9_16wrapped_functionINS8_6system6detail7generic6detail18binary_search_lessEbEEEE10hipError_tPvRmT1_T2_T3_mmT4_T5_P12ihipStream_tbEUlRKtE_EEST_SX_SY_mSZ_S12_bEUlT_E_NS1_11comp_targetILNS1_3genE0ELNS1_11target_archE4294967295ELNS1_3gpuE0ELNS1_3repE0EEENS1_30default_config_static_selectorELNS0_4arch9wavefront6targetE1EEEvSW_.numbered_sgpr, 0
	.set _ZN7rocprim17ROCPRIM_400000_NS6detail17trampoline_kernelINS0_14default_configENS1_27lower_bound_config_selectorItlEEZNS1_14transform_implILb0ES3_S5_N6thrust23THRUST_200600_302600_NS6detail15normal_iteratorINS8_7pointerItNS8_11hip_rocprim5par_tENS8_11use_defaultESE_EEEENSA_INSB_IlSD_SE_SE_EEEEZNS1_13binary_searchIS3_S5_PtSG_SI_NS1_21lower_bound_search_opENS9_16wrapped_functionINS8_6system6detail7generic6detail18binary_search_lessEbEEEE10hipError_tPvRmT1_T2_T3_mmT4_T5_P12ihipStream_tbEUlRKtE_EEST_SX_SY_mSZ_S12_bEUlT_E_NS1_11comp_targetILNS1_3genE0ELNS1_11target_archE4294967295ELNS1_3gpuE0ELNS1_3repE0EEENS1_30default_config_static_selectorELNS0_4arch9wavefront6targetE1EEEvSW_.num_named_barrier, 0
	.set _ZN7rocprim17ROCPRIM_400000_NS6detail17trampoline_kernelINS0_14default_configENS1_27lower_bound_config_selectorItlEEZNS1_14transform_implILb0ES3_S5_N6thrust23THRUST_200600_302600_NS6detail15normal_iteratorINS8_7pointerItNS8_11hip_rocprim5par_tENS8_11use_defaultESE_EEEENSA_INSB_IlSD_SE_SE_EEEEZNS1_13binary_searchIS3_S5_PtSG_SI_NS1_21lower_bound_search_opENS9_16wrapped_functionINS8_6system6detail7generic6detail18binary_search_lessEbEEEE10hipError_tPvRmT1_T2_T3_mmT4_T5_P12ihipStream_tbEUlRKtE_EEST_SX_SY_mSZ_S12_bEUlT_E_NS1_11comp_targetILNS1_3genE0ELNS1_11target_archE4294967295ELNS1_3gpuE0ELNS1_3repE0EEENS1_30default_config_static_selectorELNS0_4arch9wavefront6targetE1EEEvSW_.private_seg_size, 0
	.set _ZN7rocprim17ROCPRIM_400000_NS6detail17trampoline_kernelINS0_14default_configENS1_27lower_bound_config_selectorItlEEZNS1_14transform_implILb0ES3_S5_N6thrust23THRUST_200600_302600_NS6detail15normal_iteratorINS8_7pointerItNS8_11hip_rocprim5par_tENS8_11use_defaultESE_EEEENSA_INSB_IlSD_SE_SE_EEEEZNS1_13binary_searchIS3_S5_PtSG_SI_NS1_21lower_bound_search_opENS9_16wrapped_functionINS8_6system6detail7generic6detail18binary_search_lessEbEEEE10hipError_tPvRmT1_T2_T3_mmT4_T5_P12ihipStream_tbEUlRKtE_EEST_SX_SY_mSZ_S12_bEUlT_E_NS1_11comp_targetILNS1_3genE0ELNS1_11target_archE4294967295ELNS1_3gpuE0ELNS1_3repE0EEENS1_30default_config_static_selectorELNS0_4arch9wavefront6targetE1EEEvSW_.uses_vcc, 0
	.set _ZN7rocprim17ROCPRIM_400000_NS6detail17trampoline_kernelINS0_14default_configENS1_27lower_bound_config_selectorItlEEZNS1_14transform_implILb0ES3_S5_N6thrust23THRUST_200600_302600_NS6detail15normal_iteratorINS8_7pointerItNS8_11hip_rocprim5par_tENS8_11use_defaultESE_EEEENSA_INSB_IlSD_SE_SE_EEEEZNS1_13binary_searchIS3_S5_PtSG_SI_NS1_21lower_bound_search_opENS9_16wrapped_functionINS8_6system6detail7generic6detail18binary_search_lessEbEEEE10hipError_tPvRmT1_T2_T3_mmT4_T5_P12ihipStream_tbEUlRKtE_EEST_SX_SY_mSZ_S12_bEUlT_E_NS1_11comp_targetILNS1_3genE0ELNS1_11target_archE4294967295ELNS1_3gpuE0ELNS1_3repE0EEENS1_30default_config_static_selectorELNS0_4arch9wavefront6targetE1EEEvSW_.uses_flat_scratch, 0
	.set _ZN7rocprim17ROCPRIM_400000_NS6detail17trampoline_kernelINS0_14default_configENS1_27lower_bound_config_selectorItlEEZNS1_14transform_implILb0ES3_S5_N6thrust23THRUST_200600_302600_NS6detail15normal_iteratorINS8_7pointerItNS8_11hip_rocprim5par_tENS8_11use_defaultESE_EEEENSA_INSB_IlSD_SE_SE_EEEEZNS1_13binary_searchIS3_S5_PtSG_SI_NS1_21lower_bound_search_opENS9_16wrapped_functionINS8_6system6detail7generic6detail18binary_search_lessEbEEEE10hipError_tPvRmT1_T2_T3_mmT4_T5_P12ihipStream_tbEUlRKtE_EEST_SX_SY_mSZ_S12_bEUlT_E_NS1_11comp_targetILNS1_3genE0ELNS1_11target_archE4294967295ELNS1_3gpuE0ELNS1_3repE0EEENS1_30default_config_static_selectorELNS0_4arch9wavefront6targetE1EEEvSW_.has_dyn_sized_stack, 0
	.set _ZN7rocprim17ROCPRIM_400000_NS6detail17trampoline_kernelINS0_14default_configENS1_27lower_bound_config_selectorItlEEZNS1_14transform_implILb0ES3_S5_N6thrust23THRUST_200600_302600_NS6detail15normal_iteratorINS8_7pointerItNS8_11hip_rocprim5par_tENS8_11use_defaultESE_EEEENSA_INSB_IlSD_SE_SE_EEEEZNS1_13binary_searchIS3_S5_PtSG_SI_NS1_21lower_bound_search_opENS9_16wrapped_functionINS8_6system6detail7generic6detail18binary_search_lessEbEEEE10hipError_tPvRmT1_T2_T3_mmT4_T5_P12ihipStream_tbEUlRKtE_EEST_SX_SY_mSZ_S12_bEUlT_E_NS1_11comp_targetILNS1_3genE0ELNS1_11target_archE4294967295ELNS1_3gpuE0ELNS1_3repE0EEENS1_30default_config_static_selectorELNS0_4arch9wavefront6targetE1EEEvSW_.has_recursion, 0
	.set _ZN7rocprim17ROCPRIM_400000_NS6detail17trampoline_kernelINS0_14default_configENS1_27lower_bound_config_selectorItlEEZNS1_14transform_implILb0ES3_S5_N6thrust23THRUST_200600_302600_NS6detail15normal_iteratorINS8_7pointerItNS8_11hip_rocprim5par_tENS8_11use_defaultESE_EEEENSA_INSB_IlSD_SE_SE_EEEEZNS1_13binary_searchIS3_S5_PtSG_SI_NS1_21lower_bound_search_opENS9_16wrapped_functionINS8_6system6detail7generic6detail18binary_search_lessEbEEEE10hipError_tPvRmT1_T2_T3_mmT4_T5_P12ihipStream_tbEUlRKtE_EEST_SX_SY_mSZ_S12_bEUlT_E_NS1_11comp_targetILNS1_3genE0ELNS1_11target_archE4294967295ELNS1_3gpuE0ELNS1_3repE0EEENS1_30default_config_static_selectorELNS0_4arch9wavefront6targetE1EEEvSW_.has_indirect_call, 0
	.section	.AMDGPU.csdata,"",@progbits
; Kernel info:
; codeLenInByte = 0
; TotalNumSgprs: 4
; NumVgprs: 0
; ScratchSize: 0
; MemoryBound: 0
; FloatMode: 240
; IeeeMode: 1
; LDSByteSize: 0 bytes/workgroup (compile time only)
; SGPRBlocks: 0
; VGPRBlocks: 0
; NumSGPRsForWavesPerEU: 4
; NumVGPRsForWavesPerEU: 1
; Occupancy: 10
; WaveLimiterHint : 0
; COMPUTE_PGM_RSRC2:SCRATCH_EN: 0
; COMPUTE_PGM_RSRC2:USER_SGPR: 6
; COMPUTE_PGM_RSRC2:TRAP_HANDLER: 0
; COMPUTE_PGM_RSRC2:TGID_X_EN: 1
; COMPUTE_PGM_RSRC2:TGID_Y_EN: 0
; COMPUTE_PGM_RSRC2:TGID_Z_EN: 0
; COMPUTE_PGM_RSRC2:TIDIG_COMP_CNT: 0
	.section	.text._ZN7rocprim17ROCPRIM_400000_NS6detail17trampoline_kernelINS0_14default_configENS1_27lower_bound_config_selectorItlEEZNS1_14transform_implILb0ES3_S5_N6thrust23THRUST_200600_302600_NS6detail15normal_iteratorINS8_7pointerItNS8_11hip_rocprim5par_tENS8_11use_defaultESE_EEEENSA_INSB_IlSD_SE_SE_EEEEZNS1_13binary_searchIS3_S5_PtSG_SI_NS1_21lower_bound_search_opENS9_16wrapped_functionINS8_6system6detail7generic6detail18binary_search_lessEbEEEE10hipError_tPvRmT1_T2_T3_mmT4_T5_P12ihipStream_tbEUlRKtE_EEST_SX_SY_mSZ_S12_bEUlT_E_NS1_11comp_targetILNS1_3genE5ELNS1_11target_archE942ELNS1_3gpuE9ELNS1_3repE0EEENS1_30default_config_static_selectorELNS0_4arch9wavefront6targetE1EEEvSW_,"axG",@progbits,_ZN7rocprim17ROCPRIM_400000_NS6detail17trampoline_kernelINS0_14default_configENS1_27lower_bound_config_selectorItlEEZNS1_14transform_implILb0ES3_S5_N6thrust23THRUST_200600_302600_NS6detail15normal_iteratorINS8_7pointerItNS8_11hip_rocprim5par_tENS8_11use_defaultESE_EEEENSA_INSB_IlSD_SE_SE_EEEEZNS1_13binary_searchIS3_S5_PtSG_SI_NS1_21lower_bound_search_opENS9_16wrapped_functionINS8_6system6detail7generic6detail18binary_search_lessEbEEEE10hipError_tPvRmT1_T2_T3_mmT4_T5_P12ihipStream_tbEUlRKtE_EEST_SX_SY_mSZ_S12_bEUlT_E_NS1_11comp_targetILNS1_3genE5ELNS1_11target_archE942ELNS1_3gpuE9ELNS1_3repE0EEENS1_30default_config_static_selectorELNS0_4arch9wavefront6targetE1EEEvSW_,comdat
	.protected	_ZN7rocprim17ROCPRIM_400000_NS6detail17trampoline_kernelINS0_14default_configENS1_27lower_bound_config_selectorItlEEZNS1_14transform_implILb0ES3_S5_N6thrust23THRUST_200600_302600_NS6detail15normal_iteratorINS8_7pointerItNS8_11hip_rocprim5par_tENS8_11use_defaultESE_EEEENSA_INSB_IlSD_SE_SE_EEEEZNS1_13binary_searchIS3_S5_PtSG_SI_NS1_21lower_bound_search_opENS9_16wrapped_functionINS8_6system6detail7generic6detail18binary_search_lessEbEEEE10hipError_tPvRmT1_T2_T3_mmT4_T5_P12ihipStream_tbEUlRKtE_EEST_SX_SY_mSZ_S12_bEUlT_E_NS1_11comp_targetILNS1_3genE5ELNS1_11target_archE942ELNS1_3gpuE9ELNS1_3repE0EEENS1_30default_config_static_selectorELNS0_4arch9wavefront6targetE1EEEvSW_ ; -- Begin function _ZN7rocprim17ROCPRIM_400000_NS6detail17trampoline_kernelINS0_14default_configENS1_27lower_bound_config_selectorItlEEZNS1_14transform_implILb0ES3_S5_N6thrust23THRUST_200600_302600_NS6detail15normal_iteratorINS8_7pointerItNS8_11hip_rocprim5par_tENS8_11use_defaultESE_EEEENSA_INSB_IlSD_SE_SE_EEEEZNS1_13binary_searchIS3_S5_PtSG_SI_NS1_21lower_bound_search_opENS9_16wrapped_functionINS8_6system6detail7generic6detail18binary_search_lessEbEEEE10hipError_tPvRmT1_T2_T3_mmT4_T5_P12ihipStream_tbEUlRKtE_EEST_SX_SY_mSZ_S12_bEUlT_E_NS1_11comp_targetILNS1_3genE5ELNS1_11target_archE942ELNS1_3gpuE9ELNS1_3repE0EEENS1_30default_config_static_selectorELNS0_4arch9wavefront6targetE1EEEvSW_
	.globl	_ZN7rocprim17ROCPRIM_400000_NS6detail17trampoline_kernelINS0_14default_configENS1_27lower_bound_config_selectorItlEEZNS1_14transform_implILb0ES3_S5_N6thrust23THRUST_200600_302600_NS6detail15normal_iteratorINS8_7pointerItNS8_11hip_rocprim5par_tENS8_11use_defaultESE_EEEENSA_INSB_IlSD_SE_SE_EEEEZNS1_13binary_searchIS3_S5_PtSG_SI_NS1_21lower_bound_search_opENS9_16wrapped_functionINS8_6system6detail7generic6detail18binary_search_lessEbEEEE10hipError_tPvRmT1_T2_T3_mmT4_T5_P12ihipStream_tbEUlRKtE_EEST_SX_SY_mSZ_S12_bEUlT_E_NS1_11comp_targetILNS1_3genE5ELNS1_11target_archE942ELNS1_3gpuE9ELNS1_3repE0EEENS1_30default_config_static_selectorELNS0_4arch9wavefront6targetE1EEEvSW_
	.p2align	8
	.type	_ZN7rocprim17ROCPRIM_400000_NS6detail17trampoline_kernelINS0_14default_configENS1_27lower_bound_config_selectorItlEEZNS1_14transform_implILb0ES3_S5_N6thrust23THRUST_200600_302600_NS6detail15normal_iteratorINS8_7pointerItNS8_11hip_rocprim5par_tENS8_11use_defaultESE_EEEENSA_INSB_IlSD_SE_SE_EEEEZNS1_13binary_searchIS3_S5_PtSG_SI_NS1_21lower_bound_search_opENS9_16wrapped_functionINS8_6system6detail7generic6detail18binary_search_lessEbEEEE10hipError_tPvRmT1_T2_T3_mmT4_T5_P12ihipStream_tbEUlRKtE_EEST_SX_SY_mSZ_S12_bEUlT_E_NS1_11comp_targetILNS1_3genE5ELNS1_11target_archE942ELNS1_3gpuE9ELNS1_3repE0EEENS1_30default_config_static_selectorELNS0_4arch9wavefront6targetE1EEEvSW_,@function
_ZN7rocprim17ROCPRIM_400000_NS6detail17trampoline_kernelINS0_14default_configENS1_27lower_bound_config_selectorItlEEZNS1_14transform_implILb0ES3_S5_N6thrust23THRUST_200600_302600_NS6detail15normal_iteratorINS8_7pointerItNS8_11hip_rocprim5par_tENS8_11use_defaultESE_EEEENSA_INSB_IlSD_SE_SE_EEEEZNS1_13binary_searchIS3_S5_PtSG_SI_NS1_21lower_bound_search_opENS9_16wrapped_functionINS8_6system6detail7generic6detail18binary_search_lessEbEEEE10hipError_tPvRmT1_T2_T3_mmT4_T5_P12ihipStream_tbEUlRKtE_EEST_SX_SY_mSZ_S12_bEUlT_E_NS1_11comp_targetILNS1_3genE5ELNS1_11target_archE942ELNS1_3gpuE9ELNS1_3repE0EEENS1_30default_config_static_selectorELNS0_4arch9wavefront6targetE1EEEvSW_: ; @_ZN7rocprim17ROCPRIM_400000_NS6detail17trampoline_kernelINS0_14default_configENS1_27lower_bound_config_selectorItlEEZNS1_14transform_implILb0ES3_S5_N6thrust23THRUST_200600_302600_NS6detail15normal_iteratorINS8_7pointerItNS8_11hip_rocprim5par_tENS8_11use_defaultESE_EEEENSA_INSB_IlSD_SE_SE_EEEEZNS1_13binary_searchIS3_S5_PtSG_SI_NS1_21lower_bound_search_opENS9_16wrapped_functionINS8_6system6detail7generic6detail18binary_search_lessEbEEEE10hipError_tPvRmT1_T2_T3_mmT4_T5_P12ihipStream_tbEUlRKtE_EEST_SX_SY_mSZ_S12_bEUlT_E_NS1_11comp_targetILNS1_3genE5ELNS1_11target_archE942ELNS1_3gpuE9ELNS1_3repE0EEENS1_30default_config_static_selectorELNS0_4arch9wavefront6targetE1EEEvSW_
; %bb.0:
	.section	.rodata,"a",@progbits
	.p2align	6, 0x0
	.amdhsa_kernel _ZN7rocprim17ROCPRIM_400000_NS6detail17trampoline_kernelINS0_14default_configENS1_27lower_bound_config_selectorItlEEZNS1_14transform_implILb0ES3_S5_N6thrust23THRUST_200600_302600_NS6detail15normal_iteratorINS8_7pointerItNS8_11hip_rocprim5par_tENS8_11use_defaultESE_EEEENSA_INSB_IlSD_SE_SE_EEEEZNS1_13binary_searchIS3_S5_PtSG_SI_NS1_21lower_bound_search_opENS9_16wrapped_functionINS8_6system6detail7generic6detail18binary_search_lessEbEEEE10hipError_tPvRmT1_T2_T3_mmT4_T5_P12ihipStream_tbEUlRKtE_EEST_SX_SY_mSZ_S12_bEUlT_E_NS1_11comp_targetILNS1_3genE5ELNS1_11target_archE942ELNS1_3gpuE9ELNS1_3repE0EEENS1_30default_config_static_selectorELNS0_4arch9wavefront6targetE1EEEvSW_
		.amdhsa_group_segment_fixed_size 0
		.amdhsa_private_segment_fixed_size 0
		.amdhsa_kernarg_size 56
		.amdhsa_user_sgpr_count 6
		.amdhsa_user_sgpr_private_segment_buffer 1
		.amdhsa_user_sgpr_dispatch_ptr 0
		.amdhsa_user_sgpr_queue_ptr 0
		.amdhsa_user_sgpr_kernarg_segment_ptr 1
		.amdhsa_user_sgpr_dispatch_id 0
		.amdhsa_user_sgpr_flat_scratch_init 0
		.amdhsa_user_sgpr_private_segment_size 0
		.amdhsa_uses_dynamic_stack 0
		.amdhsa_system_sgpr_private_segment_wavefront_offset 0
		.amdhsa_system_sgpr_workgroup_id_x 1
		.amdhsa_system_sgpr_workgroup_id_y 0
		.amdhsa_system_sgpr_workgroup_id_z 0
		.amdhsa_system_sgpr_workgroup_info 0
		.amdhsa_system_vgpr_workitem_id 0
		.amdhsa_next_free_vgpr 1
		.amdhsa_next_free_sgpr 0
		.amdhsa_reserve_vcc 0
		.amdhsa_reserve_flat_scratch 0
		.amdhsa_float_round_mode_32 0
		.amdhsa_float_round_mode_16_64 0
		.amdhsa_float_denorm_mode_32 3
		.amdhsa_float_denorm_mode_16_64 3
		.amdhsa_dx10_clamp 1
		.amdhsa_ieee_mode 1
		.amdhsa_fp16_overflow 0
		.amdhsa_exception_fp_ieee_invalid_op 0
		.amdhsa_exception_fp_denorm_src 0
		.amdhsa_exception_fp_ieee_div_zero 0
		.amdhsa_exception_fp_ieee_overflow 0
		.amdhsa_exception_fp_ieee_underflow 0
		.amdhsa_exception_fp_ieee_inexact 0
		.amdhsa_exception_int_div_zero 0
	.end_amdhsa_kernel
	.section	.text._ZN7rocprim17ROCPRIM_400000_NS6detail17trampoline_kernelINS0_14default_configENS1_27lower_bound_config_selectorItlEEZNS1_14transform_implILb0ES3_S5_N6thrust23THRUST_200600_302600_NS6detail15normal_iteratorINS8_7pointerItNS8_11hip_rocprim5par_tENS8_11use_defaultESE_EEEENSA_INSB_IlSD_SE_SE_EEEEZNS1_13binary_searchIS3_S5_PtSG_SI_NS1_21lower_bound_search_opENS9_16wrapped_functionINS8_6system6detail7generic6detail18binary_search_lessEbEEEE10hipError_tPvRmT1_T2_T3_mmT4_T5_P12ihipStream_tbEUlRKtE_EEST_SX_SY_mSZ_S12_bEUlT_E_NS1_11comp_targetILNS1_3genE5ELNS1_11target_archE942ELNS1_3gpuE9ELNS1_3repE0EEENS1_30default_config_static_selectorELNS0_4arch9wavefront6targetE1EEEvSW_,"axG",@progbits,_ZN7rocprim17ROCPRIM_400000_NS6detail17trampoline_kernelINS0_14default_configENS1_27lower_bound_config_selectorItlEEZNS1_14transform_implILb0ES3_S5_N6thrust23THRUST_200600_302600_NS6detail15normal_iteratorINS8_7pointerItNS8_11hip_rocprim5par_tENS8_11use_defaultESE_EEEENSA_INSB_IlSD_SE_SE_EEEEZNS1_13binary_searchIS3_S5_PtSG_SI_NS1_21lower_bound_search_opENS9_16wrapped_functionINS8_6system6detail7generic6detail18binary_search_lessEbEEEE10hipError_tPvRmT1_T2_T3_mmT4_T5_P12ihipStream_tbEUlRKtE_EEST_SX_SY_mSZ_S12_bEUlT_E_NS1_11comp_targetILNS1_3genE5ELNS1_11target_archE942ELNS1_3gpuE9ELNS1_3repE0EEENS1_30default_config_static_selectorELNS0_4arch9wavefront6targetE1EEEvSW_,comdat
.Lfunc_end94:
	.size	_ZN7rocprim17ROCPRIM_400000_NS6detail17trampoline_kernelINS0_14default_configENS1_27lower_bound_config_selectorItlEEZNS1_14transform_implILb0ES3_S5_N6thrust23THRUST_200600_302600_NS6detail15normal_iteratorINS8_7pointerItNS8_11hip_rocprim5par_tENS8_11use_defaultESE_EEEENSA_INSB_IlSD_SE_SE_EEEEZNS1_13binary_searchIS3_S5_PtSG_SI_NS1_21lower_bound_search_opENS9_16wrapped_functionINS8_6system6detail7generic6detail18binary_search_lessEbEEEE10hipError_tPvRmT1_T2_T3_mmT4_T5_P12ihipStream_tbEUlRKtE_EEST_SX_SY_mSZ_S12_bEUlT_E_NS1_11comp_targetILNS1_3genE5ELNS1_11target_archE942ELNS1_3gpuE9ELNS1_3repE0EEENS1_30default_config_static_selectorELNS0_4arch9wavefront6targetE1EEEvSW_, .Lfunc_end94-_ZN7rocprim17ROCPRIM_400000_NS6detail17trampoline_kernelINS0_14default_configENS1_27lower_bound_config_selectorItlEEZNS1_14transform_implILb0ES3_S5_N6thrust23THRUST_200600_302600_NS6detail15normal_iteratorINS8_7pointerItNS8_11hip_rocprim5par_tENS8_11use_defaultESE_EEEENSA_INSB_IlSD_SE_SE_EEEEZNS1_13binary_searchIS3_S5_PtSG_SI_NS1_21lower_bound_search_opENS9_16wrapped_functionINS8_6system6detail7generic6detail18binary_search_lessEbEEEE10hipError_tPvRmT1_T2_T3_mmT4_T5_P12ihipStream_tbEUlRKtE_EEST_SX_SY_mSZ_S12_bEUlT_E_NS1_11comp_targetILNS1_3genE5ELNS1_11target_archE942ELNS1_3gpuE9ELNS1_3repE0EEENS1_30default_config_static_selectorELNS0_4arch9wavefront6targetE1EEEvSW_
                                        ; -- End function
	.set _ZN7rocprim17ROCPRIM_400000_NS6detail17trampoline_kernelINS0_14default_configENS1_27lower_bound_config_selectorItlEEZNS1_14transform_implILb0ES3_S5_N6thrust23THRUST_200600_302600_NS6detail15normal_iteratorINS8_7pointerItNS8_11hip_rocprim5par_tENS8_11use_defaultESE_EEEENSA_INSB_IlSD_SE_SE_EEEEZNS1_13binary_searchIS3_S5_PtSG_SI_NS1_21lower_bound_search_opENS9_16wrapped_functionINS8_6system6detail7generic6detail18binary_search_lessEbEEEE10hipError_tPvRmT1_T2_T3_mmT4_T5_P12ihipStream_tbEUlRKtE_EEST_SX_SY_mSZ_S12_bEUlT_E_NS1_11comp_targetILNS1_3genE5ELNS1_11target_archE942ELNS1_3gpuE9ELNS1_3repE0EEENS1_30default_config_static_selectorELNS0_4arch9wavefront6targetE1EEEvSW_.num_vgpr, 0
	.set _ZN7rocprim17ROCPRIM_400000_NS6detail17trampoline_kernelINS0_14default_configENS1_27lower_bound_config_selectorItlEEZNS1_14transform_implILb0ES3_S5_N6thrust23THRUST_200600_302600_NS6detail15normal_iteratorINS8_7pointerItNS8_11hip_rocprim5par_tENS8_11use_defaultESE_EEEENSA_INSB_IlSD_SE_SE_EEEEZNS1_13binary_searchIS3_S5_PtSG_SI_NS1_21lower_bound_search_opENS9_16wrapped_functionINS8_6system6detail7generic6detail18binary_search_lessEbEEEE10hipError_tPvRmT1_T2_T3_mmT4_T5_P12ihipStream_tbEUlRKtE_EEST_SX_SY_mSZ_S12_bEUlT_E_NS1_11comp_targetILNS1_3genE5ELNS1_11target_archE942ELNS1_3gpuE9ELNS1_3repE0EEENS1_30default_config_static_selectorELNS0_4arch9wavefront6targetE1EEEvSW_.num_agpr, 0
	.set _ZN7rocprim17ROCPRIM_400000_NS6detail17trampoline_kernelINS0_14default_configENS1_27lower_bound_config_selectorItlEEZNS1_14transform_implILb0ES3_S5_N6thrust23THRUST_200600_302600_NS6detail15normal_iteratorINS8_7pointerItNS8_11hip_rocprim5par_tENS8_11use_defaultESE_EEEENSA_INSB_IlSD_SE_SE_EEEEZNS1_13binary_searchIS3_S5_PtSG_SI_NS1_21lower_bound_search_opENS9_16wrapped_functionINS8_6system6detail7generic6detail18binary_search_lessEbEEEE10hipError_tPvRmT1_T2_T3_mmT4_T5_P12ihipStream_tbEUlRKtE_EEST_SX_SY_mSZ_S12_bEUlT_E_NS1_11comp_targetILNS1_3genE5ELNS1_11target_archE942ELNS1_3gpuE9ELNS1_3repE0EEENS1_30default_config_static_selectorELNS0_4arch9wavefront6targetE1EEEvSW_.numbered_sgpr, 0
	.set _ZN7rocprim17ROCPRIM_400000_NS6detail17trampoline_kernelINS0_14default_configENS1_27lower_bound_config_selectorItlEEZNS1_14transform_implILb0ES3_S5_N6thrust23THRUST_200600_302600_NS6detail15normal_iteratorINS8_7pointerItNS8_11hip_rocprim5par_tENS8_11use_defaultESE_EEEENSA_INSB_IlSD_SE_SE_EEEEZNS1_13binary_searchIS3_S5_PtSG_SI_NS1_21lower_bound_search_opENS9_16wrapped_functionINS8_6system6detail7generic6detail18binary_search_lessEbEEEE10hipError_tPvRmT1_T2_T3_mmT4_T5_P12ihipStream_tbEUlRKtE_EEST_SX_SY_mSZ_S12_bEUlT_E_NS1_11comp_targetILNS1_3genE5ELNS1_11target_archE942ELNS1_3gpuE9ELNS1_3repE0EEENS1_30default_config_static_selectorELNS0_4arch9wavefront6targetE1EEEvSW_.num_named_barrier, 0
	.set _ZN7rocprim17ROCPRIM_400000_NS6detail17trampoline_kernelINS0_14default_configENS1_27lower_bound_config_selectorItlEEZNS1_14transform_implILb0ES3_S5_N6thrust23THRUST_200600_302600_NS6detail15normal_iteratorINS8_7pointerItNS8_11hip_rocprim5par_tENS8_11use_defaultESE_EEEENSA_INSB_IlSD_SE_SE_EEEEZNS1_13binary_searchIS3_S5_PtSG_SI_NS1_21lower_bound_search_opENS9_16wrapped_functionINS8_6system6detail7generic6detail18binary_search_lessEbEEEE10hipError_tPvRmT1_T2_T3_mmT4_T5_P12ihipStream_tbEUlRKtE_EEST_SX_SY_mSZ_S12_bEUlT_E_NS1_11comp_targetILNS1_3genE5ELNS1_11target_archE942ELNS1_3gpuE9ELNS1_3repE0EEENS1_30default_config_static_selectorELNS0_4arch9wavefront6targetE1EEEvSW_.private_seg_size, 0
	.set _ZN7rocprim17ROCPRIM_400000_NS6detail17trampoline_kernelINS0_14default_configENS1_27lower_bound_config_selectorItlEEZNS1_14transform_implILb0ES3_S5_N6thrust23THRUST_200600_302600_NS6detail15normal_iteratorINS8_7pointerItNS8_11hip_rocprim5par_tENS8_11use_defaultESE_EEEENSA_INSB_IlSD_SE_SE_EEEEZNS1_13binary_searchIS3_S5_PtSG_SI_NS1_21lower_bound_search_opENS9_16wrapped_functionINS8_6system6detail7generic6detail18binary_search_lessEbEEEE10hipError_tPvRmT1_T2_T3_mmT4_T5_P12ihipStream_tbEUlRKtE_EEST_SX_SY_mSZ_S12_bEUlT_E_NS1_11comp_targetILNS1_3genE5ELNS1_11target_archE942ELNS1_3gpuE9ELNS1_3repE0EEENS1_30default_config_static_selectorELNS0_4arch9wavefront6targetE1EEEvSW_.uses_vcc, 0
	.set _ZN7rocprim17ROCPRIM_400000_NS6detail17trampoline_kernelINS0_14default_configENS1_27lower_bound_config_selectorItlEEZNS1_14transform_implILb0ES3_S5_N6thrust23THRUST_200600_302600_NS6detail15normal_iteratorINS8_7pointerItNS8_11hip_rocprim5par_tENS8_11use_defaultESE_EEEENSA_INSB_IlSD_SE_SE_EEEEZNS1_13binary_searchIS3_S5_PtSG_SI_NS1_21lower_bound_search_opENS9_16wrapped_functionINS8_6system6detail7generic6detail18binary_search_lessEbEEEE10hipError_tPvRmT1_T2_T3_mmT4_T5_P12ihipStream_tbEUlRKtE_EEST_SX_SY_mSZ_S12_bEUlT_E_NS1_11comp_targetILNS1_3genE5ELNS1_11target_archE942ELNS1_3gpuE9ELNS1_3repE0EEENS1_30default_config_static_selectorELNS0_4arch9wavefront6targetE1EEEvSW_.uses_flat_scratch, 0
	.set _ZN7rocprim17ROCPRIM_400000_NS6detail17trampoline_kernelINS0_14default_configENS1_27lower_bound_config_selectorItlEEZNS1_14transform_implILb0ES3_S5_N6thrust23THRUST_200600_302600_NS6detail15normal_iteratorINS8_7pointerItNS8_11hip_rocprim5par_tENS8_11use_defaultESE_EEEENSA_INSB_IlSD_SE_SE_EEEEZNS1_13binary_searchIS3_S5_PtSG_SI_NS1_21lower_bound_search_opENS9_16wrapped_functionINS8_6system6detail7generic6detail18binary_search_lessEbEEEE10hipError_tPvRmT1_T2_T3_mmT4_T5_P12ihipStream_tbEUlRKtE_EEST_SX_SY_mSZ_S12_bEUlT_E_NS1_11comp_targetILNS1_3genE5ELNS1_11target_archE942ELNS1_3gpuE9ELNS1_3repE0EEENS1_30default_config_static_selectorELNS0_4arch9wavefront6targetE1EEEvSW_.has_dyn_sized_stack, 0
	.set _ZN7rocprim17ROCPRIM_400000_NS6detail17trampoline_kernelINS0_14default_configENS1_27lower_bound_config_selectorItlEEZNS1_14transform_implILb0ES3_S5_N6thrust23THRUST_200600_302600_NS6detail15normal_iteratorINS8_7pointerItNS8_11hip_rocprim5par_tENS8_11use_defaultESE_EEEENSA_INSB_IlSD_SE_SE_EEEEZNS1_13binary_searchIS3_S5_PtSG_SI_NS1_21lower_bound_search_opENS9_16wrapped_functionINS8_6system6detail7generic6detail18binary_search_lessEbEEEE10hipError_tPvRmT1_T2_T3_mmT4_T5_P12ihipStream_tbEUlRKtE_EEST_SX_SY_mSZ_S12_bEUlT_E_NS1_11comp_targetILNS1_3genE5ELNS1_11target_archE942ELNS1_3gpuE9ELNS1_3repE0EEENS1_30default_config_static_selectorELNS0_4arch9wavefront6targetE1EEEvSW_.has_recursion, 0
	.set _ZN7rocprim17ROCPRIM_400000_NS6detail17trampoline_kernelINS0_14default_configENS1_27lower_bound_config_selectorItlEEZNS1_14transform_implILb0ES3_S5_N6thrust23THRUST_200600_302600_NS6detail15normal_iteratorINS8_7pointerItNS8_11hip_rocprim5par_tENS8_11use_defaultESE_EEEENSA_INSB_IlSD_SE_SE_EEEEZNS1_13binary_searchIS3_S5_PtSG_SI_NS1_21lower_bound_search_opENS9_16wrapped_functionINS8_6system6detail7generic6detail18binary_search_lessEbEEEE10hipError_tPvRmT1_T2_T3_mmT4_T5_P12ihipStream_tbEUlRKtE_EEST_SX_SY_mSZ_S12_bEUlT_E_NS1_11comp_targetILNS1_3genE5ELNS1_11target_archE942ELNS1_3gpuE9ELNS1_3repE0EEENS1_30default_config_static_selectorELNS0_4arch9wavefront6targetE1EEEvSW_.has_indirect_call, 0
	.section	.AMDGPU.csdata,"",@progbits
; Kernel info:
; codeLenInByte = 0
; TotalNumSgprs: 4
; NumVgprs: 0
; ScratchSize: 0
; MemoryBound: 0
; FloatMode: 240
; IeeeMode: 1
; LDSByteSize: 0 bytes/workgroup (compile time only)
; SGPRBlocks: 0
; VGPRBlocks: 0
; NumSGPRsForWavesPerEU: 4
; NumVGPRsForWavesPerEU: 1
; Occupancy: 10
; WaveLimiterHint : 0
; COMPUTE_PGM_RSRC2:SCRATCH_EN: 0
; COMPUTE_PGM_RSRC2:USER_SGPR: 6
; COMPUTE_PGM_RSRC2:TRAP_HANDLER: 0
; COMPUTE_PGM_RSRC2:TGID_X_EN: 1
; COMPUTE_PGM_RSRC2:TGID_Y_EN: 0
; COMPUTE_PGM_RSRC2:TGID_Z_EN: 0
; COMPUTE_PGM_RSRC2:TIDIG_COMP_CNT: 0
	.section	.text._ZN7rocprim17ROCPRIM_400000_NS6detail17trampoline_kernelINS0_14default_configENS1_27lower_bound_config_selectorItlEEZNS1_14transform_implILb0ES3_S5_N6thrust23THRUST_200600_302600_NS6detail15normal_iteratorINS8_7pointerItNS8_11hip_rocprim5par_tENS8_11use_defaultESE_EEEENSA_INSB_IlSD_SE_SE_EEEEZNS1_13binary_searchIS3_S5_PtSG_SI_NS1_21lower_bound_search_opENS9_16wrapped_functionINS8_6system6detail7generic6detail18binary_search_lessEbEEEE10hipError_tPvRmT1_T2_T3_mmT4_T5_P12ihipStream_tbEUlRKtE_EEST_SX_SY_mSZ_S12_bEUlT_E_NS1_11comp_targetILNS1_3genE4ELNS1_11target_archE910ELNS1_3gpuE8ELNS1_3repE0EEENS1_30default_config_static_selectorELNS0_4arch9wavefront6targetE1EEEvSW_,"axG",@progbits,_ZN7rocprim17ROCPRIM_400000_NS6detail17trampoline_kernelINS0_14default_configENS1_27lower_bound_config_selectorItlEEZNS1_14transform_implILb0ES3_S5_N6thrust23THRUST_200600_302600_NS6detail15normal_iteratorINS8_7pointerItNS8_11hip_rocprim5par_tENS8_11use_defaultESE_EEEENSA_INSB_IlSD_SE_SE_EEEEZNS1_13binary_searchIS3_S5_PtSG_SI_NS1_21lower_bound_search_opENS9_16wrapped_functionINS8_6system6detail7generic6detail18binary_search_lessEbEEEE10hipError_tPvRmT1_T2_T3_mmT4_T5_P12ihipStream_tbEUlRKtE_EEST_SX_SY_mSZ_S12_bEUlT_E_NS1_11comp_targetILNS1_3genE4ELNS1_11target_archE910ELNS1_3gpuE8ELNS1_3repE0EEENS1_30default_config_static_selectorELNS0_4arch9wavefront6targetE1EEEvSW_,comdat
	.protected	_ZN7rocprim17ROCPRIM_400000_NS6detail17trampoline_kernelINS0_14default_configENS1_27lower_bound_config_selectorItlEEZNS1_14transform_implILb0ES3_S5_N6thrust23THRUST_200600_302600_NS6detail15normal_iteratorINS8_7pointerItNS8_11hip_rocprim5par_tENS8_11use_defaultESE_EEEENSA_INSB_IlSD_SE_SE_EEEEZNS1_13binary_searchIS3_S5_PtSG_SI_NS1_21lower_bound_search_opENS9_16wrapped_functionINS8_6system6detail7generic6detail18binary_search_lessEbEEEE10hipError_tPvRmT1_T2_T3_mmT4_T5_P12ihipStream_tbEUlRKtE_EEST_SX_SY_mSZ_S12_bEUlT_E_NS1_11comp_targetILNS1_3genE4ELNS1_11target_archE910ELNS1_3gpuE8ELNS1_3repE0EEENS1_30default_config_static_selectorELNS0_4arch9wavefront6targetE1EEEvSW_ ; -- Begin function _ZN7rocprim17ROCPRIM_400000_NS6detail17trampoline_kernelINS0_14default_configENS1_27lower_bound_config_selectorItlEEZNS1_14transform_implILb0ES3_S5_N6thrust23THRUST_200600_302600_NS6detail15normal_iteratorINS8_7pointerItNS8_11hip_rocprim5par_tENS8_11use_defaultESE_EEEENSA_INSB_IlSD_SE_SE_EEEEZNS1_13binary_searchIS3_S5_PtSG_SI_NS1_21lower_bound_search_opENS9_16wrapped_functionINS8_6system6detail7generic6detail18binary_search_lessEbEEEE10hipError_tPvRmT1_T2_T3_mmT4_T5_P12ihipStream_tbEUlRKtE_EEST_SX_SY_mSZ_S12_bEUlT_E_NS1_11comp_targetILNS1_3genE4ELNS1_11target_archE910ELNS1_3gpuE8ELNS1_3repE0EEENS1_30default_config_static_selectorELNS0_4arch9wavefront6targetE1EEEvSW_
	.globl	_ZN7rocprim17ROCPRIM_400000_NS6detail17trampoline_kernelINS0_14default_configENS1_27lower_bound_config_selectorItlEEZNS1_14transform_implILb0ES3_S5_N6thrust23THRUST_200600_302600_NS6detail15normal_iteratorINS8_7pointerItNS8_11hip_rocprim5par_tENS8_11use_defaultESE_EEEENSA_INSB_IlSD_SE_SE_EEEEZNS1_13binary_searchIS3_S5_PtSG_SI_NS1_21lower_bound_search_opENS9_16wrapped_functionINS8_6system6detail7generic6detail18binary_search_lessEbEEEE10hipError_tPvRmT1_T2_T3_mmT4_T5_P12ihipStream_tbEUlRKtE_EEST_SX_SY_mSZ_S12_bEUlT_E_NS1_11comp_targetILNS1_3genE4ELNS1_11target_archE910ELNS1_3gpuE8ELNS1_3repE0EEENS1_30default_config_static_selectorELNS0_4arch9wavefront6targetE1EEEvSW_
	.p2align	8
	.type	_ZN7rocprim17ROCPRIM_400000_NS6detail17trampoline_kernelINS0_14default_configENS1_27lower_bound_config_selectorItlEEZNS1_14transform_implILb0ES3_S5_N6thrust23THRUST_200600_302600_NS6detail15normal_iteratorINS8_7pointerItNS8_11hip_rocprim5par_tENS8_11use_defaultESE_EEEENSA_INSB_IlSD_SE_SE_EEEEZNS1_13binary_searchIS3_S5_PtSG_SI_NS1_21lower_bound_search_opENS9_16wrapped_functionINS8_6system6detail7generic6detail18binary_search_lessEbEEEE10hipError_tPvRmT1_T2_T3_mmT4_T5_P12ihipStream_tbEUlRKtE_EEST_SX_SY_mSZ_S12_bEUlT_E_NS1_11comp_targetILNS1_3genE4ELNS1_11target_archE910ELNS1_3gpuE8ELNS1_3repE0EEENS1_30default_config_static_selectorELNS0_4arch9wavefront6targetE1EEEvSW_,@function
_ZN7rocprim17ROCPRIM_400000_NS6detail17trampoline_kernelINS0_14default_configENS1_27lower_bound_config_selectorItlEEZNS1_14transform_implILb0ES3_S5_N6thrust23THRUST_200600_302600_NS6detail15normal_iteratorINS8_7pointerItNS8_11hip_rocprim5par_tENS8_11use_defaultESE_EEEENSA_INSB_IlSD_SE_SE_EEEEZNS1_13binary_searchIS3_S5_PtSG_SI_NS1_21lower_bound_search_opENS9_16wrapped_functionINS8_6system6detail7generic6detail18binary_search_lessEbEEEE10hipError_tPvRmT1_T2_T3_mmT4_T5_P12ihipStream_tbEUlRKtE_EEST_SX_SY_mSZ_S12_bEUlT_E_NS1_11comp_targetILNS1_3genE4ELNS1_11target_archE910ELNS1_3gpuE8ELNS1_3repE0EEENS1_30default_config_static_selectorELNS0_4arch9wavefront6targetE1EEEvSW_: ; @_ZN7rocprim17ROCPRIM_400000_NS6detail17trampoline_kernelINS0_14default_configENS1_27lower_bound_config_selectorItlEEZNS1_14transform_implILb0ES3_S5_N6thrust23THRUST_200600_302600_NS6detail15normal_iteratorINS8_7pointerItNS8_11hip_rocprim5par_tENS8_11use_defaultESE_EEEENSA_INSB_IlSD_SE_SE_EEEEZNS1_13binary_searchIS3_S5_PtSG_SI_NS1_21lower_bound_search_opENS9_16wrapped_functionINS8_6system6detail7generic6detail18binary_search_lessEbEEEE10hipError_tPvRmT1_T2_T3_mmT4_T5_P12ihipStream_tbEUlRKtE_EEST_SX_SY_mSZ_S12_bEUlT_E_NS1_11comp_targetILNS1_3genE4ELNS1_11target_archE910ELNS1_3gpuE8ELNS1_3repE0EEENS1_30default_config_static_selectorELNS0_4arch9wavefront6targetE1EEEvSW_
; %bb.0:
	.section	.rodata,"a",@progbits
	.p2align	6, 0x0
	.amdhsa_kernel _ZN7rocprim17ROCPRIM_400000_NS6detail17trampoline_kernelINS0_14default_configENS1_27lower_bound_config_selectorItlEEZNS1_14transform_implILb0ES3_S5_N6thrust23THRUST_200600_302600_NS6detail15normal_iteratorINS8_7pointerItNS8_11hip_rocprim5par_tENS8_11use_defaultESE_EEEENSA_INSB_IlSD_SE_SE_EEEEZNS1_13binary_searchIS3_S5_PtSG_SI_NS1_21lower_bound_search_opENS9_16wrapped_functionINS8_6system6detail7generic6detail18binary_search_lessEbEEEE10hipError_tPvRmT1_T2_T3_mmT4_T5_P12ihipStream_tbEUlRKtE_EEST_SX_SY_mSZ_S12_bEUlT_E_NS1_11comp_targetILNS1_3genE4ELNS1_11target_archE910ELNS1_3gpuE8ELNS1_3repE0EEENS1_30default_config_static_selectorELNS0_4arch9wavefront6targetE1EEEvSW_
		.amdhsa_group_segment_fixed_size 0
		.amdhsa_private_segment_fixed_size 0
		.amdhsa_kernarg_size 56
		.amdhsa_user_sgpr_count 6
		.amdhsa_user_sgpr_private_segment_buffer 1
		.amdhsa_user_sgpr_dispatch_ptr 0
		.amdhsa_user_sgpr_queue_ptr 0
		.amdhsa_user_sgpr_kernarg_segment_ptr 1
		.amdhsa_user_sgpr_dispatch_id 0
		.amdhsa_user_sgpr_flat_scratch_init 0
		.amdhsa_user_sgpr_private_segment_size 0
		.amdhsa_uses_dynamic_stack 0
		.amdhsa_system_sgpr_private_segment_wavefront_offset 0
		.amdhsa_system_sgpr_workgroup_id_x 1
		.amdhsa_system_sgpr_workgroup_id_y 0
		.amdhsa_system_sgpr_workgroup_id_z 0
		.amdhsa_system_sgpr_workgroup_info 0
		.amdhsa_system_vgpr_workitem_id 0
		.amdhsa_next_free_vgpr 1
		.amdhsa_next_free_sgpr 0
		.amdhsa_reserve_vcc 0
		.amdhsa_reserve_flat_scratch 0
		.amdhsa_float_round_mode_32 0
		.amdhsa_float_round_mode_16_64 0
		.amdhsa_float_denorm_mode_32 3
		.amdhsa_float_denorm_mode_16_64 3
		.amdhsa_dx10_clamp 1
		.amdhsa_ieee_mode 1
		.amdhsa_fp16_overflow 0
		.amdhsa_exception_fp_ieee_invalid_op 0
		.amdhsa_exception_fp_denorm_src 0
		.amdhsa_exception_fp_ieee_div_zero 0
		.amdhsa_exception_fp_ieee_overflow 0
		.amdhsa_exception_fp_ieee_underflow 0
		.amdhsa_exception_fp_ieee_inexact 0
		.amdhsa_exception_int_div_zero 0
	.end_amdhsa_kernel
	.section	.text._ZN7rocprim17ROCPRIM_400000_NS6detail17trampoline_kernelINS0_14default_configENS1_27lower_bound_config_selectorItlEEZNS1_14transform_implILb0ES3_S5_N6thrust23THRUST_200600_302600_NS6detail15normal_iteratorINS8_7pointerItNS8_11hip_rocprim5par_tENS8_11use_defaultESE_EEEENSA_INSB_IlSD_SE_SE_EEEEZNS1_13binary_searchIS3_S5_PtSG_SI_NS1_21lower_bound_search_opENS9_16wrapped_functionINS8_6system6detail7generic6detail18binary_search_lessEbEEEE10hipError_tPvRmT1_T2_T3_mmT4_T5_P12ihipStream_tbEUlRKtE_EEST_SX_SY_mSZ_S12_bEUlT_E_NS1_11comp_targetILNS1_3genE4ELNS1_11target_archE910ELNS1_3gpuE8ELNS1_3repE0EEENS1_30default_config_static_selectorELNS0_4arch9wavefront6targetE1EEEvSW_,"axG",@progbits,_ZN7rocprim17ROCPRIM_400000_NS6detail17trampoline_kernelINS0_14default_configENS1_27lower_bound_config_selectorItlEEZNS1_14transform_implILb0ES3_S5_N6thrust23THRUST_200600_302600_NS6detail15normal_iteratorINS8_7pointerItNS8_11hip_rocprim5par_tENS8_11use_defaultESE_EEEENSA_INSB_IlSD_SE_SE_EEEEZNS1_13binary_searchIS3_S5_PtSG_SI_NS1_21lower_bound_search_opENS9_16wrapped_functionINS8_6system6detail7generic6detail18binary_search_lessEbEEEE10hipError_tPvRmT1_T2_T3_mmT4_T5_P12ihipStream_tbEUlRKtE_EEST_SX_SY_mSZ_S12_bEUlT_E_NS1_11comp_targetILNS1_3genE4ELNS1_11target_archE910ELNS1_3gpuE8ELNS1_3repE0EEENS1_30default_config_static_selectorELNS0_4arch9wavefront6targetE1EEEvSW_,comdat
.Lfunc_end95:
	.size	_ZN7rocprim17ROCPRIM_400000_NS6detail17trampoline_kernelINS0_14default_configENS1_27lower_bound_config_selectorItlEEZNS1_14transform_implILb0ES3_S5_N6thrust23THRUST_200600_302600_NS6detail15normal_iteratorINS8_7pointerItNS8_11hip_rocprim5par_tENS8_11use_defaultESE_EEEENSA_INSB_IlSD_SE_SE_EEEEZNS1_13binary_searchIS3_S5_PtSG_SI_NS1_21lower_bound_search_opENS9_16wrapped_functionINS8_6system6detail7generic6detail18binary_search_lessEbEEEE10hipError_tPvRmT1_T2_T3_mmT4_T5_P12ihipStream_tbEUlRKtE_EEST_SX_SY_mSZ_S12_bEUlT_E_NS1_11comp_targetILNS1_3genE4ELNS1_11target_archE910ELNS1_3gpuE8ELNS1_3repE0EEENS1_30default_config_static_selectorELNS0_4arch9wavefront6targetE1EEEvSW_, .Lfunc_end95-_ZN7rocprim17ROCPRIM_400000_NS6detail17trampoline_kernelINS0_14default_configENS1_27lower_bound_config_selectorItlEEZNS1_14transform_implILb0ES3_S5_N6thrust23THRUST_200600_302600_NS6detail15normal_iteratorINS8_7pointerItNS8_11hip_rocprim5par_tENS8_11use_defaultESE_EEEENSA_INSB_IlSD_SE_SE_EEEEZNS1_13binary_searchIS3_S5_PtSG_SI_NS1_21lower_bound_search_opENS9_16wrapped_functionINS8_6system6detail7generic6detail18binary_search_lessEbEEEE10hipError_tPvRmT1_T2_T3_mmT4_T5_P12ihipStream_tbEUlRKtE_EEST_SX_SY_mSZ_S12_bEUlT_E_NS1_11comp_targetILNS1_3genE4ELNS1_11target_archE910ELNS1_3gpuE8ELNS1_3repE0EEENS1_30default_config_static_selectorELNS0_4arch9wavefront6targetE1EEEvSW_
                                        ; -- End function
	.set _ZN7rocprim17ROCPRIM_400000_NS6detail17trampoline_kernelINS0_14default_configENS1_27lower_bound_config_selectorItlEEZNS1_14transform_implILb0ES3_S5_N6thrust23THRUST_200600_302600_NS6detail15normal_iteratorINS8_7pointerItNS8_11hip_rocprim5par_tENS8_11use_defaultESE_EEEENSA_INSB_IlSD_SE_SE_EEEEZNS1_13binary_searchIS3_S5_PtSG_SI_NS1_21lower_bound_search_opENS9_16wrapped_functionINS8_6system6detail7generic6detail18binary_search_lessEbEEEE10hipError_tPvRmT1_T2_T3_mmT4_T5_P12ihipStream_tbEUlRKtE_EEST_SX_SY_mSZ_S12_bEUlT_E_NS1_11comp_targetILNS1_3genE4ELNS1_11target_archE910ELNS1_3gpuE8ELNS1_3repE0EEENS1_30default_config_static_selectorELNS0_4arch9wavefront6targetE1EEEvSW_.num_vgpr, 0
	.set _ZN7rocprim17ROCPRIM_400000_NS6detail17trampoline_kernelINS0_14default_configENS1_27lower_bound_config_selectorItlEEZNS1_14transform_implILb0ES3_S5_N6thrust23THRUST_200600_302600_NS6detail15normal_iteratorINS8_7pointerItNS8_11hip_rocprim5par_tENS8_11use_defaultESE_EEEENSA_INSB_IlSD_SE_SE_EEEEZNS1_13binary_searchIS3_S5_PtSG_SI_NS1_21lower_bound_search_opENS9_16wrapped_functionINS8_6system6detail7generic6detail18binary_search_lessEbEEEE10hipError_tPvRmT1_T2_T3_mmT4_T5_P12ihipStream_tbEUlRKtE_EEST_SX_SY_mSZ_S12_bEUlT_E_NS1_11comp_targetILNS1_3genE4ELNS1_11target_archE910ELNS1_3gpuE8ELNS1_3repE0EEENS1_30default_config_static_selectorELNS0_4arch9wavefront6targetE1EEEvSW_.num_agpr, 0
	.set _ZN7rocprim17ROCPRIM_400000_NS6detail17trampoline_kernelINS0_14default_configENS1_27lower_bound_config_selectorItlEEZNS1_14transform_implILb0ES3_S5_N6thrust23THRUST_200600_302600_NS6detail15normal_iteratorINS8_7pointerItNS8_11hip_rocprim5par_tENS8_11use_defaultESE_EEEENSA_INSB_IlSD_SE_SE_EEEEZNS1_13binary_searchIS3_S5_PtSG_SI_NS1_21lower_bound_search_opENS9_16wrapped_functionINS8_6system6detail7generic6detail18binary_search_lessEbEEEE10hipError_tPvRmT1_T2_T3_mmT4_T5_P12ihipStream_tbEUlRKtE_EEST_SX_SY_mSZ_S12_bEUlT_E_NS1_11comp_targetILNS1_3genE4ELNS1_11target_archE910ELNS1_3gpuE8ELNS1_3repE0EEENS1_30default_config_static_selectorELNS0_4arch9wavefront6targetE1EEEvSW_.numbered_sgpr, 0
	.set _ZN7rocprim17ROCPRIM_400000_NS6detail17trampoline_kernelINS0_14default_configENS1_27lower_bound_config_selectorItlEEZNS1_14transform_implILb0ES3_S5_N6thrust23THRUST_200600_302600_NS6detail15normal_iteratorINS8_7pointerItNS8_11hip_rocprim5par_tENS8_11use_defaultESE_EEEENSA_INSB_IlSD_SE_SE_EEEEZNS1_13binary_searchIS3_S5_PtSG_SI_NS1_21lower_bound_search_opENS9_16wrapped_functionINS8_6system6detail7generic6detail18binary_search_lessEbEEEE10hipError_tPvRmT1_T2_T3_mmT4_T5_P12ihipStream_tbEUlRKtE_EEST_SX_SY_mSZ_S12_bEUlT_E_NS1_11comp_targetILNS1_3genE4ELNS1_11target_archE910ELNS1_3gpuE8ELNS1_3repE0EEENS1_30default_config_static_selectorELNS0_4arch9wavefront6targetE1EEEvSW_.num_named_barrier, 0
	.set _ZN7rocprim17ROCPRIM_400000_NS6detail17trampoline_kernelINS0_14default_configENS1_27lower_bound_config_selectorItlEEZNS1_14transform_implILb0ES3_S5_N6thrust23THRUST_200600_302600_NS6detail15normal_iteratorINS8_7pointerItNS8_11hip_rocprim5par_tENS8_11use_defaultESE_EEEENSA_INSB_IlSD_SE_SE_EEEEZNS1_13binary_searchIS3_S5_PtSG_SI_NS1_21lower_bound_search_opENS9_16wrapped_functionINS8_6system6detail7generic6detail18binary_search_lessEbEEEE10hipError_tPvRmT1_T2_T3_mmT4_T5_P12ihipStream_tbEUlRKtE_EEST_SX_SY_mSZ_S12_bEUlT_E_NS1_11comp_targetILNS1_3genE4ELNS1_11target_archE910ELNS1_3gpuE8ELNS1_3repE0EEENS1_30default_config_static_selectorELNS0_4arch9wavefront6targetE1EEEvSW_.private_seg_size, 0
	.set _ZN7rocprim17ROCPRIM_400000_NS6detail17trampoline_kernelINS0_14default_configENS1_27lower_bound_config_selectorItlEEZNS1_14transform_implILb0ES3_S5_N6thrust23THRUST_200600_302600_NS6detail15normal_iteratorINS8_7pointerItNS8_11hip_rocprim5par_tENS8_11use_defaultESE_EEEENSA_INSB_IlSD_SE_SE_EEEEZNS1_13binary_searchIS3_S5_PtSG_SI_NS1_21lower_bound_search_opENS9_16wrapped_functionINS8_6system6detail7generic6detail18binary_search_lessEbEEEE10hipError_tPvRmT1_T2_T3_mmT4_T5_P12ihipStream_tbEUlRKtE_EEST_SX_SY_mSZ_S12_bEUlT_E_NS1_11comp_targetILNS1_3genE4ELNS1_11target_archE910ELNS1_3gpuE8ELNS1_3repE0EEENS1_30default_config_static_selectorELNS0_4arch9wavefront6targetE1EEEvSW_.uses_vcc, 0
	.set _ZN7rocprim17ROCPRIM_400000_NS6detail17trampoline_kernelINS0_14default_configENS1_27lower_bound_config_selectorItlEEZNS1_14transform_implILb0ES3_S5_N6thrust23THRUST_200600_302600_NS6detail15normal_iteratorINS8_7pointerItNS8_11hip_rocprim5par_tENS8_11use_defaultESE_EEEENSA_INSB_IlSD_SE_SE_EEEEZNS1_13binary_searchIS3_S5_PtSG_SI_NS1_21lower_bound_search_opENS9_16wrapped_functionINS8_6system6detail7generic6detail18binary_search_lessEbEEEE10hipError_tPvRmT1_T2_T3_mmT4_T5_P12ihipStream_tbEUlRKtE_EEST_SX_SY_mSZ_S12_bEUlT_E_NS1_11comp_targetILNS1_3genE4ELNS1_11target_archE910ELNS1_3gpuE8ELNS1_3repE0EEENS1_30default_config_static_selectorELNS0_4arch9wavefront6targetE1EEEvSW_.uses_flat_scratch, 0
	.set _ZN7rocprim17ROCPRIM_400000_NS6detail17trampoline_kernelINS0_14default_configENS1_27lower_bound_config_selectorItlEEZNS1_14transform_implILb0ES3_S5_N6thrust23THRUST_200600_302600_NS6detail15normal_iteratorINS8_7pointerItNS8_11hip_rocprim5par_tENS8_11use_defaultESE_EEEENSA_INSB_IlSD_SE_SE_EEEEZNS1_13binary_searchIS3_S5_PtSG_SI_NS1_21lower_bound_search_opENS9_16wrapped_functionINS8_6system6detail7generic6detail18binary_search_lessEbEEEE10hipError_tPvRmT1_T2_T3_mmT4_T5_P12ihipStream_tbEUlRKtE_EEST_SX_SY_mSZ_S12_bEUlT_E_NS1_11comp_targetILNS1_3genE4ELNS1_11target_archE910ELNS1_3gpuE8ELNS1_3repE0EEENS1_30default_config_static_selectorELNS0_4arch9wavefront6targetE1EEEvSW_.has_dyn_sized_stack, 0
	.set _ZN7rocprim17ROCPRIM_400000_NS6detail17trampoline_kernelINS0_14default_configENS1_27lower_bound_config_selectorItlEEZNS1_14transform_implILb0ES3_S5_N6thrust23THRUST_200600_302600_NS6detail15normal_iteratorINS8_7pointerItNS8_11hip_rocprim5par_tENS8_11use_defaultESE_EEEENSA_INSB_IlSD_SE_SE_EEEEZNS1_13binary_searchIS3_S5_PtSG_SI_NS1_21lower_bound_search_opENS9_16wrapped_functionINS8_6system6detail7generic6detail18binary_search_lessEbEEEE10hipError_tPvRmT1_T2_T3_mmT4_T5_P12ihipStream_tbEUlRKtE_EEST_SX_SY_mSZ_S12_bEUlT_E_NS1_11comp_targetILNS1_3genE4ELNS1_11target_archE910ELNS1_3gpuE8ELNS1_3repE0EEENS1_30default_config_static_selectorELNS0_4arch9wavefront6targetE1EEEvSW_.has_recursion, 0
	.set _ZN7rocprim17ROCPRIM_400000_NS6detail17trampoline_kernelINS0_14default_configENS1_27lower_bound_config_selectorItlEEZNS1_14transform_implILb0ES3_S5_N6thrust23THRUST_200600_302600_NS6detail15normal_iteratorINS8_7pointerItNS8_11hip_rocprim5par_tENS8_11use_defaultESE_EEEENSA_INSB_IlSD_SE_SE_EEEEZNS1_13binary_searchIS3_S5_PtSG_SI_NS1_21lower_bound_search_opENS9_16wrapped_functionINS8_6system6detail7generic6detail18binary_search_lessEbEEEE10hipError_tPvRmT1_T2_T3_mmT4_T5_P12ihipStream_tbEUlRKtE_EEST_SX_SY_mSZ_S12_bEUlT_E_NS1_11comp_targetILNS1_3genE4ELNS1_11target_archE910ELNS1_3gpuE8ELNS1_3repE0EEENS1_30default_config_static_selectorELNS0_4arch9wavefront6targetE1EEEvSW_.has_indirect_call, 0
	.section	.AMDGPU.csdata,"",@progbits
; Kernel info:
; codeLenInByte = 0
; TotalNumSgprs: 4
; NumVgprs: 0
; ScratchSize: 0
; MemoryBound: 0
; FloatMode: 240
; IeeeMode: 1
; LDSByteSize: 0 bytes/workgroup (compile time only)
; SGPRBlocks: 0
; VGPRBlocks: 0
; NumSGPRsForWavesPerEU: 4
; NumVGPRsForWavesPerEU: 1
; Occupancy: 10
; WaveLimiterHint : 0
; COMPUTE_PGM_RSRC2:SCRATCH_EN: 0
; COMPUTE_PGM_RSRC2:USER_SGPR: 6
; COMPUTE_PGM_RSRC2:TRAP_HANDLER: 0
; COMPUTE_PGM_RSRC2:TGID_X_EN: 1
; COMPUTE_PGM_RSRC2:TGID_Y_EN: 0
; COMPUTE_PGM_RSRC2:TGID_Z_EN: 0
; COMPUTE_PGM_RSRC2:TIDIG_COMP_CNT: 0
	.section	.text._ZN7rocprim17ROCPRIM_400000_NS6detail17trampoline_kernelINS0_14default_configENS1_27lower_bound_config_selectorItlEEZNS1_14transform_implILb0ES3_S5_N6thrust23THRUST_200600_302600_NS6detail15normal_iteratorINS8_7pointerItNS8_11hip_rocprim5par_tENS8_11use_defaultESE_EEEENSA_INSB_IlSD_SE_SE_EEEEZNS1_13binary_searchIS3_S5_PtSG_SI_NS1_21lower_bound_search_opENS9_16wrapped_functionINS8_6system6detail7generic6detail18binary_search_lessEbEEEE10hipError_tPvRmT1_T2_T3_mmT4_T5_P12ihipStream_tbEUlRKtE_EEST_SX_SY_mSZ_S12_bEUlT_E_NS1_11comp_targetILNS1_3genE3ELNS1_11target_archE908ELNS1_3gpuE7ELNS1_3repE0EEENS1_30default_config_static_selectorELNS0_4arch9wavefront6targetE1EEEvSW_,"axG",@progbits,_ZN7rocprim17ROCPRIM_400000_NS6detail17trampoline_kernelINS0_14default_configENS1_27lower_bound_config_selectorItlEEZNS1_14transform_implILb0ES3_S5_N6thrust23THRUST_200600_302600_NS6detail15normal_iteratorINS8_7pointerItNS8_11hip_rocprim5par_tENS8_11use_defaultESE_EEEENSA_INSB_IlSD_SE_SE_EEEEZNS1_13binary_searchIS3_S5_PtSG_SI_NS1_21lower_bound_search_opENS9_16wrapped_functionINS8_6system6detail7generic6detail18binary_search_lessEbEEEE10hipError_tPvRmT1_T2_T3_mmT4_T5_P12ihipStream_tbEUlRKtE_EEST_SX_SY_mSZ_S12_bEUlT_E_NS1_11comp_targetILNS1_3genE3ELNS1_11target_archE908ELNS1_3gpuE7ELNS1_3repE0EEENS1_30default_config_static_selectorELNS0_4arch9wavefront6targetE1EEEvSW_,comdat
	.protected	_ZN7rocprim17ROCPRIM_400000_NS6detail17trampoline_kernelINS0_14default_configENS1_27lower_bound_config_selectorItlEEZNS1_14transform_implILb0ES3_S5_N6thrust23THRUST_200600_302600_NS6detail15normal_iteratorINS8_7pointerItNS8_11hip_rocprim5par_tENS8_11use_defaultESE_EEEENSA_INSB_IlSD_SE_SE_EEEEZNS1_13binary_searchIS3_S5_PtSG_SI_NS1_21lower_bound_search_opENS9_16wrapped_functionINS8_6system6detail7generic6detail18binary_search_lessEbEEEE10hipError_tPvRmT1_T2_T3_mmT4_T5_P12ihipStream_tbEUlRKtE_EEST_SX_SY_mSZ_S12_bEUlT_E_NS1_11comp_targetILNS1_3genE3ELNS1_11target_archE908ELNS1_3gpuE7ELNS1_3repE0EEENS1_30default_config_static_selectorELNS0_4arch9wavefront6targetE1EEEvSW_ ; -- Begin function _ZN7rocprim17ROCPRIM_400000_NS6detail17trampoline_kernelINS0_14default_configENS1_27lower_bound_config_selectorItlEEZNS1_14transform_implILb0ES3_S5_N6thrust23THRUST_200600_302600_NS6detail15normal_iteratorINS8_7pointerItNS8_11hip_rocprim5par_tENS8_11use_defaultESE_EEEENSA_INSB_IlSD_SE_SE_EEEEZNS1_13binary_searchIS3_S5_PtSG_SI_NS1_21lower_bound_search_opENS9_16wrapped_functionINS8_6system6detail7generic6detail18binary_search_lessEbEEEE10hipError_tPvRmT1_T2_T3_mmT4_T5_P12ihipStream_tbEUlRKtE_EEST_SX_SY_mSZ_S12_bEUlT_E_NS1_11comp_targetILNS1_3genE3ELNS1_11target_archE908ELNS1_3gpuE7ELNS1_3repE0EEENS1_30default_config_static_selectorELNS0_4arch9wavefront6targetE1EEEvSW_
	.globl	_ZN7rocprim17ROCPRIM_400000_NS6detail17trampoline_kernelINS0_14default_configENS1_27lower_bound_config_selectorItlEEZNS1_14transform_implILb0ES3_S5_N6thrust23THRUST_200600_302600_NS6detail15normal_iteratorINS8_7pointerItNS8_11hip_rocprim5par_tENS8_11use_defaultESE_EEEENSA_INSB_IlSD_SE_SE_EEEEZNS1_13binary_searchIS3_S5_PtSG_SI_NS1_21lower_bound_search_opENS9_16wrapped_functionINS8_6system6detail7generic6detail18binary_search_lessEbEEEE10hipError_tPvRmT1_T2_T3_mmT4_T5_P12ihipStream_tbEUlRKtE_EEST_SX_SY_mSZ_S12_bEUlT_E_NS1_11comp_targetILNS1_3genE3ELNS1_11target_archE908ELNS1_3gpuE7ELNS1_3repE0EEENS1_30default_config_static_selectorELNS0_4arch9wavefront6targetE1EEEvSW_
	.p2align	8
	.type	_ZN7rocprim17ROCPRIM_400000_NS6detail17trampoline_kernelINS0_14default_configENS1_27lower_bound_config_selectorItlEEZNS1_14transform_implILb0ES3_S5_N6thrust23THRUST_200600_302600_NS6detail15normal_iteratorINS8_7pointerItNS8_11hip_rocprim5par_tENS8_11use_defaultESE_EEEENSA_INSB_IlSD_SE_SE_EEEEZNS1_13binary_searchIS3_S5_PtSG_SI_NS1_21lower_bound_search_opENS9_16wrapped_functionINS8_6system6detail7generic6detail18binary_search_lessEbEEEE10hipError_tPvRmT1_T2_T3_mmT4_T5_P12ihipStream_tbEUlRKtE_EEST_SX_SY_mSZ_S12_bEUlT_E_NS1_11comp_targetILNS1_3genE3ELNS1_11target_archE908ELNS1_3gpuE7ELNS1_3repE0EEENS1_30default_config_static_selectorELNS0_4arch9wavefront6targetE1EEEvSW_,@function
_ZN7rocprim17ROCPRIM_400000_NS6detail17trampoline_kernelINS0_14default_configENS1_27lower_bound_config_selectorItlEEZNS1_14transform_implILb0ES3_S5_N6thrust23THRUST_200600_302600_NS6detail15normal_iteratorINS8_7pointerItNS8_11hip_rocprim5par_tENS8_11use_defaultESE_EEEENSA_INSB_IlSD_SE_SE_EEEEZNS1_13binary_searchIS3_S5_PtSG_SI_NS1_21lower_bound_search_opENS9_16wrapped_functionINS8_6system6detail7generic6detail18binary_search_lessEbEEEE10hipError_tPvRmT1_T2_T3_mmT4_T5_P12ihipStream_tbEUlRKtE_EEST_SX_SY_mSZ_S12_bEUlT_E_NS1_11comp_targetILNS1_3genE3ELNS1_11target_archE908ELNS1_3gpuE7ELNS1_3repE0EEENS1_30default_config_static_selectorELNS0_4arch9wavefront6targetE1EEEvSW_: ; @_ZN7rocprim17ROCPRIM_400000_NS6detail17trampoline_kernelINS0_14default_configENS1_27lower_bound_config_selectorItlEEZNS1_14transform_implILb0ES3_S5_N6thrust23THRUST_200600_302600_NS6detail15normal_iteratorINS8_7pointerItNS8_11hip_rocprim5par_tENS8_11use_defaultESE_EEEENSA_INSB_IlSD_SE_SE_EEEEZNS1_13binary_searchIS3_S5_PtSG_SI_NS1_21lower_bound_search_opENS9_16wrapped_functionINS8_6system6detail7generic6detail18binary_search_lessEbEEEE10hipError_tPvRmT1_T2_T3_mmT4_T5_P12ihipStream_tbEUlRKtE_EEST_SX_SY_mSZ_S12_bEUlT_E_NS1_11comp_targetILNS1_3genE3ELNS1_11target_archE908ELNS1_3gpuE7ELNS1_3repE0EEENS1_30default_config_static_selectorELNS0_4arch9wavefront6targetE1EEEvSW_
; %bb.0:
	.section	.rodata,"a",@progbits
	.p2align	6, 0x0
	.amdhsa_kernel _ZN7rocprim17ROCPRIM_400000_NS6detail17trampoline_kernelINS0_14default_configENS1_27lower_bound_config_selectorItlEEZNS1_14transform_implILb0ES3_S5_N6thrust23THRUST_200600_302600_NS6detail15normal_iteratorINS8_7pointerItNS8_11hip_rocprim5par_tENS8_11use_defaultESE_EEEENSA_INSB_IlSD_SE_SE_EEEEZNS1_13binary_searchIS3_S5_PtSG_SI_NS1_21lower_bound_search_opENS9_16wrapped_functionINS8_6system6detail7generic6detail18binary_search_lessEbEEEE10hipError_tPvRmT1_T2_T3_mmT4_T5_P12ihipStream_tbEUlRKtE_EEST_SX_SY_mSZ_S12_bEUlT_E_NS1_11comp_targetILNS1_3genE3ELNS1_11target_archE908ELNS1_3gpuE7ELNS1_3repE0EEENS1_30default_config_static_selectorELNS0_4arch9wavefront6targetE1EEEvSW_
		.amdhsa_group_segment_fixed_size 0
		.amdhsa_private_segment_fixed_size 0
		.amdhsa_kernarg_size 56
		.amdhsa_user_sgpr_count 6
		.amdhsa_user_sgpr_private_segment_buffer 1
		.amdhsa_user_sgpr_dispatch_ptr 0
		.amdhsa_user_sgpr_queue_ptr 0
		.amdhsa_user_sgpr_kernarg_segment_ptr 1
		.amdhsa_user_sgpr_dispatch_id 0
		.amdhsa_user_sgpr_flat_scratch_init 0
		.amdhsa_user_sgpr_private_segment_size 0
		.amdhsa_uses_dynamic_stack 0
		.amdhsa_system_sgpr_private_segment_wavefront_offset 0
		.amdhsa_system_sgpr_workgroup_id_x 1
		.amdhsa_system_sgpr_workgroup_id_y 0
		.amdhsa_system_sgpr_workgroup_id_z 0
		.amdhsa_system_sgpr_workgroup_info 0
		.amdhsa_system_vgpr_workitem_id 0
		.amdhsa_next_free_vgpr 1
		.amdhsa_next_free_sgpr 0
		.amdhsa_reserve_vcc 0
		.amdhsa_reserve_flat_scratch 0
		.amdhsa_float_round_mode_32 0
		.amdhsa_float_round_mode_16_64 0
		.amdhsa_float_denorm_mode_32 3
		.amdhsa_float_denorm_mode_16_64 3
		.amdhsa_dx10_clamp 1
		.amdhsa_ieee_mode 1
		.amdhsa_fp16_overflow 0
		.amdhsa_exception_fp_ieee_invalid_op 0
		.amdhsa_exception_fp_denorm_src 0
		.amdhsa_exception_fp_ieee_div_zero 0
		.amdhsa_exception_fp_ieee_overflow 0
		.amdhsa_exception_fp_ieee_underflow 0
		.amdhsa_exception_fp_ieee_inexact 0
		.amdhsa_exception_int_div_zero 0
	.end_amdhsa_kernel
	.section	.text._ZN7rocprim17ROCPRIM_400000_NS6detail17trampoline_kernelINS0_14default_configENS1_27lower_bound_config_selectorItlEEZNS1_14transform_implILb0ES3_S5_N6thrust23THRUST_200600_302600_NS6detail15normal_iteratorINS8_7pointerItNS8_11hip_rocprim5par_tENS8_11use_defaultESE_EEEENSA_INSB_IlSD_SE_SE_EEEEZNS1_13binary_searchIS3_S5_PtSG_SI_NS1_21lower_bound_search_opENS9_16wrapped_functionINS8_6system6detail7generic6detail18binary_search_lessEbEEEE10hipError_tPvRmT1_T2_T3_mmT4_T5_P12ihipStream_tbEUlRKtE_EEST_SX_SY_mSZ_S12_bEUlT_E_NS1_11comp_targetILNS1_3genE3ELNS1_11target_archE908ELNS1_3gpuE7ELNS1_3repE0EEENS1_30default_config_static_selectorELNS0_4arch9wavefront6targetE1EEEvSW_,"axG",@progbits,_ZN7rocprim17ROCPRIM_400000_NS6detail17trampoline_kernelINS0_14default_configENS1_27lower_bound_config_selectorItlEEZNS1_14transform_implILb0ES3_S5_N6thrust23THRUST_200600_302600_NS6detail15normal_iteratorINS8_7pointerItNS8_11hip_rocprim5par_tENS8_11use_defaultESE_EEEENSA_INSB_IlSD_SE_SE_EEEEZNS1_13binary_searchIS3_S5_PtSG_SI_NS1_21lower_bound_search_opENS9_16wrapped_functionINS8_6system6detail7generic6detail18binary_search_lessEbEEEE10hipError_tPvRmT1_T2_T3_mmT4_T5_P12ihipStream_tbEUlRKtE_EEST_SX_SY_mSZ_S12_bEUlT_E_NS1_11comp_targetILNS1_3genE3ELNS1_11target_archE908ELNS1_3gpuE7ELNS1_3repE0EEENS1_30default_config_static_selectorELNS0_4arch9wavefront6targetE1EEEvSW_,comdat
.Lfunc_end96:
	.size	_ZN7rocprim17ROCPRIM_400000_NS6detail17trampoline_kernelINS0_14default_configENS1_27lower_bound_config_selectorItlEEZNS1_14transform_implILb0ES3_S5_N6thrust23THRUST_200600_302600_NS6detail15normal_iteratorINS8_7pointerItNS8_11hip_rocprim5par_tENS8_11use_defaultESE_EEEENSA_INSB_IlSD_SE_SE_EEEEZNS1_13binary_searchIS3_S5_PtSG_SI_NS1_21lower_bound_search_opENS9_16wrapped_functionINS8_6system6detail7generic6detail18binary_search_lessEbEEEE10hipError_tPvRmT1_T2_T3_mmT4_T5_P12ihipStream_tbEUlRKtE_EEST_SX_SY_mSZ_S12_bEUlT_E_NS1_11comp_targetILNS1_3genE3ELNS1_11target_archE908ELNS1_3gpuE7ELNS1_3repE0EEENS1_30default_config_static_selectorELNS0_4arch9wavefront6targetE1EEEvSW_, .Lfunc_end96-_ZN7rocprim17ROCPRIM_400000_NS6detail17trampoline_kernelINS0_14default_configENS1_27lower_bound_config_selectorItlEEZNS1_14transform_implILb0ES3_S5_N6thrust23THRUST_200600_302600_NS6detail15normal_iteratorINS8_7pointerItNS8_11hip_rocprim5par_tENS8_11use_defaultESE_EEEENSA_INSB_IlSD_SE_SE_EEEEZNS1_13binary_searchIS3_S5_PtSG_SI_NS1_21lower_bound_search_opENS9_16wrapped_functionINS8_6system6detail7generic6detail18binary_search_lessEbEEEE10hipError_tPvRmT1_T2_T3_mmT4_T5_P12ihipStream_tbEUlRKtE_EEST_SX_SY_mSZ_S12_bEUlT_E_NS1_11comp_targetILNS1_3genE3ELNS1_11target_archE908ELNS1_3gpuE7ELNS1_3repE0EEENS1_30default_config_static_selectorELNS0_4arch9wavefront6targetE1EEEvSW_
                                        ; -- End function
	.set _ZN7rocprim17ROCPRIM_400000_NS6detail17trampoline_kernelINS0_14default_configENS1_27lower_bound_config_selectorItlEEZNS1_14transform_implILb0ES3_S5_N6thrust23THRUST_200600_302600_NS6detail15normal_iteratorINS8_7pointerItNS8_11hip_rocprim5par_tENS8_11use_defaultESE_EEEENSA_INSB_IlSD_SE_SE_EEEEZNS1_13binary_searchIS3_S5_PtSG_SI_NS1_21lower_bound_search_opENS9_16wrapped_functionINS8_6system6detail7generic6detail18binary_search_lessEbEEEE10hipError_tPvRmT1_T2_T3_mmT4_T5_P12ihipStream_tbEUlRKtE_EEST_SX_SY_mSZ_S12_bEUlT_E_NS1_11comp_targetILNS1_3genE3ELNS1_11target_archE908ELNS1_3gpuE7ELNS1_3repE0EEENS1_30default_config_static_selectorELNS0_4arch9wavefront6targetE1EEEvSW_.num_vgpr, 0
	.set _ZN7rocprim17ROCPRIM_400000_NS6detail17trampoline_kernelINS0_14default_configENS1_27lower_bound_config_selectorItlEEZNS1_14transform_implILb0ES3_S5_N6thrust23THRUST_200600_302600_NS6detail15normal_iteratorINS8_7pointerItNS8_11hip_rocprim5par_tENS8_11use_defaultESE_EEEENSA_INSB_IlSD_SE_SE_EEEEZNS1_13binary_searchIS3_S5_PtSG_SI_NS1_21lower_bound_search_opENS9_16wrapped_functionINS8_6system6detail7generic6detail18binary_search_lessEbEEEE10hipError_tPvRmT1_T2_T3_mmT4_T5_P12ihipStream_tbEUlRKtE_EEST_SX_SY_mSZ_S12_bEUlT_E_NS1_11comp_targetILNS1_3genE3ELNS1_11target_archE908ELNS1_3gpuE7ELNS1_3repE0EEENS1_30default_config_static_selectorELNS0_4arch9wavefront6targetE1EEEvSW_.num_agpr, 0
	.set _ZN7rocprim17ROCPRIM_400000_NS6detail17trampoline_kernelINS0_14default_configENS1_27lower_bound_config_selectorItlEEZNS1_14transform_implILb0ES3_S5_N6thrust23THRUST_200600_302600_NS6detail15normal_iteratorINS8_7pointerItNS8_11hip_rocprim5par_tENS8_11use_defaultESE_EEEENSA_INSB_IlSD_SE_SE_EEEEZNS1_13binary_searchIS3_S5_PtSG_SI_NS1_21lower_bound_search_opENS9_16wrapped_functionINS8_6system6detail7generic6detail18binary_search_lessEbEEEE10hipError_tPvRmT1_T2_T3_mmT4_T5_P12ihipStream_tbEUlRKtE_EEST_SX_SY_mSZ_S12_bEUlT_E_NS1_11comp_targetILNS1_3genE3ELNS1_11target_archE908ELNS1_3gpuE7ELNS1_3repE0EEENS1_30default_config_static_selectorELNS0_4arch9wavefront6targetE1EEEvSW_.numbered_sgpr, 0
	.set _ZN7rocprim17ROCPRIM_400000_NS6detail17trampoline_kernelINS0_14default_configENS1_27lower_bound_config_selectorItlEEZNS1_14transform_implILb0ES3_S5_N6thrust23THRUST_200600_302600_NS6detail15normal_iteratorINS8_7pointerItNS8_11hip_rocprim5par_tENS8_11use_defaultESE_EEEENSA_INSB_IlSD_SE_SE_EEEEZNS1_13binary_searchIS3_S5_PtSG_SI_NS1_21lower_bound_search_opENS9_16wrapped_functionINS8_6system6detail7generic6detail18binary_search_lessEbEEEE10hipError_tPvRmT1_T2_T3_mmT4_T5_P12ihipStream_tbEUlRKtE_EEST_SX_SY_mSZ_S12_bEUlT_E_NS1_11comp_targetILNS1_3genE3ELNS1_11target_archE908ELNS1_3gpuE7ELNS1_3repE0EEENS1_30default_config_static_selectorELNS0_4arch9wavefront6targetE1EEEvSW_.num_named_barrier, 0
	.set _ZN7rocprim17ROCPRIM_400000_NS6detail17trampoline_kernelINS0_14default_configENS1_27lower_bound_config_selectorItlEEZNS1_14transform_implILb0ES3_S5_N6thrust23THRUST_200600_302600_NS6detail15normal_iteratorINS8_7pointerItNS8_11hip_rocprim5par_tENS8_11use_defaultESE_EEEENSA_INSB_IlSD_SE_SE_EEEEZNS1_13binary_searchIS3_S5_PtSG_SI_NS1_21lower_bound_search_opENS9_16wrapped_functionINS8_6system6detail7generic6detail18binary_search_lessEbEEEE10hipError_tPvRmT1_T2_T3_mmT4_T5_P12ihipStream_tbEUlRKtE_EEST_SX_SY_mSZ_S12_bEUlT_E_NS1_11comp_targetILNS1_3genE3ELNS1_11target_archE908ELNS1_3gpuE7ELNS1_3repE0EEENS1_30default_config_static_selectorELNS0_4arch9wavefront6targetE1EEEvSW_.private_seg_size, 0
	.set _ZN7rocprim17ROCPRIM_400000_NS6detail17trampoline_kernelINS0_14default_configENS1_27lower_bound_config_selectorItlEEZNS1_14transform_implILb0ES3_S5_N6thrust23THRUST_200600_302600_NS6detail15normal_iteratorINS8_7pointerItNS8_11hip_rocprim5par_tENS8_11use_defaultESE_EEEENSA_INSB_IlSD_SE_SE_EEEEZNS1_13binary_searchIS3_S5_PtSG_SI_NS1_21lower_bound_search_opENS9_16wrapped_functionINS8_6system6detail7generic6detail18binary_search_lessEbEEEE10hipError_tPvRmT1_T2_T3_mmT4_T5_P12ihipStream_tbEUlRKtE_EEST_SX_SY_mSZ_S12_bEUlT_E_NS1_11comp_targetILNS1_3genE3ELNS1_11target_archE908ELNS1_3gpuE7ELNS1_3repE0EEENS1_30default_config_static_selectorELNS0_4arch9wavefront6targetE1EEEvSW_.uses_vcc, 0
	.set _ZN7rocprim17ROCPRIM_400000_NS6detail17trampoline_kernelINS0_14default_configENS1_27lower_bound_config_selectorItlEEZNS1_14transform_implILb0ES3_S5_N6thrust23THRUST_200600_302600_NS6detail15normal_iteratorINS8_7pointerItNS8_11hip_rocprim5par_tENS8_11use_defaultESE_EEEENSA_INSB_IlSD_SE_SE_EEEEZNS1_13binary_searchIS3_S5_PtSG_SI_NS1_21lower_bound_search_opENS9_16wrapped_functionINS8_6system6detail7generic6detail18binary_search_lessEbEEEE10hipError_tPvRmT1_T2_T3_mmT4_T5_P12ihipStream_tbEUlRKtE_EEST_SX_SY_mSZ_S12_bEUlT_E_NS1_11comp_targetILNS1_3genE3ELNS1_11target_archE908ELNS1_3gpuE7ELNS1_3repE0EEENS1_30default_config_static_selectorELNS0_4arch9wavefront6targetE1EEEvSW_.uses_flat_scratch, 0
	.set _ZN7rocprim17ROCPRIM_400000_NS6detail17trampoline_kernelINS0_14default_configENS1_27lower_bound_config_selectorItlEEZNS1_14transform_implILb0ES3_S5_N6thrust23THRUST_200600_302600_NS6detail15normal_iteratorINS8_7pointerItNS8_11hip_rocprim5par_tENS8_11use_defaultESE_EEEENSA_INSB_IlSD_SE_SE_EEEEZNS1_13binary_searchIS3_S5_PtSG_SI_NS1_21lower_bound_search_opENS9_16wrapped_functionINS8_6system6detail7generic6detail18binary_search_lessEbEEEE10hipError_tPvRmT1_T2_T3_mmT4_T5_P12ihipStream_tbEUlRKtE_EEST_SX_SY_mSZ_S12_bEUlT_E_NS1_11comp_targetILNS1_3genE3ELNS1_11target_archE908ELNS1_3gpuE7ELNS1_3repE0EEENS1_30default_config_static_selectorELNS0_4arch9wavefront6targetE1EEEvSW_.has_dyn_sized_stack, 0
	.set _ZN7rocprim17ROCPRIM_400000_NS6detail17trampoline_kernelINS0_14default_configENS1_27lower_bound_config_selectorItlEEZNS1_14transform_implILb0ES3_S5_N6thrust23THRUST_200600_302600_NS6detail15normal_iteratorINS8_7pointerItNS8_11hip_rocprim5par_tENS8_11use_defaultESE_EEEENSA_INSB_IlSD_SE_SE_EEEEZNS1_13binary_searchIS3_S5_PtSG_SI_NS1_21lower_bound_search_opENS9_16wrapped_functionINS8_6system6detail7generic6detail18binary_search_lessEbEEEE10hipError_tPvRmT1_T2_T3_mmT4_T5_P12ihipStream_tbEUlRKtE_EEST_SX_SY_mSZ_S12_bEUlT_E_NS1_11comp_targetILNS1_3genE3ELNS1_11target_archE908ELNS1_3gpuE7ELNS1_3repE0EEENS1_30default_config_static_selectorELNS0_4arch9wavefront6targetE1EEEvSW_.has_recursion, 0
	.set _ZN7rocprim17ROCPRIM_400000_NS6detail17trampoline_kernelINS0_14default_configENS1_27lower_bound_config_selectorItlEEZNS1_14transform_implILb0ES3_S5_N6thrust23THRUST_200600_302600_NS6detail15normal_iteratorINS8_7pointerItNS8_11hip_rocprim5par_tENS8_11use_defaultESE_EEEENSA_INSB_IlSD_SE_SE_EEEEZNS1_13binary_searchIS3_S5_PtSG_SI_NS1_21lower_bound_search_opENS9_16wrapped_functionINS8_6system6detail7generic6detail18binary_search_lessEbEEEE10hipError_tPvRmT1_T2_T3_mmT4_T5_P12ihipStream_tbEUlRKtE_EEST_SX_SY_mSZ_S12_bEUlT_E_NS1_11comp_targetILNS1_3genE3ELNS1_11target_archE908ELNS1_3gpuE7ELNS1_3repE0EEENS1_30default_config_static_selectorELNS0_4arch9wavefront6targetE1EEEvSW_.has_indirect_call, 0
	.section	.AMDGPU.csdata,"",@progbits
; Kernel info:
; codeLenInByte = 0
; TotalNumSgprs: 4
; NumVgprs: 0
; ScratchSize: 0
; MemoryBound: 0
; FloatMode: 240
; IeeeMode: 1
; LDSByteSize: 0 bytes/workgroup (compile time only)
; SGPRBlocks: 0
; VGPRBlocks: 0
; NumSGPRsForWavesPerEU: 4
; NumVGPRsForWavesPerEU: 1
; Occupancy: 10
; WaveLimiterHint : 0
; COMPUTE_PGM_RSRC2:SCRATCH_EN: 0
; COMPUTE_PGM_RSRC2:USER_SGPR: 6
; COMPUTE_PGM_RSRC2:TRAP_HANDLER: 0
; COMPUTE_PGM_RSRC2:TGID_X_EN: 1
; COMPUTE_PGM_RSRC2:TGID_Y_EN: 0
; COMPUTE_PGM_RSRC2:TGID_Z_EN: 0
; COMPUTE_PGM_RSRC2:TIDIG_COMP_CNT: 0
	.section	.text._ZN7rocprim17ROCPRIM_400000_NS6detail17trampoline_kernelINS0_14default_configENS1_27lower_bound_config_selectorItlEEZNS1_14transform_implILb0ES3_S5_N6thrust23THRUST_200600_302600_NS6detail15normal_iteratorINS8_7pointerItNS8_11hip_rocprim5par_tENS8_11use_defaultESE_EEEENSA_INSB_IlSD_SE_SE_EEEEZNS1_13binary_searchIS3_S5_PtSG_SI_NS1_21lower_bound_search_opENS9_16wrapped_functionINS8_6system6detail7generic6detail18binary_search_lessEbEEEE10hipError_tPvRmT1_T2_T3_mmT4_T5_P12ihipStream_tbEUlRKtE_EEST_SX_SY_mSZ_S12_bEUlT_E_NS1_11comp_targetILNS1_3genE2ELNS1_11target_archE906ELNS1_3gpuE6ELNS1_3repE0EEENS1_30default_config_static_selectorELNS0_4arch9wavefront6targetE1EEEvSW_,"axG",@progbits,_ZN7rocprim17ROCPRIM_400000_NS6detail17trampoline_kernelINS0_14default_configENS1_27lower_bound_config_selectorItlEEZNS1_14transform_implILb0ES3_S5_N6thrust23THRUST_200600_302600_NS6detail15normal_iteratorINS8_7pointerItNS8_11hip_rocprim5par_tENS8_11use_defaultESE_EEEENSA_INSB_IlSD_SE_SE_EEEEZNS1_13binary_searchIS3_S5_PtSG_SI_NS1_21lower_bound_search_opENS9_16wrapped_functionINS8_6system6detail7generic6detail18binary_search_lessEbEEEE10hipError_tPvRmT1_T2_T3_mmT4_T5_P12ihipStream_tbEUlRKtE_EEST_SX_SY_mSZ_S12_bEUlT_E_NS1_11comp_targetILNS1_3genE2ELNS1_11target_archE906ELNS1_3gpuE6ELNS1_3repE0EEENS1_30default_config_static_selectorELNS0_4arch9wavefront6targetE1EEEvSW_,comdat
	.protected	_ZN7rocprim17ROCPRIM_400000_NS6detail17trampoline_kernelINS0_14default_configENS1_27lower_bound_config_selectorItlEEZNS1_14transform_implILb0ES3_S5_N6thrust23THRUST_200600_302600_NS6detail15normal_iteratorINS8_7pointerItNS8_11hip_rocprim5par_tENS8_11use_defaultESE_EEEENSA_INSB_IlSD_SE_SE_EEEEZNS1_13binary_searchIS3_S5_PtSG_SI_NS1_21lower_bound_search_opENS9_16wrapped_functionINS8_6system6detail7generic6detail18binary_search_lessEbEEEE10hipError_tPvRmT1_T2_T3_mmT4_T5_P12ihipStream_tbEUlRKtE_EEST_SX_SY_mSZ_S12_bEUlT_E_NS1_11comp_targetILNS1_3genE2ELNS1_11target_archE906ELNS1_3gpuE6ELNS1_3repE0EEENS1_30default_config_static_selectorELNS0_4arch9wavefront6targetE1EEEvSW_ ; -- Begin function _ZN7rocprim17ROCPRIM_400000_NS6detail17trampoline_kernelINS0_14default_configENS1_27lower_bound_config_selectorItlEEZNS1_14transform_implILb0ES3_S5_N6thrust23THRUST_200600_302600_NS6detail15normal_iteratorINS8_7pointerItNS8_11hip_rocprim5par_tENS8_11use_defaultESE_EEEENSA_INSB_IlSD_SE_SE_EEEEZNS1_13binary_searchIS3_S5_PtSG_SI_NS1_21lower_bound_search_opENS9_16wrapped_functionINS8_6system6detail7generic6detail18binary_search_lessEbEEEE10hipError_tPvRmT1_T2_T3_mmT4_T5_P12ihipStream_tbEUlRKtE_EEST_SX_SY_mSZ_S12_bEUlT_E_NS1_11comp_targetILNS1_3genE2ELNS1_11target_archE906ELNS1_3gpuE6ELNS1_3repE0EEENS1_30default_config_static_selectorELNS0_4arch9wavefront6targetE1EEEvSW_
	.globl	_ZN7rocprim17ROCPRIM_400000_NS6detail17trampoline_kernelINS0_14default_configENS1_27lower_bound_config_selectorItlEEZNS1_14transform_implILb0ES3_S5_N6thrust23THRUST_200600_302600_NS6detail15normal_iteratorINS8_7pointerItNS8_11hip_rocprim5par_tENS8_11use_defaultESE_EEEENSA_INSB_IlSD_SE_SE_EEEEZNS1_13binary_searchIS3_S5_PtSG_SI_NS1_21lower_bound_search_opENS9_16wrapped_functionINS8_6system6detail7generic6detail18binary_search_lessEbEEEE10hipError_tPvRmT1_T2_T3_mmT4_T5_P12ihipStream_tbEUlRKtE_EEST_SX_SY_mSZ_S12_bEUlT_E_NS1_11comp_targetILNS1_3genE2ELNS1_11target_archE906ELNS1_3gpuE6ELNS1_3repE0EEENS1_30default_config_static_selectorELNS0_4arch9wavefront6targetE1EEEvSW_
	.p2align	8
	.type	_ZN7rocprim17ROCPRIM_400000_NS6detail17trampoline_kernelINS0_14default_configENS1_27lower_bound_config_selectorItlEEZNS1_14transform_implILb0ES3_S5_N6thrust23THRUST_200600_302600_NS6detail15normal_iteratorINS8_7pointerItNS8_11hip_rocprim5par_tENS8_11use_defaultESE_EEEENSA_INSB_IlSD_SE_SE_EEEEZNS1_13binary_searchIS3_S5_PtSG_SI_NS1_21lower_bound_search_opENS9_16wrapped_functionINS8_6system6detail7generic6detail18binary_search_lessEbEEEE10hipError_tPvRmT1_T2_T3_mmT4_T5_P12ihipStream_tbEUlRKtE_EEST_SX_SY_mSZ_S12_bEUlT_E_NS1_11comp_targetILNS1_3genE2ELNS1_11target_archE906ELNS1_3gpuE6ELNS1_3repE0EEENS1_30default_config_static_selectorELNS0_4arch9wavefront6targetE1EEEvSW_,@function
_ZN7rocprim17ROCPRIM_400000_NS6detail17trampoline_kernelINS0_14default_configENS1_27lower_bound_config_selectorItlEEZNS1_14transform_implILb0ES3_S5_N6thrust23THRUST_200600_302600_NS6detail15normal_iteratorINS8_7pointerItNS8_11hip_rocprim5par_tENS8_11use_defaultESE_EEEENSA_INSB_IlSD_SE_SE_EEEEZNS1_13binary_searchIS3_S5_PtSG_SI_NS1_21lower_bound_search_opENS9_16wrapped_functionINS8_6system6detail7generic6detail18binary_search_lessEbEEEE10hipError_tPvRmT1_T2_T3_mmT4_T5_P12ihipStream_tbEUlRKtE_EEST_SX_SY_mSZ_S12_bEUlT_E_NS1_11comp_targetILNS1_3genE2ELNS1_11target_archE906ELNS1_3gpuE6ELNS1_3repE0EEENS1_30default_config_static_selectorELNS0_4arch9wavefront6targetE1EEEvSW_: ; @_ZN7rocprim17ROCPRIM_400000_NS6detail17trampoline_kernelINS0_14default_configENS1_27lower_bound_config_selectorItlEEZNS1_14transform_implILb0ES3_S5_N6thrust23THRUST_200600_302600_NS6detail15normal_iteratorINS8_7pointerItNS8_11hip_rocprim5par_tENS8_11use_defaultESE_EEEENSA_INSB_IlSD_SE_SE_EEEEZNS1_13binary_searchIS3_S5_PtSG_SI_NS1_21lower_bound_search_opENS9_16wrapped_functionINS8_6system6detail7generic6detail18binary_search_lessEbEEEE10hipError_tPvRmT1_T2_T3_mmT4_T5_P12ihipStream_tbEUlRKtE_EEST_SX_SY_mSZ_S12_bEUlT_E_NS1_11comp_targetILNS1_3genE2ELNS1_11target_archE906ELNS1_3gpuE6ELNS1_3repE0EEENS1_30default_config_static_selectorELNS0_4arch9wavefront6targetE1EEEvSW_
; %bb.0:
	s_load_dwordx8 s[8:15], s[4:5], 0x0
	s_load_dwordx4 s[16:19], s[4:5], 0x20
	s_load_dword s2, s[4:5], 0x38
	s_waitcnt lgkmcnt(0)
	s_lshl_b64 s[0:1], s[10:11], 1
	s_add_u32 s3, s8, s0
	s_addc_u32 s4, s9, s1
	s_lshl_b64 s[0:1], s[10:11], 3
	s_add_u32 s20, s14, s0
	s_addc_u32 s21, s15, s1
	s_lshl_b32 s8, s6, 10
	s_mov_b32 s9, 0
	s_add_i32 s2, s2, -1
	s_lshl_b64 s[0:1], s[8:9], 1
	s_add_u32 s13, s3, s0
	s_addc_u32 s14, s4, s1
	s_cmp_lg_u32 s6, s2
	s_cbranch_scc0 .LBB97_14
; %bb.1:
	v_lshlrev_b32_e32 v1, 1, v0
	v_mov_b32_e32 v2, s14
	v_add_co_u32_e32 v1, vcc, s13, v1
	v_addc_co_u32_e32 v2, vcc, 0, v2, vcc
	flat_load_ushort v7, v[1:2] offset:512
	flat_load_ushort v9, v[1:2] offset:1024
	flat_load_ushort v11, v[1:2] offset:1536
	s_cmp_lg_u64 s[18:19], 0
	s_cselect_b64 s[2:3], -1, 0
	s_cmp_eq_u64 s[18:19], 0
	s_mov_b64 s[0:1], 0
	s_cbranch_scc1 .LBB97_15
; %bb.2:
	flat_load_ushort v5, v[1:2]
	v_mov_b32_e32 v1, 0
	v_mov_b32_e32 v3, s18
	;; [unrolled: 1-line block ×5, first 2 shown]
.LBB97_3:                               ; =>This Inner Loop Header: Depth=1
	v_sub_co_u32_e32 v12, vcc, v3, v1
	v_subb_co_u32_e32 v13, vcc, v4, v2, vcc
	v_lshrrev_b64 v[14:15], 1, v[12:13]
	v_lshrrev_b64 v[12:13], 6, v[12:13]
	v_add_co_u32_e32 v8, vcc, v14, v1
	v_addc_co_u32_e32 v10, vcc, v15, v2, vcc
	v_add_co_u32_e32 v12, vcc, v8, v12
	v_addc_co_u32_e32 v13, vcc, v10, v13, vcc
	v_lshlrev_b64 v[14:15], 1, v[12:13]
	v_add_co_u32_e32 v14, vcc, s16, v14
	v_addc_co_u32_e32 v15, vcc, v6, v15, vcc
	global_load_ushort v8, v[14:15], off
	v_add_co_u32_e32 v10, vcc, 1, v12
	v_addc_co_u32_e32 v14, vcc, 0, v13, vcc
	s_waitcnt vmcnt(0) lgkmcnt(0)
	v_cmp_lt_u16_e32 vcc, v8, v5
	v_cndmask_b32_e32 v4, v13, v4, vcc
	v_cndmask_b32_e32 v3, v12, v3, vcc
	;; [unrolled: 1-line block ×4, first 2 shown]
	v_cmp_ge_u64_e32 vcc, v[1:2], v[3:4]
	s_or_b64 s[0:1], vcc, s[0:1]
	s_andn2_b64 exec, exec, s[0:1]
	s_cbranch_execnz .LBB97_3
; %bb.4:
	s_or_b64 exec, exec, s[0:1]
	v_cndmask_b32_e64 v3, 0, 1, s[2:3]
	v_cmp_ne_u32_e64 s[0:1], 1, v3
	s_andn2_b64 vcc, exec, s[2:3]
	s_cbranch_vccnz .LBB97_16
.LBB97_5:
	v_mov_b32_e32 v3, 0
	v_mov_b32_e32 v5, s18
	s_mov_b64 s[2:3], 0
	v_mov_b32_e32 v4, 0
	v_mov_b32_e32 v6, s19
	;; [unrolled: 1-line block ×3, first 2 shown]
.LBB97_6:                               ; =>This Inner Loop Header: Depth=1
	v_sub_co_u32_e32 v12, vcc, v5, v3
	v_subb_co_u32_e32 v13, vcc, v6, v4, vcc
	v_lshrrev_b64 v[14:15], 1, v[12:13]
	v_lshrrev_b64 v[12:13], 6, v[12:13]
	v_add_co_u32_e32 v10, vcc, v14, v3
	v_addc_co_u32_e32 v14, vcc, v15, v4, vcc
	v_add_co_u32_e32 v12, vcc, v10, v12
	v_addc_co_u32_e32 v13, vcc, v14, v13, vcc
	v_lshlrev_b64 v[14:15], 1, v[12:13]
	v_add_co_u32_e32 v14, vcc, s16, v14
	v_addc_co_u32_e32 v15, vcc, v8, v15, vcc
	global_load_ushort v10, v[14:15], off
	v_add_co_u32_e32 v14, vcc, 1, v12
	v_addc_co_u32_e32 v15, vcc, 0, v13, vcc
	s_waitcnt vmcnt(0) lgkmcnt(0)
	v_cmp_lt_u16_e32 vcc, v10, v7
	v_cndmask_b32_e32 v6, v13, v6, vcc
	v_cndmask_b32_e32 v5, v12, v5, vcc
	;; [unrolled: 1-line block ×4, first 2 shown]
	v_cmp_ge_u64_e32 vcc, v[3:4], v[5:6]
	s_or_b64 s[2:3], vcc, s[2:3]
	s_andn2_b64 exec, exec, s[2:3]
	s_cbranch_execnz .LBB97_6
; %bb.7:
	s_or_b64 exec, exec, s[2:3]
	s_and_b64 vcc, exec, s[0:1]
	s_cbranch_vccnz .LBB97_17
.LBB97_8:
	v_mov_b32_e32 v5, 0
	s_waitcnt vmcnt(0) lgkmcnt(0)
	v_mov_b32_e32 v7, s18
	s_mov_b64 s[2:3], 0
	v_mov_b32_e32 v6, 0
	v_mov_b32_e32 v8, s19
	;; [unrolled: 1-line block ×3, first 2 shown]
.LBB97_9:                               ; =>This Inner Loop Header: Depth=1
	v_sub_co_u32_e32 v12, vcc, v7, v5
	v_subb_co_u32_e32 v13, vcc, v8, v6, vcc
	v_lshrrev_b64 v[14:15], 1, v[12:13]
	v_lshrrev_b64 v[12:13], 6, v[12:13]
	v_add_co_u32_e32 v14, vcc, v14, v5
	v_addc_co_u32_e32 v15, vcc, v15, v6, vcc
	v_add_co_u32_e32 v12, vcc, v14, v12
	v_addc_co_u32_e32 v13, vcc, v15, v13, vcc
	v_lshlrev_b64 v[14:15], 1, v[12:13]
	v_add_co_u32_e32 v14, vcc, s16, v14
	v_addc_co_u32_e32 v15, vcc, v10, v15, vcc
	global_load_ushort v14, v[14:15], off
	v_add_co_u32_e32 v15, vcc, 1, v12
	v_addc_co_u32_e32 v16, vcc, 0, v13, vcc
	s_waitcnt vmcnt(0)
	v_cmp_lt_u16_e32 vcc, v14, v9
	v_cndmask_b32_e32 v8, v13, v8, vcc
	v_cndmask_b32_e32 v7, v12, v7, vcc
	;; [unrolled: 1-line block ×4, first 2 shown]
	v_cmp_ge_u64_e32 vcc, v[5:6], v[7:8]
	s_or_b64 s[2:3], vcc, s[2:3]
	s_andn2_b64 exec, exec, s[2:3]
	s_cbranch_execnz .LBB97_9
; %bb.10:
	s_or_b64 exec, exec, s[2:3]
	s_and_b64 vcc, exec, s[0:1]
	s_cbranch_vccnz .LBB97_18
.LBB97_11:
	s_waitcnt vmcnt(0) lgkmcnt(0)
	v_mov_b32_e32 v7, 0
	v_mov_b32_e32 v9, s18
	s_mov_b64 s[0:1], 0
	v_mov_b32_e32 v8, 0
	v_mov_b32_e32 v10, s19
	;; [unrolled: 1-line block ×3, first 2 shown]
.LBB97_12:                              ; =>This Inner Loop Header: Depth=1
	v_sub_co_u32_e32 v13, vcc, v9, v7
	v_subb_co_u32_e32 v14, vcc, v10, v8, vcc
	v_lshrrev_b64 v[15:16], 1, v[13:14]
	v_lshrrev_b64 v[13:14], 6, v[13:14]
	v_add_co_u32_e32 v15, vcc, v15, v7
	v_addc_co_u32_e32 v16, vcc, v16, v8, vcc
	v_add_co_u32_e32 v13, vcc, v15, v13
	v_addc_co_u32_e32 v14, vcc, v16, v14, vcc
	v_lshlrev_b64 v[15:16], 1, v[13:14]
	v_add_co_u32_e32 v15, vcc, s16, v15
	v_addc_co_u32_e32 v16, vcc, v12, v16, vcc
	global_load_ushort v15, v[15:16], off
	v_add_co_u32_e32 v16, vcc, 1, v13
	v_addc_co_u32_e32 v17, vcc, 0, v14, vcc
	s_waitcnt vmcnt(0)
	v_cmp_lt_u16_e32 vcc, v15, v11
	v_cndmask_b32_e32 v10, v14, v10, vcc
	v_cndmask_b32_e32 v9, v13, v9, vcc
	;; [unrolled: 1-line block ×4, first 2 shown]
	v_cmp_ge_u64_e32 vcc, v[7:8], v[9:10]
	s_or_b64 s[0:1], vcc, s[0:1]
	s_andn2_b64 exec, exec, s[0:1]
	s_cbranch_execnz .LBB97_12
; %bb.13:
	s_or_b64 exec, exec, s[0:1]
	s_branch .LBB97_19
.LBB97_14:
	s_mov_b64 s[6:7], 0
                                        ; implicit-def: $vgpr7_vgpr8
                                        ; implicit-def: $vgpr11_vgpr12
	s_cbranch_execnz .LBB97_20
	s_branch .LBB97_59
.LBB97_15:
	v_mov_b32_e32 v1, 0
	v_mov_b32_e32 v2, 0
	v_cndmask_b32_e64 v3, 0, 1, s[2:3]
	v_cmp_ne_u32_e64 s[0:1], 1, v3
	s_andn2_b64 vcc, exec, s[2:3]
	s_cbranch_vccz .LBB97_5
.LBB97_16:
	v_mov_b32_e32 v3, 0
	v_mov_b32_e32 v4, 0
	s_and_b64 vcc, exec, s[0:1]
	s_cbranch_vccz .LBB97_8
.LBB97_17:
	v_mov_b32_e32 v5, 0
	v_mov_b32_e32 v6, 0
	s_and_b64 vcc, exec, s[0:1]
	s_cbranch_vccz .LBB97_11
.LBB97_18:
	s_waitcnt vmcnt(0) lgkmcnt(0)
	v_mov_b32_e32 v7, 0
	v_mov_b32_e32 v8, 0
.LBB97_19:
	s_lshl_b64 s[0:1], s[8:9], 3
	s_add_u32 s0, s20, s0
	s_addc_u32 s1, s21, s1
	v_lshlrev_b32_e32 v9, 3, v0
	v_mov_b32_e32 v10, s1
	v_add_co_u32_e32 v11, vcc, s0, v9
	v_addc_co_u32_e32 v12, vcc, 0, v10, vcc
	flat_store_dwordx2 v[11:12], v[1:2]
	flat_store_dwordx2 v[11:12], v[3:4] offset:2048
	v_add_co_u32_e32 v1, vcc, 0x1000, v11
	v_addc_co_u32_e32 v2, vcc, 0, v12, vcc
	flat_store_dwordx2 v[1:2], v[5:6]
	s_mov_b64 s[6:7], -1
	s_branch .LBB97_59
.LBB97_20:
	s_sub_i32 s10, s12, s8
	v_mov_b32_e32 v1, 0
	v_cmp_gt_u32_e64 s[0:1], s10, v0
	v_mov_b32_e32 v2, v1
	s_and_saveexec_b64 s[2:3], s[0:1]
	s_cbranch_execz .LBB97_22
; %bb.21:
	v_lshlrev_b32_e32 v2, 1, v0
	v_mov_b32_e32 v3, s14
	v_add_co_u32_e32 v2, vcc, s13, v2
	v_addc_co_u32_e32 v3, vcc, 0, v3, vcc
	flat_load_ushort v2, v[2:3]
	v_mov_b32_e32 v3, v1
	s_waitcnt vmcnt(0) lgkmcnt(0)
	v_and_b32_e32 v2, 0xffff, v2
	v_mov_b32_e32 v1, v2
	v_mov_b32_e32 v2, v3
.LBB97_22:
	s_or_b64 exec, exec, s[2:3]
	v_or_b32_e32 v3, 0x100, v0
	v_cmp_gt_u32_e64 s[2:3], s10, v3
	s_and_saveexec_b64 s[4:5], s[2:3]
	s_cbranch_execz .LBB97_24
; %bb.23:
	v_lshlrev_b32_e32 v3, 1, v0
	v_mov_b32_e32 v4, s14
	v_add_co_u32_e32 v3, vcc, s13, v3
	v_addc_co_u32_e32 v4, vcc, 0, v4, vcc
	flat_load_ushort v3, v[3:4] offset:512
	s_mov_b32 s6, 0x5040100
	s_waitcnt vmcnt(0) lgkmcnt(0)
	v_perm_b32 v1, v3, v1, s6
.LBB97_24:
	s_or_b64 exec, exec, s[4:5]
	v_or_b32_e32 v3, 0x200, v0
	v_cmp_gt_u32_e64 s[4:5], s10, v3
	s_and_saveexec_b64 s[6:7], s[4:5]
	s_cbranch_execz .LBB97_26
; %bb.25:
	v_lshlrev_b32_e32 v3, 1, v0
	v_mov_b32_e32 v4, s14
	v_add_co_u32_e32 v3, vcc, s13, v3
	v_addc_co_u32_e32 v4, vcc, 0, v4, vcc
	flat_load_ushort v3, v[3:4] offset:1024
	s_mov_b32 s11, 0xffff
	s_waitcnt vmcnt(0) lgkmcnt(0)
	v_bfi_b32 v2, s11, v3, v2
.LBB97_26:
	s_or_b64 exec, exec, s[6:7]
	v_or_b32_e32 v3, 0x300, v0
	v_cmp_gt_u32_e64 s[6:7], s10, v3
	s_and_saveexec_b64 s[10:11], s[6:7]
	s_cbranch_execz .LBB97_28
; %bb.27:
	v_lshlrev_b32_e32 v3, 1, v0
	v_mov_b32_e32 v4, s14
	v_add_co_u32_e32 v3, vcc, s13, v3
	v_addc_co_u32_e32 v4, vcc, 0, v4, vcc
	flat_load_ushort v3, v[3:4] offset:1536
	s_mov_b32 s12, 0x5040100
	s_waitcnt vmcnt(0) lgkmcnt(0)
	v_perm_b32 v2, v3, v2, s12
.LBB97_28:
	s_or_b64 exec, exec, s[10:11]
	s_cmp_lg_u64 s[18:19], 0
	s_cselect_b64 s[10:11], -1, 0
                                        ; implicit-def: $vgpr3_vgpr4
	s_and_saveexec_b64 s[12:13], s[0:1]
	s_cbranch_execnz .LBB97_32
; %bb.29:
	s_or_b64 exec, exec, s[12:13]
                                        ; implicit-def: $vgpr5_vgpr6
	s_and_saveexec_b64 s[12:13], s[2:3]
	s_cbranch_execnz .LBB97_37
.LBB97_30:
	s_or_b64 exec, exec, s[12:13]
                                        ; implicit-def: $vgpr9_vgpr10
	s_and_saveexec_b64 s[12:13], s[4:5]
	s_cbranch_execnz .LBB97_42
.LBB97_31:
	s_or_b64 exec, exec, s[12:13]
                                        ; implicit-def: $vgpr7_vgpr8
	s_and_saveexec_b64 s[12:13], s[6:7]
	s_cbranch_execnz .LBB97_47
	s_branch .LBB97_52
.LBB97_32:
	s_andn2_b64 vcc, exec, s[10:11]
	s_cbranch_vccnz .LBB97_36
; %bb.33:
	v_mov_b32_e32 v3, 0
	v_mov_b32_e32 v5, s18
	s_mov_b64 s[14:15], 0
	v_mov_b32_e32 v4, 0
	v_mov_b32_e32 v6, s19
	;; [unrolled: 1-line block ×3, first 2 shown]
.LBB97_34:                              ; =>This Inner Loop Header: Depth=1
	v_sub_co_u32_e32 v8, vcc, v5, v3
	v_subb_co_u32_e32 v9, vcc, v6, v4, vcc
	v_lshrrev_b64 v[10:11], 1, v[8:9]
	v_lshrrev_b64 v[8:9], 6, v[8:9]
	v_add_co_u32_e32 v10, vcc, v10, v3
	v_addc_co_u32_e32 v11, vcc, v11, v4, vcc
	v_add_co_u32_e32 v8, vcc, v10, v8
	v_addc_co_u32_e32 v9, vcc, v11, v9, vcc
	v_lshlrev_b64 v[10:11], 1, v[8:9]
	v_add_co_u32_e32 v10, vcc, s16, v10
	v_addc_co_u32_e32 v11, vcc, v7, v11, vcc
	global_load_ushort v10, v[10:11], off
	v_add_co_u32_e32 v11, vcc, 1, v8
	v_addc_co_u32_e32 v12, vcc, 0, v9, vcc
	s_waitcnt vmcnt(0)
	v_cmp_lt_u16_e32 vcc, v10, v1
	v_cndmask_b32_e32 v6, v9, v6, vcc
	v_cndmask_b32_e32 v5, v8, v5, vcc
	;; [unrolled: 1-line block ×4, first 2 shown]
	v_cmp_ge_u64_e32 vcc, v[3:4], v[5:6]
	s_or_b64 s[14:15], vcc, s[14:15]
	s_andn2_b64 exec, exec, s[14:15]
	s_cbranch_execnz .LBB97_34
; %bb.35:
	s_or_b64 exec, exec, s[14:15]
	s_or_b64 exec, exec, s[12:13]
                                        ; implicit-def: $vgpr5_vgpr6
	s_and_saveexec_b64 s[12:13], s[2:3]
	s_cbranch_execz .LBB97_30
	s_branch .LBB97_37
.LBB97_36:
	v_mov_b32_e32 v3, 0
	v_mov_b32_e32 v4, 0
	s_or_b64 exec, exec, s[12:13]
                                        ; implicit-def: $vgpr5_vgpr6
	s_and_saveexec_b64 s[12:13], s[2:3]
	s_cbranch_execz .LBB97_30
.LBB97_37:
	s_andn2_b64 vcc, exec, s[10:11]
	s_cbranch_vccnz .LBB97_41
; %bb.38:
	v_mov_b32_e32 v5, 0
	v_mov_b32_e32 v7, s18
	s_mov_b64 s[14:15], 0
	v_mov_b32_e32 v6, 0
	v_mov_b32_e32 v8, s19
	;; [unrolled: 1-line block ×3, first 2 shown]
.LBB97_39:                              ; =>This Inner Loop Header: Depth=1
	v_sub_co_u32_e32 v10, vcc, v7, v5
	v_subb_co_u32_e32 v11, vcc, v8, v6, vcc
	v_lshrrev_b64 v[12:13], 1, v[10:11]
	v_lshrrev_b64 v[10:11], 6, v[10:11]
	v_add_co_u32_e32 v12, vcc, v12, v5
	v_addc_co_u32_e32 v13, vcc, v13, v6, vcc
	v_add_co_u32_e32 v10, vcc, v12, v10
	v_addc_co_u32_e32 v11, vcc, v13, v11, vcc
	v_lshlrev_b64 v[12:13], 1, v[10:11]
	v_add_co_u32_e32 v12, vcc, s16, v12
	v_addc_co_u32_e32 v13, vcc, v9, v13, vcc
	global_load_ushort v12, v[12:13], off
	v_add_co_u32_e32 v13, vcc, 1, v10
	v_addc_co_u32_e32 v14, vcc, 0, v11, vcc
	s_waitcnt vmcnt(0)
	v_cmp_lt_u16_sdwa vcc, v12, v1 src0_sel:DWORD src1_sel:WORD_1
	v_cndmask_b32_e32 v8, v11, v8, vcc
	v_cndmask_b32_e32 v7, v10, v7, vcc
	;; [unrolled: 1-line block ×4, first 2 shown]
	v_cmp_ge_u64_e32 vcc, v[5:6], v[7:8]
	s_or_b64 s[14:15], vcc, s[14:15]
	s_andn2_b64 exec, exec, s[14:15]
	s_cbranch_execnz .LBB97_39
; %bb.40:
	s_or_b64 exec, exec, s[14:15]
	s_or_b64 exec, exec, s[12:13]
                                        ; implicit-def: $vgpr9_vgpr10
	s_and_saveexec_b64 s[12:13], s[4:5]
	s_cbranch_execz .LBB97_31
	s_branch .LBB97_42
.LBB97_41:
	v_mov_b32_e32 v5, 0
	v_mov_b32_e32 v6, 0
	s_or_b64 exec, exec, s[12:13]
                                        ; implicit-def: $vgpr9_vgpr10
	s_and_saveexec_b64 s[12:13], s[4:5]
	s_cbranch_execz .LBB97_31
.LBB97_42:
	s_andn2_b64 vcc, exec, s[10:11]
	s_cbranch_vccnz .LBB97_46
; %bb.43:
	v_mov_b32_e32 v9, 0
	v_mov_b32_e32 v7, s18
	s_mov_b64 s[14:15], 0
	v_mov_b32_e32 v10, 0
	v_mov_b32_e32 v8, s19
	;; [unrolled: 1-line block ×3, first 2 shown]
.LBB97_44:                              ; =>This Inner Loop Header: Depth=1
	v_sub_co_u32_e32 v11, vcc, v7, v9
	v_subb_co_u32_e32 v12, vcc, v8, v10, vcc
	v_lshrrev_b64 v[13:14], 1, v[11:12]
	v_lshrrev_b64 v[11:12], 6, v[11:12]
	v_add_co_u32_e32 v13, vcc, v13, v9
	v_addc_co_u32_e32 v14, vcc, v14, v10, vcc
	v_add_co_u32_e32 v11, vcc, v13, v11
	v_addc_co_u32_e32 v12, vcc, v14, v12, vcc
	v_lshlrev_b64 v[13:14], 1, v[11:12]
	v_add_co_u32_e32 v13, vcc, s16, v13
	v_addc_co_u32_e32 v14, vcc, v1, v14, vcc
	global_load_ushort v13, v[13:14], off
	v_add_co_u32_e32 v14, vcc, 1, v11
	v_addc_co_u32_e32 v15, vcc, 0, v12, vcc
	s_waitcnt vmcnt(0)
	v_cmp_lt_u16_e32 vcc, v13, v2
	v_cndmask_b32_e32 v8, v12, v8, vcc
	v_cndmask_b32_e32 v7, v11, v7, vcc
	;; [unrolled: 1-line block ×4, first 2 shown]
	v_cmp_ge_u64_e32 vcc, v[9:10], v[7:8]
	s_or_b64 s[14:15], vcc, s[14:15]
	s_andn2_b64 exec, exec, s[14:15]
	s_cbranch_execnz .LBB97_44
; %bb.45:
	s_or_b64 exec, exec, s[14:15]
	s_or_b64 exec, exec, s[12:13]
                                        ; implicit-def: $vgpr7_vgpr8
	s_and_saveexec_b64 s[12:13], s[6:7]
	s_cbranch_execnz .LBB97_47
	s_branch .LBB97_52
.LBB97_46:
	v_mov_b32_e32 v9, 0
	v_mov_b32_e32 v10, 0
	s_or_b64 exec, exec, s[12:13]
                                        ; implicit-def: $vgpr7_vgpr8
	s_and_saveexec_b64 s[12:13], s[6:7]
	s_cbranch_execz .LBB97_52
.LBB97_47:
	s_andn2_b64 vcc, exec, s[10:11]
	s_cbranch_vccnz .LBB97_51
; %bb.48:
	v_mov_b32_e32 v7, 0
	v_mov_b32_e32 v11, s18
	s_mov_b64 s[10:11], 0
	v_mov_b32_e32 v8, 0
	v_mov_b32_e32 v12, s19
	;; [unrolled: 1-line block ×3, first 2 shown]
.LBB97_49:                              ; =>This Inner Loop Header: Depth=1
	v_sub_co_u32_e32 v13, vcc, v11, v7
	v_subb_co_u32_e32 v14, vcc, v12, v8, vcc
	v_lshrrev_b64 v[15:16], 1, v[13:14]
	v_lshrrev_b64 v[13:14], 6, v[13:14]
	v_add_co_u32_e32 v15, vcc, v15, v7
	v_addc_co_u32_e32 v16, vcc, v16, v8, vcc
	v_add_co_u32_e32 v13, vcc, v15, v13
	v_addc_co_u32_e32 v14, vcc, v16, v14, vcc
	v_lshlrev_b64 v[15:16], 1, v[13:14]
	v_add_co_u32_e32 v15, vcc, s16, v15
	v_addc_co_u32_e32 v16, vcc, v1, v16, vcc
	global_load_ushort v15, v[15:16], off
	v_add_co_u32_e32 v16, vcc, 1, v13
	v_addc_co_u32_e32 v17, vcc, 0, v14, vcc
	s_waitcnt vmcnt(0)
	v_cmp_lt_u16_sdwa vcc, v15, v2 src0_sel:DWORD src1_sel:WORD_1
	v_cndmask_b32_e32 v12, v14, v12, vcc
	v_cndmask_b32_e32 v11, v13, v11, vcc
	;; [unrolled: 1-line block ×4, first 2 shown]
	v_cmp_ge_u64_e32 vcc, v[7:8], v[11:12]
	s_or_b64 s[10:11], vcc, s[10:11]
	s_andn2_b64 exec, exec, s[10:11]
	s_cbranch_execnz .LBB97_49
; %bb.50:
	s_or_b64 exec, exec, s[10:11]
	s_branch .LBB97_52
.LBB97_51:
	v_mov_b32_e32 v7, 0
	v_mov_b32_e32 v8, 0
.LBB97_52:
	s_or_b64 exec, exec, s[12:13]
	s_lshl_b64 s[8:9], s[8:9], 3
	s_add_u32 s8, s20, s8
	s_addc_u32 s9, s21, s9
	v_lshlrev_b32_e32 v0, 3, v0
	v_mov_b32_e32 v1, s9
	v_add_co_u32_e32 v11, vcc, s8, v0
	v_addc_co_u32_e32 v12, vcc, 0, v1, vcc
	s_and_saveexec_b64 s[8:9], s[0:1]
	s_xor_b64 s[0:1], exec, s[8:9]
	s_cbranch_execz .LBB97_54
; %bb.53:
	flat_store_dwordx2 v[11:12], v[3:4]
.LBB97_54:
	s_or_b64 exec, exec, s[0:1]
	s_and_saveexec_b64 s[0:1], s[2:3]
	s_cbranch_execz .LBB97_56
; %bb.55:
	flat_store_dwordx2 v[11:12], v[5:6] offset:2048
.LBB97_56:
	s_or_b64 exec, exec, s[0:1]
	s_and_saveexec_b64 s[0:1], s[4:5]
	s_cbranch_execz .LBB97_58
; %bb.57:
	v_add_co_u32_e32 v0, vcc, 0x1000, v11
	v_addc_co_u32_e32 v1, vcc, 0, v12, vcc
	flat_store_dwordx2 v[0:1], v[9:10]
.LBB97_58:
	s_or_b64 exec, exec, s[0:1]
.LBB97_59:
	s_and_saveexec_b64 s[0:1], s[6:7]
	s_cbranch_execnz .LBB97_61
; %bb.60:
	s_endpgm
.LBB97_61:
	v_add_co_u32_e32 v0, vcc, 0x1000, v11
	v_addc_co_u32_e32 v1, vcc, 0, v12, vcc
	flat_store_dwordx2 v[0:1], v[7:8] offset:2048
	s_endpgm
	.section	.rodata,"a",@progbits
	.p2align	6, 0x0
	.amdhsa_kernel _ZN7rocprim17ROCPRIM_400000_NS6detail17trampoline_kernelINS0_14default_configENS1_27lower_bound_config_selectorItlEEZNS1_14transform_implILb0ES3_S5_N6thrust23THRUST_200600_302600_NS6detail15normal_iteratorINS8_7pointerItNS8_11hip_rocprim5par_tENS8_11use_defaultESE_EEEENSA_INSB_IlSD_SE_SE_EEEEZNS1_13binary_searchIS3_S5_PtSG_SI_NS1_21lower_bound_search_opENS9_16wrapped_functionINS8_6system6detail7generic6detail18binary_search_lessEbEEEE10hipError_tPvRmT1_T2_T3_mmT4_T5_P12ihipStream_tbEUlRKtE_EEST_SX_SY_mSZ_S12_bEUlT_E_NS1_11comp_targetILNS1_3genE2ELNS1_11target_archE906ELNS1_3gpuE6ELNS1_3repE0EEENS1_30default_config_static_selectorELNS0_4arch9wavefront6targetE1EEEvSW_
		.amdhsa_group_segment_fixed_size 0
		.amdhsa_private_segment_fixed_size 0
		.amdhsa_kernarg_size 312
		.amdhsa_user_sgpr_count 6
		.amdhsa_user_sgpr_private_segment_buffer 1
		.amdhsa_user_sgpr_dispatch_ptr 0
		.amdhsa_user_sgpr_queue_ptr 0
		.amdhsa_user_sgpr_kernarg_segment_ptr 1
		.amdhsa_user_sgpr_dispatch_id 0
		.amdhsa_user_sgpr_flat_scratch_init 0
		.amdhsa_user_sgpr_private_segment_size 0
		.amdhsa_uses_dynamic_stack 0
		.amdhsa_system_sgpr_private_segment_wavefront_offset 0
		.amdhsa_system_sgpr_workgroup_id_x 1
		.amdhsa_system_sgpr_workgroup_id_y 0
		.amdhsa_system_sgpr_workgroup_id_z 0
		.amdhsa_system_sgpr_workgroup_info 0
		.amdhsa_system_vgpr_workitem_id 0
		.amdhsa_next_free_vgpr 18
		.amdhsa_next_free_sgpr 22
		.amdhsa_reserve_vcc 1
		.amdhsa_reserve_flat_scratch 0
		.amdhsa_float_round_mode_32 0
		.amdhsa_float_round_mode_16_64 0
		.amdhsa_float_denorm_mode_32 3
		.amdhsa_float_denorm_mode_16_64 3
		.amdhsa_dx10_clamp 1
		.amdhsa_ieee_mode 1
		.amdhsa_fp16_overflow 0
		.amdhsa_exception_fp_ieee_invalid_op 0
		.amdhsa_exception_fp_denorm_src 0
		.amdhsa_exception_fp_ieee_div_zero 0
		.amdhsa_exception_fp_ieee_overflow 0
		.amdhsa_exception_fp_ieee_underflow 0
		.amdhsa_exception_fp_ieee_inexact 0
		.amdhsa_exception_int_div_zero 0
	.end_amdhsa_kernel
	.section	.text._ZN7rocprim17ROCPRIM_400000_NS6detail17trampoline_kernelINS0_14default_configENS1_27lower_bound_config_selectorItlEEZNS1_14transform_implILb0ES3_S5_N6thrust23THRUST_200600_302600_NS6detail15normal_iteratorINS8_7pointerItNS8_11hip_rocprim5par_tENS8_11use_defaultESE_EEEENSA_INSB_IlSD_SE_SE_EEEEZNS1_13binary_searchIS3_S5_PtSG_SI_NS1_21lower_bound_search_opENS9_16wrapped_functionINS8_6system6detail7generic6detail18binary_search_lessEbEEEE10hipError_tPvRmT1_T2_T3_mmT4_T5_P12ihipStream_tbEUlRKtE_EEST_SX_SY_mSZ_S12_bEUlT_E_NS1_11comp_targetILNS1_3genE2ELNS1_11target_archE906ELNS1_3gpuE6ELNS1_3repE0EEENS1_30default_config_static_selectorELNS0_4arch9wavefront6targetE1EEEvSW_,"axG",@progbits,_ZN7rocprim17ROCPRIM_400000_NS6detail17trampoline_kernelINS0_14default_configENS1_27lower_bound_config_selectorItlEEZNS1_14transform_implILb0ES3_S5_N6thrust23THRUST_200600_302600_NS6detail15normal_iteratorINS8_7pointerItNS8_11hip_rocprim5par_tENS8_11use_defaultESE_EEEENSA_INSB_IlSD_SE_SE_EEEEZNS1_13binary_searchIS3_S5_PtSG_SI_NS1_21lower_bound_search_opENS9_16wrapped_functionINS8_6system6detail7generic6detail18binary_search_lessEbEEEE10hipError_tPvRmT1_T2_T3_mmT4_T5_P12ihipStream_tbEUlRKtE_EEST_SX_SY_mSZ_S12_bEUlT_E_NS1_11comp_targetILNS1_3genE2ELNS1_11target_archE906ELNS1_3gpuE6ELNS1_3repE0EEENS1_30default_config_static_selectorELNS0_4arch9wavefront6targetE1EEEvSW_,comdat
.Lfunc_end97:
	.size	_ZN7rocprim17ROCPRIM_400000_NS6detail17trampoline_kernelINS0_14default_configENS1_27lower_bound_config_selectorItlEEZNS1_14transform_implILb0ES3_S5_N6thrust23THRUST_200600_302600_NS6detail15normal_iteratorINS8_7pointerItNS8_11hip_rocprim5par_tENS8_11use_defaultESE_EEEENSA_INSB_IlSD_SE_SE_EEEEZNS1_13binary_searchIS3_S5_PtSG_SI_NS1_21lower_bound_search_opENS9_16wrapped_functionINS8_6system6detail7generic6detail18binary_search_lessEbEEEE10hipError_tPvRmT1_T2_T3_mmT4_T5_P12ihipStream_tbEUlRKtE_EEST_SX_SY_mSZ_S12_bEUlT_E_NS1_11comp_targetILNS1_3genE2ELNS1_11target_archE906ELNS1_3gpuE6ELNS1_3repE0EEENS1_30default_config_static_selectorELNS0_4arch9wavefront6targetE1EEEvSW_, .Lfunc_end97-_ZN7rocprim17ROCPRIM_400000_NS6detail17trampoline_kernelINS0_14default_configENS1_27lower_bound_config_selectorItlEEZNS1_14transform_implILb0ES3_S5_N6thrust23THRUST_200600_302600_NS6detail15normal_iteratorINS8_7pointerItNS8_11hip_rocprim5par_tENS8_11use_defaultESE_EEEENSA_INSB_IlSD_SE_SE_EEEEZNS1_13binary_searchIS3_S5_PtSG_SI_NS1_21lower_bound_search_opENS9_16wrapped_functionINS8_6system6detail7generic6detail18binary_search_lessEbEEEE10hipError_tPvRmT1_T2_T3_mmT4_T5_P12ihipStream_tbEUlRKtE_EEST_SX_SY_mSZ_S12_bEUlT_E_NS1_11comp_targetILNS1_3genE2ELNS1_11target_archE906ELNS1_3gpuE6ELNS1_3repE0EEENS1_30default_config_static_selectorELNS0_4arch9wavefront6targetE1EEEvSW_
                                        ; -- End function
	.set _ZN7rocprim17ROCPRIM_400000_NS6detail17trampoline_kernelINS0_14default_configENS1_27lower_bound_config_selectorItlEEZNS1_14transform_implILb0ES3_S5_N6thrust23THRUST_200600_302600_NS6detail15normal_iteratorINS8_7pointerItNS8_11hip_rocprim5par_tENS8_11use_defaultESE_EEEENSA_INSB_IlSD_SE_SE_EEEEZNS1_13binary_searchIS3_S5_PtSG_SI_NS1_21lower_bound_search_opENS9_16wrapped_functionINS8_6system6detail7generic6detail18binary_search_lessEbEEEE10hipError_tPvRmT1_T2_T3_mmT4_T5_P12ihipStream_tbEUlRKtE_EEST_SX_SY_mSZ_S12_bEUlT_E_NS1_11comp_targetILNS1_3genE2ELNS1_11target_archE906ELNS1_3gpuE6ELNS1_3repE0EEENS1_30default_config_static_selectorELNS0_4arch9wavefront6targetE1EEEvSW_.num_vgpr, 18
	.set _ZN7rocprim17ROCPRIM_400000_NS6detail17trampoline_kernelINS0_14default_configENS1_27lower_bound_config_selectorItlEEZNS1_14transform_implILb0ES3_S5_N6thrust23THRUST_200600_302600_NS6detail15normal_iteratorINS8_7pointerItNS8_11hip_rocprim5par_tENS8_11use_defaultESE_EEEENSA_INSB_IlSD_SE_SE_EEEEZNS1_13binary_searchIS3_S5_PtSG_SI_NS1_21lower_bound_search_opENS9_16wrapped_functionINS8_6system6detail7generic6detail18binary_search_lessEbEEEE10hipError_tPvRmT1_T2_T3_mmT4_T5_P12ihipStream_tbEUlRKtE_EEST_SX_SY_mSZ_S12_bEUlT_E_NS1_11comp_targetILNS1_3genE2ELNS1_11target_archE906ELNS1_3gpuE6ELNS1_3repE0EEENS1_30default_config_static_selectorELNS0_4arch9wavefront6targetE1EEEvSW_.num_agpr, 0
	.set _ZN7rocprim17ROCPRIM_400000_NS6detail17trampoline_kernelINS0_14default_configENS1_27lower_bound_config_selectorItlEEZNS1_14transform_implILb0ES3_S5_N6thrust23THRUST_200600_302600_NS6detail15normal_iteratorINS8_7pointerItNS8_11hip_rocprim5par_tENS8_11use_defaultESE_EEEENSA_INSB_IlSD_SE_SE_EEEEZNS1_13binary_searchIS3_S5_PtSG_SI_NS1_21lower_bound_search_opENS9_16wrapped_functionINS8_6system6detail7generic6detail18binary_search_lessEbEEEE10hipError_tPvRmT1_T2_T3_mmT4_T5_P12ihipStream_tbEUlRKtE_EEST_SX_SY_mSZ_S12_bEUlT_E_NS1_11comp_targetILNS1_3genE2ELNS1_11target_archE906ELNS1_3gpuE6ELNS1_3repE0EEENS1_30default_config_static_selectorELNS0_4arch9wavefront6targetE1EEEvSW_.numbered_sgpr, 22
	.set _ZN7rocprim17ROCPRIM_400000_NS6detail17trampoline_kernelINS0_14default_configENS1_27lower_bound_config_selectorItlEEZNS1_14transform_implILb0ES3_S5_N6thrust23THRUST_200600_302600_NS6detail15normal_iteratorINS8_7pointerItNS8_11hip_rocprim5par_tENS8_11use_defaultESE_EEEENSA_INSB_IlSD_SE_SE_EEEEZNS1_13binary_searchIS3_S5_PtSG_SI_NS1_21lower_bound_search_opENS9_16wrapped_functionINS8_6system6detail7generic6detail18binary_search_lessEbEEEE10hipError_tPvRmT1_T2_T3_mmT4_T5_P12ihipStream_tbEUlRKtE_EEST_SX_SY_mSZ_S12_bEUlT_E_NS1_11comp_targetILNS1_3genE2ELNS1_11target_archE906ELNS1_3gpuE6ELNS1_3repE0EEENS1_30default_config_static_selectorELNS0_4arch9wavefront6targetE1EEEvSW_.num_named_barrier, 0
	.set _ZN7rocprim17ROCPRIM_400000_NS6detail17trampoline_kernelINS0_14default_configENS1_27lower_bound_config_selectorItlEEZNS1_14transform_implILb0ES3_S5_N6thrust23THRUST_200600_302600_NS6detail15normal_iteratorINS8_7pointerItNS8_11hip_rocprim5par_tENS8_11use_defaultESE_EEEENSA_INSB_IlSD_SE_SE_EEEEZNS1_13binary_searchIS3_S5_PtSG_SI_NS1_21lower_bound_search_opENS9_16wrapped_functionINS8_6system6detail7generic6detail18binary_search_lessEbEEEE10hipError_tPvRmT1_T2_T3_mmT4_T5_P12ihipStream_tbEUlRKtE_EEST_SX_SY_mSZ_S12_bEUlT_E_NS1_11comp_targetILNS1_3genE2ELNS1_11target_archE906ELNS1_3gpuE6ELNS1_3repE0EEENS1_30default_config_static_selectorELNS0_4arch9wavefront6targetE1EEEvSW_.private_seg_size, 0
	.set _ZN7rocprim17ROCPRIM_400000_NS6detail17trampoline_kernelINS0_14default_configENS1_27lower_bound_config_selectorItlEEZNS1_14transform_implILb0ES3_S5_N6thrust23THRUST_200600_302600_NS6detail15normal_iteratorINS8_7pointerItNS8_11hip_rocprim5par_tENS8_11use_defaultESE_EEEENSA_INSB_IlSD_SE_SE_EEEEZNS1_13binary_searchIS3_S5_PtSG_SI_NS1_21lower_bound_search_opENS9_16wrapped_functionINS8_6system6detail7generic6detail18binary_search_lessEbEEEE10hipError_tPvRmT1_T2_T3_mmT4_T5_P12ihipStream_tbEUlRKtE_EEST_SX_SY_mSZ_S12_bEUlT_E_NS1_11comp_targetILNS1_3genE2ELNS1_11target_archE906ELNS1_3gpuE6ELNS1_3repE0EEENS1_30default_config_static_selectorELNS0_4arch9wavefront6targetE1EEEvSW_.uses_vcc, 1
	.set _ZN7rocprim17ROCPRIM_400000_NS6detail17trampoline_kernelINS0_14default_configENS1_27lower_bound_config_selectorItlEEZNS1_14transform_implILb0ES3_S5_N6thrust23THRUST_200600_302600_NS6detail15normal_iteratorINS8_7pointerItNS8_11hip_rocprim5par_tENS8_11use_defaultESE_EEEENSA_INSB_IlSD_SE_SE_EEEEZNS1_13binary_searchIS3_S5_PtSG_SI_NS1_21lower_bound_search_opENS9_16wrapped_functionINS8_6system6detail7generic6detail18binary_search_lessEbEEEE10hipError_tPvRmT1_T2_T3_mmT4_T5_P12ihipStream_tbEUlRKtE_EEST_SX_SY_mSZ_S12_bEUlT_E_NS1_11comp_targetILNS1_3genE2ELNS1_11target_archE906ELNS1_3gpuE6ELNS1_3repE0EEENS1_30default_config_static_selectorELNS0_4arch9wavefront6targetE1EEEvSW_.uses_flat_scratch, 0
	.set _ZN7rocprim17ROCPRIM_400000_NS6detail17trampoline_kernelINS0_14default_configENS1_27lower_bound_config_selectorItlEEZNS1_14transform_implILb0ES3_S5_N6thrust23THRUST_200600_302600_NS6detail15normal_iteratorINS8_7pointerItNS8_11hip_rocprim5par_tENS8_11use_defaultESE_EEEENSA_INSB_IlSD_SE_SE_EEEEZNS1_13binary_searchIS3_S5_PtSG_SI_NS1_21lower_bound_search_opENS9_16wrapped_functionINS8_6system6detail7generic6detail18binary_search_lessEbEEEE10hipError_tPvRmT1_T2_T3_mmT4_T5_P12ihipStream_tbEUlRKtE_EEST_SX_SY_mSZ_S12_bEUlT_E_NS1_11comp_targetILNS1_3genE2ELNS1_11target_archE906ELNS1_3gpuE6ELNS1_3repE0EEENS1_30default_config_static_selectorELNS0_4arch9wavefront6targetE1EEEvSW_.has_dyn_sized_stack, 0
	.set _ZN7rocprim17ROCPRIM_400000_NS6detail17trampoline_kernelINS0_14default_configENS1_27lower_bound_config_selectorItlEEZNS1_14transform_implILb0ES3_S5_N6thrust23THRUST_200600_302600_NS6detail15normal_iteratorINS8_7pointerItNS8_11hip_rocprim5par_tENS8_11use_defaultESE_EEEENSA_INSB_IlSD_SE_SE_EEEEZNS1_13binary_searchIS3_S5_PtSG_SI_NS1_21lower_bound_search_opENS9_16wrapped_functionINS8_6system6detail7generic6detail18binary_search_lessEbEEEE10hipError_tPvRmT1_T2_T3_mmT4_T5_P12ihipStream_tbEUlRKtE_EEST_SX_SY_mSZ_S12_bEUlT_E_NS1_11comp_targetILNS1_3genE2ELNS1_11target_archE906ELNS1_3gpuE6ELNS1_3repE0EEENS1_30default_config_static_selectorELNS0_4arch9wavefront6targetE1EEEvSW_.has_recursion, 0
	.set _ZN7rocprim17ROCPRIM_400000_NS6detail17trampoline_kernelINS0_14default_configENS1_27lower_bound_config_selectorItlEEZNS1_14transform_implILb0ES3_S5_N6thrust23THRUST_200600_302600_NS6detail15normal_iteratorINS8_7pointerItNS8_11hip_rocprim5par_tENS8_11use_defaultESE_EEEENSA_INSB_IlSD_SE_SE_EEEEZNS1_13binary_searchIS3_S5_PtSG_SI_NS1_21lower_bound_search_opENS9_16wrapped_functionINS8_6system6detail7generic6detail18binary_search_lessEbEEEE10hipError_tPvRmT1_T2_T3_mmT4_T5_P12ihipStream_tbEUlRKtE_EEST_SX_SY_mSZ_S12_bEUlT_E_NS1_11comp_targetILNS1_3genE2ELNS1_11target_archE906ELNS1_3gpuE6ELNS1_3repE0EEENS1_30default_config_static_selectorELNS0_4arch9wavefront6targetE1EEEvSW_.has_indirect_call, 0
	.section	.AMDGPU.csdata,"",@progbits
; Kernel info:
; codeLenInByte = 2136
; TotalNumSgprs: 26
; NumVgprs: 18
; ScratchSize: 0
; MemoryBound: 0
; FloatMode: 240
; IeeeMode: 1
; LDSByteSize: 0 bytes/workgroup (compile time only)
; SGPRBlocks: 3
; VGPRBlocks: 4
; NumSGPRsForWavesPerEU: 26
; NumVGPRsForWavesPerEU: 18
; Occupancy: 10
; WaveLimiterHint : 1
; COMPUTE_PGM_RSRC2:SCRATCH_EN: 0
; COMPUTE_PGM_RSRC2:USER_SGPR: 6
; COMPUTE_PGM_RSRC2:TRAP_HANDLER: 0
; COMPUTE_PGM_RSRC2:TGID_X_EN: 1
; COMPUTE_PGM_RSRC2:TGID_Y_EN: 0
; COMPUTE_PGM_RSRC2:TGID_Z_EN: 0
; COMPUTE_PGM_RSRC2:TIDIG_COMP_CNT: 0
	.section	.text._ZN7rocprim17ROCPRIM_400000_NS6detail17trampoline_kernelINS0_14default_configENS1_27lower_bound_config_selectorItlEEZNS1_14transform_implILb0ES3_S5_N6thrust23THRUST_200600_302600_NS6detail15normal_iteratorINS8_7pointerItNS8_11hip_rocprim5par_tENS8_11use_defaultESE_EEEENSA_INSB_IlSD_SE_SE_EEEEZNS1_13binary_searchIS3_S5_PtSG_SI_NS1_21lower_bound_search_opENS9_16wrapped_functionINS8_6system6detail7generic6detail18binary_search_lessEbEEEE10hipError_tPvRmT1_T2_T3_mmT4_T5_P12ihipStream_tbEUlRKtE_EEST_SX_SY_mSZ_S12_bEUlT_E_NS1_11comp_targetILNS1_3genE10ELNS1_11target_archE1201ELNS1_3gpuE5ELNS1_3repE0EEENS1_30default_config_static_selectorELNS0_4arch9wavefront6targetE1EEEvSW_,"axG",@progbits,_ZN7rocprim17ROCPRIM_400000_NS6detail17trampoline_kernelINS0_14default_configENS1_27lower_bound_config_selectorItlEEZNS1_14transform_implILb0ES3_S5_N6thrust23THRUST_200600_302600_NS6detail15normal_iteratorINS8_7pointerItNS8_11hip_rocprim5par_tENS8_11use_defaultESE_EEEENSA_INSB_IlSD_SE_SE_EEEEZNS1_13binary_searchIS3_S5_PtSG_SI_NS1_21lower_bound_search_opENS9_16wrapped_functionINS8_6system6detail7generic6detail18binary_search_lessEbEEEE10hipError_tPvRmT1_T2_T3_mmT4_T5_P12ihipStream_tbEUlRKtE_EEST_SX_SY_mSZ_S12_bEUlT_E_NS1_11comp_targetILNS1_3genE10ELNS1_11target_archE1201ELNS1_3gpuE5ELNS1_3repE0EEENS1_30default_config_static_selectorELNS0_4arch9wavefront6targetE1EEEvSW_,comdat
	.protected	_ZN7rocprim17ROCPRIM_400000_NS6detail17trampoline_kernelINS0_14default_configENS1_27lower_bound_config_selectorItlEEZNS1_14transform_implILb0ES3_S5_N6thrust23THRUST_200600_302600_NS6detail15normal_iteratorINS8_7pointerItNS8_11hip_rocprim5par_tENS8_11use_defaultESE_EEEENSA_INSB_IlSD_SE_SE_EEEEZNS1_13binary_searchIS3_S5_PtSG_SI_NS1_21lower_bound_search_opENS9_16wrapped_functionINS8_6system6detail7generic6detail18binary_search_lessEbEEEE10hipError_tPvRmT1_T2_T3_mmT4_T5_P12ihipStream_tbEUlRKtE_EEST_SX_SY_mSZ_S12_bEUlT_E_NS1_11comp_targetILNS1_3genE10ELNS1_11target_archE1201ELNS1_3gpuE5ELNS1_3repE0EEENS1_30default_config_static_selectorELNS0_4arch9wavefront6targetE1EEEvSW_ ; -- Begin function _ZN7rocprim17ROCPRIM_400000_NS6detail17trampoline_kernelINS0_14default_configENS1_27lower_bound_config_selectorItlEEZNS1_14transform_implILb0ES3_S5_N6thrust23THRUST_200600_302600_NS6detail15normal_iteratorINS8_7pointerItNS8_11hip_rocprim5par_tENS8_11use_defaultESE_EEEENSA_INSB_IlSD_SE_SE_EEEEZNS1_13binary_searchIS3_S5_PtSG_SI_NS1_21lower_bound_search_opENS9_16wrapped_functionINS8_6system6detail7generic6detail18binary_search_lessEbEEEE10hipError_tPvRmT1_T2_T3_mmT4_T5_P12ihipStream_tbEUlRKtE_EEST_SX_SY_mSZ_S12_bEUlT_E_NS1_11comp_targetILNS1_3genE10ELNS1_11target_archE1201ELNS1_3gpuE5ELNS1_3repE0EEENS1_30default_config_static_selectorELNS0_4arch9wavefront6targetE1EEEvSW_
	.globl	_ZN7rocprim17ROCPRIM_400000_NS6detail17trampoline_kernelINS0_14default_configENS1_27lower_bound_config_selectorItlEEZNS1_14transform_implILb0ES3_S5_N6thrust23THRUST_200600_302600_NS6detail15normal_iteratorINS8_7pointerItNS8_11hip_rocprim5par_tENS8_11use_defaultESE_EEEENSA_INSB_IlSD_SE_SE_EEEEZNS1_13binary_searchIS3_S5_PtSG_SI_NS1_21lower_bound_search_opENS9_16wrapped_functionINS8_6system6detail7generic6detail18binary_search_lessEbEEEE10hipError_tPvRmT1_T2_T3_mmT4_T5_P12ihipStream_tbEUlRKtE_EEST_SX_SY_mSZ_S12_bEUlT_E_NS1_11comp_targetILNS1_3genE10ELNS1_11target_archE1201ELNS1_3gpuE5ELNS1_3repE0EEENS1_30default_config_static_selectorELNS0_4arch9wavefront6targetE1EEEvSW_
	.p2align	8
	.type	_ZN7rocprim17ROCPRIM_400000_NS6detail17trampoline_kernelINS0_14default_configENS1_27lower_bound_config_selectorItlEEZNS1_14transform_implILb0ES3_S5_N6thrust23THRUST_200600_302600_NS6detail15normal_iteratorINS8_7pointerItNS8_11hip_rocprim5par_tENS8_11use_defaultESE_EEEENSA_INSB_IlSD_SE_SE_EEEEZNS1_13binary_searchIS3_S5_PtSG_SI_NS1_21lower_bound_search_opENS9_16wrapped_functionINS8_6system6detail7generic6detail18binary_search_lessEbEEEE10hipError_tPvRmT1_T2_T3_mmT4_T5_P12ihipStream_tbEUlRKtE_EEST_SX_SY_mSZ_S12_bEUlT_E_NS1_11comp_targetILNS1_3genE10ELNS1_11target_archE1201ELNS1_3gpuE5ELNS1_3repE0EEENS1_30default_config_static_selectorELNS0_4arch9wavefront6targetE1EEEvSW_,@function
_ZN7rocprim17ROCPRIM_400000_NS6detail17trampoline_kernelINS0_14default_configENS1_27lower_bound_config_selectorItlEEZNS1_14transform_implILb0ES3_S5_N6thrust23THRUST_200600_302600_NS6detail15normal_iteratorINS8_7pointerItNS8_11hip_rocprim5par_tENS8_11use_defaultESE_EEEENSA_INSB_IlSD_SE_SE_EEEEZNS1_13binary_searchIS3_S5_PtSG_SI_NS1_21lower_bound_search_opENS9_16wrapped_functionINS8_6system6detail7generic6detail18binary_search_lessEbEEEE10hipError_tPvRmT1_T2_T3_mmT4_T5_P12ihipStream_tbEUlRKtE_EEST_SX_SY_mSZ_S12_bEUlT_E_NS1_11comp_targetILNS1_3genE10ELNS1_11target_archE1201ELNS1_3gpuE5ELNS1_3repE0EEENS1_30default_config_static_selectorELNS0_4arch9wavefront6targetE1EEEvSW_: ; @_ZN7rocprim17ROCPRIM_400000_NS6detail17trampoline_kernelINS0_14default_configENS1_27lower_bound_config_selectorItlEEZNS1_14transform_implILb0ES3_S5_N6thrust23THRUST_200600_302600_NS6detail15normal_iteratorINS8_7pointerItNS8_11hip_rocprim5par_tENS8_11use_defaultESE_EEEENSA_INSB_IlSD_SE_SE_EEEEZNS1_13binary_searchIS3_S5_PtSG_SI_NS1_21lower_bound_search_opENS9_16wrapped_functionINS8_6system6detail7generic6detail18binary_search_lessEbEEEE10hipError_tPvRmT1_T2_T3_mmT4_T5_P12ihipStream_tbEUlRKtE_EEST_SX_SY_mSZ_S12_bEUlT_E_NS1_11comp_targetILNS1_3genE10ELNS1_11target_archE1201ELNS1_3gpuE5ELNS1_3repE0EEENS1_30default_config_static_selectorELNS0_4arch9wavefront6targetE1EEEvSW_
; %bb.0:
	.section	.rodata,"a",@progbits
	.p2align	6, 0x0
	.amdhsa_kernel _ZN7rocprim17ROCPRIM_400000_NS6detail17trampoline_kernelINS0_14default_configENS1_27lower_bound_config_selectorItlEEZNS1_14transform_implILb0ES3_S5_N6thrust23THRUST_200600_302600_NS6detail15normal_iteratorINS8_7pointerItNS8_11hip_rocprim5par_tENS8_11use_defaultESE_EEEENSA_INSB_IlSD_SE_SE_EEEEZNS1_13binary_searchIS3_S5_PtSG_SI_NS1_21lower_bound_search_opENS9_16wrapped_functionINS8_6system6detail7generic6detail18binary_search_lessEbEEEE10hipError_tPvRmT1_T2_T3_mmT4_T5_P12ihipStream_tbEUlRKtE_EEST_SX_SY_mSZ_S12_bEUlT_E_NS1_11comp_targetILNS1_3genE10ELNS1_11target_archE1201ELNS1_3gpuE5ELNS1_3repE0EEENS1_30default_config_static_selectorELNS0_4arch9wavefront6targetE1EEEvSW_
		.amdhsa_group_segment_fixed_size 0
		.amdhsa_private_segment_fixed_size 0
		.amdhsa_kernarg_size 56
		.amdhsa_user_sgpr_count 6
		.amdhsa_user_sgpr_private_segment_buffer 1
		.amdhsa_user_sgpr_dispatch_ptr 0
		.amdhsa_user_sgpr_queue_ptr 0
		.amdhsa_user_sgpr_kernarg_segment_ptr 1
		.amdhsa_user_sgpr_dispatch_id 0
		.amdhsa_user_sgpr_flat_scratch_init 0
		.amdhsa_user_sgpr_private_segment_size 0
		.amdhsa_uses_dynamic_stack 0
		.amdhsa_system_sgpr_private_segment_wavefront_offset 0
		.amdhsa_system_sgpr_workgroup_id_x 1
		.amdhsa_system_sgpr_workgroup_id_y 0
		.amdhsa_system_sgpr_workgroup_id_z 0
		.amdhsa_system_sgpr_workgroup_info 0
		.amdhsa_system_vgpr_workitem_id 0
		.amdhsa_next_free_vgpr 1
		.amdhsa_next_free_sgpr 0
		.amdhsa_reserve_vcc 0
		.amdhsa_reserve_flat_scratch 0
		.amdhsa_float_round_mode_32 0
		.amdhsa_float_round_mode_16_64 0
		.amdhsa_float_denorm_mode_32 3
		.amdhsa_float_denorm_mode_16_64 3
		.amdhsa_dx10_clamp 1
		.amdhsa_ieee_mode 1
		.amdhsa_fp16_overflow 0
		.amdhsa_exception_fp_ieee_invalid_op 0
		.amdhsa_exception_fp_denorm_src 0
		.amdhsa_exception_fp_ieee_div_zero 0
		.amdhsa_exception_fp_ieee_overflow 0
		.amdhsa_exception_fp_ieee_underflow 0
		.amdhsa_exception_fp_ieee_inexact 0
		.amdhsa_exception_int_div_zero 0
	.end_amdhsa_kernel
	.section	.text._ZN7rocprim17ROCPRIM_400000_NS6detail17trampoline_kernelINS0_14default_configENS1_27lower_bound_config_selectorItlEEZNS1_14transform_implILb0ES3_S5_N6thrust23THRUST_200600_302600_NS6detail15normal_iteratorINS8_7pointerItNS8_11hip_rocprim5par_tENS8_11use_defaultESE_EEEENSA_INSB_IlSD_SE_SE_EEEEZNS1_13binary_searchIS3_S5_PtSG_SI_NS1_21lower_bound_search_opENS9_16wrapped_functionINS8_6system6detail7generic6detail18binary_search_lessEbEEEE10hipError_tPvRmT1_T2_T3_mmT4_T5_P12ihipStream_tbEUlRKtE_EEST_SX_SY_mSZ_S12_bEUlT_E_NS1_11comp_targetILNS1_3genE10ELNS1_11target_archE1201ELNS1_3gpuE5ELNS1_3repE0EEENS1_30default_config_static_selectorELNS0_4arch9wavefront6targetE1EEEvSW_,"axG",@progbits,_ZN7rocprim17ROCPRIM_400000_NS6detail17trampoline_kernelINS0_14default_configENS1_27lower_bound_config_selectorItlEEZNS1_14transform_implILb0ES3_S5_N6thrust23THRUST_200600_302600_NS6detail15normal_iteratorINS8_7pointerItNS8_11hip_rocprim5par_tENS8_11use_defaultESE_EEEENSA_INSB_IlSD_SE_SE_EEEEZNS1_13binary_searchIS3_S5_PtSG_SI_NS1_21lower_bound_search_opENS9_16wrapped_functionINS8_6system6detail7generic6detail18binary_search_lessEbEEEE10hipError_tPvRmT1_T2_T3_mmT4_T5_P12ihipStream_tbEUlRKtE_EEST_SX_SY_mSZ_S12_bEUlT_E_NS1_11comp_targetILNS1_3genE10ELNS1_11target_archE1201ELNS1_3gpuE5ELNS1_3repE0EEENS1_30default_config_static_selectorELNS0_4arch9wavefront6targetE1EEEvSW_,comdat
.Lfunc_end98:
	.size	_ZN7rocprim17ROCPRIM_400000_NS6detail17trampoline_kernelINS0_14default_configENS1_27lower_bound_config_selectorItlEEZNS1_14transform_implILb0ES3_S5_N6thrust23THRUST_200600_302600_NS6detail15normal_iteratorINS8_7pointerItNS8_11hip_rocprim5par_tENS8_11use_defaultESE_EEEENSA_INSB_IlSD_SE_SE_EEEEZNS1_13binary_searchIS3_S5_PtSG_SI_NS1_21lower_bound_search_opENS9_16wrapped_functionINS8_6system6detail7generic6detail18binary_search_lessEbEEEE10hipError_tPvRmT1_T2_T3_mmT4_T5_P12ihipStream_tbEUlRKtE_EEST_SX_SY_mSZ_S12_bEUlT_E_NS1_11comp_targetILNS1_3genE10ELNS1_11target_archE1201ELNS1_3gpuE5ELNS1_3repE0EEENS1_30default_config_static_selectorELNS0_4arch9wavefront6targetE1EEEvSW_, .Lfunc_end98-_ZN7rocprim17ROCPRIM_400000_NS6detail17trampoline_kernelINS0_14default_configENS1_27lower_bound_config_selectorItlEEZNS1_14transform_implILb0ES3_S5_N6thrust23THRUST_200600_302600_NS6detail15normal_iteratorINS8_7pointerItNS8_11hip_rocprim5par_tENS8_11use_defaultESE_EEEENSA_INSB_IlSD_SE_SE_EEEEZNS1_13binary_searchIS3_S5_PtSG_SI_NS1_21lower_bound_search_opENS9_16wrapped_functionINS8_6system6detail7generic6detail18binary_search_lessEbEEEE10hipError_tPvRmT1_T2_T3_mmT4_T5_P12ihipStream_tbEUlRKtE_EEST_SX_SY_mSZ_S12_bEUlT_E_NS1_11comp_targetILNS1_3genE10ELNS1_11target_archE1201ELNS1_3gpuE5ELNS1_3repE0EEENS1_30default_config_static_selectorELNS0_4arch9wavefront6targetE1EEEvSW_
                                        ; -- End function
	.set _ZN7rocprim17ROCPRIM_400000_NS6detail17trampoline_kernelINS0_14default_configENS1_27lower_bound_config_selectorItlEEZNS1_14transform_implILb0ES3_S5_N6thrust23THRUST_200600_302600_NS6detail15normal_iteratorINS8_7pointerItNS8_11hip_rocprim5par_tENS8_11use_defaultESE_EEEENSA_INSB_IlSD_SE_SE_EEEEZNS1_13binary_searchIS3_S5_PtSG_SI_NS1_21lower_bound_search_opENS9_16wrapped_functionINS8_6system6detail7generic6detail18binary_search_lessEbEEEE10hipError_tPvRmT1_T2_T3_mmT4_T5_P12ihipStream_tbEUlRKtE_EEST_SX_SY_mSZ_S12_bEUlT_E_NS1_11comp_targetILNS1_3genE10ELNS1_11target_archE1201ELNS1_3gpuE5ELNS1_3repE0EEENS1_30default_config_static_selectorELNS0_4arch9wavefront6targetE1EEEvSW_.num_vgpr, 0
	.set _ZN7rocprim17ROCPRIM_400000_NS6detail17trampoline_kernelINS0_14default_configENS1_27lower_bound_config_selectorItlEEZNS1_14transform_implILb0ES3_S5_N6thrust23THRUST_200600_302600_NS6detail15normal_iteratorINS8_7pointerItNS8_11hip_rocprim5par_tENS8_11use_defaultESE_EEEENSA_INSB_IlSD_SE_SE_EEEEZNS1_13binary_searchIS3_S5_PtSG_SI_NS1_21lower_bound_search_opENS9_16wrapped_functionINS8_6system6detail7generic6detail18binary_search_lessEbEEEE10hipError_tPvRmT1_T2_T3_mmT4_T5_P12ihipStream_tbEUlRKtE_EEST_SX_SY_mSZ_S12_bEUlT_E_NS1_11comp_targetILNS1_3genE10ELNS1_11target_archE1201ELNS1_3gpuE5ELNS1_3repE0EEENS1_30default_config_static_selectorELNS0_4arch9wavefront6targetE1EEEvSW_.num_agpr, 0
	.set _ZN7rocprim17ROCPRIM_400000_NS6detail17trampoline_kernelINS0_14default_configENS1_27lower_bound_config_selectorItlEEZNS1_14transform_implILb0ES3_S5_N6thrust23THRUST_200600_302600_NS6detail15normal_iteratorINS8_7pointerItNS8_11hip_rocprim5par_tENS8_11use_defaultESE_EEEENSA_INSB_IlSD_SE_SE_EEEEZNS1_13binary_searchIS3_S5_PtSG_SI_NS1_21lower_bound_search_opENS9_16wrapped_functionINS8_6system6detail7generic6detail18binary_search_lessEbEEEE10hipError_tPvRmT1_T2_T3_mmT4_T5_P12ihipStream_tbEUlRKtE_EEST_SX_SY_mSZ_S12_bEUlT_E_NS1_11comp_targetILNS1_3genE10ELNS1_11target_archE1201ELNS1_3gpuE5ELNS1_3repE0EEENS1_30default_config_static_selectorELNS0_4arch9wavefront6targetE1EEEvSW_.numbered_sgpr, 0
	.set _ZN7rocprim17ROCPRIM_400000_NS6detail17trampoline_kernelINS0_14default_configENS1_27lower_bound_config_selectorItlEEZNS1_14transform_implILb0ES3_S5_N6thrust23THRUST_200600_302600_NS6detail15normal_iteratorINS8_7pointerItNS8_11hip_rocprim5par_tENS8_11use_defaultESE_EEEENSA_INSB_IlSD_SE_SE_EEEEZNS1_13binary_searchIS3_S5_PtSG_SI_NS1_21lower_bound_search_opENS9_16wrapped_functionINS8_6system6detail7generic6detail18binary_search_lessEbEEEE10hipError_tPvRmT1_T2_T3_mmT4_T5_P12ihipStream_tbEUlRKtE_EEST_SX_SY_mSZ_S12_bEUlT_E_NS1_11comp_targetILNS1_3genE10ELNS1_11target_archE1201ELNS1_3gpuE5ELNS1_3repE0EEENS1_30default_config_static_selectorELNS0_4arch9wavefront6targetE1EEEvSW_.num_named_barrier, 0
	.set _ZN7rocprim17ROCPRIM_400000_NS6detail17trampoline_kernelINS0_14default_configENS1_27lower_bound_config_selectorItlEEZNS1_14transform_implILb0ES3_S5_N6thrust23THRUST_200600_302600_NS6detail15normal_iteratorINS8_7pointerItNS8_11hip_rocprim5par_tENS8_11use_defaultESE_EEEENSA_INSB_IlSD_SE_SE_EEEEZNS1_13binary_searchIS3_S5_PtSG_SI_NS1_21lower_bound_search_opENS9_16wrapped_functionINS8_6system6detail7generic6detail18binary_search_lessEbEEEE10hipError_tPvRmT1_T2_T3_mmT4_T5_P12ihipStream_tbEUlRKtE_EEST_SX_SY_mSZ_S12_bEUlT_E_NS1_11comp_targetILNS1_3genE10ELNS1_11target_archE1201ELNS1_3gpuE5ELNS1_3repE0EEENS1_30default_config_static_selectorELNS0_4arch9wavefront6targetE1EEEvSW_.private_seg_size, 0
	.set _ZN7rocprim17ROCPRIM_400000_NS6detail17trampoline_kernelINS0_14default_configENS1_27lower_bound_config_selectorItlEEZNS1_14transform_implILb0ES3_S5_N6thrust23THRUST_200600_302600_NS6detail15normal_iteratorINS8_7pointerItNS8_11hip_rocprim5par_tENS8_11use_defaultESE_EEEENSA_INSB_IlSD_SE_SE_EEEEZNS1_13binary_searchIS3_S5_PtSG_SI_NS1_21lower_bound_search_opENS9_16wrapped_functionINS8_6system6detail7generic6detail18binary_search_lessEbEEEE10hipError_tPvRmT1_T2_T3_mmT4_T5_P12ihipStream_tbEUlRKtE_EEST_SX_SY_mSZ_S12_bEUlT_E_NS1_11comp_targetILNS1_3genE10ELNS1_11target_archE1201ELNS1_3gpuE5ELNS1_3repE0EEENS1_30default_config_static_selectorELNS0_4arch9wavefront6targetE1EEEvSW_.uses_vcc, 0
	.set _ZN7rocprim17ROCPRIM_400000_NS6detail17trampoline_kernelINS0_14default_configENS1_27lower_bound_config_selectorItlEEZNS1_14transform_implILb0ES3_S5_N6thrust23THRUST_200600_302600_NS6detail15normal_iteratorINS8_7pointerItNS8_11hip_rocprim5par_tENS8_11use_defaultESE_EEEENSA_INSB_IlSD_SE_SE_EEEEZNS1_13binary_searchIS3_S5_PtSG_SI_NS1_21lower_bound_search_opENS9_16wrapped_functionINS8_6system6detail7generic6detail18binary_search_lessEbEEEE10hipError_tPvRmT1_T2_T3_mmT4_T5_P12ihipStream_tbEUlRKtE_EEST_SX_SY_mSZ_S12_bEUlT_E_NS1_11comp_targetILNS1_3genE10ELNS1_11target_archE1201ELNS1_3gpuE5ELNS1_3repE0EEENS1_30default_config_static_selectorELNS0_4arch9wavefront6targetE1EEEvSW_.uses_flat_scratch, 0
	.set _ZN7rocprim17ROCPRIM_400000_NS6detail17trampoline_kernelINS0_14default_configENS1_27lower_bound_config_selectorItlEEZNS1_14transform_implILb0ES3_S5_N6thrust23THRUST_200600_302600_NS6detail15normal_iteratorINS8_7pointerItNS8_11hip_rocprim5par_tENS8_11use_defaultESE_EEEENSA_INSB_IlSD_SE_SE_EEEEZNS1_13binary_searchIS3_S5_PtSG_SI_NS1_21lower_bound_search_opENS9_16wrapped_functionINS8_6system6detail7generic6detail18binary_search_lessEbEEEE10hipError_tPvRmT1_T2_T3_mmT4_T5_P12ihipStream_tbEUlRKtE_EEST_SX_SY_mSZ_S12_bEUlT_E_NS1_11comp_targetILNS1_3genE10ELNS1_11target_archE1201ELNS1_3gpuE5ELNS1_3repE0EEENS1_30default_config_static_selectorELNS0_4arch9wavefront6targetE1EEEvSW_.has_dyn_sized_stack, 0
	.set _ZN7rocprim17ROCPRIM_400000_NS6detail17trampoline_kernelINS0_14default_configENS1_27lower_bound_config_selectorItlEEZNS1_14transform_implILb0ES3_S5_N6thrust23THRUST_200600_302600_NS6detail15normal_iteratorINS8_7pointerItNS8_11hip_rocprim5par_tENS8_11use_defaultESE_EEEENSA_INSB_IlSD_SE_SE_EEEEZNS1_13binary_searchIS3_S5_PtSG_SI_NS1_21lower_bound_search_opENS9_16wrapped_functionINS8_6system6detail7generic6detail18binary_search_lessEbEEEE10hipError_tPvRmT1_T2_T3_mmT4_T5_P12ihipStream_tbEUlRKtE_EEST_SX_SY_mSZ_S12_bEUlT_E_NS1_11comp_targetILNS1_3genE10ELNS1_11target_archE1201ELNS1_3gpuE5ELNS1_3repE0EEENS1_30default_config_static_selectorELNS0_4arch9wavefront6targetE1EEEvSW_.has_recursion, 0
	.set _ZN7rocprim17ROCPRIM_400000_NS6detail17trampoline_kernelINS0_14default_configENS1_27lower_bound_config_selectorItlEEZNS1_14transform_implILb0ES3_S5_N6thrust23THRUST_200600_302600_NS6detail15normal_iteratorINS8_7pointerItNS8_11hip_rocprim5par_tENS8_11use_defaultESE_EEEENSA_INSB_IlSD_SE_SE_EEEEZNS1_13binary_searchIS3_S5_PtSG_SI_NS1_21lower_bound_search_opENS9_16wrapped_functionINS8_6system6detail7generic6detail18binary_search_lessEbEEEE10hipError_tPvRmT1_T2_T3_mmT4_T5_P12ihipStream_tbEUlRKtE_EEST_SX_SY_mSZ_S12_bEUlT_E_NS1_11comp_targetILNS1_3genE10ELNS1_11target_archE1201ELNS1_3gpuE5ELNS1_3repE0EEENS1_30default_config_static_selectorELNS0_4arch9wavefront6targetE1EEEvSW_.has_indirect_call, 0
	.section	.AMDGPU.csdata,"",@progbits
; Kernel info:
; codeLenInByte = 0
; TotalNumSgprs: 4
; NumVgprs: 0
; ScratchSize: 0
; MemoryBound: 0
; FloatMode: 240
; IeeeMode: 1
; LDSByteSize: 0 bytes/workgroup (compile time only)
; SGPRBlocks: 0
; VGPRBlocks: 0
; NumSGPRsForWavesPerEU: 4
; NumVGPRsForWavesPerEU: 1
; Occupancy: 10
; WaveLimiterHint : 0
; COMPUTE_PGM_RSRC2:SCRATCH_EN: 0
; COMPUTE_PGM_RSRC2:USER_SGPR: 6
; COMPUTE_PGM_RSRC2:TRAP_HANDLER: 0
; COMPUTE_PGM_RSRC2:TGID_X_EN: 1
; COMPUTE_PGM_RSRC2:TGID_Y_EN: 0
; COMPUTE_PGM_RSRC2:TGID_Z_EN: 0
; COMPUTE_PGM_RSRC2:TIDIG_COMP_CNT: 0
	.section	.text._ZN7rocprim17ROCPRIM_400000_NS6detail17trampoline_kernelINS0_14default_configENS1_27lower_bound_config_selectorItlEEZNS1_14transform_implILb0ES3_S5_N6thrust23THRUST_200600_302600_NS6detail15normal_iteratorINS8_7pointerItNS8_11hip_rocprim5par_tENS8_11use_defaultESE_EEEENSA_INSB_IlSD_SE_SE_EEEEZNS1_13binary_searchIS3_S5_PtSG_SI_NS1_21lower_bound_search_opENS9_16wrapped_functionINS8_6system6detail7generic6detail18binary_search_lessEbEEEE10hipError_tPvRmT1_T2_T3_mmT4_T5_P12ihipStream_tbEUlRKtE_EEST_SX_SY_mSZ_S12_bEUlT_E_NS1_11comp_targetILNS1_3genE10ELNS1_11target_archE1200ELNS1_3gpuE4ELNS1_3repE0EEENS1_30default_config_static_selectorELNS0_4arch9wavefront6targetE1EEEvSW_,"axG",@progbits,_ZN7rocprim17ROCPRIM_400000_NS6detail17trampoline_kernelINS0_14default_configENS1_27lower_bound_config_selectorItlEEZNS1_14transform_implILb0ES3_S5_N6thrust23THRUST_200600_302600_NS6detail15normal_iteratorINS8_7pointerItNS8_11hip_rocprim5par_tENS8_11use_defaultESE_EEEENSA_INSB_IlSD_SE_SE_EEEEZNS1_13binary_searchIS3_S5_PtSG_SI_NS1_21lower_bound_search_opENS9_16wrapped_functionINS8_6system6detail7generic6detail18binary_search_lessEbEEEE10hipError_tPvRmT1_T2_T3_mmT4_T5_P12ihipStream_tbEUlRKtE_EEST_SX_SY_mSZ_S12_bEUlT_E_NS1_11comp_targetILNS1_3genE10ELNS1_11target_archE1200ELNS1_3gpuE4ELNS1_3repE0EEENS1_30default_config_static_selectorELNS0_4arch9wavefront6targetE1EEEvSW_,comdat
	.protected	_ZN7rocprim17ROCPRIM_400000_NS6detail17trampoline_kernelINS0_14default_configENS1_27lower_bound_config_selectorItlEEZNS1_14transform_implILb0ES3_S5_N6thrust23THRUST_200600_302600_NS6detail15normal_iteratorINS8_7pointerItNS8_11hip_rocprim5par_tENS8_11use_defaultESE_EEEENSA_INSB_IlSD_SE_SE_EEEEZNS1_13binary_searchIS3_S5_PtSG_SI_NS1_21lower_bound_search_opENS9_16wrapped_functionINS8_6system6detail7generic6detail18binary_search_lessEbEEEE10hipError_tPvRmT1_T2_T3_mmT4_T5_P12ihipStream_tbEUlRKtE_EEST_SX_SY_mSZ_S12_bEUlT_E_NS1_11comp_targetILNS1_3genE10ELNS1_11target_archE1200ELNS1_3gpuE4ELNS1_3repE0EEENS1_30default_config_static_selectorELNS0_4arch9wavefront6targetE1EEEvSW_ ; -- Begin function _ZN7rocprim17ROCPRIM_400000_NS6detail17trampoline_kernelINS0_14default_configENS1_27lower_bound_config_selectorItlEEZNS1_14transform_implILb0ES3_S5_N6thrust23THRUST_200600_302600_NS6detail15normal_iteratorINS8_7pointerItNS8_11hip_rocprim5par_tENS8_11use_defaultESE_EEEENSA_INSB_IlSD_SE_SE_EEEEZNS1_13binary_searchIS3_S5_PtSG_SI_NS1_21lower_bound_search_opENS9_16wrapped_functionINS8_6system6detail7generic6detail18binary_search_lessEbEEEE10hipError_tPvRmT1_T2_T3_mmT4_T5_P12ihipStream_tbEUlRKtE_EEST_SX_SY_mSZ_S12_bEUlT_E_NS1_11comp_targetILNS1_3genE10ELNS1_11target_archE1200ELNS1_3gpuE4ELNS1_3repE0EEENS1_30default_config_static_selectorELNS0_4arch9wavefront6targetE1EEEvSW_
	.globl	_ZN7rocprim17ROCPRIM_400000_NS6detail17trampoline_kernelINS0_14default_configENS1_27lower_bound_config_selectorItlEEZNS1_14transform_implILb0ES3_S5_N6thrust23THRUST_200600_302600_NS6detail15normal_iteratorINS8_7pointerItNS8_11hip_rocprim5par_tENS8_11use_defaultESE_EEEENSA_INSB_IlSD_SE_SE_EEEEZNS1_13binary_searchIS3_S5_PtSG_SI_NS1_21lower_bound_search_opENS9_16wrapped_functionINS8_6system6detail7generic6detail18binary_search_lessEbEEEE10hipError_tPvRmT1_T2_T3_mmT4_T5_P12ihipStream_tbEUlRKtE_EEST_SX_SY_mSZ_S12_bEUlT_E_NS1_11comp_targetILNS1_3genE10ELNS1_11target_archE1200ELNS1_3gpuE4ELNS1_3repE0EEENS1_30default_config_static_selectorELNS0_4arch9wavefront6targetE1EEEvSW_
	.p2align	8
	.type	_ZN7rocprim17ROCPRIM_400000_NS6detail17trampoline_kernelINS0_14default_configENS1_27lower_bound_config_selectorItlEEZNS1_14transform_implILb0ES3_S5_N6thrust23THRUST_200600_302600_NS6detail15normal_iteratorINS8_7pointerItNS8_11hip_rocprim5par_tENS8_11use_defaultESE_EEEENSA_INSB_IlSD_SE_SE_EEEEZNS1_13binary_searchIS3_S5_PtSG_SI_NS1_21lower_bound_search_opENS9_16wrapped_functionINS8_6system6detail7generic6detail18binary_search_lessEbEEEE10hipError_tPvRmT1_T2_T3_mmT4_T5_P12ihipStream_tbEUlRKtE_EEST_SX_SY_mSZ_S12_bEUlT_E_NS1_11comp_targetILNS1_3genE10ELNS1_11target_archE1200ELNS1_3gpuE4ELNS1_3repE0EEENS1_30default_config_static_selectorELNS0_4arch9wavefront6targetE1EEEvSW_,@function
_ZN7rocprim17ROCPRIM_400000_NS6detail17trampoline_kernelINS0_14default_configENS1_27lower_bound_config_selectorItlEEZNS1_14transform_implILb0ES3_S5_N6thrust23THRUST_200600_302600_NS6detail15normal_iteratorINS8_7pointerItNS8_11hip_rocprim5par_tENS8_11use_defaultESE_EEEENSA_INSB_IlSD_SE_SE_EEEEZNS1_13binary_searchIS3_S5_PtSG_SI_NS1_21lower_bound_search_opENS9_16wrapped_functionINS8_6system6detail7generic6detail18binary_search_lessEbEEEE10hipError_tPvRmT1_T2_T3_mmT4_T5_P12ihipStream_tbEUlRKtE_EEST_SX_SY_mSZ_S12_bEUlT_E_NS1_11comp_targetILNS1_3genE10ELNS1_11target_archE1200ELNS1_3gpuE4ELNS1_3repE0EEENS1_30default_config_static_selectorELNS0_4arch9wavefront6targetE1EEEvSW_: ; @_ZN7rocprim17ROCPRIM_400000_NS6detail17trampoline_kernelINS0_14default_configENS1_27lower_bound_config_selectorItlEEZNS1_14transform_implILb0ES3_S5_N6thrust23THRUST_200600_302600_NS6detail15normal_iteratorINS8_7pointerItNS8_11hip_rocprim5par_tENS8_11use_defaultESE_EEEENSA_INSB_IlSD_SE_SE_EEEEZNS1_13binary_searchIS3_S5_PtSG_SI_NS1_21lower_bound_search_opENS9_16wrapped_functionINS8_6system6detail7generic6detail18binary_search_lessEbEEEE10hipError_tPvRmT1_T2_T3_mmT4_T5_P12ihipStream_tbEUlRKtE_EEST_SX_SY_mSZ_S12_bEUlT_E_NS1_11comp_targetILNS1_3genE10ELNS1_11target_archE1200ELNS1_3gpuE4ELNS1_3repE0EEENS1_30default_config_static_selectorELNS0_4arch9wavefront6targetE1EEEvSW_
; %bb.0:
	.section	.rodata,"a",@progbits
	.p2align	6, 0x0
	.amdhsa_kernel _ZN7rocprim17ROCPRIM_400000_NS6detail17trampoline_kernelINS0_14default_configENS1_27lower_bound_config_selectorItlEEZNS1_14transform_implILb0ES3_S5_N6thrust23THRUST_200600_302600_NS6detail15normal_iteratorINS8_7pointerItNS8_11hip_rocprim5par_tENS8_11use_defaultESE_EEEENSA_INSB_IlSD_SE_SE_EEEEZNS1_13binary_searchIS3_S5_PtSG_SI_NS1_21lower_bound_search_opENS9_16wrapped_functionINS8_6system6detail7generic6detail18binary_search_lessEbEEEE10hipError_tPvRmT1_T2_T3_mmT4_T5_P12ihipStream_tbEUlRKtE_EEST_SX_SY_mSZ_S12_bEUlT_E_NS1_11comp_targetILNS1_3genE10ELNS1_11target_archE1200ELNS1_3gpuE4ELNS1_3repE0EEENS1_30default_config_static_selectorELNS0_4arch9wavefront6targetE1EEEvSW_
		.amdhsa_group_segment_fixed_size 0
		.amdhsa_private_segment_fixed_size 0
		.amdhsa_kernarg_size 56
		.amdhsa_user_sgpr_count 6
		.amdhsa_user_sgpr_private_segment_buffer 1
		.amdhsa_user_sgpr_dispatch_ptr 0
		.amdhsa_user_sgpr_queue_ptr 0
		.amdhsa_user_sgpr_kernarg_segment_ptr 1
		.amdhsa_user_sgpr_dispatch_id 0
		.amdhsa_user_sgpr_flat_scratch_init 0
		.amdhsa_user_sgpr_private_segment_size 0
		.amdhsa_uses_dynamic_stack 0
		.amdhsa_system_sgpr_private_segment_wavefront_offset 0
		.amdhsa_system_sgpr_workgroup_id_x 1
		.amdhsa_system_sgpr_workgroup_id_y 0
		.amdhsa_system_sgpr_workgroup_id_z 0
		.amdhsa_system_sgpr_workgroup_info 0
		.amdhsa_system_vgpr_workitem_id 0
		.amdhsa_next_free_vgpr 1
		.amdhsa_next_free_sgpr 0
		.amdhsa_reserve_vcc 0
		.amdhsa_reserve_flat_scratch 0
		.amdhsa_float_round_mode_32 0
		.amdhsa_float_round_mode_16_64 0
		.amdhsa_float_denorm_mode_32 3
		.amdhsa_float_denorm_mode_16_64 3
		.amdhsa_dx10_clamp 1
		.amdhsa_ieee_mode 1
		.amdhsa_fp16_overflow 0
		.amdhsa_exception_fp_ieee_invalid_op 0
		.amdhsa_exception_fp_denorm_src 0
		.amdhsa_exception_fp_ieee_div_zero 0
		.amdhsa_exception_fp_ieee_overflow 0
		.amdhsa_exception_fp_ieee_underflow 0
		.amdhsa_exception_fp_ieee_inexact 0
		.amdhsa_exception_int_div_zero 0
	.end_amdhsa_kernel
	.section	.text._ZN7rocprim17ROCPRIM_400000_NS6detail17trampoline_kernelINS0_14default_configENS1_27lower_bound_config_selectorItlEEZNS1_14transform_implILb0ES3_S5_N6thrust23THRUST_200600_302600_NS6detail15normal_iteratorINS8_7pointerItNS8_11hip_rocprim5par_tENS8_11use_defaultESE_EEEENSA_INSB_IlSD_SE_SE_EEEEZNS1_13binary_searchIS3_S5_PtSG_SI_NS1_21lower_bound_search_opENS9_16wrapped_functionINS8_6system6detail7generic6detail18binary_search_lessEbEEEE10hipError_tPvRmT1_T2_T3_mmT4_T5_P12ihipStream_tbEUlRKtE_EEST_SX_SY_mSZ_S12_bEUlT_E_NS1_11comp_targetILNS1_3genE10ELNS1_11target_archE1200ELNS1_3gpuE4ELNS1_3repE0EEENS1_30default_config_static_selectorELNS0_4arch9wavefront6targetE1EEEvSW_,"axG",@progbits,_ZN7rocprim17ROCPRIM_400000_NS6detail17trampoline_kernelINS0_14default_configENS1_27lower_bound_config_selectorItlEEZNS1_14transform_implILb0ES3_S5_N6thrust23THRUST_200600_302600_NS6detail15normal_iteratorINS8_7pointerItNS8_11hip_rocprim5par_tENS8_11use_defaultESE_EEEENSA_INSB_IlSD_SE_SE_EEEEZNS1_13binary_searchIS3_S5_PtSG_SI_NS1_21lower_bound_search_opENS9_16wrapped_functionINS8_6system6detail7generic6detail18binary_search_lessEbEEEE10hipError_tPvRmT1_T2_T3_mmT4_T5_P12ihipStream_tbEUlRKtE_EEST_SX_SY_mSZ_S12_bEUlT_E_NS1_11comp_targetILNS1_3genE10ELNS1_11target_archE1200ELNS1_3gpuE4ELNS1_3repE0EEENS1_30default_config_static_selectorELNS0_4arch9wavefront6targetE1EEEvSW_,comdat
.Lfunc_end99:
	.size	_ZN7rocprim17ROCPRIM_400000_NS6detail17trampoline_kernelINS0_14default_configENS1_27lower_bound_config_selectorItlEEZNS1_14transform_implILb0ES3_S5_N6thrust23THRUST_200600_302600_NS6detail15normal_iteratorINS8_7pointerItNS8_11hip_rocprim5par_tENS8_11use_defaultESE_EEEENSA_INSB_IlSD_SE_SE_EEEEZNS1_13binary_searchIS3_S5_PtSG_SI_NS1_21lower_bound_search_opENS9_16wrapped_functionINS8_6system6detail7generic6detail18binary_search_lessEbEEEE10hipError_tPvRmT1_T2_T3_mmT4_T5_P12ihipStream_tbEUlRKtE_EEST_SX_SY_mSZ_S12_bEUlT_E_NS1_11comp_targetILNS1_3genE10ELNS1_11target_archE1200ELNS1_3gpuE4ELNS1_3repE0EEENS1_30default_config_static_selectorELNS0_4arch9wavefront6targetE1EEEvSW_, .Lfunc_end99-_ZN7rocprim17ROCPRIM_400000_NS6detail17trampoline_kernelINS0_14default_configENS1_27lower_bound_config_selectorItlEEZNS1_14transform_implILb0ES3_S5_N6thrust23THRUST_200600_302600_NS6detail15normal_iteratorINS8_7pointerItNS8_11hip_rocprim5par_tENS8_11use_defaultESE_EEEENSA_INSB_IlSD_SE_SE_EEEEZNS1_13binary_searchIS3_S5_PtSG_SI_NS1_21lower_bound_search_opENS9_16wrapped_functionINS8_6system6detail7generic6detail18binary_search_lessEbEEEE10hipError_tPvRmT1_T2_T3_mmT4_T5_P12ihipStream_tbEUlRKtE_EEST_SX_SY_mSZ_S12_bEUlT_E_NS1_11comp_targetILNS1_3genE10ELNS1_11target_archE1200ELNS1_3gpuE4ELNS1_3repE0EEENS1_30default_config_static_selectorELNS0_4arch9wavefront6targetE1EEEvSW_
                                        ; -- End function
	.set _ZN7rocprim17ROCPRIM_400000_NS6detail17trampoline_kernelINS0_14default_configENS1_27lower_bound_config_selectorItlEEZNS1_14transform_implILb0ES3_S5_N6thrust23THRUST_200600_302600_NS6detail15normal_iteratorINS8_7pointerItNS8_11hip_rocprim5par_tENS8_11use_defaultESE_EEEENSA_INSB_IlSD_SE_SE_EEEEZNS1_13binary_searchIS3_S5_PtSG_SI_NS1_21lower_bound_search_opENS9_16wrapped_functionINS8_6system6detail7generic6detail18binary_search_lessEbEEEE10hipError_tPvRmT1_T2_T3_mmT4_T5_P12ihipStream_tbEUlRKtE_EEST_SX_SY_mSZ_S12_bEUlT_E_NS1_11comp_targetILNS1_3genE10ELNS1_11target_archE1200ELNS1_3gpuE4ELNS1_3repE0EEENS1_30default_config_static_selectorELNS0_4arch9wavefront6targetE1EEEvSW_.num_vgpr, 0
	.set _ZN7rocprim17ROCPRIM_400000_NS6detail17trampoline_kernelINS0_14default_configENS1_27lower_bound_config_selectorItlEEZNS1_14transform_implILb0ES3_S5_N6thrust23THRUST_200600_302600_NS6detail15normal_iteratorINS8_7pointerItNS8_11hip_rocprim5par_tENS8_11use_defaultESE_EEEENSA_INSB_IlSD_SE_SE_EEEEZNS1_13binary_searchIS3_S5_PtSG_SI_NS1_21lower_bound_search_opENS9_16wrapped_functionINS8_6system6detail7generic6detail18binary_search_lessEbEEEE10hipError_tPvRmT1_T2_T3_mmT4_T5_P12ihipStream_tbEUlRKtE_EEST_SX_SY_mSZ_S12_bEUlT_E_NS1_11comp_targetILNS1_3genE10ELNS1_11target_archE1200ELNS1_3gpuE4ELNS1_3repE0EEENS1_30default_config_static_selectorELNS0_4arch9wavefront6targetE1EEEvSW_.num_agpr, 0
	.set _ZN7rocprim17ROCPRIM_400000_NS6detail17trampoline_kernelINS0_14default_configENS1_27lower_bound_config_selectorItlEEZNS1_14transform_implILb0ES3_S5_N6thrust23THRUST_200600_302600_NS6detail15normal_iteratorINS8_7pointerItNS8_11hip_rocprim5par_tENS8_11use_defaultESE_EEEENSA_INSB_IlSD_SE_SE_EEEEZNS1_13binary_searchIS3_S5_PtSG_SI_NS1_21lower_bound_search_opENS9_16wrapped_functionINS8_6system6detail7generic6detail18binary_search_lessEbEEEE10hipError_tPvRmT1_T2_T3_mmT4_T5_P12ihipStream_tbEUlRKtE_EEST_SX_SY_mSZ_S12_bEUlT_E_NS1_11comp_targetILNS1_3genE10ELNS1_11target_archE1200ELNS1_3gpuE4ELNS1_3repE0EEENS1_30default_config_static_selectorELNS0_4arch9wavefront6targetE1EEEvSW_.numbered_sgpr, 0
	.set _ZN7rocprim17ROCPRIM_400000_NS6detail17trampoline_kernelINS0_14default_configENS1_27lower_bound_config_selectorItlEEZNS1_14transform_implILb0ES3_S5_N6thrust23THRUST_200600_302600_NS6detail15normal_iteratorINS8_7pointerItNS8_11hip_rocprim5par_tENS8_11use_defaultESE_EEEENSA_INSB_IlSD_SE_SE_EEEEZNS1_13binary_searchIS3_S5_PtSG_SI_NS1_21lower_bound_search_opENS9_16wrapped_functionINS8_6system6detail7generic6detail18binary_search_lessEbEEEE10hipError_tPvRmT1_T2_T3_mmT4_T5_P12ihipStream_tbEUlRKtE_EEST_SX_SY_mSZ_S12_bEUlT_E_NS1_11comp_targetILNS1_3genE10ELNS1_11target_archE1200ELNS1_3gpuE4ELNS1_3repE0EEENS1_30default_config_static_selectorELNS0_4arch9wavefront6targetE1EEEvSW_.num_named_barrier, 0
	.set _ZN7rocprim17ROCPRIM_400000_NS6detail17trampoline_kernelINS0_14default_configENS1_27lower_bound_config_selectorItlEEZNS1_14transform_implILb0ES3_S5_N6thrust23THRUST_200600_302600_NS6detail15normal_iteratorINS8_7pointerItNS8_11hip_rocprim5par_tENS8_11use_defaultESE_EEEENSA_INSB_IlSD_SE_SE_EEEEZNS1_13binary_searchIS3_S5_PtSG_SI_NS1_21lower_bound_search_opENS9_16wrapped_functionINS8_6system6detail7generic6detail18binary_search_lessEbEEEE10hipError_tPvRmT1_T2_T3_mmT4_T5_P12ihipStream_tbEUlRKtE_EEST_SX_SY_mSZ_S12_bEUlT_E_NS1_11comp_targetILNS1_3genE10ELNS1_11target_archE1200ELNS1_3gpuE4ELNS1_3repE0EEENS1_30default_config_static_selectorELNS0_4arch9wavefront6targetE1EEEvSW_.private_seg_size, 0
	.set _ZN7rocprim17ROCPRIM_400000_NS6detail17trampoline_kernelINS0_14default_configENS1_27lower_bound_config_selectorItlEEZNS1_14transform_implILb0ES3_S5_N6thrust23THRUST_200600_302600_NS6detail15normal_iteratorINS8_7pointerItNS8_11hip_rocprim5par_tENS8_11use_defaultESE_EEEENSA_INSB_IlSD_SE_SE_EEEEZNS1_13binary_searchIS3_S5_PtSG_SI_NS1_21lower_bound_search_opENS9_16wrapped_functionINS8_6system6detail7generic6detail18binary_search_lessEbEEEE10hipError_tPvRmT1_T2_T3_mmT4_T5_P12ihipStream_tbEUlRKtE_EEST_SX_SY_mSZ_S12_bEUlT_E_NS1_11comp_targetILNS1_3genE10ELNS1_11target_archE1200ELNS1_3gpuE4ELNS1_3repE0EEENS1_30default_config_static_selectorELNS0_4arch9wavefront6targetE1EEEvSW_.uses_vcc, 0
	.set _ZN7rocprim17ROCPRIM_400000_NS6detail17trampoline_kernelINS0_14default_configENS1_27lower_bound_config_selectorItlEEZNS1_14transform_implILb0ES3_S5_N6thrust23THRUST_200600_302600_NS6detail15normal_iteratorINS8_7pointerItNS8_11hip_rocprim5par_tENS8_11use_defaultESE_EEEENSA_INSB_IlSD_SE_SE_EEEEZNS1_13binary_searchIS3_S5_PtSG_SI_NS1_21lower_bound_search_opENS9_16wrapped_functionINS8_6system6detail7generic6detail18binary_search_lessEbEEEE10hipError_tPvRmT1_T2_T3_mmT4_T5_P12ihipStream_tbEUlRKtE_EEST_SX_SY_mSZ_S12_bEUlT_E_NS1_11comp_targetILNS1_3genE10ELNS1_11target_archE1200ELNS1_3gpuE4ELNS1_3repE0EEENS1_30default_config_static_selectorELNS0_4arch9wavefront6targetE1EEEvSW_.uses_flat_scratch, 0
	.set _ZN7rocprim17ROCPRIM_400000_NS6detail17trampoline_kernelINS0_14default_configENS1_27lower_bound_config_selectorItlEEZNS1_14transform_implILb0ES3_S5_N6thrust23THRUST_200600_302600_NS6detail15normal_iteratorINS8_7pointerItNS8_11hip_rocprim5par_tENS8_11use_defaultESE_EEEENSA_INSB_IlSD_SE_SE_EEEEZNS1_13binary_searchIS3_S5_PtSG_SI_NS1_21lower_bound_search_opENS9_16wrapped_functionINS8_6system6detail7generic6detail18binary_search_lessEbEEEE10hipError_tPvRmT1_T2_T3_mmT4_T5_P12ihipStream_tbEUlRKtE_EEST_SX_SY_mSZ_S12_bEUlT_E_NS1_11comp_targetILNS1_3genE10ELNS1_11target_archE1200ELNS1_3gpuE4ELNS1_3repE0EEENS1_30default_config_static_selectorELNS0_4arch9wavefront6targetE1EEEvSW_.has_dyn_sized_stack, 0
	.set _ZN7rocprim17ROCPRIM_400000_NS6detail17trampoline_kernelINS0_14default_configENS1_27lower_bound_config_selectorItlEEZNS1_14transform_implILb0ES3_S5_N6thrust23THRUST_200600_302600_NS6detail15normal_iteratorINS8_7pointerItNS8_11hip_rocprim5par_tENS8_11use_defaultESE_EEEENSA_INSB_IlSD_SE_SE_EEEEZNS1_13binary_searchIS3_S5_PtSG_SI_NS1_21lower_bound_search_opENS9_16wrapped_functionINS8_6system6detail7generic6detail18binary_search_lessEbEEEE10hipError_tPvRmT1_T2_T3_mmT4_T5_P12ihipStream_tbEUlRKtE_EEST_SX_SY_mSZ_S12_bEUlT_E_NS1_11comp_targetILNS1_3genE10ELNS1_11target_archE1200ELNS1_3gpuE4ELNS1_3repE0EEENS1_30default_config_static_selectorELNS0_4arch9wavefront6targetE1EEEvSW_.has_recursion, 0
	.set _ZN7rocprim17ROCPRIM_400000_NS6detail17trampoline_kernelINS0_14default_configENS1_27lower_bound_config_selectorItlEEZNS1_14transform_implILb0ES3_S5_N6thrust23THRUST_200600_302600_NS6detail15normal_iteratorINS8_7pointerItNS8_11hip_rocprim5par_tENS8_11use_defaultESE_EEEENSA_INSB_IlSD_SE_SE_EEEEZNS1_13binary_searchIS3_S5_PtSG_SI_NS1_21lower_bound_search_opENS9_16wrapped_functionINS8_6system6detail7generic6detail18binary_search_lessEbEEEE10hipError_tPvRmT1_T2_T3_mmT4_T5_P12ihipStream_tbEUlRKtE_EEST_SX_SY_mSZ_S12_bEUlT_E_NS1_11comp_targetILNS1_3genE10ELNS1_11target_archE1200ELNS1_3gpuE4ELNS1_3repE0EEENS1_30default_config_static_selectorELNS0_4arch9wavefront6targetE1EEEvSW_.has_indirect_call, 0
	.section	.AMDGPU.csdata,"",@progbits
; Kernel info:
; codeLenInByte = 0
; TotalNumSgprs: 4
; NumVgprs: 0
; ScratchSize: 0
; MemoryBound: 0
; FloatMode: 240
; IeeeMode: 1
; LDSByteSize: 0 bytes/workgroup (compile time only)
; SGPRBlocks: 0
; VGPRBlocks: 0
; NumSGPRsForWavesPerEU: 4
; NumVGPRsForWavesPerEU: 1
; Occupancy: 10
; WaveLimiterHint : 0
; COMPUTE_PGM_RSRC2:SCRATCH_EN: 0
; COMPUTE_PGM_RSRC2:USER_SGPR: 6
; COMPUTE_PGM_RSRC2:TRAP_HANDLER: 0
; COMPUTE_PGM_RSRC2:TGID_X_EN: 1
; COMPUTE_PGM_RSRC2:TGID_Y_EN: 0
; COMPUTE_PGM_RSRC2:TGID_Z_EN: 0
; COMPUTE_PGM_RSRC2:TIDIG_COMP_CNT: 0
	.section	.text._ZN7rocprim17ROCPRIM_400000_NS6detail17trampoline_kernelINS0_14default_configENS1_27lower_bound_config_selectorItlEEZNS1_14transform_implILb0ES3_S5_N6thrust23THRUST_200600_302600_NS6detail15normal_iteratorINS8_7pointerItNS8_11hip_rocprim5par_tENS8_11use_defaultESE_EEEENSA_INSB_IlSD_SE_SE_EEEEZNS1_13binary_searchIS3_S5_PtSG_SI_NS1_21lower_bound_search_opENS9_16wrapped_functionINS8_6system6detail7generic6detail18binary_search_lessEbEEEE10hipError_tPvRmT1_T2_T3_mmT4_T5_P12ihipStream_tbEUlRKtE_EEST_SX_SY_mSZ_S12_bEUlT_E_NS1_11comp_targetILNS1_3genE9ELNS1_11target_archE1100ELNS1_3gpuE3ELNS1_3repE0EEENS1_30default_config_static_selectorELNS0_4arch9wavefront6targetE1EEEvSW_,"axG",@progbits,_ZN7rocprim17ROCPRIM_400000_NS6detail17trampoline_kernelINS0_14default_configENS1_27lower_bound_config_selectorItlEEZNS1_14transform_implILb0ES3_S5_N6thrust23THRUST_200600_302600_NS6detail15normal_iteratorINS8_7pointerItNS8_11hip_rocprim5par_tENS8_11use_defaultESE_EEEENSA_INSB_IlSD_SE_SE_EEEEZNS1_13binary_searchIS3_S5_PtSG_SI_NS1_21lower_bound_search_opENS9_16wrapped_functionINS8_6system6detail7generic6detail18binary_search_lessEbEEEE10hipError_tPvRmT1_T2_T3_mmT4_T5_P12ihipStream_tbEUlRKtE_EEST_SX_SY_mSZ_S12_bEUlT_E_NS1_11comp_targetILNS1_3genE9ELNS1_11target_archE1100ELNS1_3gpuE3ELNS1_3repE0EEENS1_30default_config_static_selectorELNS0_4arch9wavefront6targetE1EEEvSW_,comdat
	.protected	_ZN7rocprim17ROCPRIM_400000_NS6detail17trampoline_kernelINS0_14default_configENS1_27lower_bound_config_selectorItlEEZNS1_14transform_implILb0ES3_S5_N6thrust23THRUST_200600_302600_NS6detail15normal_iteratorINS8_7pointerItNS8_11hip_rocprim5par_tENS8_11use_defaultESE_EEEENSA_INSB_IlSD_SE_SE_EEEEZNS1_13binary_searchIS3_S5_PtSG_SI_NS1_21lower_bound_search_opENS9_16wrapped_functionINS8_6system6detail7generic6detail18binary_search_lessEbEEEE10hipError_tPvRmT1_T2_T3_mmT4_T5_P12ihipStream_tbEUlRKtE_EEST_SX_SY_mSZ_S12_bEUlT_E_NS1_11comp_targetILNS1_3genE9ELNS1_11target_archE1100ELNS1_3gpuE3ELNS1_3repE0EEENS1_30default_config_static_selectorELNS0_4arch9wavefront6targetE1EEEvSW_ ; -- Begin function _ZN7rocprim17ROCPRIM_400000_NS6detail17trampoline_kernelINS0_14default_configENS1_27lower_bound_config_selectorItlEEZNS1_14transform_implILb0ES3_S5_N6thrust23THRUST_200600_302600_NS6detail15normal_iteratorINS8_7pointerItNS8_11hip_rocprim5par_tENS8_11use_defaultESE_EEEENSA_INSB_IlSD_SE_SE_EEEEZNS1_13binary_searchIS3_S5_PtSG_SI_NS1_21lower_bound_search_opENS9_16wrapped_functionINS8_6system6detail7generic6detail18binary_search_lessEbEEEE10hipError_tPvRmT1_T2_T3_mmT4_T5_P12ihipStream_tbEUlRKtE_EEST_SX_SY_mSZ_S12_bEUlT_E_NS1_11comp_targetILNS1_3genE9ELNS1_11target_archE1100ELNS1_3gpuE3ELNS1_3repE0EEENS1_30default_config_static_selectorELNS0_4arch9wavefront6targetE1EEEvSW_
	.globl	_ZN7rocprim17ROCPRIM_400000_NS6detail17trampoline_kernelINS0_14default_configENS1_27lower_bound_config_selectorItlEEZNS1_14transform_implILb0ES3_S5_N6thrust23THRUST_200600_302600_NS6detail15normal_iteratorINS8_7pointerItNS8_11hip_rocprim5par_tENS8_11use_defaultESE_EEEENSA_INSB_IlSD_SE_SE_EEEEZNS1_13binary_searchIS3_S5_PtSG_SI_NS1_21lower_bound_search_opENS9_16wrapped_functionINS8_6system6detail7generic6detail18binary_search_lessEbEEEE10hipError_tPvRmT1_T2_T3_mmT4_T5_P12ihipStream_tbEUlRKtE_EEST_SX_SY_mSZ_S12_bEUlT_E_NS1_11comp_targetILNS1_3genE9ELNS1_11target_archE1100ELNS1_3gpuE3ELNS1_3repE0EEENS1_30default_config_static_selectorELNS0_4arch9wavefront6targetE1EEEvSW_
	.p2align	8
	.type	_ZN7rocprim17ROCPRIM_400000_NS6detail17trampoline_kernelINS0_14default_configENS1_27lower_bound_config_selectorItlEEZNS1_14transform_implILb0ES3_S5_N6thrust23THRUST_200600_302600_NS6detail15normal_iteratorINS8_7pointerItNS8_11hip_rocprim5par_tENS8_11use_defaultESE_EEEENSA_INSB_IlSD_SE_SE_EEEEZNS1_13binary_searchIS3_S5_PtSG_SI_NS1_21lower_bound_search_opENS9_16wrapped_functionINS8_6system6detail7generic6detail18binary_search_lessEbEEEE10hipError_tPvRmT1_T2_T3_mmT4_T5_P12ihipStream_tbEUlRKtE_EEST_SX_SY_mSZ_S12_bEUlT_E_NS1_11comp_targetILNS1_3genE9ELNS1_11target_archE1100ELNS1_3gpuE3ELNS1_3repE0EEENS1_30default_config_static_selectorELNS0_4arch9wavefront6targetE1EEEvSW_,@function
_ZN7rocprim17ROCPRIM_400000_NS6detail17trampoline_kernelINS0_14default_configENS1_27lower_bound_config_selectorItlEEZNS1_14transform_implILb0ES3_S5_N6thrust23THRUST_200600_302600_NS6detail15normal_iteratorINS8_7pointerItNS8_11hip_rocprim5par_tENS8_11use_defaultESE_EEEENSA_INSB_IlSD_SE_SE_EEEEZNS1_13binary_searchIS3_S5_PtSG_SI_NS1_21lower_bound_search_opENS9_16wrapped_functionINS8_6system6detail7generic6detail18binary_search_lessEbEEEE10hipError_tPvRmT1_T2_T3_mmT4_T5_P12ihipStream_tbEUlRKtE_EEST_SX_SY_mSZ_S12_bEUlT_E_NS1_11comp_targetILNS1_3genE9ELNS1_11target_archE1100ELNS1_3gpuE3ELNS1_3repE0EEENS1_30default_config_static_selectorELNS0_4arch9wavefront6targetE1EEEvSW_: ; @_ZN7rocprim17ROCPRIM_400000_NS6detail17trampoline_kernelINS0_14default_configENS1_27lower_bound_config_selectorItlEEZNS1_14transform_implILb0ES3_S5_N6thrust23THRUST_200600_302600_NS6detail15normal_iteratorINS8_7pointerItNS8_11hip_rocprim5par_tENS8_11use_defaultESE_EEEENSA_INSB_IlSD_SE_SE_EEEEZNS1_13binary_searchIS3_S5_PtSG_SI_NS1_21lower_bound_search_opENS9_16wrapped_functionINS8_6system6detail7generic6detail18binary_search_lessEbEEEE10hipError_tPvRmT1_T2_T3_mmT4_T5_P12ihipStream_tbEUlRKtE_EEST_SX_SY_mSZ_S12_bEUlT_E_NS1_11comp_targetILNS1_3genE9ELNS1_11target_archE1100ELNS1_3gpuE3ELNS1_3repE0EEENS1_30default_config_static_selectorELNS0_4arch9wavefront6targetE1EEEvSW_
; %bb.0:
	.section	.rodata,"a",@progbits
	.p2align	6, 0x0
	.amdhsa_kernel _ZN7rocprim17ROCPRIM_400000_NS6detail17trampoline_kernelINS0_14default_configENS1_27lower_bound_config_selectorItlEEZNS1_14transform_implILb0ES3_S5_N6thrust23THRUST_200600_302600_NS6detail15normal_iteratorINS8_7pointerItNS8_11hip_rocprim5par_tENS8_11use_defaultESE_EEEENSA_INSB_IlSD_SE_SE_EEEEZNS1_13binary_searchIS3_S5_PtSG_SI_NS1_21lower_bound_search_opENS9_16wrapped_functionINS8_6system6detail7generic6detail18binary_search_lessEbEEEE10hipError_tPvRmT1_T2_T3_mmT4_T5_P12ihipStream_tbEUlRKtE_EEST_SX_SY_mSZ_S12_bEUlT_E_NS1_11comp_targetILNS1_3genE9ELNS1_11target_archE1100ELNS1_3gpuE3ELNS1_3repE0EEENS1_30default_config_static_selectorELNS0_4arch9wavefront6targetE1EEEvSW_
		.amdhsa_group_segment_fixed_size 0
		.amdhsa_private_segment_fixed_size 0
		.amdhsa_kernarg_size 56
		.amdhsa_user_sgpr_count 6
		.amdhsa_user_sgpr_private_segment_buffer 1
		.amdhsa_user_sgpr_dispatch_ptr 0
		.amdhsa_user_sgpr_queue_ptr 0
		.amdhsa_user_sgpr_kernarg_segment_ptr 1
		.amdhsa_user_sgpr_dispatch_id 0
		.amdhsa_user_sgpr_flat_scratch_init 0
		.amdhsa_user_sgpr_private_segment_size 0
		.amdhsa_uses_dynamic_stack 0
		.amdhsa_system_sgpr_private_segment_wavefront_offset 0
		.amdhsa_system_sgpr_workgroup_id_x 1
		.amdhsa_system_sgpr_workgroup_id_y 0
		.amdhsa_system_sgpr_workgroup_id_z 0
		.amdhsa_system_sgpr_workgroup_info 0
		.amdhsa_system_vgpr_workitem_id 0
		.amdhsa_next_free_vgpr 1
		.amdhsa_next_free_sgpr 0
		.amdhsa_reserve_vcc 0
		.amdhsa_reserve_flat_scratch 0
		.amdhsa_float_round_mode_32 0
		.amdhsa_float_round_mode_16_64 0
		.amdhsa_float_denorm_mode_32 3
		.amdhsa_float_denorm_mode_16_64 3
		.amdhsa_dx10_clamp 1
		.amdhsa_ieee_mode 1
		.amdhsa_fp16_overflow 0
		.amdhsa_exception_fp_ieee_invalid_op 0
		.amdhsa_exception_fp_denorm_src 0
		.amdhsa_exception_fp_ieee_div_zero 0
		.amdhsa_exception_fp_ieee_overflow 0
		.amdhsa_exception_fp_ieee_underflow 0
		.amdhsa_exception_fp_ieee_inexact 0
		.amdhsa_exception_int_div_zero 0
	.end_amdhsa_kernel
	.section	.text._ZN7rocprim17ROCPRIM_400000_NS6detail17trampoline_kernelINS0_14default_configENS1_27lower_bound_config_selectorItlEEZNS1_14transform_implILb0ES3_S5_N6thrust23THRUST_200600_302600_NS6detail15normal_iteratorINS8_7pointerItNS8_11hip_rocprim5par_tENS8_11use_defaultESE_EEEENSA_INSB_IlSD_SE_SE_EEEEZNS1_13binary_searchIS3_S5_PtSG_SI_NS1_21lower_bound_search_opENS9_16wrapped_functionINS8_6system6detail7generic6detail18binary_search_lessEbEEEE10hipError_tPvRmT1_T2_T3_mmT4_T5_P12ihipStream_tbEUlRKtE_EEST_SX_SY_mSZ_S12_bEUlT_E_NS1_11comp_targetILNS1_3genE9ELNS1_11target_archE1100ELNS1_3gpuE3ELNS1_3repE0EEENS1_30default_config_static_selectorELNS0_4arch9wavefront6targetE1EEEvSW_,"axG",@progbits,_ZN7rocprim17ROCPRIM_400000_NS6detail17trampoline_kernelINS0_14default_configENS1_27lower_bound_config_selectorItlEEZNS1_14transform_implILb0ES3_S5_N6thrust23THRUST_200600_302600_NS6detail15normal_iteratorINS8_7pointerItNS8_11hip_rocprim5par_tENS8_11use_defaultESE_EEEENSA_INSB_IlSD_SE_SE_EEEEZNS1_13binary_searchIS3_S5_PtSG_SI_NS1_21lower_bound_search_opENS9_16wrapped_functionINS8_6system6detail7generic6detail18binary_search_lessEbEEEE10hipError_tPvRmT1_T2_T3_mmT4_T5_P12ihipStream_tbEUlRKtE_EEST_SX_SY_mSZ_S12_bEUlT_E_NS1_11comp_targetILNS1_3genE9ELNS1_11target_archE1100ELNS1_3gpuE3ELNS1_3repE0EEENS1_30default_config_static_selectorELNS0_4arch9wavefront6targetE1EEEvSW_,comdat
.Lfunc_end100:
	.size	_ZN7rocprim17ROCPRIM_400000_NS6detail17trampoline_kernelINS0_14default_configENS1_27lower_bound_config_selectorItlEEZNS1_14transform_implILb0ES3_S5_N6thrust23THRUST_200600_302600_NS6detail15normal_iteratorINS8_7pointerItNS8_11hip_rocprim5par_tENS8_11use_defaultESE_EEEENSA_INSB_IlSD_SE_SE_EEEEZNS1_13binary_searchIS3_S5_PtSG_SI_NS1_21lower_bound_search_opENS9_16wrapped_functionINS8_6system6detail7generic6detail18binary_search_lessEbEEEE10hipError_tPvRmT1_T2_T3_mmT4_T5_P12ihipStream_tbEUlRKtE_EEST_SX_SY_mSZ_S12_bEUlT_E_NS1_11comp_targetILNS1_3genE9ELNS1_11target_archE1100ELNS1_3gpuE3ELNS1_3repE0EEENS1_30default_config_static_selectorELNS0_4arch9wavefront6targetE1EEEvSW_, .Lfunc_end100-_ZN7rocprim17ROCPRIM_400000_NS6detail17trampoline_kernelINS0_14default_configENS1_27lower_bound_config_selectorItlEEZNS1_14transform_implILb0ES3_S5_N6thrust23THRUST_200600_302600_NS6detail15normal_iteratorINS8_7pointerItNS8_11hip_rocprim5par_tENS8_11use_defaultESE_EEEENSA_INSB_IlSD_SE_SE_EEEEZNS1_13binary_searchIS3_S5_PtSG_SI_NS1_21lower_bound_search_opENS9_16wrapped_functionINS8_6system6detail7generic6detail18binary_search_lessEbEEEE10hipError_tPvRmT1_T2_T3_mmT4_T5_P12ihipStream_tbEUlRKtE_EEST_SX_SY_mSZ_S12_bEUlT_E_NS1_11comp_targetILNS1_3genE9ELNS1_11target_archE1100ELNS1_3gpuE3ELNS1_3repE0EEENS1_30default_config_static_selectorELNS0_4arch9wavefront6targetE1EEEvSW_
                                        ; -- End function
	.set _ZN7rocprim17ROCPRIM_400000_NS6detail17trampoline_kernelINS0_14default_configENS1_27lower_bound_config_selectorItlEEZNS1_14transform_implILb0ES3_S5_N6thrust23THRUST_200600_302600_NS6detail15normal_iteratorINS8_7pointerItNS8_11hip_rocprim5par_tENS8_11use_defaultESE_EEEENSA_INSB_IlSD_SE_SE_EEEEZNS1_13binary_searchIS3_S5_PtSG_SI_NS1_21lower_bound_search_opENS9_16wrapped_functionINS8_6system6detail7generic6detail18binary_search_lessEbEEEE10hipError_tPvRmT1_T2_T3_mmT4_T5_P12ihipStream_tbEUlRKtE_EEST_SX_SY_mSZ_S12_bEUlT_E_NS1_11comp_targetILNS1_3genE9ELNS1_11target_archE1100ELNS1_3gpuE3ELNS1_3repE0EEENS1_30default_config_static_selectorELNS0_4arch9wavefront6targetE1EEEvSW_.num_vgpr, 0
	.set _ZN7rocprim17ROCPRIM_400000_NS6detail17trampoline_kernelINS0_14default_configENS1_27lower_bound_config_selectorItlEEZNS1_14transform_implILb0ES3_S5_N6thrust23THRUST_200600_302600_NS6detail15normal_iteratorINS8_7pointerItNS8_11hip_rocprim5par_tENS8_11use_defaultESE_EEEENSA_INSB_IlSD_SE_SE_EEEEZNS1_13binary_searchIS3_S5_PtSG_SI_NS1_21lower_bound_search_opENS9_16wrapped_functionINS8_6system6detail7generic6detail18binary_search_lessEbEEEE10hipError_tPvRmT1_T2_T3_mmT4_T5_P12ihipStream_tbEUlRKtE_EEST_SX_SY_mSZ_S12_bEUlT_E_NS1_11comp_targetILNS1_3genE9ELNS1_11target_archE1100ELNS1_3gpuE3ELNS1_3repE0EEENS1_30default_config_static_selectorELNS0_4arch9wavefront6targetE1EEEvSW_.num_agpr, 0
	.set _ZN7rocprim17ROCPRIM_400000_NS6detail17trampoline_kernelINS0_14default_configENS1_27lower_bound_config_selectorItlEEZNS1_14transform_implILb0ES3_S5_N6thrust23THRUST_200600_302600_NS6detail15normal_iteratorINS8_7pointerItNS8_11hip_rocprim5par_tENS8_11use_defaultESE_EEEENSA_INSB_IlSD_SE_SE_EEEEZNS1_13binary_searchIS3_S5_PtSG_SI_NS1_21lower_bound_search_opENS9_16wrapped_functionINS8_6system6detail7generic6detail18binary_search_lessEbEEEE10hipError_tPvRmT1_T2_T3_mmT4_T5_P12ihipStream_tbEUlRKtE_EEST_SX_SY_mSZ_S12_bEUlT_E_NS1_11comp_targetILNS1_3genE9ELNS1_11target_archE1100ELNS1_3gpuE3ELNS1_3repE0EEENS1_30default_config_static_selectorELNS0_4arch9wavefront6targetE1EEEvSW_.numbered_sgpr, 0
	.set _ZN7rocprim17ROCPRIM_400000_NS6detail17trampoline_kernelINS0_14default_configENS1_27lower_bound_config_selectorItlEEZNS1_14transform_implILb0ES3_S5_N6thrust23THRUST_200600_302600_NS6detail15normal_iteratorINS8_7pointerItNS8_11hip_rocprim5par_tENS8_11use_defaultESE_EEEENSA_INSB_IlSD_SE_SE_EEEEZNS1_13binary_searchIS3_S5_PtSG_SI_NS1_21lower_bound_search_opENS9_16wrapped_functionINS8_6system6detail7generic6detail18binary_search_lessEbEEEE10hipError_tPvRmT1_T2_T3_mmT4_T5_P12ihipStream_tbEUlRKtE_EEST_SX_SY_mSZ_S12_bEUlT_E_NS1_11comp_targetILNS1_3genE9ELNS1_11target_archE1100ELNS1_3gpuE3ELNS1_3repE0EEENS1_30default_config_static_selectorELNS0_4arch9wavefront6targetE1EEEvSW_.num_named_barrier, 0
	.set _ZN7rocprim17ROCPRIM_400000_NS6detail17trampoline_kernelINS0_14default_configENS1_27lower_bound_config_selectorItlEEZNS1_14transform_implILb0ES3_S5_N6thrust23THRUST_200600_302600_NS6detail15normal_iteratorINS8_7pointerItNS8_11hip_rocprim5par_tENS8_11use_defaultESE_EEEENSA_INSB_IlSD_SE_SE_EEEEZNS1_13binary_searchIS3_S5_PtSG_SI_NS1_21lower_bound_search_opENS9_16wrapped_functionINS8_6system6detail7generic6detail18binary_search_lessEbEEEE10hipError_tPvRmT1_T2_T3_mmT4_T5_P12ihipStream_tbEUlRKtE_EEST_SX_SY_mSZ_S12_bEUlT_E_NS1_11comp_targetILNS1_3genE9ELNS1_11target_archE1100ELNS1_3gpuE3ELNS1_3repE0EEENS1_30default_config_static_selectorELNS0_4arch9wavefront6targetE1EEEvSW_.private_seg_size, 0
	.set _ZN7rocprim17ROCPRIM_400000_NS6detail17trampoline_kernelINS0_14default_configENS1_27lower_bound_config_selectorItlEEZNS1_14transform_implILb0ES3_S5_N6thrust23THRUST_200600_302600_NS6detail15normal_iteratorINS8_7pointerItNS8_11hip_rocprim5par_tENS8_11use_defaultESE_EEEENSA_INSB_IlSD_SE_SE_EEEEZNS1_13binary_searchIS3_S5_PtSG_SI_NS1_21lower_bound_search_opENS9_16wrapped_functionINS8_6system6detail7generic6detail18binary_search_lessEbEEEE10hipError_tPvRmT1_T2_T3_mmT4_T5_P12ihipStream_tbEUlRKtE_EEST_SX_SY_mSZ_S12_bEUlT_E_NS1_11comp_targetILNS1_3genE9ELNS1_11target_archE1100ELNS1_3gpuE3ELNS1_3repE0EEENS1_30default_config_static_selectorELNS0_4arch9wavefront6targetE1EEEvSW_.uses_vcc, 0
	.set _ZN7rocprim17ROCPRIM_400000_NS6detail17trampoline_kernelINS0_14default_configENS1_27lower_bound_config_selectorItlEEZNS1_14transform_implILb0ES3_S5_N6thrust23THRUST_200600_302600_NS6detail15normal_iteratorINS8_7pointerItNS8_11hip_rocprim5par_tENS8_11use_defaultESE_EEEENSA_INSB_IlSD_SE_SE_EEEEZNS1_13binary_searchIS3_S5_PtSG_SI_NS1_21lower_bound_search_opENS9_16wrapped_functionINS8_6system6detail7generic6detail18binary_search_lessEbEEEE10hipError_tPvRmT1_T2_T3_mmT4_T5_P12ihipStream_tbEUlRKtE_EEST_SX_SY_mSZ_S12_bEUlT_E_NS1_11comp_targetILNS1_3genE9ELNS1_11target_archE1100ELNS1_3gpuE3ELNS1_3repE0EEENS1_30default_config_static_selectorELNS0_4arch9wavefront6targetE1EEEvSW_.uses_flat_scratch, 0
	.set _ZN7rocprim17ROCPRIM_400000_NS6detail17trampoline_kernelINS0_14default_configENS1_27lower_bound_config_selectorItlEEZNS1_14transform_implILb0ES3_S5_N6thrust23THRUST_200600_302600_NS6detail15normal_iteratorINS8_7pointerItNS8_11hip_rocprim5par_tENS8_11use_defaultESE_EEEENSA_INSB_IlSD_SE_SE_EEEEZNS1_13binary_searchIS3_S5_PtSG_SI_NS1_21lower_bound_search_opENS9_16wrapped_functionINS8_6system6detail7generic6detail18binary_search_lessEbEEEE10hipError_tPvRmT1_T2_T3_mmT4_T5_P12ihipStream_tbEUlRKtE_EEST_SX_SY_mSZ_S12_bEUlT_E_NS1_11comp_targetILNS1_3genE9ELNS1_11target_archE1100ELNS1_3gpuE3ELNS1_3repE0EEENS1_30default_config_static_selectorELNS0_4arch9wavefront6targetE1EEEvSW_.has_dyn_sized_stack, 0
	.set _ZN7rocprim17ROCPRIM_400000_NS6detail17trampoline_kernelINS0_14default_configENS1_27lower_bound_config_selectorItlEEZNS1_14transform_implILb0ES3_S5_N6thrust23THRUST_200600_302600_NS6detail15normal_iteratorINS8_7pointerItNS8_11hip_rocprim5par_tENS8_11use_defaultESE_EEEENSA_INSB_IlSD_SE_SE_EEEEZNS1_13binary_searchIS3_S5_PtSG_SI_NS1_21lower_bound_search_opENS9_16wrapped_functionINS8_6system6detail7generic6detail18binary_search_lessEbEEEE10hipError_tPvRmT1_T2_T3_mmT4_T5_P12ihipStream_tbEUlRKtE_EEST_SX_SY_mSZ_S12_bEUlT_E_NS1_11comp_targetILNS1_3genE9ELNS1_11target_archE1100ELNS1_3gpuE3ELNS1_3repE0EEENS1_30default_config_static_selectorELNS0_4arch9wavefront6targetE1EEEvSW_.has_recursion, 0
	.set _ZN7rocprim17ROCPRIM_400000_NS6detail17trampoline_kernelINS0_14default_configENS1_27lower_bound_config_selectorItlEEZNS1_14transform_implILb0ES3_S5_N6thrust23THRUST_200600_302600_NS6detail15normal_iteratorINS8_7pointerItNS8_11hip_rocprim5par_tENS8_11use_defaultESE_EEEENSA_INSB_IlSD_SE_SE_EEEEZNS1_13binary_searchIS3_S5_PtSG_SI_NS1_21lower_bound_search_opENS9_16wrapped_functionINS8_6system6detail7generic6detail18binary_search_lessEbEEEE10hipError_tPvRmT1_T2_T3_mmT4_T5_P12ihipStream_tbEUlRKtE_EEST_SX_SY_mSZ_S12_bEUlT_E_NS1_11comp_targetILNS1_3genE9ELNS1_11target_archE1100ELNS1_3gpuE3ELNS1_3repE0EEENS1_30default_config_static_selectorELNS0_4arch9wavefront6targetE1EEEvSW_.has_indirect_call, 0
	.section	.AMDGPU.csdata,"",@progbits
; Kernel info:
; codeLenInByte = 0
; TotalNumSgprs: 4
; NumVgprs: 0
; ScratchSize: 0
; MemoryBound: 0
; FloatMode: 240
; IeeeMode: 1
; LDSByteSize: 0 bytes/workgroup (compile time only)
; SGPRBlocks: 0
; VGPRBlocks: 0
; NumSGPRsForWavesPerEU: 4
; NumVGPRsForWavesPerEU: 1
; Occupancy: 10
; WaveLimiterHint : 0
; COMPUTE_PGM_RSRC2:SCRATCH_EN: 0
; COMPUTE_PGM_RSRC2:USER_SGPR: 6
; COMPUTE_PGM_RSRC2:TRAP_HANDLER: 0
; COMPUTE_PGM_RSRC2:TGID_X_EN: 1
; COMPUTE_PGM_RSRC2:TGID_Y_EN: 0
; COMPUTE_PGM_RSRC2:TGID_Z_EN: 0
; COMPUTE_PGM_RSRC2:TIDIG_COMP_CNT: 0
	.section	.text._ZN7rocprim17ROCPRIM_400000_NS6detail17trampoline_kernelINS0_14default_configENS1_27lower_bound_config_selectorItlEEZNS1_14transform_implILb0ES3_S5_N6thrust23THRUST_200600_302600_NS6detail15normal_iteratorINS8_7pointerItNS8_11hip_rocprim5par_tENS8_11use_defaultESE_EEEENSA_INSB_IlSD_SE_SE_EEEEZNS1_13binary_searchIS3_S5_PtSG_SI_NS1_21lower_bound_search_opENS9_16wrapped_functionINS8_6system6detail7generic6detail18binary_search_lessEbEEEE10hipError_tPvRmT1_T2_T3_mmT4_T5_P12ihipStream_tbEUlRKtE_EEST_SX_SY_mSZ_S12_bEUlT_E_NS1_11comp_targetILNS1_3genE8ELNS1_11target_archE1030ELNS1_3gpuE2ELNS1_3repE0EEENS1_30default_config_static_selectorELNS0_4arch9wavefront6targetE1EEEvSW_,"axG",@progbits,_ZN7rocprim17ROCPRIM_400000_NS6detail17trampoline_kernelINS0_14default_configENS1_27lower_bound_config_selectorItlEEZNS1_14transform_implILb0ES3_S5_N6thrust23THRUST_200600_302600_NS6detail15normal_iteratorINS8_7pointerItNS8_11hip_rocprim5par_tENS8_11use_defaultESE_EEEENSA_INSB_IlSD_SE_SE_EEEEZNS1_13binary_searchIS3_S5_PtSG_SI_NS1_21lower_bound_search_opENS9_16wrapped_functionINS8_6system6detail7generic6detail18binary_search_lessEbEEEE10hipError_tPvRmT1_T2_T3_mmT4_T5_P12ihipStream_tbEUlRKtE_EEST_SX_SY_mSZ_S12_bEUlT_E_NS1_11comp_targetILNS1_3genE8ELNS1_11target_archE1030ELNS1_3gpuE2ELNS1_3repE0EEENS1_30default_config_static_selectorELNS0_4arch9wavefront6targetE1EEEvSW_,comdat
	.protected	_ZN7rocprim17ROCPRIM_400000_NS6detail17trampoline_kernelINS0_14default_configENS1_27lower_bound_config_selectorItlEEZNS1_14transform_implILb0ES3_S5_N6thrust23THRUST_200600_302600_NS6detail15normal_iteratorINS8_7pointerItNS8_11hip_rocprim5par_tENS8_11use_defaultESE_EEEENSA_INSB_IlSD_SE_SE_EEEEZNS1_13binary_searchIS3_S5_PtSG_SI_NS1_21lower_bound_search_opENS9_16wrapped_functionINS8_6system6detail7generic6detail18binary_search_lessEbEEEE10hipError_tPvRmT1_T2_T3_mmT4_T5_P12ihipStream_tbEUlRKtE_EEST_SX_SY_mSZ_S12_bEUlT_E_NS1_11comp_targetILNS1_3genE8ELNS1_11target_archE1030ELNS1_3gpuE2ELNS1_3repE0EEENS1_30default_config_static_selectorELNS0_4arch9wavefront6targetE1EEEvSW_ ; -- Begin function _ZN7rocprim17ROCPRIM_400000_NS6detail17trampoline_kernelINS0_14default_configENS1_27lower_bound_config_selectorItlEEZNS1_14transform_implILb0ES3_S5_N6thrust23THRUST_200600_302600_NS6detail15normal_iteratorINS8_7pointerItNS8_11hip_rocprim5par_tENS8_11use_defaultESE_EEEENSA_INSB_IlSD_SE_SE_EEEEZNS1_13binary_searchIS3_S5_PtSG_SI_NS1_21lower_bound_search_opENS9_16wrapped_functionINS8_6system6detail7generic6detail18binary_search_lessEbEEEE10hipError_tPvRmT1_T2_T3_mmT4_T5_P12ihipStream_tbEUlRKtE_EEST_SX_SY_mSZ_S12_bEUlT_E_NS1_11comp_targetILNS1_3genE8ELNS1_11target_archE1030ELNS1_3gpuE2ELNS1_3repE0EEENS1_30default_config_static_selectorELNS0_4arch9wavefront6targetE1EEEvSW_
	.globl	_ZN7rocprim17ROCPRIM_400000_NS6detail17trampoline_kernelINS0_14default_configENS1_27lower_bound_config_selectorItlEEZNS1_14transform_implILb0ES3_S5_N6thrust23THRUST_200600_302600_NS6detail15normal_iteratorINS8_7pointerItNS8_11hip_rocprim5par_tENS8_11use_defaultESE_EEEENSA_INSB_IlSD_SE_SE_EEEEZNS1_13binary_searchIS3_S5_PtSG_SI_NS1_21lower_bound_search_opENS9_16wrapped_functionINS8_6system6detail7generic6detail18binary_search_lessEbEEEE10hipError_tPvRmT1_T2_T3_mmT4_T5_P12ihipStream_tbEUlRKtE_EEST_SX_SY_mSZ_S12_bEUlT_E_NS1_11comp_targetILNS1_3genE8ELNS1_11target_archE1030ELNS1_3gpuE2ELNS1_3repE0EEENS1_30default_config_static_selectorELNS0_4arch9wavefront6targetE1EEEvSW_
	.p2align	8
	.type	_ZN7rocprim17ROCPRIM_400000_NS6detail17trampoline_kernelINS0_14default_configENS1_27lower_bound_config_selectorItlEEZNS1_14transform_implILb0ES3_S5_N6thrust23THRUST_200600_302600_NS6detail15normal_iteratorINS8_7pointerItNS8_11hip_rocprim5par_tENS8_11use_defaultESE_EEEENSA_INSB_IlSD_SE_SE_EEEEZNS1_13binary_searchIS3_S5_PtSG_SI_NS1_21lower_bound_search_opENS9_16wrapped_functionINS8_6system6detail7generic6detail18binary_search_lessEbEEEE10hipError_tPvRmT1_T2_T3_mmT4_T5_P12ihipStream_tbEUlRKtE_EEST_SX_SY_mSZ_S12_bEUlT_E_NS1_11comp_targetILNS1_3genE8ELNS1_11target_archE1030ELNS1_3gpuE2ELNS1_3repE0EEENS1_30default_config_static_selectorELNS0_4arch9wavefront6targetE1EEEvSW_,@function
_ZN7rocprim17ROCPRIM_400000_NS6detail17trampoline_kernelINS0_14default_configENS1_27lower_bound_config_selectorItlEEZNS1_14transform_implILb0ES3_S5_N6thrust23THRUST_200600_302600_NS6detail15normal_iteratorINS8_7pointerItNS8_11hip_rocprim5par_tENS8_11use_defaultESE_EEEENSA_INSB_IlSD_SE_SE_EEEEZNS1_13binary_searchIS3_S5_PtSG_SI_NS1_21lower_bound_search_opENS9_16wrapped_functionINS8_6system6detail7generic6detail18binary_search_lessEbEEEE10hipError_tPvRmT1_T2_T3_mmT4_T5_P12ihipStream_tbEUlRKtE_EEST_SX_SY_mSZ_S12_bEUlT_E_NS1_11comp_targetILNS1_3genE8ELNS1_11target_archE1030ELNS1_3gpuE2ELNS1_3repE0EEENS1_30default_config_static_selectorELNS0_4arch9wavefront6targetE1EEEvSW_: ; @_ZN7rocprim17ROCPRIM_400000_NS6detail17trampoline_kernelINS0_14default_configENS1_27lower_bound_config_selectorItlEEZNS1_14transform_implILb0ES3_S5_N6thrust23THRUST_200600_302600_NS6detail15normal_iteratorINS8_7pointerItNS8_11hip_rocprim5par_tENS8_11use_defaultESE_EEEENSA_INSB_IlSD_SE_SE_EEEEZNS1_13binary_searchIS3_S5_PtSG_SI_NS1_21lower_bound_search_opENS9_16wrapped_functionINS8_6system6detail7generic6detail18binary_search_lessEbEEEE10hipError_tPvRmT1_T2_T3_mmT4_T5_P12ihipStream_tbEUlRKtE_EEST_SX_SY_mSZ_S12_bEUlT_E_NS1_11comp_targetILNS1_3genE8ELNS1_11target_archE1030ELNS1_3gpuE2ELNS1_3repE0EEENS1_30default_config_static_selectorELNS0_4arch9wavefront6targetE1EEEvSW_
; %bb.0:
	.section	.rodata,"a",@progbits
	.p2align	6, 0x0
	.amdhsa_kernel _ZN7rocprim17ROCPRIM_400000_NS6detail17trampoline_kernelINS0_14default_configENS1_27lower_bound_config_selectorItlEEZNS1_14transform_implILb0ES3_S5_N6thrust23THRUST_200600_302600_NS6detail15normal_iteratorINS8_7pointerItNS8_11hip_rocprim5par_tENS8_11use_defaultESE_EEEENSA_INSB_IlSD_SE_SE_EEEEZNS1_13binary_searchIS3_S5_PtSG_SI_NS1_21lower_bound_search_opENS9_16wrapped_functionINS8_6system6detail7generic6detail18binary_search_lessEbEEEE10hipError_tPvRmT1_T2_T3_mmT4_T5_P12ihipStream_tbEUlRKtE_EEST_SX_SY_mSZ_S12_bEUlT_E_NS1_11comp_targetILNS1_3genE8ELNS1_11target_archE1030ELNS1_3gpuE2ELNS1_3repE0EEENS1_30default_config_static_selectorELNS0_4arch9wavefront6targetE1EEEvSW_
		.amdhsa_group_segment_fixed_size 0
		.amdhsa_private_segment_fixed_size 0
		.amdhsa_kernarg_size 56
		.amdhsa_user_sgpr_count 6
		.amdhsa_user_sgpr_private_segment_buffer 1
		.amdhsa_user_sgpr_dispatch_ptr 0
		.amdhsa_user_sgpr_queue_ptr 0
		.amdhsa_user_sgpr_kernarg_segment_ptr 1
		.amdhsa_user_sgpr_dispatch_id 0
		.amdhsa_user_sgpr_flat_scratch_init 0
		.amdhsa_user_sgpr_private_segment_size 0
		.amdhsa_uses_dynamic_stack 0
		.amdhsa_system_sgpr_private_segment_wavefront_offset 0
		.amdhsa_system_sgpr_workgroup_id_x 1
		.amdhsa_system_sgpr_workgroup_id_y 0
		.amdhsa_system_sgpr_workgroup_id_z 0
		.amdhsa_system_sgpr_workgroup_info 0
		.amdhsa_system_vgpr_workitem_id 0
		.amdhsa_next_free_vgpr 1
		.amdhsa_next_free_sgpr 0
		.amdhsa_reserve_vcc 0
		.amdhsa_reserve_flat_scratch 0
		.amdhsa_float_round_mode_32 0
		.amdhsa_float_round_mode_16_64 0
		.amdhsa_float_denorm_mode_32 3
		.amdhsa_float_denorm_mode_16_64 3
		.amdhsa_dx10_clamp 1
		.amdhsa_ieee_mode 1
		.amdhsa_fp16_overflow 0
		.amdhsa_exception_fp_ieee_invalid_op 0
		.amdhsa_exception_fp_denorm_src 0
		.amdhsa_exception_fp_ieee_div_zero 0
		.amdhsa_exception_fp_ieee_overflow 0
		.amdhsa_exception_fp_ieee_underflow 0
		.amdhsa_exception_fp_ieee_inexact 0
		.amdhsa_exception_int_div_zero 0
	.end_amdhsa_kernel
	.section	.text._ZN7rocprim17ROCPRIM_400000_NS6detail17trampoline_kernelINS0_14default_configENS1_27lower_bound_config_selectorItlEEZNS1_14transform_implILb0ES3_S5_N6thrust23THRUST_200600_302600_NS6detail15normal_iteratorINS8_7pointerItNS8_11hip_rocprim5par_tENS8_11use_defaultESE_EEEENSA_INSB_IlSD_SE_SE_EEEEZNS1_13binary_searchIS3_S5_PtSG_SI_NS1_21lower_bound_search_opENS9_16wrapped_functionINS8_6system6detail7generic6detail18binary_search_lessEbEEEE10hipError_tPvRmT1_T2_T3_mmT4_T5_P12ihipStream_tbEUlRKtE_EEST_SX_SY_mSZ_S12_bEUlT_E_NS1_11comp_targetILNS1_3genE8ELNS1_11target_archE1030ELNS1_3gpuE2ELNS1_3repE0EEENS1_30default_config_static_selectorELNS0_4arch9wavefront6targetE1EEEvSW_,"axG",@progbits,_ZN7rocprim17ROCPRIM_400000_NS6detail17trampoline_kernelINS0_14default_configENS1_27lower_bound_config_selectorItlEEZNS1_14transform_implILb0ES3_S5_N6thrust23THRUST_200600_302600_NS6detail15normal_iteratorINS8_7pointerItNS8_11hip_rocprim5par_tENS8_11use_defaultESE_EEEENSA_INSB_IlSD_SE_SE_EEEEZNS1_13binary_searchIS3_S5_PtSG_SI_NS1_21lower_bound_search_opENS9_16wrapped_functionINS8_6system6detail7generic6detail18binary_search_lessEbEEEE10hipError_tPvRmT1_T2_T3_mmT4_T5_P12ihipStream_tbEUlRKtE_EEST_SX_SY_mSZ_S12_bEUlT_E_NS1_11comp_targetILNS1_3genE8ELNS1_11target_archE1030ELNS1_3gpuE2ELNS1_3repE0EEENS1_30default_config_static_selectorELNS0_4arch9wavefront6targetE1EEEvSW_,comdat
.Lfunc_end101:
	.size	_ZN7rocprim17ROCPRIM_400000_NS6detail17trampoline_kernelINS0_14default_configENS1_27lower_bound_config_selectorItlEEZNS1_14transform_implILb0ES3_S5_N6thrust23THRUST_200600_302600_NS6detail15normal_iteratorINS8_7pointerItNS8_11hip_rocprim5par_tENS8_11use_defaultESE_EEEENSA_INSB_IlSD_SE_SE_EEEEZNS1_13binary_searchIS3_S5_PtSG_SI_NS1_21lower_bound_search_opENS9_16wrapped_functionINS8_6system6detail7generic6detail18binary_search_lessEbEEEE10hipError_tPvRmT1_T2_T3_mmT4_T5_P12ihipStream_tbEUlRKtE_EEST_SX_SY_mSZ_S12_bEUlT_E_NS1_11comp_targetILNS1_3genE8ELNS1_11target_archE1030ELNS1_3gpuE2ELNS1_3repE0EEENS1_30default_config_static_selectorELNS0_4arch9wavefront6targetE1EEEvSW_, .Lfunc_end101-_ZN7rocprim17ROCPRIM_400000_NS6detail17trampoline_kernelINS0_14default_configENS1_27lower_bound_config_selectorItlEEZNS1_14transform_implILb0ES3_S5_N6thrust23THRUST_200600_302600_NS6detail15normal_iteratorINS8_7pointerItNS8_11hip_rocprim5par_tENS8_11use_defaultESE_EEEENSA_INSB_IlSD_SE_SE_EEEEZNS1_13binary_searchIS3_S5_PtSG_SI_NS1_21lower_bound_search_opENS9_16wrapped_functionINS8_6system6detail7generic6detail18binary_search_lessEbEEEE10hipError_tPvRmT1_T2_T3_mmT4_T5_P12ihipStream_tbEUlRKtE_EEST_SX_SY_mSZ_S12_bEUlT_E_NS1_11comp_targetILNS1_3genE8ELNS1_11target_archE1030ELNS1_3gpuE2ELNS1_3repE0EEENS1_30default_config_static_selectorELNS0_4arch9wavefront6targetE1EEEvSW_
                                        ; -- End function
	.set _ZN7rocprim17ROCPRIM_400000_NS6detail17trampoline_kernelINS0_14default_configENS1_27lower_bound_config_selectorItlEEZNS1_14transform_implILb0ES3_S5_N6thrust23THRUST_200600_302600_NS6detail15normal_iteratorINS8_7pointerItNS8_11hip_rocprim5par_tENS8_11use_defaultESE_EEEENSA_INSB_IlSD_SE_SE_EEEEZNS1_13binary_searchIS3_S5_PtSG_SI_NS1_21lower_bound_search_opENS9_16wrapped_functionINS8_6system6detail7generic6detail18binary_search_lessEbEEEE10hipError_tPvRmT1_T2_T3_mmT4_T5_P12ihipStream_tbEUlRKtE_EEST_SX_SY_mSZ_S12_bEUlT_E_NS1_11comp_targetILNS1_3genE8ELNS1_11target_archE1030ELNS1_3gpuE2ELNS1_3repE0EEENS1_30default_config_static_selectorELNS0_4arch9wavefront6targetE1EEEvSW_.num_vgpr, 0
	.set _ZN7rocprim17ROCPRIM_400000_NS6detail17trampoline_kernelINS0_14default_configENS1_27lower_bound_config_selectorItlEEZNS1_14transform_implILb0ES3_S5_N6thrust23THRUST_200600_302600_NS6detail15normal_iteratorINS8_7pointerItNS8_11hip_rocprim5par_tENS8_11use_defaultESE_EEEENSA_INSB_IlSD_SE_SE_EEEEZNS1_13binary_searchIS3_S5_PtSG_SI_NS1_21lower_bound_search_opENS9_16wrapped_functionINS8_6system6detail7generic6detail18binary_search_lessEbEEEE10hipError_tPvRmT1_T2_T3_mmT4_T5_P12ihipStream_tbEUlRKtE_EEST_SX_SY_mSZ_S12_bEUlT_E_NS1_11comp_targetILNS1_3genE8ELNS1_11target_archE1030ELNS1_3gpuE2ELNS1_3repE0EEENS1_30default_config_static_selectorELNS0_4arch9wavefront6targetE1EEEvSW_.num_agpr, 0
	.set _ZN7rocprim17ROCPRIM_400000_NS6detail17trampoline_kernelINS0_14default_configENS1_27lower_bound_config_selectorItlEEZNS1_14transform_implILb0ES3_S5_N6thrust23THRUST_200600_302600_NS6detail15normal_iteratorINS8_7pointerItNS8_11hip_rocprim5par_tENS8_11use_defaultESE_EEEENSA_INSB_IlSD_SE_SE_EEEEZNS1_13binary_searchIS3_S5_PtSG_SI_NS1_21lower_bound_search_opENS9_16wrapped_functionINS8_6system6detail7generic6detail18binary_search_lessEbEEEE10hipError_tPvRmT1_T2_T3_mmT4_T5_P12ihipStream_tbEUlRKtE_EEST_SX_SY_mSZ_S12_bEUlT_E_NS1_11comp_targetILNS1_3genE8ELNS1_11target_archE1030ELNS1_3gpuE2ELNS1_3repE0EEENS1_30default_config_static_selectorELNS0_4arch9wavefront6targetE1EEEvSW_.numbered_sgpr, 0
	.set _ZN7rocprim17ROCPRIM_400000_NS6detail17trampoline_kernelINS0_14default_configENS1_27lower_bound_config_selectorItlEEZNS1_14transform_implILb0ES3_S5_N6thrust23THRUST_200600_302600_NS6detail15normal_iteratorINS8_7pointerItNS8_11hip_rocprim5par_tENS8_11use_defaultESE_EEEENSA_INSB_IlSD_SE_SE_EEEEZNS1_13binary_searchIS3_S5_PtSG_SI_NS1_21lower_bound_search_opENS9_16wrapped_functionINS8_6system6detail7generic6detail18binary_search_lessEbEEEE10hipError_tPvRmT1_T2_T3_mmT4_T5_P12ihipStream_tbEUlRKtE_EEST_SX_SY_mSZ_S12_bEUlT_E_NS1_11comp_targetILNS1_3genE8ELNS1_11target_archE1030ELNS1_3gpuE2ELNS1_3repE0EEENS1_30default_config_static_selectorELNS0_4arch9wavefront6targetE1EEEvSW_.num_named_barrier, 0
	.set _ZN7rocprim17ROCPRIM_400000_NS6detail17trampoline_kernelINS0_14default_configENS1_27lower_bound_config_selectorItlEEZNS1_14transform_implILb0ES3_S5_N6thrust23THRUST_200600_302600_NS6detail15normal_iteratorINS8_7pointerItNS8_11hip_rocprim5par_tENS8_11use_defaultESE_EEEENSA_INSB_IlSD_SE_SE_EEEEZNS1_13binary_searchIS3_S5_PtSG_SI_NS1_21lower_bound_search_opENS9_16wrapped_functionINS8_6system6detail7generic6detail18binary_search_lessEbEEEE10hipError_tPvRmT1_T2_T3_mmT4_T5_P12ihipStream_tbEUlRKtE_EEST_SX_SY_mSZ_S12_bEUlT_E_NS1_11comp_targetILNS1_3genE8ELNS1_11target_archE1030ELNS1_3gpuE2ELNS1_3repE0EEENS1_30default_config_static_selectorELNS0_4arch9wavefront6targetE1EEEvSW_.private_seg_size, 0
	.set _ZN7rocprim17ROCPRIM_400000_NS6detail17trampoline_kernelINS0_14default_configENS1_27lower_bound_config_selectorItlEEZNS1_14transform_implILb0ES3_S5_N6thrust23THRUST_200600_302600_NS6detail15normal_iteratorINS8_7pointerItNS8_11hip_rocprim5par_tENS8_11use_defaultESE_EEEENSA_INSB_IlSD_SE_SE_EEEEZNS1_13binary_searchIS3_S5_PtSG_SI_NS1_21lower_bound_search_opENS9_16wrapped_functionINS8_6system6detail7generic6detail18binary_search_lessEbEEEE10hipError_tPvRmT1_T2_T3_mmT4_T5_P12ihipStream_tbEUlRKtE_EEST_SX_SY_mSZ_S12_bEUlT_E_NS1_11comp_targetILNS1_3genE8ELNS1_11target_archE1030ELNS1_3gpuE2ELNS1_3repE0EEENS1_30default_config_static_selectorELNS0_4arch9wavefront6targetE1EEEvSW_.uses_vcc, 0
	.set _ZN7rocprim17ROCPRIM_400000_NS6detail17trampoline_kernelINS0_14default_configENS1_27lower_bound_config_selectorItlEEZNS1_14transform_implILb0ES3_S5_N6thrust23THRUST_200600_302600_NS6detail15normal_iteratorINS8_7pointerItNS8_11hip_rocprim5par_tENS8_11use_defaultESE_EEEENSA_INSB_IlSD_SE_SE_EEEEZNS1_13binary_searchIS3_S5_PtSG_SI_NS1_21lower_bound_search_opENS9_16wrapped_functionINS8_6system6detail7generic6detail18binary_search_lessEbEEEE10hipError_tPvRmT1_T2_T3_mmT4_T5_P12ihipStream_tbEUlRKtE_EEST_SX_SY_mSZ_S12_bEUlT_E_NS1_11comp_targetILNS1_3genE8ELNS1_11target_archE1030ELNS1_3gpuE2ELNS1_3repE0EEENS1_30default_config_static_selectorELNS0_4arch9wavefront6targetE1EEEvSW_.uses_flat_scratch, 0
	.set _ZN7rocprim17ROCPRIM_400000_NS6detail17trampoline_kernelINS0_14default_configENS1_27lower_bound_config_selectorItlEEZNS1_14transform_implILb0ES3_S5_N6thrust23THRUST_200600_302600_NS6detail15normal_iteratorINS8_7pointerItNS8_11hip_rocprim5par_tENS8_11use_defaultESE_EEEENSA_INSB_IlSD_SE_SE_EEEEZNS1_13binary_searchIS3_S5_PtSG_SI_NS1_21lower_bound_search_opENS9_16wrapped_functionINS8_6system6detail7generic6detail18binary_search_lessEbEEEE10hipError_tPvRmT1_T2_T3_mmT4_T5_P12ihipStream_tbEUlRKtE_EEST_SX_SY_mSZ_S12_bEUlT_E_NS1_11comp_targetILNS1_3genE8ELNS1_11target_archE1030ELNS1_3gpuE2ELNS1_3repE0EEENS1_30default_config_static_selectorELNS0_4arch9wavefront6targetE1EEEvSW_.has_dyn_sized_stack, 0
	.set _ZN7rocprim17ROCPRIM_400000_NS6detail17trampoline_kernelINS0_14default_configENS1_27lower_bound_config_selectorItlEEZNS1_14transform_implILb0ES3_S5_N6thrust23THRUST_200600_302600_NS6detail15normal_iteratorINS8_7pointerItNS8_11hip_rocprim5par_tENS8_11use_defaultESE_EEEENSA_INSB_IlSD_SE_SE_EEEEZNS1_13binary_searchIS3_S5_PtSG_SI_NS1_21lower_bound_search_opENS9_16wrapped_functionINS8_6system6detail7generic6detail18binary_search_lessEbEEEE10hipError_tPvRmT1_T2_T3_mmT4_T5_P12ihipStream_tbEUlRKtE_EEST_SX_SY_mSZ_S12_bEUlT_E_NS1_11comp_targetILNS1_3genE8ELNS1_11target_archE1030ELNS1_3gpuE2ELNS1_3repE0EEENS1_30default_config_static_selectorELNS0_4arch9wavefront6targetE1EEEvSW_.has_recursion, 0
	.set _ZN7rocprim17ROCPRIM_400000_NS6detail17trampoline_kernelINS0_14default_configENS1_27lower_bound_config_selectorItlEEZNS1_14transform_implILb0ES3_S5_N6thrust23THRUST_200600_302600_NS6detail15normal_iteratorINS8_7pointerItNS8_11hip_rocprim5par_tENS8_11use_defaultESE_EEEENSA_INSB_IlSD_SE_SE_EEEEZNS1_13binary_searchIS3_S5_PtSG_SI_NS1_21lower_bound_search_opENS9_16wrapped_functionINS8_6system6detail7generic6detail18binary_search_lessEbEEEE10hipError_tPvRmT1_T2_T3_mmT4_T5_P12ihipStream_tbEUlRKtE_EEST_SX_SY_mSZ_S12_bEUlT_E_NS1_11comp_targetILNS1_3genE8ELNS1_11target_archE1030ELNS1_3gpuE2ELNS1_3repE0EEENS1_30default_config_static_selectorELNS0_4arch9wavefront6targetE1EEEvSW_.has_indirect_call, 0
	.section	.AMDGPU.csdata,"",@progbits
; Kernel info:
; codeLenInByte = 0
; TotalNumSgprs: 4
; NumVgprs: 0
; ScratchSize: 0
; MemoryBound: 0
; FloatMode: 240
; IeeeMode: 1
; LDSByteSize: 0 bytes/workgroup (compile time only)
; SGPRBlocks: 0
; VGPRBlocks: 0
; NumSGPRsForWavesPerEU: 4
; NumVGPRsForWavesPerEU: 1
; Occupancy: 10
; WaveLimiterHint : 0
; COMPUTE_PGM_RSRC2:SCRATCH_EN: 0
; COMPUTE_PGM_RSRC2:USER_SGPR: 6
; COMPUTE_PGM_RSRC2:TRAP_HANDLER: 0
; COMPUTE_PGM_RSRC2:TGID_X_EN: 1
; COMPUTE_PGM_RSRC2:TGID_Y_EN: 0
; COMPUTE_PGM_RSRC2:TGID_Z_EN: 0
; COMPUTE_PGM_RSRC2:TIDIG_COMP_CNT: 0
	.section	.text._ZN6thrust23THRUST_200600_302600_NS11hip_rocprim14__parallel_for6kernelILj256ENS1_20__uninitialized_fill7functorINS0_10device_ptrIxEExEEmLj1EEEvT0_T1_SA_,"axG",@progbits,_ZN6thrust23THRUST_200600_302600_NS11hip_rocprim14__parallel_for6kernelILj256ENS1_20__uninitialized_fill7functorINS0_10device_ptrIxEExEEmLj1EEEvT0_T1_SA_,comdat
	.protected	_ZN6thrust23THRUST_200600_302600_NS11hip_rocprim14__parallel_for6kernelILj256ENS1_20__uninitialized_fill7functorINS0_10device_ptrIxEExEEmLj1EEEvT0_T1_SA_ ; -- Begin function _ZN6thrust23THRUST_200600_302600_NS11hip_rocprim14__parallel_for6kernelILj256ENS1_20__uninitialized_fill7functorINS0_10device_ptrIxEExEEmLj1EEEvT0_T1_SA_
	.globl	_ZN6thrust23THRUST_200600_302600_NS11hip_rocprim14__parallel_for6kernelILj256ENS1_20__uninitialized_fill7functorINS0_10device_ptrIxEExEEmLj1EEEvT0_T1_SA_
	.p2align	8
	.type	_ZN6thrust23THRUST_200600_302600_NS11hip_rocprim14__parallel_for6kernelILj256ENS1_20__uninitialized_fill7functorINS0_10device_ptrIxEExEEmLj1EEEvT0_T1_SA_,@function
_ZN6thrust23THRUST_200600_302600_NS11hip_rocprim14__parallel_for6kernelILj256ENS1_20__uninitialized_fill7functorINS0_10device_ptrIxEExEEmLj1EEEvT0_T1_SA_: ; @_ZN6thrust23THRUST_200600_302600_NS11hip_rocprim14__parallel_for6kernelILj256ENS1_20__uninitialized_fill7functorINS0_10device_ptrIxEExEEmLj1EEEvT0_T1_SA_
; %bb.0:
	s_load_dwordx8 s[8:15], s[4:5], 0x0
	s_lshl_b32 s0, s6, 8
	v_mov_b32_e32 v1, 0xff
	v_mov_b32_e32 v2, 0
	s_mov_b64 s[4:5], -1
	s_waitcnt lgkmcnt(0)
	s_add_u32 s0, s14, s0
	s_addc_u32 s1, s15, 0
	s_sub_u32 s2, s12, s0
	s_subb_u32 s3, s13, s1
	v_cmp_gt_u64_e32 vcc, s[2:3], v[1:2]
	s_cbranch_vccz .LBB102_3
; %bb.1:
	s_andn2_b64 vcc, exec, s[4:5]
	s_cbranch_vccz .LBB102_6
.LBB102_2:
	s_endpgm
.LBB102_3:
	v_cmp_gt_u32_e32 vcc, s2, v0
	s_and_saveexec_b64 s[2:3], vcc
	s_cbranch_execz .LBB102_5
; %bb.4:
	s_lshl_b64 s[4:5], s[0:1], 3
	s_add_u32 s4, s8, s4
	s_addc_u32 s5, s9, s5
	v_lshlrev_b32_e32 v1, 3, v0
	v_mov_b32_e32 v2, s5
	v_add_co_u32_e32 v1, vcc, s4, v1
	v_mov_b32_e32 v3, s10
	v_addc_co_u32_e32 v2, vcc, 0, v2, vcc
	v_mov_b32_e32 v4, s11
	flat_store_dwordx2 v[1:2], v[3:4]
.LBB102_5:
	s_or_b64 exec, exec, s[2:3]
	s_cbranch_execnz .LBB102_2
.LBB102_6:
	s_lshl_b64 s[0:1], s[0:1], 3
	s_add_u32 s0, s8, s0
	s_addc_u32 s1, s9, s1
	v_lshlrev_b32_e32 v0, 3, v0
	v_mov_b32_e32 v1, s1
	v_add_co_u32_e32 v0, vcc, s0, v0
	v_mov_b32_e32 v2, s10
	v_addc_co_u32_e32 v1, vcc, 0, v1, vcc
	v_mov_b32_e32 v3, s11
	flat_store_dwordx2 v[0:1], v[2:3]
	s_endpgm
	.section	.rodata,"a",@progbits
	.p2align	6, 0x0
	.amdhsa_kernel _ZN6thrust23THRUST_200600_302600_NS11hip_rocprim14__parallel_for6kernelILj256ENS1_20__uninitialized_fill7functorINS0_10device_ptrIxEExEEmLj1EEEvT0_T1_SA_
		.amdhsa_group_segment_fixed_size 0
		.amdhsa_private_segment_fixed_size 0
		.amdhsa_kernarg_size 32
		.amdhsa_user_sgpr_count 6
		.amdhsa_user_sgpr_private_segment_buffer 1
		.amdhsa_user_sgpr_dispatch_ptr 0
		.amdhsa_user_sgpr_queue_ptr 0
		.amdhsa_user_sgpr_kernarg_segment_ptr 1
		.amdhsa_user_sgpr_dispatch_id 0
		.amdhsa_user_sgpr_flat_scratch_init 0
		.amdhsa_user_sgpr_private_segment_size 0
		.amdhsa_uses_dynamic_stack 0
		.amdhsa_system_sgpr_private_segment_wavefront_offset 0
		.amdhsa_system_sgpr_workgroup_id_x 1
		.amdhsa_system_sgpr_workgroup_id_y 0
		.amdhsa_system_sgpr_workgroup_id_z 0
		.amdhsa_system_sgpr_workgroup_info 0
		.amdhsa_system_vgpr_workitem_id 0
		.amdhsa_next_free_vgpr 5
		.amdhsa_next_free_sgpr 16
		.amdhsa_reserve_vcc 1
		.amdhsa_reserve_flat_scratch 0
		.amdhsa_float_round_mode_32 0
		.amdhsa_float_round_mode_16_64 0
		.amdhsa_float_denorm_mode_32 3
		.amdhsa_float_denorm_mode_16_64 3
		.amdhsa_dx10_clamp 1
		.amdhsa_ieee_mode 1
		.amdhsa_fp16_overflow 0
		.amdhsa_exception_fp_ieee_invalid_op 0
		.amdhsa_exception_fp_denorm_src 0
		.amdhsa_exception_fp_ieee_div_zero 0
		.amdhsa_exception_fp_ieee_overflow 0
		.amdhsa_exception_fp_ieee_underflow 0
		.amdhsa_exception_fp_ieee_inexact 0
		.amdhsa_exception_int_div_zero 0
	.end_amdhsa_kernel
	.section	.text._ZN6thrust23THRUST_200600_302600_NS11hip_rocprim14__parallel_for6kernelILj256ENS1_20__uninitialized_fill7functorINS0_10device_ptrIxEExEEmLj1EEEvT0_T1_SA_,"axG",@progbits,_ZN6thrust23THRUST_200600_302600_NS11hip_rocprim14__parallel_for6kernelILj256ENS1_20__uninitialized_fill7functorINS0_10device_ptrIxEExEEmLj1EEEvT0_T1_SA_,comdat
.Lfunc_end102:
	.size	_ZN6thrust23THRUST_200600_302600_NS11hip_rocprim14__parallel_for6kernelILj256ENS1_20__uninitialized_fill7functorINS0_10device_ptrIxEExEEmLj1EEEvT0_T1_SA_, .Lfunc_end102-_ZN6thrust23THRUST_200600_302600_NS11hip_rocprim14__parallel_for6kernelILj256ENS1_20__uninitialized_fill7functorINS0_10device_ptrIxEExEEmLj1EEEvT0_T1_SA_
                                        ; -- End function
	.set _ZN6thrust23THRUST_200600_302600_NS11hip_rocprim14__parallel_for6kernelILj256ENS1_20__uninitialized_fill7functorINS0_10device_ptrIxEExEEmLj1EEEvT0_T1_SA_.num_vgpr, 5
	.set _ZN6thrust23THRUST_200600_302600_NS11hip_rocprim14__parallel_for6kernelILj256ENS1_20__uninitialized_fill7functorINS0_10device_ptrIxEExEEmLj1EEEvT0_T1_SA_.num_agpr, 0
	.set _ZN6thrust23THRUST_200600_302600_NS11hip_rocprim14__parallel_for6kernelILj256ENS1_20__uninitialized_fill7functorINS0_10device_ptrIxEExEEmLj1EEEvT0_T1_SA_.numbered_sgpr, 16
	.set _ZN6thrust23THRUST_200600_302600_NS11hip_rocprim14__parallel_for6kernelILj256ENS1_20__uninitialized_fill7functorINS0_10device_ptrIxEExEEmLj1EEEvT0_T1_SA_.num_named_barrier, 0
	.set _ZN6thrust23THRUST_200600_302600_NS11hip_rocprim14__parallel_for6kernelILj256ENS1_20__uninitialized_fill7functorINS0_10device_ptrIxEExEEmLj1EEEvT0_T1_SA_.private_seg_size, 0
	.set _ZN6thrust23THRUST_200600_302600_NS11hip_rocprim14__parallel_for6kernelILj256ENS1_20__uninitialized_fill7functorINS0_10device_ptrIxEExEEmLj1EEEvT0_T1_SA_.uses_vcc, 1
	.set _ZN6thrust23THRUST_200600_302600_NS11hip_rocprim14__parallel_for6kernelILj256ENS1_20__uninitialized_fill7functorINS0_10device_ptrIxEExEEmLj1EEEvT0_T1_SA_.uses_flat_scratch, 0
	.set _ZN6thrust23THRUST_200600_302600_NS11hip_rocprim14__parallel_for6kernelILj256ENS1_20__uninitialized_fill7functorINS0_10device_ptrIxEExEEmLj1EEEvT0_T1_SA_.has_dyn_sized_stack, 0
	.set _ZN6thrust23THRUST_200600_302600_NS11hip_rocprim14__parallel_for6kernelILj256ENS1_20__uninitialized_fill7functorINS0_10device_ptrIxEExEEmLj1EEEvT0_T1_SA_.has_recursion, 0
	.set _ZN6thrust23THRUST_200600_302600_NS11hip_rocprim14__parallel_for6kernelILj256ENS1_20__uninitialized_fill7functorINS0_10device_ptrIxEExEEmLj1EEEvT0_T1_SA_.has_indirect_call, 0
	.section	.AMDGPU.csdata,"",@progbits
; Kernel info:
; codeLenInByte = 180
; TotalNumSgprs: 20
; NumVgprs: 5
; ScratchSize: 0
; MemoryBound: 0
; FloatMode: 240
; IeeeMode: 1
; LDSByteSize: 0 bytes/workgroup (compile time only)
; SGPRBlocks: 2
; VGPRBlocks: 1
; NumSGPRsForWavesPerEU: 20
; NumVGPRsForWavesPerEU: 5
; Occupancy: 10
; WaveLimiterHint : 0
; COMPUTE_PGM_RSRC2:SCRATCH_EN: 0
; COMPUTE_PGM_RSRC2:USER_SGPR: 6
; COMPUTE_PGM_RSRC2:TRAP_HANDLER: 0
; COMPUTE_PGM_RSRC2:TGID_X_EN: 1
; COMPUTE_PGM_RSRC2:TGID_Y_EN: 0
; COMPUTE_PGM_RSRC2:TGID_Z_EN: 0
; COMPUTE_PGM_RSRC2:TIDIG_COMP_CNT: 0
	.section	.text._Z18lower_bound_kernelIxEvmPT_Pl,"axG",@progbits,_Z18lower_bound_kernelIxEvmPT_Pl,comdat
	.protected	_Z18lower_bound_kernelIxEvmPT_Pl ; -- Begin function _Z18lower_bound_kernelIxEvmPT_Pl
	.globl	_Z18lower_bound_kernelIxEvmPT_Pl
	.p2align	8
	.type	_Z18lower_bound_kernelIxEvmPT_Pl,@function
_Z18lower_bound_kernelIxEvmPT_Pl:       ; @_Z18lower_bound_kernelIxEvmPT_Pl
; %bb.0:
	s_load_dwordx4 s[0:3], s[4:5], 0x0
	s_load_dwordx2 s[6:7], s[4:5], 0x10
	s_mov_b64 s[8:9], -1
	s_waitcnt lgkmcnt(0)
	s_lshl_b64 s[0:1], s[0:1], 3
	s_add_u32 s0, s2, s0
	s_addc_u32 s1, s3, s1
	s_sub_u32 s0, s0, s2
	s_subb_u32 s1, s1, s3
	s_ashr_i64 s[4:5], s[0:1], 3
	v_cmp_lt_i64_e64 s[0:1], s[4:5], 1
	s_and_b64 s[0:1], exec, s[0:1]
	s_mov_b64 vcc, s[0:1]
	s_cbranch_vccz .LBB103_2
; %bb.1:
	v_mov_b32_e32 v0, 0
	v_mov_b32_e32 v1, v0
	global_store_dwordx2 v0, v[0:1], s[6:7]
	s_mov_b64 s[8:9], 0
.LBB103_2:
	s_andn2_b64 vcc, exec, s[8:9]
	s_mov_b64 s[8:9], 0
	s_cbranch_vccnz .LBB103_7
; %bb.3:
	s_mov_b64 s[10:11], s[4:5]
.LBB103_4:                              ; =>This Inner Loop Header: Depth=1
	s_sub_u32 s12, s10, s8
	s_subb_u32 s13, s11, s9
	s_lshr_b64 s[12:13], s[12:13], 1
	s_add_u32 s12, s12, s8
	s_addc_u32 s13, s13, s9
	s_lshl_b64 s[14:15], s[12:13], 3
	s_add_u32 s14, s2, s14
	s_addc_u32 s15, s3, s15
	s_load_dwordx2 s[14:15], s[14:15], 0x0
	s_add_u32 s16, s12, 1
	s_addc_u32 s17, s13, 0
	s_waitcnt lgkmcnt(0)
	v_cmp_lt_i64_e64 s[14:15], s[14:15], 0
	s_and_b64 s[14:15], s[14:15], exec
	s_cselect_b32 s10, s10, s12
	s_cselect_b32 s11, s11, s13
	v_mov_b32_e32 v0, s10
	s_cselect_b32 s9, s17, s9
	s_cselect_b32 s8, s16, s8
	v_mov_b32_e32 v1, s11
	v_cmp_lt_i64_e32 vcc, s[8:9], v[0:1]
	s_cbranch_vccnz .LBB103_4
; %bb.5:
	s_lshl_b64 s[8:9], s[8:9], 3
	s_add_u32 s8, s2, s8
	s_addc_u32 s9, s3, s9
	s_sub_u32 s8, s8, s2
	s_subb_u32 s9, s9, s3
	s_ashr_i64 s[8:9], s[8:9], 3
	v_mov_b32_e32 v0, s8
	v_mov_b32_e32 v2, 0
	;; [unrolled: 1-line block ×3, first 2 shown]
	s_mov_b64 s[8:9], 0
	s_mov_b64 s[10:11], s[4:5]
	global_store_dwordx2 v2, v[0:1], s[6:7]
.LBB103_6:                              ; =>This Inner Loop Header: Depth=1
	s_sub_u32 s12, s10, s8
	s_subb_u32 s13, s11, s9
	s_lshr_b64 s[12:13], s[12:13], 1
	s_add_u32 s12, s12, s8
	s_addc_u32 s13, s13, s9
	s_lshl_b64 s[14:15], s[12:13], 3
	s_add_u32 s14, s2, s14
	s_addc_u32 s15, s3, s15
	s_load_dwordx2 s[14:15], s[14:15], 0x0
	s_add_u32 s16, s12, 1
	s_addc_u32 s17, s13, 0
	s_waitcnt lgkmcnt(0)
	v_cmp_lt_i64_e64 s[14:15], s[14:15], 1
	s_and_b64 s[14:15], s[14:15], exec
	s_cselect_b32 s10, s10, s12
	s_cselect_b32 s11, s11, s13
	v_mov_b32_e32 v0, s10
	s_cselect_b32 s9, s17, s9
	s_cselect_b32 s8, s16, s8
	v_mov_b32_e32 v1, s11
	v_cmp_ge_i64_e32 vcc, s[8:9], v[0:1]
	s_cbranch_vccz .LBB103_6
.LBB103_7:
	s_lshl_b64 s[8:9], s[8:9], 3
	s_add_u32 s8, s2, s8
	s_addc_u32 s9, s3, s9
	s_sub_u32 s8, s8, s2
	s_subb_u32 s9, s9, s3
	s_ashr_i64 s[8:9], s[8:9], 3
	v_mov_b32_e32 v1, s8
	v_mov_b32_e32 v0, 0
	;; [unrolled: 1-line block ×3, first 2 shown]
	s_mov_b64 s[8:9], -1
	s_mov_b64 vcc, s[0:1]
	global_store_dwordx2 v0, v[1:2], s[6:7] offset:8
	s_cbranch_vccz .LBB103_9
; %bb.8:
	v_mov_b32_e32 v1, v0
	global_store_dwordx2 v0, v[0:1], s[6:7] offset:16
	s_mov_b64 s[8:9], 0
.LBB103_9:
	s_andn2_b64 vcc, exec, s[8:9]
	s_mov_b64 s[8:9], 0
	s_cbranch_vccnz .LBB103_14
; %bb.10:
	s_mov_b64 s[10:11], s[4:5]
.LBB103_11:                             ; =>This Inner Loop Header: Depth=1
	s_sub_u32 s12, s10, s8
	s_subb_u32 s13, s11, s9
	s_lshr_b64 s[12:13], s[12:13], 1
	s_add_u32 s12, s12, s8
	s_addc_u32 s13, s13, s9
	s_lshl_b64 s[14:15], s[12:13], 3
	s_add_u32 s14, s2, s14
	s_addc_u32 s15, s3, s15
	s_load_dwordx2 s[14:15], s[14:15], 0x0
	s_add_u32 s16, s12, 1
	s_addc_u32 s17, s13, 0
	s_waitcnt lgkmcnt(0)
	v_cmp_lt_i64_e64 s[14:15], s[14:15], 2
	s_and_b64 s[14:15], s[14:15], exec
	s_cselect_b32 s10, s10, s12
	s_cselect_b32 s11, s11, s13
	v_mov_b32_e32 v0, s10
	s_cselect_b32 s9, s17, s9
	s_cselect_b32 s8, s16, s8
	v_mov_b32_e32 v1, s11
	v_cmp_lt_i64_e32 vcc, s[8:9], v[0:1]
	s_cbranch_vccnz .LBB103_11
; %bb.12:
	s_lshl_b64 s[8:9], s[8:9], 3
	s_add_u32 s8, s2, s8
	s_addc_u32 s9, s3, s9
	s_sub_u32 s8, s8, s2
	s_subb_u32 s9, s9, s3
	s_ashr_i64 s[8:9], s[8:9], 3
	v_mov_b32_e32 v0, s8
	v_mov_b32_e32 v2, 0
	;; [unrolled: 1-line block ×3, first 2 shown]
	s_mov_b64 s[8:9], 0
	s_mov_b64 s[10:11], s[4:5]
	global_store_dwordx2 v2, v[0:1], s[6:7] offset:16
.LBB103_13:                             ; =>This Inner Loop Header: Depth=1
	s_sub_u32 s12, s10, s8
	s_subb_u32 s13, s11, s9
	s_lshr_b64 s[12:13], s[12:13], 1
	s_add_u32 s12, s12, s8
	s_addc_u32 s13, s13, s9
	s_lshl_b64 s[14:15], s[12:13], 3
	s_add_u32 s14, s2, s14
	s_addc_u32 s15, s3, s15
	s_load_dwordx2 s[14:15], s[14:15], 0x0
	s_add_u32 s16, s12, 1
	s_addc_u32 s17, s13, 0
	s_waitcnt lgkmcnt(0)
	v_cmp_lt_i64_e64 s[14:15], s[14:15], 3
	s_and_b64 s[14:15], s[14:15], exec
	s_cselect_b32 s10, s10, s12
	s_cselect_b32 s11, s11, s13
	v_mov_b32_e32 v0, s10
	s_cselect_b32 s9, s17, s9
	s_cselect_b32 s8, s16, s8
	v_mov_b32_e32 v1, s11
	v_cmp_ge_i64_e32 vcc, s[8:9], v[0:1]
	s_cbranch_vccz .LBB103_13
.LBB103_14:
	s_lshl_b64 s[8:9], s[8:9], 3
	s_add_u32 s8, s2, s8
	s_addc_u32 s9, s3, s9
	s_sub_u32 s8, s8, s2
	s_subb_u32 s9, s9, s3
	s_ashr_i64 s[8:9], s[8:9], 3
	v_mov_b32_e32 v1, s8
	v_mov_b32_e32 v0, 0
	;; [unrolled: 1-line block ×3, first 2 shown]
	s_mov_b64 s[8:9], -1
	s_mov_b64 vcc, s[0:1]
	global_store_dwordx2 v0, v[1:2], s[6:7] offset:24
	s_cbranch_vccz .LBB103_16
; %bb.15:
	v_mov_b32_e32 v1, v0
	global_store_dwordx2 v0, v[0:1], s[6:7] offset:32
	s_mov_b64 s[8:9], 0
.LBB103_16:
	s_andn2_b64 vcc, exec, s[8:9]
	s_mov_b64 s[8:9], 0
	s_cbranch_vccnz .LBB103_21
; %bb.17:
	s_mov_b64 s[10:11], s[4:5]
.LBB103_18:                             ; =>This Inner Loop Header: Depth=1
	s_sub_u32 s12, s10, s8
	s_subb_u32 s13, s11, s9
	s_lshr_b64 s[12:13], s[12:13], 1
	s_add_u32 s12, s12, s8
	s_addc_u32 s13, s13, s9
	s_lshl_b64 s[14:15], s[12:13], 3
	s_add_u32 s14, s2, s14
	s_addc_u32 s15, s3, s15
	s_load_dwordx2 s[14:15], s[14:15], 0x0
	s_add_u32 s16, s12, 1
	s_addc_u32 s17, s13, 0
	s_waitcnt lgkmcnt(0)
	v_cmp_lt_i64_e64 s[14:15], s[14:15], 4
	s_and_b64 s[14:15], s[14:15], exec
	s_cselect_b32 s10, s10, s12
	s_cselect_b32 s11, s11, s13
	v_mov_b32_e32 v0, s10
	s_cselect_b32 s9, s17, s9
	s_cselect_b32 s8, s16, s8
	v_mov_b32_e32 v1, s11
	v_cmp_lt_i64_e32 vcc, s[8:9], v[0:1]
	s_cbranch_vccnz .LBB103_18
; %bb.19:
	s_lshl_b64 s[8:9], s[8:9], 3
	s_add_u32 s8, s2, s8
	s_addc_u32 s9, s3, s9
	s_sub_u32 s8, s8, s2
	s_subb_u32 s9, s9, s3
	s_ashr_i64 s[8:9], s[8:9], 3
	v_mov_b32_e32 v0, s8
	v_mov_b32_e32 v2, 0
	;; [unrolled: 1-line block ×3, first 2 shown]
	s_mov_b64 s[8:9], 0
	s_mov_b64 s[10:11], s[4:5]
	global_store_dwordx2 v2, v[0:1], s[6:7] offset:32
.LBB103_20:                             ; =>This Inner Loop Header: Depth=1
	s_sub_u32 s12, s10, s8
	s_subb_u32 s13, s11, s9
	s_lshr_b64 s[12:13], s[12:13], 1
	s_add_u32 s12, s12, s8
	s_addc_u32 s13, s13, s9
	s_lshl_b64 s[14:15], s[12:13], 3
	s_add_u32 s14, s2, s14
	s_addc_u32 s15, s3, s15
	s_load_dwordx2 s[14:15], s[14:15], 0x0
	s_add_u32 s16, s12, 1
	s_addc_u32 s17, s13, 0
	s_waitcnt lgkmcnt(0)
	v_cmp_lt_i64_e64 s[14:15], s[14:15], 5
	s_and_b64 s[14:15], s[14:15], exec
	s_cselect_b32 s10, s10, s12
	s_cselect_b32 s11, s11, s13
	v_mov_b32_e32 v0, s10
	s_cselect_b32 s9, s17, s9
	s_cselect_b32 s8, s16, s8
	v_mov_b32_e32 v1, s11
	v_cmp_ge_i64_e32 vcc, s[8:9], v[0:1]
	s_cbranch_vccz .LBB103_20
.LBB103_21:
	s_lshl_b64 s[8:9], s[8:9], 3
	s_add_u32 s8, s2, s8
	s_addc_u32 s9, s3, s9
	s_sub_u32 s8, s8, s2
	s_subb_u32 s9, s9, s3
	s_ashr_i64 s[8:9], s[8:9], 3
	v_mov_b32_e32 v1, s8
	v_mov_b32_e32 v0, 0
	;; [unrolled: 1-line block ×3, first 2 shown]
	s_mov_b64 s[8:9], -1
	s_mov_b64 vcc, s[0:1]
	global_store_dwordx2 v0, v[1:2], s[6:7] offset:40
	s_cbranch_vccz .LBB103_23
; %bb.22:
	v_mov_b32_e32 v1, v0
	global_store_dwordx2 v0, v[0:1], s[6:7] offset:48
	s_mov_b64 s[8:9], 0
.LBB103_23:
	s_andn2_b64 vcc, exec, s[8:9]
	s_mov_b64 s[8:9], 0
	s_cbranch_vccnz .LBB103_28
; %bb.24:
	s_mov_b64 s[10:11], s[4:5]
.LBB103_25:                             ; =>This Inner Loop Header: Depth=1
	s_sub_u32 s12, s10, s8
	s_subb_u32 s13, s11, s9
	s_lshr_b64 s[12:13], s[12:13], 1
	s_add_u32 s12, s12, s8
	s_addc_u32 s13, s13, s9
	s_lshl_b64 s[14:15], s[12:13], 3
	s_add_u32 s14, s2, s14
	s_addc_u32 s15, s3, s15
	s_load_dwordx2 s[14:15], s[14:15], 0x0
	s_add_u32 s16, s12, 1
	s_addc_u32 s17, s13, 0
	s_waitcnt lgkmcnt(0)
	v_cmp_lt_i64_e64 s[14:15], s[14:15], 6
	s_and_b64 s[14:15], s[14:15], exec
	s_cselect_b32 s10, s10, s12
	s_cselect_b32 s11, s11, s13
	v_mov_b32_e32 v0, s10
	s_cselect_b32 s9, s17, s9
	s_cselect_b32 s8, s16, s8
	v_mov_b32_e32 v1, s11
	v_cmp_lt_i64_e32 vcc, s[8:9], v[0:1]
	s_cbranch_vccnz .LBB103_25
; %bb.26:
	s_lshl_b64 s[8:9], s[8:9], 3
	s_add_u32 s8, s2, s8
	s_addc_u32 s9, s3, s9
	s_sub_u32 s8, s8, s2
	s_subb_u32 s9, s9, s3
	s_ashr_i64 s[8:9], s[8:9], 3
	v_mov_b32_e32 v0, s8
	v_mov_b32_e32 v2, 0
	;; [unrolled: 1-line block ×3, first 2 shown]
	s_mov_b64 s[8:9], 0
	s_mov_b64 s[10:11], s[4:5]
	global_store_dwordx2 v2, v[0:1], s[6:7] offset:48
.LBB103_27:                             ; =>This Inner Loop Header: Depth=1
	s_sub_u32 s12, s10, s8
	s_subb_u32 s13, s11, s9
	s_lshr_b64 s[12:13], s[12:13], 1
	s_add_u32 s12, s12, s8
	s_addc_u32 s13, s13, s9
	s_lshl_b64 s[14:15], s[12:13], 3
	s_add_u32 s14, s2, s14
	s_addc_u32 s15, s3, s15
	s_load_dwordx2 s[14:15], s[14:15], 0x0
	s_add_u32 s16, s12, 1
	s_addc_u32 s17, s13, 0
	s_waitcnt lgkmcnt(0)
	v_cmp_lt_i64_e64 s[14:15], s[14:15], 7
	s_and_b64 s[14:15], s[14:15], exec
	s_cselect_b32 s10, s10, s12
	s_cselect_b32 s11, s11, s13
	v_mov_b32_e32 v0, s10
	s_cselect_b32 s9, s17, s9
	s_cselect_b32 s8, s16, s8
	v_mov_b32_e32 v1, s11
	v_cmp_ge_i64_e32 vcc, s[8:9], v[0:1]
	s_cbranch_vccz .LBB103_27
.LBB103_28:
	s_lshl_b64 s[8:9], s[8:9], 3
	s_add_u32 s8, s2, s8
	s_addc_u32 s9, s3, s9
	s_sub_u32 s8, s8, s2
	s_subb_u32 s9, s9, s3
	s_ashr_i64 s[8:9], s[8:9], 3
	v_mov_b32_e32 v1, s8
	v_mov_b32_e32 v0, 0
	;; [unrolled: 1-line block ×3, first 2 shown]
	s_mov_b64 s[8:9], -1
	s_mov_b64 vcc, s[0:1]
	global_store_dwordx2 v0, v[1:2], s[6:7] offset:56
	s_cbranch_vccz .LBB103_30
; %bb.29:
	v_mov_b32_e32 v1, v0
	global_store_dwordx2 v0, v[0:1], s[6:7] offset:64
	s_mov_b64 s[8:9], 0
.LBB103_30:
	s_andn2_b64 vcc, exec, s[8:9]
	s_mov_b64 s[0:1], 0
	s_cbranch_vccnz .LBB103_35
; %bb.31:
	s_mov_b64 s[8:9], s[4:5]
.LBB103_32:                             ; =>This Inner Loop Header: Depth=1
	s_sub_u32 s10, s8, s0
	s_subb_u32 s11, s9, s1
	s_lshr_b64 s[10:11], s[10:11], 1
	s_add_u32 s10, s10, s0
	s_addc_u32 s11, s11, s1
	s_lshl_b64 s[12:13], s[10:11], 3
	s_add_u32 s12, s2, s12
	s_addc_u32 s13, s3, s13
	s_load_dwordx2 s[12:13], s[12:13], 0x0
	s_add_u32 s14, s10, 1
	s_addc_u32 s15, s11, 0
	s_waitcnt lgkmcnt(0)
	v_cmp_lt_i64_e64 s[12:13], s[12:13], 8
	s_and_b64 s[12:13], s[12:13], exec
	s_cselect_b32 s8, s8, s10
	s_cselect_b32 s9, s9, s11
	v_mov_b32_e32 v0, s8
	s_cselect_b32 s1, s15, s1
	s_cselect_b32 s0, s14, s0
	v_mov_b32_e32 v1, s9
	v_cmp_lt_i64_e32 vcc, s[0:1], v[0:1]
	s_cbranch_vccnz .LBB103_32
; %bb.33:
	s_lshl_b64 s[0:1], s[0:1], 3
	s_add_u32 s0, s2, s0
	s_addc_u32 s1, s3, s1
	s_sub_u32 s0, s0, s2
	s_subb_u32 s1, s1, s3
	s_ashr_i64 s[0:1], s[0:1], 3
	v_mov_b32_e32 v0, s0
	v_mov_b32_e32 v2, 0
	v_mov_b32_e32 v1, s1
	s_mov_b64 s[0:1], 0
	global_store_dwordx2 v2, v[0:1], s[6:7] offset:64
.LBB103_34:                             ; =>This Inner Loop Header: Depth=1
	s_sub_u32 s8, s4, s0
	s_subb_u32 s9, s5, s1
	s_lshr_b64 s[8:9], s[8:9], 1
	s_add_u32 s8, s8, s0
	s_addc_u32 s9, s9, s1
	s_lshl_b64 s[10:11], s[8:9], 3
	s_add_u32 s10, s2, s10
	s_addc_u32 s11, s3, s11
	s_load_dwordx2 s[10:11], s[10:11], 0x0
	s_add_u32 s12, s8, 1
	s_addc_u32 s13, s9, 0
	s_waitcnt lgkmcnt(0)
	v_cmp_lt_i64_e64 s[10:11], s[10:11], 9
	s_and_b64 s[10:11], s[10:11], exec
	s_cselect_b32 s4, s4, s8
	s_cselect_b32 s5, s5, s9
	v_mov_b32_e32 v0, s4
	s_cselect_b32 s1, s13, s1
	s_cselect_b32 s0, s12, s0
	v_mov_b32_e32 v1, s5
	v_cmp_ge_i64_e32 vcc, s[0:1], v[0:1]
	s_cbranch_vccz .LBB103_34
.LBB103_35:
	s_lshl_b64 s[0:1], s[0:1], 3
	s_add_u32 s0, s2, s0
	s_addc_u32 s1, s3, s1
	s_sub_u32 s0, s0, s2
	s_subb_u32 s1, s1, s3
	s_ashr_i64 s[0:1], s[0:1], 3
	v_mov_b32_e32 v0, s0
	v_mov_b32_e32 v2, 0
	;; [unrolled: 1-line block ×3, first 2 shown]
	global_store_dwordx2 v2, v[0:1], s[6:7] offset:72
	s_endpgm
	.section	.rodata,"a",@progbits
	.p2align	6, 0x0
	.amdhsa_kernel _Z18lower_bound_kernelIxEvmPT_Pl
		.amdhsa_group_segment_fixed_size 0
		.amdhsa_private_segment_fixed_size 0
		.amdhsa_kernarg_size 24
		.amdhsa_user_sgpr_count 6
		.amdhsa_user_sgpr_private_segment_buffer 1
		.amdhsa_user_sgpr_dispatch_ptr 0
		.amdhsa_user_sgpr_queue_ptr 0
		.amdhsa_user_sgpr_kernarg_segment_ptr 1
		.amdhsa_user_sgpr_dispatch_id 0
		.amdhsa_user_sgpr_flat_scratch_init 0
		.amdhsa_user_sgpr_private_segment_size 0
		.amdhsa_uses_dynamic_stack 0
		.amdhsa_system_sgpr_private_segment_wavefront_offset 0
		.amdhsa_system_sgpr_workgroup_id_x 1
		.amdhsa_system_sgpr_workgroup_id_y 0
		.amdhsa_system_sgpr_workgroup_id_z 0
		.amdhsa_system_sgpr_workgroup_info 0
		.amdhsa_system_vgpr_workitem_id 0
		.amdhsa_next_free_vgpr 3
		.amdhsa_next_free_sgpr 18
		.amdhsa_reserve_vcc 1
		.amdhsa_reserve_flat_scratch 0
		.amdhsa_float_round_mode_32 0
		.amdhsa_float_round_mode_16_64 0
		.amdhsa_float_denorm_mode_32 3
		.amdhsa_float_denorm_mode_16_64 3
		.amdhsa_dx10_clamp 1
		.amdhsa_ieee_mode 1
		.amdhsa_fp16_overflow 0
		.amdhsa_exception_fp_ieee_invalid_op 0
		.amdhsa_exception_fp_denorm_src 0
		.amdhsa_exception_fp_ieee_div_zero 0
		.amdhsa_exception_fp_ieee_overflow 0
		.amdhsa_exception_fp_ieee_underflow 0
		.amdhsa_exception_fp_ieee_inexact 0
		.amdhsa_exception_int_div_zero 0
	.end_amdhsa_kernel
	.section	.text._Z18lower_bound_kernelIxEvmPT_Pl,"axG",@progbits,_Z18lower_bound_kernelIxEvmPT_Pl,comdat
.Lfunc_end103:
	.size	_Z18lower_bound_kernelIxEvmPT_Pl, .Lfunc_end103-_Z18lower_bound_kernelIxEvmPT_Pl
                                        ; -- End function
	.set _Z18lower_bound_kernelIxEvmPT_Pl.num_vgpr, 3
	.set _Z18lower_bound_kernelIxEvmPT_Pl.num_agpr, 0
	.set _Z18lower_bound_kernelIxEvmPT_Pl.numbered_sgpr, 18
	.set _Z18lower_bound_kernelIxEvmPT_Pl.num_named_barrier, 0
	.set _Z18lower_bound_kernelIxEvmPT_Pl.private_seg_size, 0
	.set _Z18lower_bound_kernelIxEvmPT_Pl.uses_vcc, 1
	.set _Z18lower_bound_kernelIxEvmPT_Pl.uses_flat_scratch, 0
	.set _Z18lower_bound_kernelIxEvmPT_Pl.has_dyn_sized_stack, 0
	.set _Z18lower_bound_kernelIxEvmPT_Pl.has_recursion, 0
	.set _Z18lower_bound_kernelIxEvmPT_Pl.has_indirect_call, 0
	.section	.AMDGPU.csdata,"",@progbits
; Kernel info:
; codeLenInByte = 1720
; TotalNumSgprs: 22
; NumVgprs: 3
; ScratchSize: 0
; MemoryBound: 0
; FloatMode: 240
; IeeeMode: 1
; LDSByteSize: 0 bytes/workgroup (compile time only)
; SGPRBlocks: 2
; VGPRBlocks: 0
; NumSGPRsForWavesPerEU: 22
; NumVGPRsForWavesPerEU: 3
; Occupancy: 10
; WaveLimiterHint : 0
; COMPUTE_PGM_RSRC2:SCRATCH_EN: 0
; COMPUTE_PGM_RSRC2:USER_SGPR: 6
; COMPUTE_PGM_RSRC2:TRAP_HANDLER: 0
; COMPUTE_PGM_RSRC2:TGID_X_EN: 1
; COMPUTE_PGM_RSRC2:TGID_Y_EN: 0
; COMPUTE_PGM_RSRC2:TGID_Z_EN: 0
; COMPUTE_PGM_RSRC2:TIDIG_COMP_CNT: 0
	.section	.text._ZN7rocprim17ROCPRIM_400000_NS6detail17trampoline_kernelINS0_14default_configENS1_27lower_bound_config_selectorIxlEEZNS1_14transform_implILb0ES3_S5_N6thrust23THRUST_200600_302600_NS6detail15normal_iteratorINS8_7pointerIxNS8_11hip_rocprim5par_tENS8_11use_defaultESE_EEEENSA_INSB_IlSD_SE_SE_EEEEZNS1_13binary_searchIS3_S5_PxSG_SI_NS1_21lower_bound_search_opENS9_16wrapped_functionI11custom_lessbEEEE10hipError_tPvRmT1_T2_T3_mmT4_T5_P12ihipStream_tbEUlRKxE_EESP_ST_SU_mSV_SY_bEUlT_E_NS1_11comp_targetILNS1_3genE0ELNS1_11target_archE4294967295ELNS1_3gpuE0ELNS1_3repE0EEENS1_30default_config_static_selectorELNS0_4arch9wavefront6targetE1EEEvSS_,"axG",@progbits,_ZN7rocprim17ROCPRIM_400000_NS6detail17trampoline_kernelINS0_14default_configENS1_27lower_bound_config_selectorIxlEEZNS1_14transform_implILb0ES3_S5_N6thrust23THRUST_200600_302600_NS6detail15normal_iteratorINS8_7pointerIxNS8_11hip_rocprim5par_tENS8_11use_defaultESE_EEEENSA_INSB_IlSD_SE_SE_EEEEZNS1_13binary_searchIS3_S5_PxSG_SI_NS1_21lower_bound_search_opENS9_16wrapped_functionI11custom_lessbEEEE10hipError_tPvRmT1_T2_T3_mmT4_T5_P12ihipStream_tbEUlRKxE_EESP_ST_SU_mSV_SY_bEUlT_E_NS1_11comp_targetILNS1_3genE0ELNS1_11target_archE4294967295ELNS1_3gpuE0ELNS1_3repE0EEENS1_30default_config_static_selectorELNS0_4arch9wavefront6targetE1EEEvSS_,comdat
	.protected	_ZN7rocprim17ROCPRIM_400000_NS6detail17trampoline_kernelINS0_14default_configENS1_27lower_bound_config_selectorIxlEEZNS1_14transform_implILb0ES3_S5_N6thrust23THRUST_200600_302600_NS6detail15normal_iteratorINS8_7pointerIxNS8_11hip_rocprim5par_tENS8_11use_defaultESE_EEEENSA_INSB_IlSD_SE_SE_EEEEZNS1_13binary_searchIS3_S5_PxSG_SI_NS1_21lower_bound_search_opENS9_16wrapped_functionI11custom_lessbEEEE10hipError_tPvRmT1_T2_T3_mmT4_T5_P12ihipStream_tbEUlRKxE_EESP_ST_SU_mSV_SY_bEUlT_E_NS1_11comp_targetILNS1_3genE0ELNS1_11target_archE4294967295ELNS1_3gpuE0ELNS1_3repE0EEENS1_30default_config_static_selectorELNS0_4arch9wavefront6targetE1EEEvSS_ ; -- Begin function _ZN7rocprim17ROCPRIM_400000_NS6detail17trampoline_kernelINS0_14default_configENS1_27lower_bound_config_selectorIxlEEZNS1_14transform_implILb0ES3_S5_N6thrust23THRUST_200600_302600_NS6detail15normal_iteratorINS8_7pointerIxNS8_11hip_rocprim5par_tENS8_11use_defaultESE_EEEENSA_INSB_IlSD_SE_SE_EEEEZNS1_13binary_searchIS3_S5_PxSG_SI_NS1_21lower_bound_search_opENS9_16wrapped_functionI11custom_lessbEEEE10hipError_tPvRmT1_T2_T3_mmT4_T5_P12ihipStream_tbEUlRKxE_EESP_ST_SU_mSV_SY_bEUlT_E_NS1_11comp_targetILNS1_3genE0ELNS1_11target_archE4294967295ELNS1_3gpuE0ELNS1_3repE0EEENS1_30default_config_static_selectorELNS0_4arch9wavefront6targetE1EEEvSS_
	.globl	_ZN7rocprim17ROCPRIM_400000_NS6detail17trampoline_kernelINS0_14default_configENS1_27lower_bound_config_selectorIxlEEZNS1_14transform_implILb0ES3_S5_N6thrust23THRUST_200600_302600_NS6detail15normal_iteratorINS8_7pointerIxNS8_11hip_rocprim5par_tENS8_11use_defaultESE_EEEENSA_INSB_IlSD_SE_SE_EEEEZNS1_13binary_searchIS3_S5_PxSG_SI_NS1_21lower_bound_search_opENS9_16wrapped_functionI11custom_lessbEEEE10hipError_tPvRmT1_T2_T3_mmT4_T5_P12ihipStream_tbEUlRKxE_EESP_ST_SU_mSV_SY_bEUlT_E_NS1_11comp_targetILNS1_3genE0ELNS1_11target_archE4294967295ELNS1_3gpuE0ELNS1_3repE0EEENS1_30default_config_static_selectorELNS0_4arch9wavefront6targetE1EEEvSS_
	.p2align	8
	.type	_ZN7rocprim17ROCPRIM_400000_NS6detail17trampoline_kernelINS0_14default_configENS1_27lower_bound_config_selectorIxlEEZNS1_14transform_implILb0ES3_S5_N6thrust23THRUST_200600_302600_NS6detail15normal_iteratorINS8_7pointerIxNS8_11hip_rocprim5par_tENS8_11use_defaultESE_EEEENSA_INSB_IlSD_SE_SE_EEEEZNS1_13binary_searchIS3_S5_PxSG_SI_NS1_21lower_bound_search_opENS9_16wrapped_functionI11custom_lessbEEEE10hipError_tPvRmT1_T2_T3_mmT4_T5_P12ihipStream_tbEUlRKxE_EESP_ST_SU_mSV_SY_bEUlT_E_NS1_11comp_targetILNS1_3genE0ELNS1_11target_archE4294967295ELNS1_3gpuE0ELNS1_3repE0EEENS1_30default_config_static_selectorELNS0_4arch9wavefront6targetE1EEEvSS_,@function
_ZN7rocprim17ROCPRIM_400000_NS6detail17trampoline_kernelINS0_14default_configENS1_27lower_bound_config_selectorIxlEEZNS1_14transform_implILb0ES3_S5_N6thrust23THRUST_200600_302600_NS6detail15normal_iteratorINS8_7pointerIxNS8_11hip_rocprim5par_tENS8_11use_defaultESE_EEEENSA_INSB_IlSD_SE_SE_EEEEZNS1_13binary_searchIS3_S5_PxSG_SI_NS1_21lower_bound_search_opENS9_16wrapped_functionI11custom_lessbEEEE10hipError_tPvRmT1_T2_T3_mmT4_T5_P12ihipStream_tbEUlRKxE_EESP_ST_SU_mSV_SY_bEUlT_E_NS1_11comp_targetILNS1_3genE0ELNS1_11target_archE4294967295ELNS1_3gpuE0ELNS1_3repE0EEENS1_30default_config_static_selectorELNS0_4arch9wavefront6targetE1EEEvSS_: ; @_ZN7rocprim17ROCPRIM_400000_NS6detail17trampoline_kernelINS0_14default_configENS1_27lower_bound_config_selectorIxlEEZNS1_14transform_implILb0ES3_S5_N6thrust23THRUST_200600_302600_NS6detail15normal_iteratorINS8_7pointerIxNS8_11hip_rocprim5par_tENS8_11use_defaultESE_EEEENSA_INSB_IlSD_SE_SE_EEEEZNS1_13binary_searchIS3_S5_PxSG_SI_NS1_21lower_bound_search_opENS9_16wrapped_functionI11custom_lessbEEEE10hipError_tPvRmT1_T2_T3_mmT4_T5_P12ihipStream_tbEUlRKxE_EESP_ST_SU_mSV_SY_bEUlT_E_NS1_11comp_targetILNS1_3genE0ELNS1_11target_archE4294967295ELNS1_3gpuE0ELNS1_3repE0EEENS1_30default_config_static_selectorELNS0_4arch9wavefront6targetE1EEEvSS_
; %bb.0:
	.section	.rodata,"a",@progbits
	.p2align	6, 0x0
	.amdhsa_kernel _ZN7rocprim17ROCPRIM_400000_NS6detail17trampoline_kernelINS0_14default_configENS1_27lower_bound_config_selectorIxlEEZNS1_14transform_implILb0ES3_S5_N6thrust23THRUST_200600_302600_NS6detail15normal_iteratorINS8_7pointerIxNS8_11hip_rocprim5par_tENS8_11use_defaultESE_EEEENSA_INSB_IlSD_SE_SE_EEEEZNS1_13binary_searchIS3_S5_PxSG_SI_NS1_21lower_bound_search_opENS9_16wrapped_functionI11custom_lessbEEEE10hipError_tPvRmT1_T2_T3_mmT4_T5_P12ihipStream_tbEUlRKxE_EESP_ST_SU_mSV_SY_bEUlT_E_NS1_11comp_targetILNS1_3genE0ELNS1_11target_archE4294967295ELNS1_3gpuE0ELNS1_3repE0EEENS1_30default_config_static_selectorELNS0_4arch9wavefront6targetE1EEEvSS_
		.amdhsa_group_segment_fixed_size 0
		.amdhsa_private_segment_fixed_size 0
		.amdhsa_kernarg_size 56
		.amdhsa_user_sgpr_count 6
		.amdhsa_user_sgpr_private_segment_buffer 1
		.amdhsa_user_sgpr_dispatch_ptr 0
		.amdhsa_user_sgpr_queue_ptr 0
		.amdhsa_user_sgpr_kernarg_segment_ptr 1
		.amdhsa_user_sgpr_dispatch_id 0
		.amdhsa_user_sgpr_flat_scratch_init 0
		.amdhsa_user_sgpr_private_segment_size 0
		.amdhsa_uses_dynamic_stack 0
		.amdhsa_system_sgpr_private_segment_wavefront_offset 0
		.amdhsa_system_sgpr_workgroup_id_x 1
		.amdhsa_system_sgpr_workgroup_id_y 0
		.amdhsa_system_sgpr_workgroup_id_z 0
		.amdhsa_system_sgpr_workgroup_info 0
		.amdhsa_system_vgpr_workitem_id 0
		.amdhsa_next_free_vgpr 1
		.amdhsa_next_free_sgpr 0
		.amdhsa_reserve_vcc 0
		.amdhsa_reserve_flat_scratch 0
		.amdhsa_float_round_mode_32 0
		.amdhsa_float_round_mode_16_64 0
		.amdhsa_float_denorm_mode_32 3
		.amdhsa_float_denorm_mode_16_64 3
		.amdhsa_dx10_clamp 1
		.amdhsa_ieee_mode 1
		.amdhsa_fp16_overflow 0
		.amdhsa_exception_fp_ieee_invalid_op 0
		.amdhsa_exception_fp_denorm_src 0
		.amdhsa_exception_fp_ieee_div_zero 0
		.amdhsa_exception_fp_ieee_overflow 0
		.amdhsa_exception_fp_ieee_underflow 0
		.amdhsa_exception_fp_ieee_inexact 0
		.amdhsa_exception_int_div_zero 0
	.end_amdhsa_kernel
	.section	.text._ZN7rocprim17ROCPRIM_400000_NS6detail17trampoline_kernelINS0_14default_configENS1_27lower_bound_config_selectorIxlEEZNS1_14transform_implILb0ES3_S5_N6thrust23THRUST_200600_302600_NS6detail15normal_iteratorINS8_7pointerIxNS8_11hip_rocprim5par_tENS8_11use_defaultESE_EEEENSA_INSB_IlSD_SE_SE_EEEEZNS1_13binary_searchIS3_S5_PxSG_SI_NS1_21lower_bound_search_opENS9_16wrapped_functionI11custom_lessbEEEE10hipError_tPvRmT1_T2_T3_mmT4_T5_P12ihipStream_tbEUlRKxE_EESP_ST_SU_mSV_SY_bEUlT_E_NS1_11comp_targetILNS1_3genE0ELNS1_11target_archE4294967295ELNS1_3gpuE0ELNS1_3repE0EEENS1_30default_config_static_selectorELNS0_4arch9wavefront6targetE1EEEvSS_,"axG",@progbits,_ZN7rocprim17ROCPRIM_400000_NS6detail17trampoline_kernelINS0_14default_configENS1_27lower_bound_config_selectorIxlEEZNS1_14transform_implILb0ES3_S5_N6thrust23THRUST_200600_302600_NS6detail15normal_iteratorINS8_7pointerIxNS8_11hip_rocprim5par_tENS8_11use_defaultESE_EEEENSA_INSB_IlSD_SE_SE_EEEEZNS1_13binary_searchIS3_S5_PxSG_SI_NS1_21lower_bound_search_opENS9_16wrapped_functionI11custom_lessbEEEE10hipError_tPvRmT1_T2_T3_mmT4_T5_P12ihipStream_tbEUlRKxE_EESP_ST_SU_mSV_SY_bEUlT_E_NS1_11comp_targetILNS1_3genE0ELNS1_11target_archE4294967295ELNS1_3gpuE0ELNS1_3repE0EEENS1_30default_config_static_selectorELNS0_4arch9wavefront6targetE1EEEvSS_,comdat
.Lfunc_end104:
	.size	_ZN7rocprim17ROCPRIM_400000_NS6detail17trampoline_kernelINS0_14default_configENS1_27lower_bound_config_selectorIxlEEZNS1_14transform_implILb0ES3_S5_N6thrust23THRUST_200600_302600_NS6detail15normal_iteratorINS8_7pointerIxNS8_11hip_rocprim5par_tENS8_11use_defaultESE_EEEENSA_INSB_IlSD_SE_SE_EEEEZNS1_13binary_searchIS3_S5_PxSG_SI_NS1_21lower_bound_search_opENS9_16wrapped_functionI11custom_lessbEEEE10hipError_tPvRmT1_T2_T3_mmT4_T5_P12ihipStream_tbEUlRKxE_EESP_ST_SU_mSV_SY_bEUlT_E_NS1_11comp_targetILNS1_3genE0ELNS1_11target_archE4294967295ELNS1_3gpuE0ELNS1_3repE0EEENS1_30default_config_static_selectorELNS0_4arch9wavefront6targetE1EEEvSS_, .Lfunc_end104-_ZN7rocprim17ROCPRIM_400000_NS6detail17trampoline_kernelINS0_14default_configENS1_27lower_bound_config_selectorIxlEEZNS1_14transform_implILb0ES3_S5_N6thrust23THRUST_200600_302600_NS6detail15normal_iteratorINS8_7pointerIxNS8_11hip_rocprim5par_tENS8_11use_defaultESE_EEEENSA_INSB_IlSD_SE_SE_EEEEZNS1_13binary_searchIS3_S5_PxSG_SI_NS1_21lower_bound_search_opENS9_16wrapped_functionI11custom_lessbEEEE10hipError_tPvRmT1_T2_T3_mmT4_T5_P12ihipStream_tbEUlRKxE_EESP_ST_SU_mSV_SY_bEUlT_E_NS1_11comp_targetILNS1_3genE0ELNS1_11target_archE4294967295ELNS1_3gpuE0ELNS1_3repE0EEENS1_30default_config_static_selectorELNS0_4arch9wavefront6targetE1EEEvSS_
                                        ; -- End function
	.set _ZN7rocprim17ROCPRIM_400000_NS6detail17trampoline_kernelINS0_14default_configENS1_27lower_bound_config_selectorIxlEEZNS1_14transform_implILb0ES3_S5_N6thrust23THRUST_200600_302600_NS6detail15normal_iteratorINS8_7pointerIxNS8_11hip_rocprim5par_tENS8_11use_defaultESE_EEEENSA_INSB_IlSD_SE_SE_EEEEZNS1_13binary_searchIS3_S5_PxSG_SI_NS1_21lower_bound_search_opENS9_16wrapped_functionI11custom_lessbEEEE10hipError_tPvRmT1_T2_T3_mmT4_T5_P12ihipStream_tbEUlRKxE_EESP_ST_SU_mSV_SY_bEUlT_E_NS1_11comp_targetILNS1_3genE0ELNS1_11target_archE4294967295ELNS1_3gpuE0ELNS1_3repE0EEENS1_30default_config_static_selectorELNS0_4arch9wavefront6targetE1EEEvSS_.num_vgpr, 0
	.set _ZN7rocprim17ROCPRIM_400000_NS6detail17trampoline_kernelINS0_14default_configENS1_27lower_bound_config_selectorIxlEEZNS1_14transform_implILb0ES3_S5_N6thrust23THRUST_200600_302600_NS6detail15normal_iteratorINS8_7pointerIxNS8_11hip_rocprim5par_tENS8_11use_defaultESE_EEEENSA_INSB_IlSD_SE_SE_EEEEZNS1_13binary_searchIS3_S5_PxSG_SI_NS1_21lower_bound_search_opENS9_16wrapped_functionI11custom_lessbEEEE10hipError_tPvRmT1_T2_T3_mmT4_T5_P12ihipStream_tbEUlRKxE_EESP_ST_SU_mSV_SY_bEUlT_E_NS1_11comp_targetILNS1_3genE0ELNS1_11target_archE4294967295ELNS1_3gpuE0ELNS1_3repE0EEENS1_30default_config_static_selectorELNS0_4arch9wavefront6targetE1EEEvSS_.num_agpr, 0
	.set _ZN7rocprim17ROCPRIM_400000_NS6detail17trampoline_kernelINS0_14default_configENS1_27lower_bound_config_selectorIxlEEZNS1_14transform_implILb0ES3_S5_N6thrust23THRUST_200600_302600_NS6detail15normal_iteratorINS8_7pointerIxNS8_11hip_rocprim5par_tENS8_11use_defaultESE_EEEENSA_INSB_IlSD_SE_SE_EEEEZNS1_13binary_searchIS3_S5_PxSG_SI_NS1_21lower_bound_search_opENS9_16wrapped_functionI11custom_lessbEEEE10hipError_tPvRmT1_T2_T3_mmT4_T5_P12ihipStream_tbEUlRKxE_EESP_ST_SU_mSV_SY_bEUlT_E_NS1_11comp_targetILNS1_3genE0ELNS1_11target_archE4294967295ELNS1_3gpuE0ELNS1_3repE0EEENS1_30default_config_static_selectorELNS0_4arch9wavefront6targetE1EEEvSS_.numbered_sgpr, 0
	.set _ZN7rocprim17ROCPRIM_400000_NS6detail17trampoline_kernelINS0_14default_configENS1_27lower_bound_config_selectorIxlEEZNS1_14transform_implILb0ES3_S5_N6thrust23THRUST_200600_302600_NS6detail15normal_iteratorINS8_7pointerIxNS8_11hip_rocprim5par_tENS8_11use_defaultESE_EEEENSA_INSB_IlSD_SE_SE_EEEEZNS1_13binary_searchIS3_S5_PxSG_SI_NS1_21lower_bound_search_opENS9_16wrapped_functionI11custom_lessbEEEE10hipError_tPvRmT1_T2_T3_mmT4_T5_P12ihipStream_tbEUlRKxE_EESP_ST_SU_mSV_SY_bEUlT_E_NS1_11comp_targetILNS1_3genE0ELNS1_11target_archE4294967295ELNS1_3gpuE0ELNS1_3repE0EEENS1_30default_config_static_selectorELNS0_4arch9wavefront6targetE1EEEvSS_.num_named_barrier, 0
	.set _ZN7rocprim17ROCPRIM_400000_NS6detail17trampoline_kernelINS0_14default_configENS1_27lower_bound_config_selectorIxlEEZNS1_14transform_implILb0ES3_S5_N6thrust23THRUST_200600_302600_NS6detail15normal_iteratorINS8_7pointerIxNS8_11hip_rocprim5par_tENS8_11use_defaultESE_EEEENSA_INSB_IlSD_SE_SE_EEEEZNS1_13binary_searchIS3_S5_PxSG_SI_NS1_21lower_bound_search_opENS9_16wrapped_functionI11custom_lessbEEEE10hipError_tPvRmT1_T2_T3_mmT4_T5_P12ihipStream_tbEUlRKxE_EESP_ST_SU_mSV_SY_bEUlT_E_NS1_11comp_targetILNS1_3genE0ELNS1_11target_archE4294967295ELNS1_3gpuE0ELNS1_3repE0EEENS1_30default_config_static_selectorELNS0_4arch9wavefront6targetE1EEEvSS_.private_seg_size, 0
	.set _ZN7rocprim17ROCPRIM_400000_NS6detail17trampoline_kernelINS0_14default_configENS1_27lower_bound_config_selectorIxlEEZNS1_14transform_implILb0ES3_S5_N6thrust23THRUST_200600_302600_NS6detail15normal_iteratorINS8_7pointerIxNS8_11hip_rocprim5par_tENS8_11use_defaultESE_EEEENSA_INSB_IlSD_SE_SE_EEEEZNS1_13binary_searchIS3_S5_PxSG_SI_NS1_21lower_bound_search_opENS9_16wrapped_functionI11custom_lessbEEEE10hipError_tPvRmT1_T2_T3_mmT4_T5_P12ihipStream_tbEUlRKxE_EESP_ST_SU_mSV_SY_bEUlT_E_NS1_11comp_targetILNS1_3genE0ELNS1_11target_archE4294967295ELNS1_3gpuE0ELNS1_3repE0EEENS1_30default_config_static_selectorELNS0_4arch9wavefront6targetE1EEEvSS_.uses_vcc, 0
	.set _ZN7rocprim17ROCPRIM_400000_NS6detail17trampoline_kernelINS0_14default_configENS1_27lower_bound_config_selectorIxlEEZNS1_14transform_implILb0ES3_S5_N6thrust23THRUST_200600_302600_NS6detail15normal_iteratorINS8_7pointerIxNS8_11hip_rocprim5par_tENS8_11use_defaultESE_EEEENSA_INSB_IlSD_SE_SE_EEEEZNS1_13binary_searchIS3_S5_PxSG_SI_NS1_21lower_bound_search_opENS9_16wrapped_functionI11custom_lessbEEEE10hipError_tPvRmT1_T2_T3_mmT4_T5_P12ihipStream_tbEUlRKxE_EESP_ST_SU_mSV_SY_bEUlT_E_NS1_11comp_targetILNS1_3genE0ELNS1_11target_archE4294967295ELNS1_3gpuE0ELNS1_3repE0EEENS1_30default_config_static_selectorELNS0_4arch9wavefront6targetE1EEEvSS_.uses_flat_scratch, 0
	.set _ZN7rocprim17ROCPRIM_400000_NS6detail17trampoline_kernelINS0_14default_configENS1_27lower_bound_config_selectorIxlEEZNS1_14transform_implILb0ES3_S5_N6thrust23THRUST_200600_302600_NS6detail15normal_iteratorINS8_7pointerIxNS8_11hip_rocprim5par_tENS8_11use_defaultESE_EEEENSA_INSB_IlSD_SE_SE_EEEEZNS1_13binary_searchIS3_S5_PxSG_SI_NS1_21lower_bound_search_opENS9_16wrapped_functionI11custom_lessbEEEE10hipError_tPvRmT1_T2_T3_mmT4_T5_P12ihipStream_tbEUlRKxE_EESP_ST_SU_mSV_SY_bEUlT_E_NS1_11comp_targetILNS1_3genE0ELNS1_11target_archE4294967295ELNS1_3gpuE0ELNS1_3repE0EEENS1_30default_config_static_selectorELNS0_4arch9wavefront6targetE1EEEvSS_.has_dyn_sized_stack, 0
	.set _ZN7rocprim17ROCPRIM_400000_NS6detail17trampoline_kernelINS0_14default_configENS1_27lower_bound_config_selectorIxlEEZNS1_14transform_implILb0ES3_S5_N6thrust23THRUST_200600_302600_NS6detail15normal_iteratorINS8_7pointerIxNS8_11hip_rocprim5par_tENS8_11use_defaultESE_EEEENSA_INSB_IlSD_SE_SE_EEEEZNS1_13binary_searchIS3_S5_PxSG_SI_NS1_21lower_bound_search_opENS9_16wrapped_functionI11custom_lessbEEEE10hipError_tPvRmT1_T2_T3_mmT4_T5_P12ihipStream_tbEUlRKxE_EESP_ST_SU_mSV_SY_bEUlT_E_NS1_11comp_targetILNS1_3genE0ELNS1_11target_archE4294967295ELNS1_3gpuE0ELNS1_3repE0EEENS1_30default_config_static_selectorELNS0_4arch9wavefront6targetE1EEEvSS_.has_recursion, 0
	.set _ZN7rocprim17ROCPRIM_400000_NS6detail17trampoline_kernelINS0_14default_configENS1_27lower_bound_config_selectorIxlEEZNS1_14transform_implILb0ES3_S5_N6thrust23THRUST_200600_302600_NS6detail15normal_iteratorINS8_7pointerIxNS8_11hip_rocprim5par_tENS8_11use_defaultESE_EEEENSA_INSB_IlSD_SE_SE_EEEEZNS1_13binary_searchIS3_S5_PxSG_SI_NS1_21lower_bound_search_opENS9_16wrapped_functionI11custom_lessbEEEE10hipError_tPvRmT1_T2_T3_mmT4_T5_P12ihipStream_tbEUlRKxE_EESP_ST_SU_mSV_SY_bEUlT_E_NS1_11comp_targetILNS1_3genE0ELNS1_11target_archE4294967295ELNS1_3gpuE0ELNS1_3repE0EEENS1_30default_config_static_selectorELNS0_4arch9wavefront6targetE1EEEvSS_.has_indirect_call, 0
	.section	.AMDGPU.csdata,"",@progbits
; Kernel info:
; codeLenInByte = 0
; TotalNumSgprs: 4
; NumVgprs: 0
; ScratchSize: 0
; MemoryBound: 0
; FloatMode: 240
; IeeeMode: 1
; LDSByteSize: 0 bytes/workgroup (compile time only)
; SGPRBlocks: 0
; VGPRBlocks: 0
; NumSGPRsForWavesPerEU: 4
; NumVGPRsForWavesPerEU: 1
; Occupancy: 10
; WaveLimiterHint : 0
; COMPUTE_PGM_RSRC2:SCRATCH_EN: 0
; COMPUTE_PGM_RSRC2:USER_SGPR: 6
; COMPUTE_PGM_RSRC2:TRAP_HANDLER: 0
; COMPUTE_PGM_RSRC2:TGID_X_EN: 1
; COMPUTE_PGM_RSRC2:TGID_Y_EN: 0
; COMPUTE_PGM_RSRC2:TGID_Z_EN: 0
; COMPUTE_PGM_RSRC2:TIDIG_COMP_CNT: 0
	.section	.text._ZN7rocprim17ROCPRIM_400000_NS6detail17trampoline_kernelINS0_14default_configENS1_27lower_bound_config_selectorIxlEEZNS1_14transform_implILb0ES3_S5_N6thrust23THRUST_200600_302600_NS6detail15normal_iteratorINS8_7pointerIxNS8_11hip_rocprim5par_tENS8_11use_defaultESE_EEEENSA_INSB_IlSD_SE_SE_EEEEZNS1_13binary_searchIS3_S5_PxSG_SI_NS1_21lower_bound_search_opENS9_16wrapped_functionI11custom_lessbEEEE10hipError_tPvRmT1_T2_T3_mmT4_T5_P12ihipStream_tbEUlRKxE_EESP_ST_SU_mSV_SY_bEUlT_E_NS1_11comp_targetILNS1_3genE5ELNS1_11target_archE942ELNS1_3gpuE9ELNS1_3repE0EEENS1_30default_config_static_selectorELNS0_4arch9wavefront6targetE1EEEvSS_,"axG",@progbits,_ZN7rocprim17ROCPRIM_400000_NS6detail17trampoline_kernelINS0_14default_configENS1_27lower_bound_config_selectorIxlEEZNS1_14transform_implILb0ES3_S5_N6thrust23THRUST_200600_302600_NS6detail15normal_iteratorINS8_7pointerIxNS8_11hip_rocprim5par_tENS8_11use_defaultESE_EEEENSA_INSB_IlSD_SE_SE_EEEEZNS1_13binary_searchIS3_S5_PxSG_SI_NS1_21lower_bound_search_opENS9_16wrapped_functionI11custom_lessbEEEE10hipError_tPvRmT1_T2_T3_mmT4_T5_P12ihipStream_tbEUlRKxE_EESP_ST_SU_mSV_SY_bEUlT_E_NS1_11comp_targetILNS1_3genE5ELNS1_11target_archE942ELNS1_3gpuE9ELNS1_3repE0EEENS1_30default_config_static_selectorELNS0_4arch9wavefront6targetE1EEEvSS_,comdat
	.protected	_ZN7rocprim17ROCPRIM_400000_NS6detail17trampoline_kernelINS0_14default_configENS1_27lower_bound_config_selectorIxlEEZNS1_14transform_implILb0ES3_S5_N6thrust23THRUST_200600_302600_NS6detail15normal_iteratorINS8_7pointerIxNS8_11hip_rocprim5par_tENS8_11use_defaultESE_EEEENSA_INSB_IlSD_SE_SE_EEEEZNS1_13binary_searchIS3_S5_PxSG_SI_NS1_21lower_bound_search_opENS9_16wrapped_functionI11custom_lessbEEEE10hipError_tPvRmT1_T2_T3_mmT4_T5_P12ihipStream_tbEUlRKxE_EESP_ST_SU_mSV_SY_bEUlT_E_NS1_11comp_targetILNS1_3genE5ELNS1_11target_archE942ELNS1_3gpuE9ELNS1_3repE0EEENS1_30default_config_static_selectorELNS0_4arch9wavefront6targetE1EEEvSS_ ; -- Begin function _ZN7rocprim17ROCPRIM_400000_NS6detail17trampoline_kernelINS0_14default_configENS1_27lower_bound_config_selectorIxlEEZNS1_14transform_implILb0ES3_S5_N6thrust23THRUST_200600_302600_NS6detail15normal_iteratorINS8_7pointerIxNS8_11hip_rocprim5par_tENS8_11use_defaultESE_EEEENSA_INSB_IlSD_SE_SE_EEEEZNS1_13binary_searchIS3_S5_PxSG_SI_NS1_21lower_bound_search_opENS9_16wrapped_functionI11custom_lessbEEEE10hipError_tPvRmT1_T2_T3_mmT4_T5_P12ihipStream_tbEUlRKxE_EESP_ST_SU_mSV_SY_bEUlT_E_NS1_11comp_targetILNS1_3genE5ELNS1_11target_archE942ELNS1_3gpuE9ELNS1_3repE0EEENS1_30default_config_static_selectorELNS0_4arch9wavefront6targetE1EEEvSS_
	.globl	_ZN7rocprim17ROCPRIM_400000_NS6detail17trampoline_kernelINS0_14default_configENS1_27lower_bound_config_selectorIxlEEZNS1_14transform_implILb0ES3_S5_N6thrust23THRUST_200600_302600_NS6detail15normal_iteratorINS8_7pointerIxNS8_11hip_rocprim5par_tENS8_11use_defaultESE_EEEENSA_INSB_IlSD_SE_SE_EEEEZNS1_13binary_searchIS3_S5_PxSG_SI_NS1_21lower_bound_search_opENS9_16wrapped_functionI11custom_lessbEEEE10hipError_tPvRmT1_T2_T3_mmT4_T5_P12ihipStream_tbEUlRKxE_EESP_ST_SU_mSV_SY_bEUlT_E_NS1_11comp_targetILNS1_3genE5ELNS1_11target_archE942ELNS1_3gpuE9ELNS1_3repE0EEENS1_30default_config_static_selectorELNS0_4arch9wavefront6targetE1EEEvSS_
	.p2align	8
	.type	_ZN7rocprim17ROCPRIM_400000_NS6detail17trampoline_kernelINS0_14default_configENS1_27lower_bound_config_selectorIxlEEZNS1_14transform_implILb0ES3_S5_N6thrust23THRUST_200600_302600_NS6detail15normal_iteratorINS8_7pointerIxNS8_11hip_rocprim5par_tENS8_11use_defaultESE_EEEENSA_INSB_IlSD_SE_SE_EEEEZNS1_13binary_searchIS3_S5_PxSG_SI_NS1_21lower_bound_search_opENS9_16wrapped_functionI11custom_lessbEEEE10hipError_tPvRmT1_T2_T3_mmT4_T5_P12ihipStream_tbEUlRKxE_EESP_ST_SU_mSV_SY_bEUlT_E_NS1_11comp_targetILNS1_3genE5ELNS1_11target_archE942ELNS1_3gpuE9ELNS1_3repE0EEENS1_30default_config_static_selectorELNS0_4arch9wavefront6targetE1EEEvSS_,@function
_ZN7rocprim17ROCPRIM_400000_NS6detail17trampoline_kernelINS0_14default_configENS1_27lower_bound_config_selectorIxlEEZNS1_14transform_implILb0ES3_S5_N6thrust23THRUST_200600_302600_NS6detail15normal_iteratorINS8_7pointerIxNS8_11hip_rocprim5par_tENS8_11use_defaultESE_EEEENSA_INSB_IlSD_SE_SE_EEEEZNS1_13binary_searchIS3_S5_PxSG_SI_NS1_21lower_bound_search_opENS9_16wrapped_functionI11custom_lessbEEEE10hipError_tPvRmT1_T2_T3_mmT4_T5_P12ihipStream_tbEUlRKxE_EESP_ST_SU_mSV_SY_bEUlT_E_NS1_11comp_targetILNS1_3genE5ELNS1_11target_archE942ELNS1_3gpuE9ELNS1_3repE0EEENS1_30default_config_static_selectorELNS0_4arch9wavefront6targetE1EEEvSS_: ; @_ZN7rocprim17ROCPRIM_400000_NS6detail17trampoline_kernelINS0_14default_configENS1_27lower_bound_config_selectorIxlEEZNS1_14transform_implILb0ES3_S5_N6thrust23THRUST_200600_302600_NS6detail15normal_iteratorINS8_7pointerIxNS8_11hip_rocprim5par_tENS8_11use_defaultESE_EEEENSA_INSB_IlSD_SE_SE_EEEEZNS1_13binary_searchIS3_S5_PxSG_SI_NS1_21lower_bound_search_opENS9_16wrapped_functionI11custom_lessbEEEE10hipError_tPvRmT1_T2_T3_mmT4_T5_P12ihipStream_tbEUlRKxE_EESP_ST_SU_mSV_SY_bEUlT_E_NS1_11comp_targetILNS1_3genE5ELNS1_11target_archE942ELNS1_3gpuE9ELNS1_3repE0EEENS1_30default_config_static_selectorELNS0_4arch9wavefront6targetE1EEEvSS_
; %bb.0:
	.section	.rodata,"a",@progbits
	.p2align	6, 0x0
	.amdhsa_kernel _ZN7rocprim17ROCPRIM_400000_NS6detail17trampoline_kernelINS0_14default_configENS1_27lower_bound_config_selectorIxlEEZNS1_14transform_implILb0ES3_S5_N6thrust23THRUST_200600_302600_NS6detail15normal_iteratorINS8_7pointerIxNS8_11hip_rocprim5par_tENS8_11use_defaultESE_EEEENSA_INSB_IlSD_SE_SE_EEEEZNS1_13binary_searchIS3_S5_PxSG_SI_NS1_21lower_bound_search_opENS9_16wrapped_functionI11custom_lessbEEEE10hipError_tPvRmT1_T2_T3_mmT4_T5_P12ihipStream_tbEUlRKxE_EESP_ST_SU_mSV_SY_bEUlT_E_NS1_11comp_targetILNS1_3genE5ELNS1_11target_archE942ELNS1_3gpuE9ELNS1_3repE0EEENS1_30default_config_static_selectorELNS0_4arch9wavefront6targetE1EEEvSS_
		.amdhsa_group_segment_fixed_size 0
		.amdhsa_private_segment_fixed_size 0
		.amdhsa_kernarg_size 56
		.amdhsa_user_sgpr_count 6
		.amdhsa_user_sgpr_private_segment_buffer 1
		.amdhsa_user_sgpr_dispatch_ptr 0
		.amdhsa_user_sgpr_queue_ptr 0
		.amdhsa_user_sgpr_kernarg_segment_ptr 1
		.amdhsa_user_sgpr_dispatch_id 0
		.amdhsa_user_sgpr_flat_scratch_init 0
		.amdhsa_user_sgpr_private_segment_size 0
		.amdhsa_uses_dynamic_stack 0
		.amdhsa_system_sgpr_private_segment_wavefront_offset 0
		.amdhsa_system_sgpr_workgroup_id_x 1
		.amdhsa_system_sgpr_workgroup_id_y 0
		.amdhsa_system_sgpr_workgroup_id_z 0
		.amdhsa_system_sgpr_workgroup_info 0
		.amdhsa_system_vgpr_workitem_id 0
		.amdhsa_next_free_vgpr 1
		.amdhsa_next_free_sgpr 0
		.amdhsa_reserve_vcc 0
		.amdhsa_reserve_flat_scratch 0
		.amdhsa_float_round_mode_32 0
		.amdhsa_float_round_mode_16_64 0
		.amdhsa_float_denorm_mode_32 3
		.amdhsa_float_denorm_mode_16_64 3
		.amdhsa_dx10_clamp 1
		.amdhsa_ieee_mode 1
		.amdhsa_fp16_overflow 0
		.amdhsa_exception_fp_ieee_invalid_op 0
		.amdhsa_exception_fp_denorm_src 0
		.amdhsa_exception_fp_ieee_div_zero 0
		.amdhsa_exception_fp_ieee_overflow 0
		.amdhsa_exception_fp_ieee_underflow 0
		.amdhsa_exception_fp_ieee_inexact 0
		.amdhsa_exception_int_div_zero 0
	.end_amdhsa_kernel
	.section	.text._ZN7rocprim17ROCPRIM_400000_NS6detail17trampoline_kernelINS0_14default_configENS1_27lower_bound_config_selectorIxlEEZNS1_14transform_implILb0ES3_S5_N6thrust23THRUST_200600_302600_NS6detail15normal_iteratorINS8_7pointerIxNS8_11hip_rocprim5par_tENS8_11use_defaultESE_EEEENSA_INSB_IlSD_SE_SE_EEEEZNS1_13binary_searchIS3_S5_PxSG_SI_NS1_21lower_bound_search_opENS9_16wrapped_functionI11custom_lessbEEEE10hipError_tPvRmT1_T2_T3_mmT4_T5_P12ihipStream_tbEUlRKxE_EESP_ST_SU_mSV_SY_bEUlT_E_NS1_11comp_targetILNS1_3genE5ELNS1_11target_archE942ELNS1_3gpuE9ELNS1_3repE0EEENS1_30default_config_static_selectorELNS0_4arch9wavefront6targetE1EEEvSS_,"axG",@progbits,_ZN7rocprim17ROCPRIM_400000_NS6detail17trampoline_kernelINS0_14default_configENS1_27lower_bound_config_selectorIxlEEZNS1_14transform_implILb0ES3_S5_N6thrust23THRUST_200600_302600_NS6detail15normal_iteratorINS8_7pointerIxNS8_11hip_rocprim5par_tENS8_11use_defaultESE_EEEENSA_INSB_IlSD_SE_SE_EEEEZNS1_13binary_searchIS3_S5_PxSG_SI_NS1_21lower_bound_search_opENS9_16wrapped_functionI11custom_lessbEEEE10hipError_tPvRmT1_T2_T3_mmT4_T5_P12ihipStream_tbEUlRKxE_EESP_ST_SU_mSV_SY_bEUlT_E_NS1_11comp_targetILNS1_3genE5ELNS1_11target_archE942ELNS1_3gpuE9ELNS1_3repE0EEENS1_30default_config_static_selectorELNS0_4arch9wavefront6targetE1EEEvSS_,comdat
.Lfunc_end105:
	.size	_ZN7rocprim17ROCPRIM_400000_NS6detail17trampoline_kernelINS0_14default_configENS1_27lower_bound_config_selectorIxlEEZNS1_14transform_implILb0ES3_S5_N6thrust23THRUST_200600_302600_NS6detail15normal_iteratorINS8_7pointerIxNS8_11hip_rocprim5par_tENS8_11use_defaultESE_EEEENSA_INSB_IlSD_SE_SE_EEEEZNS1_13binary_searchIS3_S5_PxSG_SI_NS1_21lower_bound_search_opENS9_16wrapped_functionI11custom_lessbEEEE10hipError_tPvRmT1_T2_T3_mmT4_T5_P12ihipStream_tbEUlRKxE_EESP_ST_SU_mSV_SY_bEUlT_E_NS1_11comp_targetILNS1_3genE5ELNS1_11target_archE942ELNS1_3gpuE9ELNS1_3repE0EEENS1_30default_config_static_selectorELNS0_4arch9wavefront6targetE1EEEvSS_, .Lfunc_end105-_ZN7rocprim17ROCPRIM_400000_NS6detail17trampoline_kernelINS0_14default_configENS1_27lower_bound_config_selectorIxlEEZNS1_14transform_implILb0ES3_S5_N6thrust23THRUST_200600_302600_NS6detail15normal_iteratorINS8_7pointerIxNS8_11hip_rocprim5par_tENS8_11use_defaultESE_EEEENSA_INSB_IlSD_SE_SE_EEEEZNS1_13binary_searchIS3_S5_PxSG_SI_NS1_21lower_bound_search_opENS9_16wrapped_functionI11custom_lessbEEEE10hipError_tPvRmT1_T2_T3_mmT4_T5_P12ihipStream_tbEUlRKxE_EESP_ST_SU_mSV_SY_bEUlT_E_NS1_11comp_targetILNS1_3genE5ELNS1_11target_archE942ELNS1_3gpuE9ELNS1_3repE0EEENS1_30default_config_static_selectorELNS0_4arch9wavefront6targetE1EEEvSS_
                                        ; -- End function
	.set _ZN7rocprim17ROCPRIM_400000_NS6detail17trampoline_kernelINS0_14default_configENS1_27lower_bound_config_selectorIxlEEZNS1_14transform_implILb0ES3_S5_N6thrust23THRUST_200600_302600_NS6detail15normal_iteratorINS8_7pointerIxNS8_11hip_rocprim5par_tENS8_11use_defaultESE_EEEENSA_INSB_IlSD_SE_SE_EEEEZNS1_13binary_searchIS3_S5_PxSG_SI_NS1_21lower_bound_search_opENS9_16wrapped_functionI11custom_lessbEEEE10hipError_tPvRmT1_T2_T3_mmT4_T5_P12ihipStream_tbEUlRKxE_EESP_ST_SU_mSV_SY_bEUlT_E_NS1_11comp_targetILNS1_3genE5ELNS1_11target_archE942ELNS1_3gpuE9ELNS1_3repE0EEENS1_30default_config_static_selectorELNS0_4arch9wavefront6targetE1EEEvSS_.num_vgpr, 0
	.set _ZN7rocprim17ROCPRIM_400000_NS6detail17trampoline_kernelINS0_14default_configENS1_27lower_bound_config_selectorIxlEEZNS1_14transform_implILb0ES3_S5_N6thrust23THRUST_200600_302600_NS6detail15normal_iteratorINS8_7pointerIxNS8_11hip_rocprim5par_tENS8_11use_defaultESE_EEEENSA_INSB_IlSD_SE_SE_EEEEZNS1_13binary_searchIS3_S5_PxSG_SI_NS1_21lower_bound_search_opENS9_16wrapped_functionI11custom_lessbEEEE10hipError_tPvRmT1_T2_T3_mmT4_T5_P12ihipStream_tbEUlRKxE_EESP_ST_SU_mSV_SY_bEUlT_E_NS1_11comp_targetILNS1_3genE5ELNS1_11target_archE942ELNS1_3gpuE9ELNS1_3repE0EEENS1_30default_config_static_selectorELNS0_4arch9wavefront6targetE1EEEvSS_.num_agpr, 0
	.set _ZN7rocprim17ROCPRIM_400000_NS6detail17trampoline_kernelINS0_14default_configENS1_27lower_bound_config_selectorIxlEEZNS1_14transform_implILb0ES3_S5_N6thrust23THRUST_200600_302600_NS6detail15normal_iteratorINS8_7pointerIxNS8_11hip_rocprim5par_tENS8_11use_defaultESE_EEEENSA_INSB_IlSD_SE_SE_EEEEZNS1_13binary_searchIS3_S5_PxSG_SI_NS1_21lower_bound_search_opENS9_16wrapped_functionI11custom_lessbEEEE10hipError_tPvRmT1_T2_T3_mmT4_T5_P12ihipStream_tbEUlRKxE_EESP_ST_SU_mSV_SY_bEUlT_E_NS1_11comp_targetILNS1_3genE5ELNS1_11target_archE942ELNS1_3gpuE9ELNS1_3repE0EEENS1_30default_config_static_selectorELNS0_4arch9wavefront6targetE1EEEvSS_.numbered_sgpr, 0
	.set _ZN7rocprim17ROCPRIM_400000_NS6detail17trampoline_kernelINS0_14default_configENS1_27lower_bound_config_selectorIxlEEZNS1_14transform_implILb0ES3_S5_N6thrust23THRUST_200600_302600_NS6detail15normal_iteratorINS8_7pointerIxNS8_11hip_rocprim5par_tENS8_11use_defaultESE_EEEENSA_INSB_IlSD_SE_SE_EEEEZNS1_13binary_searchIS3_S5_PxSG_SI_NS1_21lower_bound_search_opENS9_16wrapped_functionI11custom_lessbEEEE10hipError_tPvRmT1_T2_T3_mmT4_T5_P12ihipStream_tbEUlRKxE_EESP_ST_SU_mSV_SY_bEUlT_E_NS1_11comp_targetILNS1_3genE5ELNS1_11target_archE942ELNS1_3gpuE9ELNS1_3repE0EEENS1_30default_config_static_selectorELNS0_4arch9wavefront6targetE1EEEvSS_.num_named_barrier, 0
	.set _ZN7rocprim17ROCPRIM_400000_NS6detail17trampoline_kernelINS0_14default_configENS1_27lower_bound_config_selectorIxlEEZNS1_14transform_implILb0ES3_S5_N6thrust23THRUST_200600_302600_NS6detail15normal_iteratorINS8_7pointerIxNS8_11hip_rocprim5par_tENS8_11use_defaultESE_EEEENSA_INSB_IlSD_SE_SE_EEEEZNS1_13binary_searchIS3_S5_PxSG_SI_NS1_21lower_bound_search_opENS9_16wrapped_functionI11custom_lessbEEEE10hipError_tPvRmT1_T2_T3_mmT4_T5_P12ihipStream_tbEUlRKxE_EESP_ST_SU_mSV_SY_bEUlT_E_NS1_11comp_targetILNS1_3genE5ELNS1_11target_archE942ELNS1_3gpuE9ELNS1_3repE0EEENS1_30default_config_static_selectorELNS0_4arch9wavefront6targetE1EEEvSS_.private_seg_size, 0
	.set _ZN7rocprim17ROCPRIM_400000_NS6detail17trampoline_kernelINS0_14default_configENS1_27lower_bound_config_selectorIxlEEZNS1_14transform_implILb0ES3_S5_N6thrust23THRUST_200600_302600_NS6detail15normal_iteratorINS8_7pointerIxNS8_11hip_rocprim5par_tENS8_11use_defaultESE_EEEENSA_INSB_IlSD_SE_SE_EEEEZNS1_13binary_searchIS3_S5_PxSG_SI_NS1_21lower_bound_search_opENS9_16wrapped_functionI11custom_lessbEEEE10hipError_tPvRmT1_T2_T3_mmT4_T5_P12ihipStream_tbEUlRKxE_EESP_ST_SU_mSV_SY_bEUlT_E_NS1_11comp_targetILNS1_3genE5ELNS1_11target_archE942ELNS1_3gpuE9ELNS1_3repE0EEENS1_30default_config_static_selectorELNS0_4arch9wavefront6targetE1EEEvSS_.uses_vcc, 0
	.set _ZN7rocprim17ROCPRIM_400000_NS6detail17trampoline_kernelINS0_14default_configENS1_27lower_bound_config_selectorIxlEEZNS1_14transform_implILb0ES3_S5_N6thrust23THRUST_200600_302600_NS6detail15normal_iteratorINS8_7pointerIxNS8_11hip_rocprim5par_tENS8_11use_defaultESE_EEEENSA_INSB_IlSD_SE_SE_EEEEZNS1_13binary_searchIS3_S5_PxSG_SI_NS1_21lower_bound_search_opENS9_16wrapped_functionI11custom_lessbEEEE10hipError_tPvRmT1_T2_T3_mmT4_T5_P12ihipStream_tbEUlRKxE_EESP_ST_SU_mSV_SY_bEUlT_E_NS1_11comp_targetILNS1_3genE5ELNS1_11target_archE942ELNS1_3gpuE9ELNS1_3repE0EEENS1_30default_config_static_selectorELNS0_4arch9wavefront6targetE1EEEvSS_.uses_flat_scratch, 0
	.set _ZN7rocprim17ROCPRIM_400000_NS6detail17trampoline_kernelINS0_14default_configENS1_27lower_bound_config_selectorIxlEEZNS1_14transform_implILb0ES3_S5_N6thrust23THRUST_200600_302600_NS6detail15normal_iteratorINS8_7pointerIxNS8_11hip_rocprim5par_tENS8_11use_defaultESE_EEEENSA_INSB_IlSD_SE_SE_EEEEZNS1_13binary_searchIS3_S5_PxSG_SI_NS1_21lower_bound_search_opENS9_16wrapped_functionI11custom_lessbEEEE10hipError_tPvRmT1_T2_T3_mmT4_T5_P12ihipStream_tbEUlRKxE_EESP_ST_SU_mSV_SY_bEUlT_E_NS1_11comp_targetILNS1_3genE5ELNS1_11target_archE942ELNS1_3gpuE9ELNS1_3repE0EEENS1_30default_config_static_selectorELNS0_4arch9wavefront6targetE1EEEvSS_.has_dyn_sized_stack, 0
	.set _ZN7rocprim17ROCPRIM_400000_NS6detail17trampoline_kernelINS0_14default_configENS1_27lower_bound_config_selectorIxlEEZNS1_14transform_implILb0ES3_S5_N6thrust23THRUST_200600_302600_NS6detail15normal_iteratorINS8_7pointerIxNS8_11hip_rocprim5par_tENS8_11use_defaultESE_EEEENSA_INSB_IlSD_SE_SE_EEEEZNS1_13binary_searchIS3_S5_PxSG_SI_NS1_21lower_bound_search_opENS9_16wrapped_functionI11custom_lessbEEEE10hipError_tPvRmT1_T2_T3_mmT4_T5_P12ihipStream_tbEUlRKxE_EESP_ST_SU_mSV_SY_bEUlT_E_NS1_11comp_targetILNS1_3genE5ELNS1_11target_archE942ELNS1_3gpuE9ELNS1_3repE0EEENS1_30default_config_static_selectorELNS0_4arch9wavefront6targetE1EEEvSS_.has_recursion, 0
	.set _ZN7rocprim17ROCPRIM_400000_NS6detail17trampoline_kernelINS0_14default_configENS1_27lower_bound_config_selectorIxlEEZNS1_14transform_implILb0ES3_S5_N6thrust23THRUST_200600_302600_NS6detail15normal_iteratorINS8_7pointerIxNS8_11hip_rocprim5par_tENS8_11use_defaultESE_EEEENSA_INSB_IlSD_SE_SE_EEEEZNS1_13binary_searchIS3_S5_PxSG_SI_NS1_21lower_bound_search_opENS9_16wrapped_functionI11custom_lessbEEEE10hipError_tPvRmT1_T2_T3_mmT4_T5_P12ihipStream_tbEUlRKxE_EESP_ST_SU_mSV_SY_bEUlT_E_NS1_11comp_targetILNS1_3genE5ELNS1_11target_archE942ELNS1_3gpuE9ELNS1_3repE0EEENS1_30default_config_static_selectorELNS0_4arch9wavefront6targetE1EEEvSS_.has_indirect_call, 0
	.section	.AMDGPU.csdata,"",@progbits
; Kernel info:
; codeLenInByte = 0
; TotalNumSgprs: 4
; NumVgprs: 0
; ScratchSize: 0
; MemoryBound: 0
; FloatMode: 240
; IeeeMode: 1
; LDSByteSize: 0 bytes/workgroup (compile time only)
; SGPRBlocks: 0
; VGPRBlocks: 0
; NumSGPRsForWavesPerEU: 4
; NumVGPRsForWavesPerEU: 1
; Occupancy: 10
; WaveLimiterHint : 0
; COMPUTE_PGM_RSRC2:SCRATCH_EN: 0
; COMPUTE_PGM_RSRC2:USER_SGPR: 6
; COMPUTE_PGM_RSRC2:TRAP_HANDLER: 0
; COMPUTE_PGM_RSRC2:TGID_X_EN: 1
; COMPUTE_PGM_RSRC2:TGID_Y_EN: 0
; COMPUTE_PGM_RSRC2:TGID_Z_EN: 0
; COMPUTE_PGM_RSRC2:TIDIG_COMP_CNT: 0
	.section	.text._ZN7rocprim17ROCPRIM_400000_NS6detail17trampoline_kernelINS0_14default_configENS1_27lower_bound_config_selectorIxlEEZNS1_14transform_implILb0ES3_S5_N6thrust23THRUST_200600_302600_NS6detail15normal_iteratorINS8_7pointerIxNS8_11hip_rocprim5par_tENS8_11use_defaultESE_EEEENSA_INSB_IlSD_SE_SE_EEEEZNS1_13binary_searchIS3_S5_PxSG_SI_NS1_21lower_bound_search_opENS9_16wrapped_functionI11custom_lessbEEEE10hipError_tPvRmT1_T2_T3_mmT4_T5_P12ihipStream_tbEUlRKxE_EESP_ST_SU_mSV_SY_bEUlT_E_NS1_11comp_targetILNS1_3genE4ELNS1_11target_archE910ELNS1_3gpuE8ELNS1_3repE0EEENS1_30default_config_static_selectorELNS0_4arch9wavefront6targetE1EEEvSS_,"axG",@progbits,_ZN7rocprim17ROCPRIM_400000_NS6detail17trampoline_kernelINS0_14default_configENS1_27lower_bound_config_selectorIxlEEZNS1_14transform_implILb0ES3_S5_N6thrust23THRUST_200600_302600_NS6detail15normal_iteratorINS8_7pointerIxNS8_11hip_rocprim5par_tENS8_11use_defaultESE_EEEENSA_INSB_IlSD_SE_SE_EEEEZNS1_13binary_searchIS3_S5_PxSG_SI_NS1_21lower_bound_search_opENS9_16wrapped_functionI11custom_lessbEEEE10hipError_tPvRmT1_T2_T3_mmT4_T5_P12ihipStream_tbEUlRKxE_EESP_ST_SU_mSV_SY_bEUlT_E_NS1_11comp_targetILNS1_3genE4ELNS1_11target_archE910ELNS1_3gpuE8ELNS1_3repE0EEENS1_30default_config_static_selectorELNS0_4arch9wavefront6targetE1EEEvSS_,comdat
	.protected	_ZN7rocprim17ROCPRIM_400000_NS6detail17trampoline_kernelINS0_14default_configENS1_27lower_bound_config_selectorIxlEEZNS1_14transform_implILb0ES3_S5_N6thrust23THRUST_200600_302600_NS6detail15normal_iteratorINS8_7pointerIxNS8_11hip_rocprim5par_tENS8_11use_defaultESE_EEEENSA_INSB_IlSD_SE_SE_EEEEZNS1_13binary_searchIS3_S5_PxSG_SI_NS1_21lower_bound_search_opENS9_16wrapped_functionI11custom_lessbEEEE10hipError_tPvRmT1_T2_T3_mmT4_T5_P12ihipStream_tbEUlRKxE_EESP_ST_SU_mSV_SY_bEUlT_E_NS1_11comp_targetILNS1_3genE4ELNS1_11target_archE910ELNS1_3gpuE8ELNS1_3repE0EEENS1_30default_config_static_selectorELNS0_4arch9wavefront6targetE1EEEvSS_ ; -- Begin function _ZN7rocprim17ROCPRIM_400000_NS6detail17trampoline_kernelINS0_14default_configENS1_27lower_bound_config_selectorIxlEEZNS1_14transform_implILb0ES3_S5_N6thrust23THRUST_200600_302600_NS6detail15normal_iteratorINS8_7pointerIxNS8_11hip_rocprim5par_tENS8_11use_defaultESE_EEEENSA_INSB_IlSD_SE_SE_EEEEZNS1_13binary_searchIS3_S5_PxSG_SI_NS1_21lower_bound_search_opENS9_16wrapped_functionI11custom_lessbEEEE10hipError_tPvRmT1_T2_T3_mmT4_T5_P12ihipStream_tbEUlRKxE_EESP_ST_SU_mSV_SY_bEUlT_E_NS1_11comp_targetILNS1_3genE4ELNS1_11target_archE910ELNS1_3gpuE8ELNS1_3repE0EEENS1_30default_config_static_selectorELNS0_4arch9wavefront6targetE1EEEvSS_
	.globl	_ZN7rocprim17ROCPRIM_400000_NS6detail17trampoline_kernelINS0_14default_configENS1_27lower_bound_config_selectorIxlEEZNS1_14transform_implILb0ES3_S5_N6thrust23THRUST_200600_302600_NS6detail15normal_iteratorINS8_7pointerIxNS8_11hip_rocprim5par_tENS8_11use_defaultESE_EEEENSA_INSB_IlSD_SE_SE_EEEEZNS1_13binary_searchIS3_S5_PxSG_SI_NS1_21lower_bound_search_opENS9_16wrapped_functionI11custom_lessbEEEE10hipError_tPvRmT1_T2_T3_mmT4_T5_P12ihipStream_tbEUlRKxE_EESP_ST_SU_mSV_SY_bEUlT_E_NS1_11comp_targetILNS1_3genE4ELNS1_11target_archE910ELNS1_3gpuE8ELNS1_3repE0EEENS1_30default_config_static_selectorELNS0_4arch9wavefront6targetE1EEEvSS_
	.p2align	8
	.type	_ZN7rocprim17ROCPRIM_400000_NS6detail17trampoline_kernelINS0_14default_configENS1_27lower_bound_config_selectorIxlEEZNS1_14transform_implILb0ES3_S5_N6thrust23THRUST_200600_302600_NS6detail15normal_iteratorINS8_7pointerIxNS8_11hip_rocprim5par_tENS8_11use_defaultESE_EEEENSA_INSB_IlSD_SE_SE_EEEEZNS1_13binary_searchIS3_S5_PxSG_SI_NS1_21lower_bound_search_opENS9_16wrapped_functionI11custom_lessbEEEE10hipError_tPvRmT1_T2_T3_mmT4_T5_P12ihipStream_tbEUlRKxE_EESP_ST_SU_mSV_SY_bEUlT_E_NS1_11comp_targetILNS1_3genE4ELNS1_11target_archE910ELNS1_3gpuE8ELNS1_3repE0EEENS1_30default_config_static_selectorELNS0_4arch9wavefront6targetE1EEEvSS_,@function
_ZN7rocprim17ROCPRIM_400000_NS6detail17trampoline_kernelINS0_14default_configENS1_27lower_bound_config_selectorIxlEEZNS1_14transform_implILb0ES3_S5_N6thrust23THRUST_200600_302600_NS6detail15normal_iteratorINS8_7pointerIxNS8_11hip_rocprim5par_tENS8_11use_defaultESE_EEEENSA_INSB_IlSD_SE_SE_EEEEZNS1_13binary_searchIS3_S5_PxSG_SI_NS1_21lower_bound_search_opENS9_16wrapped_functionI11custom_lessbEEEE10hipError_tPvRmT1_T2_T3_mmT4_T5_P12ihipStream_tbEUlRKxE_EESP_ST_SU_mSV_SY_bEUlT_E_NS1_11comp_targetILNS1_3genE4ELNS1_11target_archE910ELNS1_3gpuE8ELNS1_3repE0EEENS1_30default_config_static_selectorELNS0_4arch9wavefront6targetE1EEEvSS_: ; @_ZN7rocprim17ROCPRIM_400000_NS6detail17trampoline_kernelINS0_14default_configENS1_27lower_bound_config_selectorIxlEEZNS1_14transform_implILb0ES3_S5_N6thrust23THRUST_200600_302600_NS6detail15normal_iteratorINS8_7pointerIxNS8_11hip_rocprim5par_tENS8_11use_defaultESE_EEEENSA_INSB_IlSD_SE_SE_EEEEZNS1_13binary_searchIS3_S5_PxSG_SI_NS1_21lower_bound_search_opENS9_16wrapped_functionI11custom_lessbEEEE10hipError_tPvRmT1_T2_T3_mmT4_T5_P12ihipStream_tbEUlRKxE_EESP_ST_SU_mSV_SY_bEUlT_E_NS1_11comp_targetILNS1_3genE4ELNS1_11target_archE910ELNS1_3gpuE8ELNS1_3repE0EEENS1_30default_config_static_selectorELNS0_4arch9wavefront6targetE1EEEvSS_
; %bb.0:
	.section	.rodata,"a",@progbits
	.p2align	6, 0x0
	.amdhsa_kernel _ZN7rocprim17ROCPRIM_400000_NS6detail17trampoline_kernelINS0_14default_configENS1_27lower_bound_config_selectorIxlEEZNS1_14transform_implILb0ES3_S5_N6thrust23THRUST_200600_302600_NS6detail15normal_iteratorINS8_7pointerIxNS8_11hip_rocprim5par_tENS8_11use_defaultESE_EEEENSA_INSB_IlSD_SE_SE_EEEEZNS1_13binary_searchIS3_S5_PxSG_SI_NS1_21lower_bound_search_opENS9_16wrapped_functionI11custom_lessbEEEE10hipError_tPvRmT1_T2_T3_mmT4_T5_P12ihipStream_tbEUlRKxE_EESP_ST_SU_mSV_SY_bEUlT_E_NS1_11comp_targetILNS1_3genE4ELNS1_11target_archE910ELNS1_3gpuE8ELNS1_3repE0EEENS1_30default_config_static_selectorELNS0_4arch9wavefront6targetE1EEEvSS_
		.amdhsa_group_segment_fixed_size 0
		.amdhsa_private_segment_fixed_size 0
		.amdhsa_kernarg_size 56
		.amdhsa_user_sgpr_count 6
		.amdhsa_user_sgpr_private_segment_buffer 1
		.amdhsa_user_sgpr_dispatch_ptr 0
		.amdhsa_user_sgpr_queue_ptr 0
		.amdhsa_user_sgpr_kernarg_segment_ptr 1
		.amdhsa_user_sgpr_dispatch_id 0
		.amdhsa_user_sgpr_flat_scratch_init 0
		.amdhsa_user_sgpr_private_segment_size 0
		.amdhsa_uses_dynamic_stack 0
		.amdhsa_system_sgpr_private_segment_wavefront_offset 0
		.amdhsa_system_sgpr_workgroup_id_x 1
		.amdhsa_system_sgpr_workgroup_id_y 0
		.amdhsa_system_sgpr_workgroup_id_z 0
		.amdhsa_system_sgpr_workgroup_info 0
		.amdhsa_system_vgpr_workitem_id 0
		.amdhsa_next_free_vgpr 1
		.amdhsa_next_free_sgpr 0
		.amdhsa_reserve_vcc 0
		.amdhsa_reserve_flat_scratch 0
		.amdhsa_float_round_mode_32 0
		.amdhsa_float_round_mode_16_64 0
		.amdhsa_float_denorm_mode_32 3
		.amdhsa_float_denorm_mode_16_64 3
		.amdhsa_dx10_clamp 1
		.amdhsa_ieee_mode 1
		.amdhsa_fp16_overflow 0
		.amdhsa_exception_fp_ieee_invalid_op 0
		.amdhsa_exception_fp_denorm_src 0
		.amdhsa_exception_fp_ieee_div_zero 0
		.amdhsa_exception_fp_ieee_overflow 0
		.amdhsa_exception_fp_ieee_underflow 0
		.amdhsa_exception_fp_ieee_inexact 0
		.amdhsa_exception_int_div_zero 0
	.end_amdhsa_kernel
	.section	.text._ZN7rocprim17ROCPRIM_400000_NS6detail17trampoline_kernelINS0_14default_configENS1_27lower_bound_config_selectorIxlEEZNS1_14transform_implILb0ES3_S5_N6thrust23THRUST_200600_302600_NS6detail15normal_iteratorINS8_7pointerIxNS8_11hip_rocprim5par_tENS8_11use_defaultESE_EEEENSA_INSB_IlSD_SE_SE_EEEEZNS1_13binary_searchIS3_S5_PxSG_SI_NS1_21lower_bound_search_opENS9_16wrapped_functionI11custom_lessbEEEE10hipError_tPvRmT1_T2_T3_mmT4_T5_P12ihipStream_tbEUlRKxE_EESP_ST_SU_mSV_SY_bEUlT_E_NS1_11comp_targetILNS1_3genE4ELNS1_11target_archE910ELNS1_3gpuE8ELNS1_3repE0EEENS1_30default_config_static_selectorELNS0_4arch9wavefront6targetE1EEEvSS_,"axG",@progbits,_ZN7rocprim17ROCPRIM_400000_NS6detail17trampoline_kernelINS0_14default_configENS1_27lower_bound_config_selectorIxlEEZNS1_14transform_implILb0ES3_S5_N6thrust23THRUST_200600_302600_NS6detail15normal_iteratorINS8_7pointerIxNS8_11hip_rocprim5par_tENS8_11use_defaultESE_EEEENSA_INSB_IlSD_SE_SE_EEEEZNS1_13binary_searchIS3_S5_PxSG_SI_NS1_21lower_bound_search_opENS9_16wrapped_functionI11custom_lessbEEEE10hipError_tPvRmT1_T2_T3_mmT4_T5_P12ihipStream_tbEUlRKxE_EESP_ST_SU_mSV_SY_bEUlT_E_NS1_11comp_targetILNS1_3genE4ELNS1_11target_archE910ELNS1_3gpuE8ELNS1_3repE0EEENS1_30default_config_static_selectorELNS0_4arch9wavefront6targetE1EEEvSS_,comdat
.Lfunc_end106:
	.size	_ZN7rocprim17ROCPRIM_400000_NS6detail17trampoline_kernelINS0_14default_configENS1_27lower_bound_config_selectorIxlEEZNS1_14transform_implILb0ES3_S5_N6thrust23THRUST_200600_302600_NS6detail15normal_iteratorINS8_7pointerIxNS8_11hip_rocprim5par_tENS8_11use_defaultESE_EEEENSA_INSB_IlSD_SE_SE_EEEEZNS1_13binary_searchIS3_S5_PxSG_SI_NS1_21lower_bound_search_opENS9_16wrapped_functionI11custom_lessbEEEE10hipError_tPvRmT1_T2_T3_mmT4_T5_P12ihipStream_tbEUlRKxE_EESP_ST_SU_mSV_SY_bEUlT_E_NS1_11comp_targetILNS1_3genE4ELNS1_11target_archE910ELNS1_3gpuE8ELNS1_3repE0EEENS1_30default_config_static_selectorELNS0_4arch9wavefront6targetE1EEEvSS_, .Lfunc_end106-_ZN7rocprim17ROCPRIM_400000_NS6detail17trampoline_kernelINS0_14default_configENS1_27lower_bound_config_selectorIxlEEZNS1_14transform_implILb0ES3_S5_N6thrust23THRUST_200600_302600_NS6detail15normal_iteratorINS8_7pointerIxNS8_11hip_rocprim5par_tENS8_11use_defaultESE_EEEENSA_INSB_IlSD_SE_SE_EEEEZNS1_13binary_searchIS3_S5_PxSG_SI_NS1_21lower_bound_search_opENS9_16wrapped_functionI11custom_lessbEEEE10hipError_tPvRmT1_T2_T3_mmT4_T5_P12ihipStream_tbEUlRKxE_EESP_ST_SU_mSV_SY_bEUlT_E_NS1_11comp_targetILNS1_3genE4ELNS1_11target_archE910ELNS1_3gpuE8ELNS1_3repE0EEENS1_30default_config_static_selectorELNS0_4arch9wavefront6targetE1EEEvSS_
                                        ; -- End function
	.set _ZN7rocprim17ROCPRIM_400000_NS6detail17trampoline_kernelINS0_14default_configENS1_27lower_bound_config_selectorIxlEEZNS1_14transform_implILb0ES3_S5_N6thrust23THRUST_200600_302600_NS6detail15normal_iteratorINS8_7pointerIxNS8_11hip_rocprim5par_tENS8_11use_defaultESE_EEEENSA_INSB_IlSD_SE_SE_EEEEZNS1_13binary_searchIS3_S5_PxSG_SI_NS1_21lower_bound_search_opENS9_16wrapped_functionI11custom_lessbEEEE10hipError_tPvRmT1_T2_T3_mmT4_T5_P12ihipStream_tbEUlRKxE_EESP_ST_SU_mSV_SY_bEUlT_E_NS1_11comp_targetILNS1_3genE4ELNS1_11target_archE910ELNS1_3gpuE8ELNS1_3repE0EEENS1_30default_config_static_selectorELNS0_4arch9wavefront6targetE1EEEvSS_.num_vgpr, 0
	.set _ZN7rocprim17ROCPRIM_400000_NS6detail17trampoline_kernelINS0_14default_configENS1_27lower_bound_config_selectorIxlEEZNS1_14transform_implILb0ES3_S5_N6thrust23THRUST_200600_302600_NS6detail15normal_iteratorINS8_7pointerIxNS8_11hip_rocprim5par_tENS8_11use_defaultESE_EEEENSA_INSB_IlSD_SE_SE_EEEEZNS1_13binary_searchIS3_S5_PxSG_SI_NS1_21lower_bound_search_opENS9_16wrapped_functionI11custom_lessbEEEE10hipError_tPvRmT1_T2_T3_mmT4_T5_P12ihipStream_tbEUlRKxE_EESP_ST_SU_mSV_SY_bEUlT_E_NS1_11comp_targetILNS1_3genE4ELNS1_11target_archE910ELNS1_3gpuE8ELNS1_3repE0EEENS1_30default_config_static_selectorELNS0_4arch9wavefront6targetE1EEEvSS_.num_agpr, 0
	.set _ZN7rocprim17ROCPRIM_400000_NS6detail17trampoline_kernelINS0_14default_configENS1_27lower_bound_config_selectorIxlEEZNS1_14transform_implILb0ES3_S5_N6thrust23THRUST_200600_302600_NS6detail15normal_iteratorINS8_7pointerIxNS8_11hip_rocprim5par_tENS8_11use_defaultESE_EEEENSA_INSB_IlSD_SE_SE_EEEEZNS1_13binary_searchIS3_S5_PxSG_SI_NS1_21lower_bound_search_opENS9_16wrapped_functionI11custom_lessbEEEE10hipError_tPvRmT1_T2_T3_mmT4_T5_P12ihipStream_tbEUlRKxE_EESP_ST_SU_mSV_SY_bEUlT_E_NS1_11comp_targetILNS1_3genE4ELNS1_11target_archE910ELNS1_3gpuE8ELNS1_3repE0EEENS1_30default_config_static_selectorELNS0_4arch9wavefront6targetE1EEEvSS_.numbered_sgpr, 0
	.set _ZN7rocprim17ROCPRIM_400000_NS6detail17trampoline_kernelINS0_14default_configENS1_27lower_bound_config_selectorIxlEEZNS1_14transform_implILb0ES3_S5_N6thrust23THRUST_200600_302600_NS6detail15normal_iteratorINS8_7pointerIxNS8_11hip_rocprim5par_tENS8_11use_defaultESE_EEEENSA_INSB_IlSD_SE_SE_EEEEZNS1_13binary_searchIS3_S5_PxSG_SI_NS1_21lower_bound_search_opENS9_16wrapped_functionI11custom_lessbEEEE10hipError_tPvRmT1_T2_T3_mmT4_T5_P12ihipStream_tbEUlRKxE_EESP_ST_SU_mSV_SY_bEUlT_E_NS1_11comp_targetILNS1_3genE4ELNS1_11target_archE910ELNS1_3gpuE8ELNS1_3repE0EEENS1_30default_config_static_selectorELNS0_4arch9wavefront6targetE1EEEvSS_.num_named_barrier, 0
	.set _ZN7rocprim17ROCPRIM_400000_NS6detail17trampoline_kernelINS0_14default_configENS1_27lower_bound_config_selectorIxlEEZNS1_14transform_implILb0ES3_S5_N6thrust23THRUST_200600_302600_NS6detail15normal_iteratorINS8_7pointerIxNS8_11hip_rocprim5par_tENS8_11use_defaultESE_EEEENSA_INSB_IlSD_SE_SE_EEEEZNS1_13binary_searchIS3_S5_PxSG_SI_NS1_21lower_bound_search_opENS9_16wrapped_functionI11custom_lessbEEEE10hipError_tPvRmT1_T2_T3_mmT4_T5_P12ihipStream_tbEUlRKxE_EESP_ST_SU_mSV_SY_bEUlT_E_NS1_11comp_targetILNS1_3genE4ELNS1_11target_archE910ELNS1_3gpuE8ELNS1_3repE0EEENS1_30default_config_static_selectorELNS0_4arch9wavefront6targetE1EEEvSS_.private_seg_size, 0
	.set _ZN7rocprim17ROCPRIM_400000_NS6detail17trampoline_kernelINS0_14default_configENS1_27lower_bound_config_selectorIxlEEZNS1_14transform_implILb0ES3_S5_N6thrust23THRUST_200600_302600_NS6detail15normal_iteratorINS8_7pointerIxNS8_11hip_rocprim5par_tENS8_11use_defaultESE_EEEENSA_INSB_IlSD_SE_SE_EEEEZNS1_13binary_searchIS3_S5_PxSG_SI_NS1_21lower_bound_search_opENS9_16wrapped_functionI11custom_lessbEEEE10hipError_tPvRmT1_T2_T3_mmT4_T5_P12ihipStream_tbEUlRKxE_EESP_ST_SU_mSV_SY_bEUlT_E_NS1_11comp_targetILNS1_3genE4ELNS1_11target_archE910ELNS1_3gpuE8ELNS1_3repE0EEENS1_30default_config_static_selectorELNS0_4arch9wavefront6targetE1EEEvSS_.uses_vcc, 0
	.set _ZN7rocprim17ROCPRIM_400000_NS6detail17trampoline_kernelINS0_14default_configENS1_27lower_bound_config_selectorIxlEEZNS1_14transform_implILb0ES3_S5_N6thrust23THRUST_200600_302600_NS6detail15normal_iteratorINS8_7pointerIxNS8_11hip_rocprim5par_tENS8_11use_defaultESE_EEEENSA_INSB_IlSD_SE_SE_EEEEZNS1_13binary_searchIS3_S5_PxSG_SI_NS1_21lower_bound_search_opENS9_16wrapped_functionI11custom_lessbEEEE10hipError_tPvRmT1_T2_T3_mmT4_T5_P12ihipStream_tbEUlRKxE_EESP_ST_SU_mSV_SY_bEUlT_E_NS1_11comp_targetILNS1_3genE4ELNS1_11target_archE910ELNS1_3gpuE8ELNS1_3repE0EEENS1_30default_config_static_selectorELNS0_4arch9wavefront6targetE1EEEvSS_.uses_flat_scratch, 0
	.set _ZN7rocprim17ROCPRIM_400000_NS6detail17trampoline_kernelINS0_14default_configENS1_27lower_bound_config_selectorIxlEEZNS1_14transform_implILb0ES3_S5_N6thrust23THRUST_200600_302600_NS6detail15normal_iteratorINS8_7pointerIxNS8_11hip_rocprim5par_tENS8_11use_defaultESE_EEEENSA_INSB_IlSD_SE_SE_EEEEZNS1_13binary_searchIS3_S5_PxSG_SI_NS1_21lower_bound_search_opENS9_16wrapped_functionI11custom_lessbEEEE10hipError_tPvRmT1_T2_T3_mmT4_T5_P12ihipStream_tbEUlRKxE_EESP_ST_SU_mSV_SY_bEUlT_E_NS1_11comp_targetILNS1_3genE4ELNS1_11target_archE910ELNS1_3gpuE8ELNS1_3repE0EEENS1_30default_config_static_selectorELNS0_4arch9wavefront6targetE1EEEvSS_.has_dyn_sized_stack, 0
	.set _ZN7rocprim17ROCPRIM_400000_NS6detail17trampoline_kernelINS0_14default_configENS1_27lower_bound_config_selectorIxlEEZNS1_14transform_implILb0ES3_S5_N6thrust23THRUST_200600_302600_NS6detail15normal_iteratorINS8_7pointerIxNS8_11hip_rocprim5par_tENS8_11use_defaultESE_EEEENSA_INSB_IlSD_SE_SE_EEEEZNS1_13binary_searchIS3_S5_PxSG_SI_NS1_21lower_bound_search_opENS9_16wrapped_functionI11custom_lessbEEEE10hipError_tPvRmT1_T2_T3_mmT4_T5_P12ihipStream_tbEUlRKxE_EESP_ST_SU_mSV_SY_bEUlT_E_NS1_11comp_targetILNS1_3genE4ELNS1_11target_archE910ELNS1_3gpuE8ELNS1_3repE0EEENS1_30default_config_static_selectorELNS0_4arch9wavefront6targetE1EEEvSS_.has_recursion, 0
	.set _ZN7rocprim17ROCPRIM_400000_NS6detail17trampoline_kernelINS0_14default_configENS1_27lower_bound_config_selectorIxlEEZNS1_14transform_implILb0ES3_S5_N6thrust23THRUST_200600_302600_NS6detail15normal_iteratorINS8_7pointerIxNS8_11hip_rocprim5par_tENS8_11use_defaultESE_EEEENSA_INSB_IlSD_SE_SE_EEEEZNS1_13binary_searchIS3_S5_PxSG_SI_NS1_21lower_bound_search_opENS9_16wrapped_functionI11custom_lessbEEEE10hipError_tPvRmT1_T2_T3_mmT4_T5_P12ihipStream_tbEUlRKxE_EESP_ST_SU_mSV_SY_bEUlT_E_NS1_11comp_targetILNS1_3genE4ELNS1_11target_archE910ELNS1_3gpuE8ELNS1_3repE0EEENS1_30default_config_static_selectorELNS0_4arch9wavefront6targetE1EEEvSS_.has_indirect_call, 0
	.section	.AMDGPU.csdata,"",@progbits
; Kernel info:
; codeLenInByte = 0
; TotalNumSgprs: 4
; NumVgprs: 0
; ScratchSize: 0
; MemoryBound: 0
; FloatMode: 240
; IeeeMode: 1
; LDSByteSize: 0 bytes/workgroup (compile time only)
; SGPRBlocks: 0
; VGPRBlocks: 0
; NumSGPRsForWavesPerEU: 4
; NumVGPRsForWavesPerEU: 1
; Occupancy: 10
; WaveLimiterHint : 0
; COMPUTE_PGM_RSRC2:SCRATCH_EN: 0
; COMPUTE_PGM_RSRC2:USER_SGPR: 6
; COMPUTE_PGM_RSRC2:TRAP_HANDLER: 0
; COMPUTE_PGM_RSRC2:TGID_X_EN: 1
; COMPUTE_PGM_RSRC2:TGID_Y_EN: 0
; COMPUTE_PGM_RSRC2:TGID_Z_EN: 0
; COMPUTE_PGM_RSRC2:TIDIG_COMP_CNT: 0
	.section	.text._ZN7rocprim17ROCPRIM_400000_NS6detail17trampoline_kernelINS0_14default_configENS1_27lower_bound_config_selectorIxlEEZNS1_14transform_implILb0ES3_S5_N6thrust23THRUST_200600_302600_NS6detail15normal_iteratorINS8_7pointerIxNS8_11hip_rocprim5par_tENS8_11use_defaultESE_EEEENSA_INSB_IlSD_SE_SE_EEEEZNS1_13binary_searchIS3_S5_PxSG_SI_NS1_21lower_bound_search_opENS9_16wrapped_functionI11custom_lessbEEEE10hipError_tPvRmT1_T2_T3_mmT4_T5_P12ihipStream_tbEUlRKxE_EESP_ST_SU_mSV_SY_bEUlT_E_NS1_11comp_targetILNS1_3genE3ELNS1_11target_archE908ELNS1_3gpuE7ELNS1_3repE0EEENS1_30default_config_static_selectorELNS0_4arch9wavefront6targetE1EEEvSS_,"axG",@progbits,_ZN7rocprim17ROCPRIM_400000_NS6detail17trampoline_kernelINS0_14default_configENS1_27lower_bound_config_selectorIxlEEZNS1_14transform_implILb0ES3_S5_N6thrust23THRUST_200600_302600_NS6detail15normal_iteratorINS8_7pointerIxNS8_11hip_rocprim5par_tENS8_11use_defaultESE_EEEENSA_INSB_IlSD_SE_SE_EEEEZNS1_13binary_searchIS3_S5_PxSG_SI_NS1_21lower_bound_search_opENS9_16wrapped_functionI11custom_lessbEEEE10hipError_tPvRmT1_T2_T3_mmT4_T5_P12ihipStream_tbEUlRKxE_EESP_ST_SU_mSV_SY_bEUlT_E_NS1_11comp_targetILNS1_3genE3ELNS1_11target_archE908ELNS1_3gpuE7ELNS1_3repE0EEENS1_30default_config_static_selectorELNS0_4arch9wavefront6targetE1EEEvSS_,comdat
	.protected	_ZN7rocprim17ROCPRIM_400000_NS6detail17trampoline_kernelINS0_14default_configENS1_27lower_bound_config_selectorIxlEEZNS1_14transform_implILb0ES3_S5_N6thrust23THRUST_200600_302600_NS6detail15normal_iteratorINS8_7pointerIxNS8_11hip_rocprim5par_tENS8_11use_defaultESE_EEEENSA_INSB_IlSD_SE_SE_EEEEZNS1_13binary_searchIS3_S5_PxSG_SI_NS1_21lower_bound_search_opENS9_16wrapped_functionI11custom_lessbEEEE10hipError_tPvRmT1_T2_T3_mmT4_T5_P12ihipStream_tbEUlRKxE_EESP_ST_SU_mSV_SY_bEUlT_E_NS1_11comp_targetILNS1_3genE3ELNS1_11target_archE908ELNS1_3gpuE7ELNS1_3repE0EEENS1_30default_config_static_selectorELNS0_4arch9wavefront6targetE1EEEvSS_ ; -- Begin function _ZN7rocprim17ROCPRIM_400000_NS6detail17trampoline_kernelINS0_14default_configENS1_27lower_bound_config_selectorIxlEEZNS1_14transform_implILb0ES3_S5_N6thrust23THRUST_200600_302600_NS6detail15normal_iteratorINS8_7pointerIxNS8_11hip_rocprim5par_tENS8_11use_defaultESE_EEEENSA_INSB_IlSD_SE_SE_EEEEZNS1_13binary_searchIS3_S5_PxSG_SI_NS1_21lower_bound_search_opENS9_16wrapped_functionI11custom_lessbEEEE10hipError_tPvRmT1_T2_T3_mmT4_T5_P12ihipStream_tbEUlRKxE_EESP_ST_SU_mSV_SY_bEUlT_E_NS1_11comp_targetILNS1_3genE3ELNS1_11target_archE908ELNS1_3gpuE7ELNS1_3repE0EEENS1_30default_config_static_selectorELNS0_4arch9wavefront6targetE1EEEvSS_
	.globl	_ZN7rocprim17ROCPRIM_400000_NS6detail17trampoline_kernelINS0_14default_configENS1_27lower_bound_config_selectorIxlEEZNS1_14transform_implILb0ES3_S5_N6thrust23THRUST_200600_302600_NS6detail15normal_iteratorINS8_7pointerIxNS8_11hip_rocprim5par_tENS8_11use_defaultESE_EEEENSA_INSB_IlSD_SE_SE_EEEEZNS1_13binary_searchIS3_S5_PxSG_SI_NS1_21lower_bound_search_opENS9_16wrapped_functionI11custom_lessbEEEE10hipError_tPvRmT1_T2_T3_mmT4_T5_P12ihipStream_tbEUlRKxE_EESP_ST_SU_mSV_SY_bEUlT_E_NS1_11comp_targetILNS1_3genE3ELNS1_11target_archE908ELNS1_3gpuE7ELNS1_3repE0EEENS1_30default_config_static_selectorELNS0_4arch9wavefront6targetE1EEEvSS_
	.p2align	8
	.type	_ZN7rocprim17ROCPRIM_400000_NS6detail17trampoline_kernelINS0_14default_configENS1_27lower_bound_config_selectorIxlEEZNS1_14transform_implILb0ES3_S5_N6thrust23THRUST_200600_302600_NS6detail15normal_iteratorINS8_7pointerIxNS8_11hip_rocprim5par_tENS8_11use_defaultESE_EEEENSA_INSB_IlSD_SE_SE_EEEEZNS1_13binary_searchIS3_S5_PxSG_SI_NS1_21lower_bound_search_opENS9_16wrapped_functionI11custom_lessbEEEE10hipError_tPvRmT1_T2_T3_mmT4_T5_P12ihipStream_tbEUlRKxE_EESP_ST_SU_mSV_SY_bEUlT_E_NS1_11comp_targetILNS1_3genE3ELNS1_11target_archE908ELNS1_3gpuE7ELNS1_3repE0EEENS1_30default_config_static_selectorELNS0_4arch9wavefront6targetE1EEEvSS_,@function
_ZN7rocprim17ROCPRIM_400000_NS6detail17trampoline_kernelINS0_14default_configENS1_27lower_bound_config_selectorIxlEEZNS1_14transform_implILb0ES3_S5_N6thrust23THRUST_200600_302600_NS6detail15normal_iteratorINS8_7pointerIxNS8_11hip_rocprim5par_tENS8_11use_defaultESE_EEEENSA_INSB_IlSD_SE_SE_EEEEZNS1_13binary_searchIS3_S5_PxSG_SI_NS1_21lower_bound_search_opENS9_16wrapped_functionI11custom_lessbEEEE10hipError_tPvRmT1_T2_T3_mmT4_T5_P12ihipStream_tbEUlRKxE_EESP_ST_SU_mSV_SY_bEUlT_E_NS1_11comp_targetILNS1_3genE3ELNS1_11target_archE908ELNS1_3gpuE7ELNS1_3repE0EEENS1_30default_config_static_selectorELNS0_4arch9wavefront6targetE1EEEvSS_: ; @_ZN7rocprim17ROCPRIM_400000_NS6detail17trampoline_kernelINS0_14default_configENS1_27lower_bound_config_selectorIxlEEZNS1_14transform_implILb0ES3_S5_N6thrust23THRUST_200600_302600_NS6detail15normal_iteratorINS8_7pointerIxNS8_11hip_rocprim5par_tENS8_11use_defaultESE_EEEENSA_INSB_IlSD_SE_SE_EEEEZNS1_13binary_searchIS3_S5_PxSG_SI_NS1_21lower_bound_search_opENS9_16wrapped_functionI11custom_lessbEEEE10hipError_tPvRmT1_T2_T3_mmT4_T5_P12ihipStream_tbEUlRKxE_EESP_ST_SU_mSV_SY_bEUlT_E_NS1_11comp_targetILNS1_3genE3ELNS1_11target_archE908ELNS1_3gpuE7ELNS1_3repE0EEENS1_30default_config_static_selectorELNS0_4arch9wavefront6targetE1EEEvSS_
; %bb.0:
	.section	.rodata,"a",@progbits
	.p2align	6, 0x0
	.amdhsa_kernel _ZN7rocprim17ROCPRIM_400000_NS6detail17trampoline_kernelINS0_14default_configENS1_27lower_bound_config_selectorIxlEEZNS1_14transform_implILb0ES3_S5_N6thrust23THRUST_200600_302600_NS6detail15normal_iteratorINS8_7pointerIxNS8_11hip_rocprim5par_tENS8_11use_defaultESE_EEEENSA_INSB_IlSD_SE_SE_EEEEZNS1_13binary_searchIS3_S5_PxSG_SI_NS1_21lower_bound_search_opENS9_16wrapped_functionI11custom_lessbEEEE10hipError_tPvRmT1_T2_T3_mmT4_T5_P12ihipStream_tbEUlRKxE_EESP_ST_SU_mSV_SY_bEUlT_E_NS1_11comp_targetILNS1_3genE3ELNS1_11target_archE908ELNS1_3gpuE7ELNS1_3repE0EEENS1_30default_config_static_selectorELNS0_4arch9wavefront6targetE1EEEvSS_
		.amdhsa_group_segment_fixed_size 0
		.amdhsa_private_segment_fixed_size 0
		.amdhsa_kernarg_size 56
		.amdhsa_user_sgpr_count 6
		.amdhsa_user_sgpr_private_segment_buffer 1
		.amdhsa_user_sgpr_dispatch_ptr 0
		.amdhsa_user_sgpr_queue_ptr 0
		.amdhsa_user_sgpr_kernarg_segment_ptr 1
		.amdhsa_user_sgpr_dispatch_id 0
		.amdhsa_user_sgpr_flat_scratch_init 0
		.amdhsa_user_sgpr_private_segment_size 0
		.amdhsa_uses_dynamic_stack 0
		.amdhsa_system_sgpr_private_segment_wavefront_offset 0
		.amdhsa_system_sgpr_workgroup_id_x 1
		.amdhsa_system_sgpr_workgroup_id_y 0
		.amdhsa_system_sgpr_workgroup_id_z 0
		.amdhsa_system_sgpr_workgroup_info 0
		.amdhsa_system_vgpr_workitem_id 0
		.amdhsa_next_free_vgpr 1
		.amdhsa_next_free_sgpr 0
		.amdhsa_reserve_vcc 0
		.amdhsa_reserve_flat_scratch 0
		.amdhsa_float_round_mode_32 0
		.amdhsa_float_round_mode_16_64 0
		.amdhsa_float_denorm_mode_32 3
		.amdhsa_float_denorm_mode_16_64 3
		.amdhsa_dx10_clamp 1
		.amdhsa_ieee_mode 1
		.amdhsa_fp16_overflow 0
		.amdhsa_exception_fp_ieee_invalid_op 0
		.amdhsa_exception_fp_denorm_src 0
		.amdhsa_exception_fp_ieee_div_zero 0
		.amdhsa_exception_fp_ieee_overflow 0
		.amdhsa_exception_fp_ieee_underflow 0
		.amdhsa_exception_fp_ieee_inexact 0
		.amdhsa_exception_int_div_zero 0
	.end_amdhsa_kernel
	.section	.text._ZN7rocprim17ROCPRIM_400000_NS6detail17trampoline_kernelINS0_14default_configENS1_27lower_bound_config_selectorIxlEEZNS1_14transform_implILb0ES3_S5_N6thrust23THRUST_200600_302600_NS6detail15normal_iteratorINS8_7pointerIxNS8_11hip_rocprim5par_tENS8_11use_defaultESE_EEEENSA_INSB_IlSD_SE_SE_EEEEZNS1_13binary_searchIS3_S5_PxSG_SI_NS1_21lower_bound_search_opENS9_16wrapped_functionI11custom_lessbEEEE10hipError_tPvRmT1_T2_T3_mmT4_T5_P12ihipStream_tbEUlRKxE_EESP_ST_SU_mSV_SY_bEUlT_E_NS1_11comp_targetILNS1_3genE3ELNS1_11target_archE908ELNS1_3gpuE7ELNS1_3repE0EEENS1_30default_config_static_selectorELNS0_4arch9wavefront6targetE1EEEvSS_,"axG",@progbits,_ZN7rocprim17ROCPRIM_400000_NS6detail17trampoline_kernelINS0_14default_configENS1_27lower_bound_config_selectorIxlEEZNS1_14transform_implILb0ES3_S5_N6thrust23THRUST_200600_302600_NS6detail15normal_iteratorINS8_7pointerIxNS8_11hip_rocprim5par_tENS8_11use_defaultESE_EEEENSA_INSB_IlSD_SE_SE_EEEEZNS1_13binary_searchIS3_S5_PxSG_SI_NS1_21lower_bound_search_opENS9_16wrapped_functionI11custom_lessbEEEE10hipError_tPvRmT1_T2_T3_mmT4_T5_P12ihipStream_tbEUlRKxE_EESP_ST_SU_mSV_SY_bEUlT_E_NS1_11comp_targetILNS1_3genE3ELNS1_11target_archE908ELNS1_3gpuE7ELNS1_3repE0EEENS1_30default_config_static_selectorELNS0_4arch9wavefront6targetE1EEEvSS_,comdat
.Lfunc_end107:
	.size	_ZN7rocprim17ROCPRIM_400000_NS6detail17trampoline_kernelINS0_14default_configENS1_27lower_bound_config_selectorIxlEEZNS1_14transform_implILb0ES3_S5_N6thrust23THRUST_200600_302600_NS6detail15normal_iteratorINS8_7pointerIxNS8_11hip_rocprim5par_tENS8_11use_defaultESE_EEEENSA_INSB_IlSD_SE_SE_EEEEZNS1_13binary_searchIS3_S5_PxSG_SI_NS1_21lower_bound_search_opENS9_16wrapped_functionI11custom_lessbEEEE10hipError_tPvRmT1_T2_T3_mmT4_T5_P12ihipStream_tbEUlRKxE_EESP_ST_SU_mSV_SY_bEUlT_E_NS1_11comp_targetILNS1_3genE3ELNS1_11target_archE908ELNS1_3gpuE7ELNS1_3repE0EEENS1_30default_config_static_selectorELNS0_4arch9wavefront6targetE1EEEvSS_, .Lfunc_end107-_ZN7rocprim17ROCPRIM_400000_NS6detail17trampoline_kernelINS0_14default_configENS1_27lower_bound_config_selectorIxlEEZNS1_14transform_implILb0ES3_S5_N6thrust23THRUST_200600_302600_NS6detail15normal_iteratorINS8_7pointerIxNS8_11hip_rocprim5par_tENS8_11use_defaultESE_EEEENSA_INSB_IlSD_SE_SE_EEEEZNS1_13binary_searchIS3_S5_PxSG_SI_NS1_21lower_bound_search_opENS9_16wrapped_functionI11custom_lessbEEEE10hipError_tPvRmT1_T2_T3_mmT4_T5_P12ihipStream_tbEUlRKxE_EESP_ST_SU_mSV_SY_bEUlT_E_NS1_11comp_targetILNS1_3genE3ELNS1_11target_archE908ELNS1_3gpuE7ELNS1_3repE0EEENS1_30default_config_static_selectorELNS0_4arch9wavefront6targetE1EEEvSS_
                                        ; -- End function
	.set _ZN7rocprim17ROCPRIM_400000_NS6detail17trampoline_kernelINS0_14default_configENS1_27lower_bound_config_selectorIxlEEZNS1_14transform_implILb0ES3_S5_N6thrust23THRUST_200600_302600_NS6detail15normal_iteratorINS8_7pointerIxNS8_11hip_rocprim5par_tENS8_11use_defaultESE_EEEENSA_INSB_IlSD_SE_SE_EEEEZNS1_13binary_searchIS3_S5_PxSG_SI_NS1_21lower_bound_search_opENS9_16wrapped_functionI11custom_lessbEEEE10hipError_tPvRmT1_T2_T3_mmT4_T5_P12ihipStream_tbEUlRKxE_EESP_ST_SU_mSV_SY_bEUlT_E_NS1_11comp_targetILNS1_3genE3ELNS1_11target_archE908ELNS1_3gpuE7ELNS1_3repE0EEENS1_30default_config_static_selectorELNS0_4arch9wavefront6targetE1EEEvSS_.num_vgpr, 0
	.set _ZN7rocprim17ROCPRIM_400000_NS6detail17trampoline_kernelINS0_14default_configENS1_27lower_bound_config_selectorIxlEEZNS1_14transform_implILb0ES3_S5_N6thrust23THRUST_200600_302600_NS6detail15normal_iteratorINS8_7pointerIxNS8_11hip_rocprim5par_tENS8_11use_defaultESE_EEEENSA_INSB_IlSD_SE_SE_EEEEZNS1_13binary_searchIS3_S5_PxSG_SI_NS1_21lower_bound_search_opENS9_16wrapped_functionI11custom_lessbEEEE10hipError_tPvRmT1_T2_T3_mmT4_T5_P12ihipStream_tbEUlRKxE_EESP_ST_SU_mSV_SY_bEUlT_E_NS1_11comp_targetILNS1_3genE3ELNS1_11target_archE908ELNS1_3gpuE7ELNS1_3repE0EEENS1_30default_config_static_selectorELNS0_4arch9wavefront6targetE1EEEvSS_.num_agpr, 0
	.set _ZN7rocprim17ROCPRIM_400000_NS6detail17trampoline_kernelINS0_14default_configENS1_27lower_bound_config_selectorIxlEEZNS1_14transform_implILb0ES3_S5_N6thrust23THRUST_200600_302600_NS6detail15normal_iteratorINS8_7pointerIxNS8_11hip_rocprim5par_tENS8_11use_defaultESE_EEEENSA_INSB_IlSD_SE_SE_EEEEZNS1_13binary_searchIS3_S5_PxSG_SI_NS1_21lower_bound_search_opENS9_16wrapped_functionI11custom_lessbEEEE10hipError_tPvRmT1_T2_T3_mmT4_T5_P12ihipStream_tbEUlRKxE_EESP_ST_SU_mSV_SY_bEUlT_E_NS1_11comp_targetILNS1_3genE3ELNS1_11target_archE908ELNS1_3gpuE7ELNS1_3repE0EEENS1_30default_config_static_selectorELNS0_4arch9wavefront6targetE1EEEvSS_.numbered_sgpr, 0
	.set _ZN7rocprim17ROCPRIM_400000_NS6detail17trampoline_kernelINS0_14default_configENS1_27lower_bound_config_selectorIxlEEZNS1_14transform_implILb0ES3_S5_N6thrust23THRUST_200600_302600_NS6detail15normal_iteratorINS8_7pointerIxNS8_11hip_rocprim5par_tENS8_11use_defaultESE_EEEENSA_INSB_IlSD_SE_SE_EEEEZNS1_13binary_searchIS3_S5_PxSG_SI_NS1_21lower_bound_search_opENS9_16wrapped_functionI11custom_lessbEEEE10hipError_tPvRmT1_T2_T3_mmT4_T5_P12ihipStream_tbEUlRKxE_EESP_ST_SU_mSV_SY_bEUlT_E_NS1_11comp_targetILNS1_3genE3ELNS1_11target_archE908ELNS1_3gpuE7ELNS1_3repE0EEENS1_30default_config_static_selectorELNS0_4arch9wavefront6targetE1EEEvSS_.num_named_barrier, 0
	.set _ZN7rocprim17ROCPRIM_400000_NS6detail17trampoline_kernelINS0_14default_configENS1_27lower_bound_config_selectorIxlEEZNS1_14transform_implILb0ES3_S5_N6thrust23THRUST_200600_302600_NS6detail15normal_iteratorINS8_7pointerIxNS8_11hip_rocprim5par_tENS8_11use_defaultESE_EEEENSA_INSB_IlSD_SE_SE_EEEEZNS1_13binary_searchIS3_S5_PxSG_SI_NS1_21lower_bound_search_opENS9_16wrapped_functionI11custom_lessbEEEE10hipError_tPvRmT1_T2_T3_mmT4_T5_P12ihipStream_tbEUlRKxE_EESP_ST_SU_mSV_SY_bEUlT_E_NS1_11comp_targetILNS1_3genE3ELNS1_11target_archE908ELNS1_3gpuE7ELNS1_3repE0EEENS1_30default_config_static_selectorELNS0_4arch9wavefront6targetE1EEEvSS_.private_seg_size, 0
	.set _ZN7rocprim17ROCPRIM_400000_NS6detail17trampoline_kernelINS0_14default_configENS1_27lower_bound_config_selectorIxlEEZNS1_14transform_implILb0ES3_S5_N6thrust23THRUST_200600_302600_NS6detail15normal_iteratorINS8_7pointerIxNS8_11hip_rocprim5par_tENS8_11use_defaultESE_EEEENSA_INSB_IlSD_SE_SE_EEEEZNS1_13binary_searchIS3_S5_PxSG_SI_NS1_21lower_bound_search_opENS9_16wrapped_functionI11custom_lessbEEEE10hipError_tPvRmT1_T2_T3_mmT4_T5_P12ihipStream_tbEUlRKxE_EESP_ST_SU_mSV_SY_bEUlT_E_NS1_11comp_targetILNS1_3genE3ELNS1_11target_archE908ELNS1_3gpuE7ELNS1_3repE0EEENS1_30default_config_static_selectorELNS0_4arch9wavefront6targetE1EEEvSS_.uses_vcc, 0
	.set _ZN7rocprim17ROCPRIM_400000_NS6detail17trampoline_kernelINS0_14default_configENS1_27lower_bound_config_selectorIxlEEZNS1_14transform_implILb0ES3_S5_N6thrust23THRUST_200600_302600_NS6detail15normal_iteratorINS8_7pointerIxNS8_11hip_rocprim5par_tENS8_11use_defaultESE_EEEENSA_INSB_IlSD_SE_SE_EEEEZNS1_13binary_searchIS3_S5_PxSG_SI_NS1_21lower_bound_search_opENS9_16wrapped_functionI11custom_lessbEEEE10hipError_tPvRmT1_T2_T3_mmT4_T5_P12ihipStream_tbEUlRKxE_EESP_ST_SU_mSV_SY_bEUlT_E_NS1_11comp_targetILNS1_3genE3ELNS1_11target_archE908ELNS1_3gpuE7ELNS1_3repE0EEENS1_30default_config_static_selectorELNS0_4arch9wavefront6targetE1EEEvSS_.uses_flat_scratch, 0
	.set _ZN7rocprim17ROCPRIM_400000_NS6detail17trampoline_kernelINS0_14default_configENS1_27lower_bound_config_selectorIxlEEZNS1_14transform_implILb0ES3_S5_N6thrust23THRUST_200600_302600_NS6detail15normal_iteratorINS8_7pointerIxNS8_11hip_rocprim5par_tENS8_11use_defaultESE_EEEENSA_INSB_IlSD_SE_SE_EEEEZNS1_13binary_searchIS3_S5_PxSG_SI_NS1_21lower_bound_search_opENS9_16wrapped_functionI11custom_lessbEEEE10hipError_tPvRmT1_T2_T3_mmT4_T5_P12ihipStream_tbEUlRKxE_EESP_ST_SU_mSV_SY_bEUlT_E_NS1_11comp_targetILNS1_3genE3ELNS1_11target_archE908ELNS1_3gpuE7ELNS1_3repE0EEENS1_30default_config_static_selectorELNS0_4arch9wavefront6targetE1EEEvSS_.has_dyn_sized_stack, 0
	.set _ZN7rocprim17ROCPRIM_400000_NS6detail17trampoline_kernelINS0_14default_configENS1_27lower_bound_config_selectorIxlEEZNS1_14transform_implILb0ES3_S5_N6thrust23THRUST_200600_302600_NS6detail15normal_iteratorINS8_7pointerIxNS8_11hip_rocprim5par_tENS8_11use_defaultESE_EEEENSA_INSB_IlSD_SE_SE_EEEEZNS1_13binary_searchIS3_S5_PxSG_SI_NS1_21lower_bound_search_opENS9_16wrapped_functionI11custom_lessbEEEE10hipError_tPvRmT1_T2_T3_mmT4_T5_P12ihipStream_tbEUlRKxE_EESP_ST_SU_mSV_SY_bEUlT_E_NS1_11comp_targetILNS1_3genE3ELNS1_11target_archE908ELNS1_3gpuE7ELNS1_3repE0EEENS1_30default_config_static_selectorELNS0_4arch9wavefront6targetE1EEEvSS_.has_recursion, 0
	.set _ZN7rocprim17ROCPRIM_400000_NS6detail17trampoline_kernelINS0_14default_configENS1_27lower_bound_config_selectorIxlEEZNS1_14transform_implILb0ES3_S5_N6thrust23THRUST_200600_302600_NS6detail15normal_iteratorINS8_7pointerIxNS8_11hip_rocprim5par_tENS8_11use_defaultESE_EEEENSA_INSB_IlSD_SE_SE_EEEEZNS1_13binary_searchIS3_S5_PxSG_SI_NS1_21lower_bound_search_opENS9_16wrapped_functionI11custom_lessbEEEE10hipError_tPvRmT1_T2_T3_mmT4_T5_P12ihipStream_tbEUlRKxE_EESP_ST_SU_mSV_SY_bEUlT_E_NS1_11comp_targetILNS1_3genE3ELNS1_11target_archE908ELNS1_3gpuE7ELNS1_3repE0EEENS1_30default_config_static_selectorELNS0_4arch9wavefront6targetE1EEEvSS_.has_indirect_call, 0
	.section	.AMDGPU.csdata,"",@progbits
; Kernel info:
; codeLenInByte = 0
; TotalNumSgprs: 4
; NumVgprs: 0
; ScratchSize: 0
; MemoryBound: 0
; FloatMode: 240
; IeeeMode: 1
; LDSByteSize: 0 bytes/workgroup (compile time only)
; SGPRBlocks: 0
; VGPRBlocks: 0
; NumSGPRsForWavesPerEU: 4
; NumVGPRsForWavesPerEU: 1
; Occupancy: 10
; WaveLimiterHint : 0
; COMPUTE_PGM_RSRC2:SCRATCH_EN: 0
; COMPUTE_PGM_RSRC2:USER_SGPR: 6
; COMPUTE_PGM_RSRC2:TRAP_HANDLER: 0
; COMPUTE_PGM_RSRC2:TGID_X_EN: 1
; COMPUTE_PGM_RSRC2:TGID_Y_EN: 0
; COMPUTE_PGM_RSRC2:TGID_Z_EN: 0
; COMPUTE_PGM_RSRC2:TIDIG_COMP_CNT: 0
	.section	.text._ZN7rocprim17ROCPRIM_400000_NS6detail17trampoline_kernelINS0_14default_configENS1_27lower_bound_config_selectorIxlEEZNS1_14transform_implILb0ES3_S5_N6thrust23THRUST_200600_302600_NS6detail15normal_iteratorINS8_7pointerIxNS8_11hip_rocprim5par_tENS8_11use_defaultESE_EEEENSA_INSB_IlSD_SE_SE_EEEEZNS1_13binary_searchIS3_S5_PxSG_SI_NS1_21lower_bound_search_opENS9_16wrapped_functionI11custom_lessbEEEE10hipError_tPvRmT1_T2_T3_mmT4_T5_P12ihipStream_tbEUlRKxE_EESP_ST_SU_mSV_SY_bEUlT_E_NS1_11comp_targetILNS1_3genE2ELNS1_11target_archE906ELNS1_3gpuE6ELNS1_3repE0EEENS1_30default_config_static_selectorELNS0_4arch9wavefront6targetE1EEEvSS_,"axG",@progbits,_ZN7rocprim17ROCPRIM_400000_NS6detail17trampoline_kernelINS0_14default_configENS1_27lower_bound_config_selectorIxlEEZNS1_14transform_implILb0ES3_S5_N6thrust23THRUST_200600_302600_NS6detail15normal_iteratorINS8_7pointerIxNS8_11hip_rocprim5par_tENS8_11use_defaultESE_EEEENSA_INSB_IlSD_SE_SE_EEEEZNS1_13binary_searchIS3_S5_PxSG_SI_NS1_21lower_bound_search_opENS9_16wrapped_functionI11custom_lessbEEEE10hipError_tPvRmT1_T2_T3_mmT4_T5_P12ihipStream_tbEUlRKxE_EESP_ST_SU_mSV_SY_bEUlT_E_NS1_11comp_targetILNS1_3genE2ELNS1_11target_archE906ELNS1_3gpuE6ELNS1_3repE0EEENS1_30default_config_static_selectorELNS0_4arch9wavefront6targetE1EEEvSS_,comdat
	.protected	_ZN7rocprim17ROCPRIM_400000_NS6detail17trampoline_kernelINS0_14default_configENS1_27lower_bound_config_selectorIxlEEZNS1_14transform_implILb0ES3_S5_N6thrust23THRUST_200600_302600_NS6detail15normal_iteratorINS8_7pointerIxNS8_11hip_rocprim5par_tENS8_11use_defaultESE_EEEENSA_INSB_IlSD_SE_SE_EEEEZNS1_13binary_searchIS3_S5_PxSG_SI_NS1_21lower_bound_search_opENS9_16wrapped_functionI11custom_lessbEEEE10hipError_tPvRmT1_T2_T3_mmT4_T5_P12ihipStream_tbEUlRKxE_EESP_ST_SU_mSV_SY_bEUlT_E_NS1_11comp_targetILNS1_3genE2ELNS1_11target_archE906ELNS1_3gpuE6ELNS1_3repE0EEENS1_30default_config_static_selectorELNS0_4arch9wavefront6targetE1EEEvSS_ ; -- Begin function _ZN7rocprim17ROCPRIM_400000_NS6detail17trampoline_kernelINS0_14default_configENS1_27lower_bound_config_selectorIxlEEZNS1_14transform_implILb0ES3_S5_N6thrust23THRUST_200600_302600_NS6detail15normal_iteratorINS8_7pointerIxNS8_11hip_rocprim5par_tENS8_11use_defaultESE_EEEENSA_INSB_IlSD_SE_SE_EEEEZNS1_13binary_searchIS3_S5_PxSG_SI_NS1_21lower_bound_search_opENS9_16wrapped_functionI11custom_lessbEEEE10hipError_tPvRmT1_T2_T3_mmT4_T5_P12ihipStream_tbEUlRKxE_EESP_ST_SU_mSV_SY_bEUlT_E_NS1_11comp_targetILNS1_3genE2ELNS1_11target_archE906ELNS1_3gpuE6ELNS1_3repE0EEENS1_30default_config_static_selectorELNS0_4arch9wavefront6targetE1EEEvSS_
	.globl	_ZN7rocprim17ROCPRIM_400000_NS6detail17trampoline_kernelINS0_14default_configENS1_27lower_bound_config_selectorIxlEEZNS1_14transform_implILb0ES3_S5_N6thrust23THRUST_200600_302600_NS6detail15normal_iteratorINS8_7pointerIxNS8_11hip_rocprim5par_tENS8_11use_defaultESE_EEEENSA_INSB_IlSD_SE_SE_EEEEZNS1_13binary_searchIS3_S5_PxSG_SI_NS1_21lower_bound_search_opENS9_16wrapped_functionI11custom_lessbEEEE10hipError_tPvRmT1_T2_T3_mmT4_T5_P12ihipStream_tbEUlRKxE_EESP_ST_SU_mSV_SY_bEUlT_E_NS1_11comp_targetILNS1_3genE2ELNS1_11target_archE906ELNS1_3gpuE6ELNS1_3repE0EEENS1_30default_config_static_selectorELNS0_4arch9wavefront6targetE1EEEvSS_
	.p2align	8
	.type	_ZN7rocprim17ROCPRIM_400000_NS6detail17trampoline_kernelINS0_14default_configENS1_27lower_bound_config_selectorIxlEEZNS1_14transform_implILb0ES3_S5_N6thrust23THRUST_200600_302600_NS6detail15normal_iteratorINS8_7pointerIxNS8_11hip_rocprim5par_tENS8_11use_defaultESE_EEEENSA_INSB_IlSD_SE_SE_EEEEZNS1_13binary_searchIS3_S5_PxSG_SI_NS1_21lower_bound_search_opENS9_16wrapped_functionI11custom_lessbEEEE10hipError_tPvRmT1_T2_T3_mmT4_T5_P12ihipStream_tbEUlRKxE_EESP_ST_SU_mSV_SY_bEUlT_E_NS1_11comp_targetILNS1_3genE2ELNS1_11target_archE906ELNS1_3gpuE6ELNS1_3repE0EEENS1_30default_config_static_selectorELNS0_4arch9wavefront6targetE1EEEvSS_,@function
_ZN7rocprim17ROCPRIM_400000_NS6detail17trampoline_kernelINS0_14default_configENS1_27lower_bound_config_selectorIxlEEZNS1_14transform_implILb0ES3_S5_N6thrust23THRUST_200600_302600_NS6detail15normal_iteratorINS8_7pointerIxNS8_11hip_rocprim5par_tENS8_11use_defaultESE_EEEENSA_INSB_IlSD_SE_SE_EEEEZNS1_13binary_searchIS3_S5_PxSG_SI_NS1_21lower_bound_search_opENS9_16wrapped_functionI11custom_lessbEEEE10hipError_tPvRmT1_T2_T3_mmT4_T5_P12ihipStream_tbEUlRKxE_EESP_ST_SU_mSV_SY_bEUlT_E_NS1_11comp_targetILNS1_3genE2ELNS1_11target_archE906ELNS1_3gpuE6ELNS1_3repE0EEENS1_30default_config_static_selectorELNS0_4arch9wavefront6targetE1EEEvSS_: ; @_ZN7rocprim17ROCPRIM_400000_NS6detail17trampoline_kernelINS0_14default_configENS1_27lower_bound_config_selectorIxlEEZNS1_14transform_implILb0ES3_S5_N6thrust23THRUST_200600_302600_NS6detail15normal_iteratorINS8_7pointerIxNS8_11hip_rocprim5par_tENS8_11use_defaultESE_EEEENSA_INSB_IlSD_SE_SE_EEEEZNS1_13binary_searchIS3_S5_PxSG_SI_NS1_21lower_bound_search_opENS9_16wrapped_functionI11custom_lessbEEEE10hipError_tPvRmT1_T2_T3_mmT4_T5_P12ihipStream_tbEUlRKxE_EESP_ST_SU_mSV_SY_bEUlT_E_NS1_11comp_targetILNS1_3genE2ELNS1_11target_archE906ELNS1_3gpuE6ELNS1_3repE0EEENS1_30default_config_static_selectorELNS0_4arch9wavefront6targetE1EEEvSS_
; %bb.0:
	s_load_dwordx4 s[0:3], s[4:5], 0x0
	s_load_dwordx4 s[8:11], s[4:5], 0x18
	s_load_dwordx2 s[12:13], s[4:5], 0x28
	s_load_dword s16, s[4:5], 0x38
	s_waitcnt lgkmcnt(0)
	s_lshl_b64 s[14:15], s[2:3], 3
	s_add_u32 s2, s0, s14
	s_addc_u32 s3, s1, s15
	s_add_u32 s7, s8, s14
	s_addc_u32 s14, s9, s15
	s_lshl_b32 s8, s6, 8
	s_add_i32 s16, s16, -1
	s_mov_b32 s9, 0
	s_cmp_lg_u32 s6, s16
	s_mov_b64 s[0:1], -1
	s_cbranch_scc0 .LBB108_7
; %bb.1:
	s_cmp_eq_u64 s[12:13], 0
	s_mov_b64 s[0:1], 0
	s_cbranch_scc1 .LBB108_5
; %bb.2:
	s_lshl_b64 s[16:17], s[8:9], 3
	s_add_u32 s6, s2, s16
	s_addc_u32 s15, s3, s17
	v_lshlrev_b32_e32 v1, 3, v0
	v_mov_b32_e32 v2, s15
	v_add_co_u32_e32 v1, vcc, s6, v1
	v_addc_co_u32_e32 v2, vcc, 0, v2, vcc
	flat_load_dwordx2 v[3:4], v[1:2]
	v_mov_b32_e32 v1, 0
	v_mov_b32_e32 v5, s12
	;; [unrolled: 1-line block ×5, first 2 shown]
.LBB108_3:                              ; =>This Inner Loop Header: Depth=1
	v_sub_co_u32_e32 v8, vcc, v5, v1
	v_subb_co_u32_e32 v9, vcc, v6, v2, vcc
	v_lshrrev_b64 v[10:11], 1, v[8:9]
	v_lshrrev_b64 v[8:9], 6, v[8:9]
	v_add_co_u32_e32 v10, vcc, v10, v1
	v_addc_co_u32_e32 v11, vcc, v11, v2, vcc
	v_add_co_u32_e32 v8, vcc, v10, v8
	v_addc_co_u32_e32 v9, vcc, v11, v9, vcc
	v_lshlrev_b64 v[10:11], 3, v[8:9]
	v_add_co_u32_e32 v10, vcc, s10, v10
	v_addc_co_u32_e32 v11, vcc, v7, v11, vcc
	global_load_dwordx2 v[10:11], v[10:11], off
	v_add_co_u32_e32 v12, vcc, 1, v8
	v_addc_co_u32_e32 v13, vcc, 0, v9, vcc
	s_waitcnt vmcnt(0) lgkmcnt(0)
	v_cmp_lt_i64_e32 vcc, v[10:11], v[3:4]
	v_cndmask_b32_e32 v6, v9, v6, vcc
	v_cndmask_b32_e32 v5, v8, v5, vcc
	;; [unrolled: 1-line block ×4, first 2 shown]
	v_cmp_ge_u64_e32 vcc, v[1:2], v[5:6]
	s_or_b64 s[0:1], vcc, s[0:1]
	s_andn2_b64 exec, exec, s[0:1]
	s_cbranch_execnz .LBB108_3
; %bb.4:
	s_or_b64 exec, exec, s[0:1]
	s_branch .LBB108_6
.LBB108_5:
	v_mov_b32_e32 v1, 0
	v_mov_b32_e32 v2, 0
.LBB108_6:
	s_lshl_b64 s[0:1], s[8:9], 3
	s_add_u32 s0, s7, s0
	s_addc_u32 s1, s14, s1
	v_lshlrev_b32_e32 v3, 3, v0
	v_mov_b32_e32 v4, s1
	v_add_co_u32_e32 v3, vcc, s0, v3
	v_addc_co_u32_e32 v4, vcc, 0, v4, vcc
	s_mov_b64 s[0:1], 0
	flat_store_dwordx2 v[3:4], v[1:2]
.LBB108_7:
	s_and_b64 vcc, exec, s[0:1]
	s_cbranch_vccz .LBB108_16
; %bb.8:
	s_load_dword s0, s[4:5], 0x10
                                        ; implicit-def: $vgpr3_vgpr4
	s_waitcnt lgkmcnt(0)
	s_sub_i32 s4, s0, s8
	v_cmp_le_u32_e64 s[0:1], s4, v0
	v_cmp_gt_u32_e32 vcc, s4, v0
	s_and_saveexec_b64 s[4:5], vcc
	s_cbranch_execz .LBB108_10
; %bb.9:
	s_lshl_b64 s[16:17], s[8:9], 3
	s_add_u32 s2, s2, s16
	s_addc_u32 s3, s3, s17
	v_lshlrev_b32_e32 v1, 3, v0
	v_mov_b32_e32 v2, s3
	v_add_co_u32_e64 v1, s[2:3], s2, v1
	v_addc_co_u32_e64 v2, s[2:3], 0, v2, s[2:3]
	flat_load_dwordx2 v[3:4], v[1:2]
.LBB108_10:
	s_or_b64 exec, exec, s[4:5]
	s_cmp_lg_u64 s[12:13], 0
	s_cselect_b64 s[4:5], -1, 0
	s_xor_b64 s[0:1], s[0:1], -1
	v_mov_b32_e32 v1, 0
	s_mov_b64 s[2:3], 0
	v_mov_b32_e32 v2, 0
	s_and_b64 s[0:1], s[0:1], s[4:5]
	s_and_saveexec_b64 s[4:5], s[0:1]
	s_cbranch_execz .LBB108_14
; %bb.11:
	v_mov_b32_e32 v1, 0
	v_mov_b32_e32 v5, s12
	;; [unrolled: 1-line block ×5, first 2 shown]
.LBB108_12:                             ; =>This Inner Loop Header: Depth=1
	v_sub_co_u32_e64 v8, s[0:1], v5, v1
	v_subb_co_u32_e64 v9, s[0:1], v6, v2, s[0:1]
	v_lshrrev_b64 v[10:11], 1, v[8:9]
	v_lshrrev_b64 v[8:9], 6, v[8:9]
	v_add_co_u32_e64 v10, s[0:1], v10, v1
	v_addc_co_u32_e64 v11, s[0:1], v11, v2, s[0:1]
	v_add_co_u32_e64 v8, s[0:1], v10, v8
	v_addc_co_u32_e64 v9, s[0:1], v11, v9, s[0:1]
	v_lshlrev_b64 v[10:11], 3, v[8:9]
	v_add_co_u32_e64 v10, s[0:1], s10, v10
	v_addc_co_u32_e64 v11, s[0:1], v7, v11, s[0:1]
	global_load_dwordx2 v[10:11], v[10:11], off
	v_add_co_u32_e64 v12, s[0:1], 1, v8
	v_addc_co_u32_e64 v13, s[0:1], 0, v9, s[0:1]
	s_waitcnt vmcnt(0) lgkmcnt(0)
	v_cmp_lt_i64_e64 s[0:1], v[10:11], v[3:4]
	v_cndmask_b32_e64 v6, v9, v6, s[0:1]
	v_cndmask_b32_e64 v5, v8, v5, s[0:1]
	;; [unrolled: 1-line block ×4, first 2 shown]
	v_cmp_ge_u64_e64 s[0:1], v[1:2], v[5:6]
	s_or_b64 s[2:3], s[0:1], s[2:3]
	s_andn2_b64 exec, exec, s[2:3]
	s_cbranch_execnz .LBB108_12
; %bb.13:
	s_or_b64 exec, exec, s[2:3]
.LBB108_14:
	s_or_b64 exec, exec, s[4:5]
	s_and_saveexec_b64 s[0:1], vcc
	s_cbranch_execz .LBB108_16
; %bb.15:
	s_lshl_b64 s[0:1], s[8:9], 3
	s_add_u32 s0, s7, s0
	s_addc_u32 s1, s14, s1
	v_lshlrev_b32_e32 v0, 3, v0
	s_waitcnt vmcnt(0) lgkmcnt(0)
	v_mov_b32_e32 v4, s1
	v_add_co_u32_e32 v3, vcc, s0, v0
	v_addc_co_u32_e32 v4, vcc, 0, v4, vcc
	flat_store_dwordx2 v[3:4], v[1:2]
.LBB108_16:
	s_endpgm
	.section	.rodata,"a",@progbits
	.p2align	6, 0x0
	.amdhsa_kernel _ZN7rocprim17ROCPRIM_400000_NS6detail17trampoline_kernelINS0_14default_configENS1_27lower_bound_config_selectorIxlEEZNS1_14transform_implILb0ES3_S5_N6thrust23THRUST_200600_302600_NS6detail15normal_iteratorINS8_7pointerIxNS8_11hip_rocprim5par_tENS8_11use_defaultESE_EEEENSA_INSB_IlSD_SE_SE_EEEEZNS1_13binary_searchIS3_S5_PxSG_SI_NS1_21lower_bound_search_opENS9_16wrapped_functionI11custom_lessbEEEE10hipError_tPvRmT1_T2_T3_mmT4_T5_P12ihipStream_tbEUlRKxE_EESP_ST_SU_mSV_SY_bEUlT_E_NS1_11comp_targetILNS1_3genE2ELNS1_11target_archE906ELNS1_3gpuE6ELNS1_3repE0EEENS1_30default_config_static_selectorELNS0_4arch9wavefront6targetE1EEEvSS_
		.amdhsa_group_segment_fixed_size 0
		.amdhsa_private_segment_fixed_size 0
		.amdhsa_kernarg_size 312
		.amdhsa_user_sgpr_count 6
		.amdhsa_user_sgpr_private_segment_buffer 1
		.amdhsa_user_sgpr_dispatch_ptr 0
		.amdhsa_user_sgpr_queue_ptr 0
		.amdhsa_user_sgpr_kernarg_segment_ptr 1
		.amdhsa_user_sgpr_dispatch_id 0
		.amdhsa_user_sgpr_flat_scratch_init 0
		.amdhsa_user_sgpr_private_segment_size 0
		.amdhsa_uses_dynamic_stack 0
		.amdhsa_system_sgpr_private_segment_wavefront_offset 0
		.amdhsa_system_sgpr_workgroup_id_x 1
		.amdhsa_system_sgpr_workgroup_id_y 0
		.amdhsa_system_sgpr_workgroup_id_z 0
		.amdhsa_system_sgpr_workgroup_info 0
		.amdhsa_system_vgpr_workitem_id 0
		.amdhsa_next_free_vgpr 14
		.amdhsa_next_free_sgpr 18
		.amdhsa_reserve_vcc 1
		.amdhsa_reserve_flat_scratch 0
		.amdhsa_float_round_mode_32 0
		.amdhsa_float_round_mode_16_64 0
		.amdhsa_float_denorm_mode_32 3
		.amdhsa_float_denorm_mode_16_64 3
		.amdhsa_dx10_clamp 1
		.amdhsa_ieee_mode 1
		.amdhsa_fp16_overflow 0
		.amdhsa_exception_fp_ieee_invalid_op 0
		.amdhsa_exception_fp_denorm_src 0
		.amdhsa_exception_fp_ieee_div_zero 0
		.amdhsa_exception_fp_ieee_overflow 0
		.amdhsa_exception_fp_ieee_underflow 0
		.amdhsa_exception_fp_ieee_inexact 0
		.amdhsa_exception_int_div_zero 0
	.end_amdhsa_kernel
	.section	.text._ZN7rocprim17ROCPRIM_400000_NS6detail17trampoline_kernelINS0_14default_configENS1_27lower_bound_config_selectorIxlEEZNS1_14transform_implILb0ES3_S5_N6thrust23THRUST_200600_302600_NS6detail15normal_iteratorINS8_7pointerIxNS8_11hip_rocprim5par_tENS8_11use_defaultESE_EEEENSA_INSB_IlSD_SE_SE_EEEEZNS1_13binary_searchIS3_S5_PxSG_SI_NS1_21lower_bound_search_opENS9_16wrapped_functionI11custom_lessbEEEE10hipError_tPvRmT1_T2_T3_mmT4_T5_P12ihipStream_tbEUlRKxE_EESP_ST_SU_mSV_SY_bEUlT_E_NS1_11comp_targetILNS1_3genE2ELNS1_11target_archE906ELNS1_3gpuE6ELNS1_3repE0EEENS1_30default_config_static_selectorELNS0_4arch9wavefront6targetE1EEEvSS_,"axG",@progbits,_ZN7rocprim17ROCPRIM_400000_NS6detail17trampoline_kernelINS0_14default_configENS1_27lower_bound_config_selectorIxlEEZNS1_14transform_implILb0ES3_S5_N6thrust23THRUST_200600_302600_NS6detail15normal_iteratorINS8_7pointerIxNS8_11hip_rocprim5par_tENS8_11use_defaultESE_EEEENSA_INSB_IlSD_SE_SE_EEEEZNS1_13binary_searchIS3_S5_PxSG_SI_NS1_21lower_bound_search_opENS9_16wrapped_functionI11custom_lessbEEEE10hipError_tPvRmT1_T2_T3_mmT4_T5_P12ihipStream_tbEUlRKxE_EESP_ST_SU_mSV_SY_bEUlT_E_NS1_11comp_targetILNS1_3genE2ELNS1_11target_archE906ELNS1_3gpuE6ELNS1_3repE0EEENS1_30default_config_static_selectorELNS0_4arch9wavefront6targetE1EEEvSS_,comdat
.Lfunc_end108:
	.size	_ZN7rocprim17ROCPRIM_400000_NS6detail17trampoline_kernelINS0_14default_configENS1_27lower_bound_config_selectorIxlEEZNS1_14transform_implILb0ES3_S5_N6thrust23THRUST_200600_302600_NS6detail15normal_iteratorINS8_7pointerIxNS8_11hip_rocprim5par_tENS8_11use_defaultESE_EEEENSA_INSB_IlSD_SE_SE_EEEEZNS1_13binary_searchIS3_S5_PxSG_SI_NS1_21lower_bound_search_opENS9_16wrapped_functionI11custom_lessbEEEE10hipError_tPvRmT1_T2_T3_mmT4_T5_P12ihipStream_tbEUlRKxE_EESP_ST_SU_mSV_SY_bEUlT_E_NS1_11comp_targetILNS1_3genE2ELNS1_11target_archE906ELNS1_3gpuE6ELNS1_3repE0EEENS1_30default_config_static_selectorELNS0_4arch9wavefront6targetE1EEEvSS_, .Lfunc_end108-_ZN7rocprim17ROCPRIM_400000_NS6detail17trampoline_kernelINS0_14default_configENS1_27lower_bound_config_selectorIxlEEZNS1_14transform_implILb0ES3_S5_N6thrust23THRUST_200600_302600_NS6detail15normal_iteratorINS8_7pointerIxNS8_11hip_rocprim5par_tENS8_11use_defaultESE_EEEENSA_INSB_IlSD_SE_SE_EEEEZNS1_13binary_searchIS3_S5_PxSG_SI_NS1_21lower_bound_search_opENS9_16wrapped_functionI11custom_lessbEEEE10hipError_tPvRmT1_T2_T3_mmT4_T5_P12ihipStream_tbEUlRKxE_EESP_ST_SU_mSV_SY_bEUlT_E_NS1_11comp_targetILNS1_3genE2ELNS1_11target_archE906ELNS1_3gpuE6ELNS1_3repE0EEENS1_30default_config_static_selectorELNS0_4arch9wavefront6targetE1EEEvSS_
                                        ; -- End function
	.set _ZN7rocprim17ROCPRIM_400000_NS6detail17trampoline_kernelINS0_14default_configENS1_27lower_bound_config_selectorIxlEEZNS1_14transform_implILb0ES3_S5_N6thrust23THRUST_200600_302600_NS6detail15normal_iteratorINS8_7pointerIxNS8_11hip_rocprim5par_tENS8_11use_defaultESE_EEEENSA_INSB_IlSD_SE_SE_EEEEZNS1_13binary_searchIS3_S5_PxSG_SI_NS1_21lower_bound_search_opENS9_16wrapped_functionI11custom_lessbEEEE10hipError_tPvRmT1_T2_T3_mmT4_T5_P12ihipStream_tbEUlRKxE_EESP_ST_SU_mSV_SY_bEUlT_E_NS1_11comp_targetILNS1_3genE2ELNS1_11target_archE906ELNS1_3gpuE6ELNS1_3repE0EEENS1_30default_config_static_selectorELNS0_4arch9wavefront6targetE1EEEvSS_.num_vgpr, 14
	.set _ZN7rocprim17ROCPRIM_400000_NS6detail17trampoline_kernelINS0_14default_configENS1_27lower_bound_config_selectorIxlEEZNS1_14transform_implILb0ES3_S5_N6thrust23THRUST_200600_302600_NS6detail15normal_iteratorINS8_7pointerIxNS8_11hip_rocprim5par_tENS8_11use_defaultESE_EEEENSA_INSB_IlSD_SE_SE_EEEEZNS1_13binary_searchIS3_S5_PxSG_SI_NS1_21lower_bound_search_opENS9_16wrapped_functionI11custom_lessbEEEE10hipError_tPvRmT1_T2_T3_mmT4_T5_P12ihipStream_tbEUlRKxE_EESP_ST_SU_mSV_SY_bEUlT_E_NS1_11comp_targetILNS1_3genE2ELNS1_11target_archE906ELNS1_3gpuE6ELNS1_3repE0EEENS1_30default_config_static_selectorELNS0_4arch9wavefront6targetE1EEEvSS_.num_agpr, 0
	.set _ZN7rocprim17ROCPRIM_400000_NS6detail17trampoline_kernelINS0_14default_configENS1_27lower_bound_config_selectorIxlEEZNS1_14transform_implILb0ES3_S5_N6thrust23THRUST_200600_302600_NS6detail15normal_iteratorINS8_7pointerIxNS8_11hip_rocprim5par_tENS8_11use_defaultESE_EEEENSA_INSB_IlSD_SE_SE_EEEEZNS1_13binary_searchIS3_S5_PxSG_SI_NS1_21lower_bound_search_opENS9_16wrapped_functionI11custom_lessbEEEE10hipError_tPvRmT1_T2_T3_mmT4_T5_P12ihipStream_tbEUlRKxE_EESP_ST_SU_mSV_SY_bEUlT_E_NS1_11comp_targetILNS1_3genE2ELNS1_11target_archE906ELNS1_3gpuE6ELNS1_3repE0EEENS1_30default_config_static_selectorELNS0_4arch9wavefront6targetE1EEEvSS_.numbered_sgpr, 18
	.set _ZN7rocprim17ROCPRIM_400000_NS6detail17trampoline_kernelINS0_14default_configENS1_27lower_bound_config_selectorIxlEEZNS1_14transform_implILb0ES3_S5_N6thrust23THRUST_200600_302600_NS6detail15normal_iteratorINS8_7pointerIxNS8_11hip_rocprim5par_tENS8_11use_defaultESE_EEEENSA_INSB_IlSD_SE_SE_EEEEZNS1_13binary_searchIS3_S5_PxSG_SI_NS1_21lower_bound_search_opENS9_16wrapped_functionI11custom_lessbEEEE10hipError_tPvRmT1_T2_T3_mmT4_T5_P12ihipStream_tbEUlRKxE_EESP_ST_SU_mSV_SY_bEUlT_E_NS1_11comp_targetILNS1_3genE2ELNS1_11target_archE906ELNS1_3gpuE6ELNS1_3repE0EEENS1_30default_config_static_selectorELNS0_4arch9wavefront6targetE1EEEvSS_.num_named_barrier, 0
	.set _ZN7rocprim17ROCPRIM_400000_NS6detail17trampoline_kernelINS0_14default_configENS1_27lower_bound_config_selectorIxlEEZNS1_14transform_implILb0ES3_S5_N6thrust23THRUST_200600_302600_NS6detail15normal_iteratorINS8_7pointerIxNS8_11hip_rocprim5par_tENS8_11use_defaultESE_EEEENSA_INSB_IlSD_SE_SE_EEEEZNS1_13binary_searchIS3_S5_PxSG_SI_NS1_21lower_bound_search_opENS9_16wrapped_functionI11custom_lessbEEEE10hipError_tPvRmT1_T2_T3_mmT4_T5_P12ihipStream_tbEUlRKxE_EESP_ST_SU_mSV_SY_bEUlT_E_NS1_11comp_targetILNS1_3genE2ELNS1_11target_archE906ELNS1_3gpuE6ELNS1_3repE0EEENS1_30default_config_static_selectorELNS0_4arch9wavefront6targetE1EEEvSS_.private_seg_size, 0
	.set _ZN7rocprim17ROCPRIM_400000_NS6detail17trampoline_kernelINS0_14default_configENS1_27lower_bound_config_selectorIxlEEZNS1_14transform_implILb0ES3_S5_N6thrust23THRUST_200600_302600_NS6detail15normal_iteratorINS8_7pointerIxNS8_11hip_rocprim5par_tENS8_11use_defaultESE_EEEENSA_INSB_IlSD_SE_SE_EEEEZNS1_13binary_searchIS3_S5_PxSG_SI_NS1_21lower_bound_search_opENS9_16wrapped_functionI11custom_lessbEEEE10hipError_tPvRmT1_T2_T3_mmT4_T5_P12ihipStream_tbEUlRKxE_EESP_ST_SU_mSV_SY_bEUlT_E_NS1_11comp_targetILNS1_3genE2ELNS1_11target_archE906ELNS1_3gpuE6ELNS1_3repE0EEENS1_30default_config_static_selectorELNS0_4arch9wavefront6targetE1EEEvSS_.uses_vcc, 1
	.set _ZN7rocprim17ROCPRIM_400000_NS6detail17trampoline_kernelINS0_14default_configENS1_27lower_bound_config_selectorIxlEEZNS1_14transform_implILb0ES3_S5_N6thrust23THRUST_200600_302600_NS6detail15normal_iteratorINS8_7pointerIxNS8_11hip_rocprim5par_tENS8_11use_defaultESE_EEEENSA_INSB_IlSD_SE_SE_EEEEZNS1_13binary_searchIS3_S5_PxSG_SI_NS1_21lower_bound_search_opENS9_16wrapped_functionI11custom_lessbEEEE10hipError_tPvRmT1_T2_T3_mmT4_T5_P12ihipStream_tbEUlRKxE_EESP_ST_SU_mSV_SY_bEUlT_E_NS1_11comp_targetILNS1_3genE2ELNS1_11target_archE906ELNS1_3gpuE6ELNS1_3repE0EEENS1_30default_config_static_selectorELNS0_4arch9wavefront6targetE1EEEvSS_.uses_flat_scratch, 0
	.set _ZN7rocprim17ROCPRIM_400000_NS6detail17trampoline_kernelINS0_14default_configENS1_27lower_bound_config_selectorIxlEEZNS1_14transform_implILb0ES3_S5_N6thrust23THRUST_200600_302600_NS6detail15normal_iteratorINS8_7pointerIxNS8_11hip_rocprim5par_tENS8_11use_defaultESE_EEEENSA_INSB_IlSD_SE_SE_EEEEZNS1_13binary_searchIS3_S5_PxSG_SI_NS1_21lower_bound_search_opENS9_16wrapped_functionI11custom_lessbEEEE10hipError_tPvRmT1_T2_T3_mmT4_T5_P12ihipStream_tbEUlRKxE_EESP_ST_SU_mSV_SY_bEUlT_E_NS1_11comp_targetILNS1_3genE2ELNS1_11target_archE906ELNS1_3gpuE6ELNS1_3repE0EEENS1_30default_config_static_selectorELNS0_4arch9wavefront6targetE1EEEvSS_.has_dyn_sized_stack, 0
	.set _ZN7rocprim17ROCPRIM_400000_NS6detail17trampoline_kernelINS0_14default_configENS1_27lower_bound_config_selectorIxlEEZNS1_14transform_implILb0ES3_S5_N6thrust23THRUST_200600_302600_NS6detail15normal_iteratorINS8_7pointerIxNS8_11hip_rocprim5par_tENS8_11use_defaultESE_EEEENSA_INSB_IlSD_SE_SE_EEEEZNS1_13binary_searchIS3_S5_PxSG_SI_NS1_21lower_bound_search_opENS9_16wrapped_functionI11custom_lessbEEEE10hipError_tPvRmT1_T2_T3_mmT4_T5_P12ihipStream_tbEUlRKxE_EESP_ST_SU_mSV_SY_bEUlT_E_NS1_11comp_targetILNS1_3genE2ELNS1_11target_archE906ELNS1_3gpuE6ELNS1_3repE0EEENS1_30default_config_static_selectorELNS0_4arch9wavefront6targetE1EEEvSS_.has_recursion, 0
	.set _ZN7rocprim17ROCPRIM_400000_NS6detail17trampoline_kernelINS0_14default_configENS1_27lower_bound_config_selectorIxlEEZNS1_14transform_implILb0ES3_S5_N6thrust23THRUST_200600_302600_NS6detail15normal_iteratorINS8_7pointerIxNS8_11hip_rocprim5par_tENS8_11use_defaultESE_EEEENSA_INSB_IlSD_SE_SE_EEEEZNS1_13binary_searchIS3_S5_PxSG_SI_NS1_21lower_bound_search_opENS9_16wrapped_functionI11custom_lessbEEEE10hipError_tPvRmT1_T2_T3_mmT4_T5_P12ihipStream_tbEUlRKxE_EESP_ST_SU_mSV_SY_bEUlT_E_NS1_11comp_targetILNS1_3genE2ELNS1_11target_archE906ELNS1_3gpuE6ELNS1_3repE0EEENS1_30default_config_static_selectorELNS0_4arch9wavefront6targetE1EEEvSS_.has_indirect_call, 0
	.section	.AMDGPU.csdata,"",@progbits
; Kernel info:
; codeLenInByte = 700
; TotalNumSgprs: 22
; NumVgprs: 14
; ScratchSize: 0
; MemoryBound: 0
; FloatMode: 240
; IeeeMode: 1
; LDSByteSize: 0 bytes/workgroup (compile time only)
; SGPRBlocks: 2
; VGPRBlocks: 3
; NumSGPRsForWavesPerEU: 22
; NumVGPRsForWavesPerEU: 14
; Occupancy: 10
; WaveLimiterHint : 0
; COMPUTE_PGM_RSRC2:SCRATCH_EN: 0
; COMPUTE_PGM_RSRC2:USER_SGPR: 6
; COMPUTE_PGM_RSRC2:TRAP_HANDLER: 0
; COMPUTE_PGM_RSRC2:TGID_X_EN: 1
; COMPUTE_PGM_RSRC2:TGID_Y_EN: 0
; COMPUTE_PGM_RSRC2:TGID_Z_EN: 0
; COMPUTE_PGM_RSRC2:TIDIG_COMP_CNT: 0
	.section	.text._ZN7rocprim17ROCPRIM_400000_NS6detail17trampoline_kernelINS0_14default_configENS1_27lower_bound_config_selectorIxlEEZNS1_14transform_implILb0ES3_S5_N6thrust23THRUST_200600_302600_NS6detail15normal_iteratorINS8_7pointerIxNS8_11hip_rocprim5par_tENS8_11use_defaultESE_EEEENSA_INSB_IlSD_SE_SE_EEEEZNS1_13binary_searchIS3_S5_PxSG_SI_NS1_21lower_bound_search_opENS9_16wrapped_functionI11custom_lessbEEEE10hipError_tPvRmT1_T2_T3_mmT4_T5_P12ihipStream_tbEUlRKxE_EESP_ST_SU_mSV_SY_bEUlT_E_NS1_11comp_targetILNS1_3genE10ELNS1_11target_archE1201ELNS1_3gpuE5ELNS1_3repE0EEENS1_30default_config_static_selectorELNS0_4arch9wavefront6targetE1EEEvSS_,"axG",@progbits,_ZN7rocprim17ROCPRIM_400000_NS6detail17trampoline_kernelINS0_14default_configENS1_27lower_bound_config_selectorIxlEEZNS1_14transform_implILb0ES3_S5_N6thrust23THRUST_200600_302600_NS6detail15normal_iteratorINS8_7pointerIxNS8_11hip_rocprim5par_tENS8_11use_defaultESE_EEEENSA_INSB_IlSD_SE_SE_EEEEZNS1_13binary_searchIS3_S5_PxSG_SI_NS1_21lower_bound_search_opENS9_16wrapped_functionI11custom_lessbEEEE10hipError_tPvRmT1_T2_T3_mmT4_T5_P12ihipStream_tbEUlRKxE_EESP_ST_SU_mSV_SY_bEUlT_E_NS1_11comp_targetILNS1_3genE10ELNS1_11target_archE1201ELNS1_3gpuE5ELNS1_3repE0EEENS1_30default_config_static_selectorELNS0_4arch9wavefront6targetE1EEEvSS_,comdat
	.protected	_ZN7rocprim17ROCPRIM_400000_NS6detail17trampoline_kernelINS0_14default_configENS1_27lower_bound_config_selectorIxlEEZNS1_14transform_implILb0ES3_S5_N6thrust23THRUST_200600_302600_NS6detail15normal_iteratorINS8_7pointerIxNS8_11hip_rocprim5par_tENS8_11use_defaultESE_EEEENSA_INSB_IlSD_SE_SE_EEEEZNS1_13binary_searchIS3_S5_PxSG_SI_NS1_21lower_bound_search_opENS9_16wrapped_functionI11custom_lessbEEEE10hipError_tPvRmT1_T2_T3_mmT4_T5_P12ihipStream_tbEUlRKxE_EESP_ST_SU_mSV_SY_bEUlT_E_NS1_11comp_targetILNS1_3genE10ELNS1_11target_archE1201ELNS1_3gpuE5ELNS1_3repE0EEENS1_30default_config_static_selectorELNS0_4arch9wavefront6targetE1EEEvSS_ ; -- Begin function _ZN7rocprim17ROCPRIM_400000_NS6detail17trampoline_kernelINS0_14default_configENS1_27lower_bound_config_selectorIxlEEZNS1_14transform_implILb0ES3_S5_N6thrust23THRUST_200600_302600_NS6detail15normal_iteratorINS8_7pointerIxNS8_11hip_rocprim5par_tENS8_11use_defaultESE_EEEENSA_INSB_IlSD_SE_SE_EEEEZNS1_13binary_searchIS3_S5_PxSG_SI_NS1_21lower_bound_search_opENS9_16wrapped_functionI11custom_lessbEEEE10hipError_tPvRmT1_T2_T3_mmT4_T5_P12ihipStream_tbEUlRKxE_EESP_ST_SU_mSV_SY_bEUlT_E_NS1_11comp_targetILNS1_3genE10ELNS1_11target_archE1201ELNS1_3gpuE5ELNS1_3repE0EEENS1_30default_config_static_selectorELNS0_4arch9wavefront6targetE1EEEvSS_
	.globl	_ZN7rocprim17ROCPRIM_400000_NS6detail17trampoline_kernelINS0_14default_configENS1_27lower_bound_config_selectorIxlEEZNS1_14transform_implILb0ES3_S5_N6thrust23THRUST_200600_302600_NS6detail15normal_iteratorINS8_7pointerIxNS8_11hip_rocprim5par_tENS8_11use_defaultESE_EEEENSA_INSB_IlSD_SE_SE_EEEEZNS1_13binary_searchIS3_S5_PxSG_SI_NS1_21lower_bound_search_opENS9_16wrapped_functionI11custom_lessbEEEE10hipError_tPvRmT1_T2_T3_mmT4_T5_P12ihipStream_tbEUlRKxE_EESP_ST_SU_mSV_SY_bEUlT_E_NS1_11comp_targetILNS1_3genE10ELNS1_11target_archE1201ELNS1_3gpuE5ELNS1_3repE0EEENS1_30default_config_static_selectorELNS0_4arch9wavefront6targetE1EEEvSS_
	.p2align	8
	.type	_ZN7rocprim17ROCPRIM_400000_NS6detail17trampoline_kernelINS0_14default_configENS1_27lower_bound_config_selectorIxlEEZNS1_14transform_implILb0ES3_S5_N6thrust23THRUST_200600_302600_NS6detail15normal_iteratorINS8_7pointerIxNS8_11hip_rocprim5par_tENS8_11use_defaultESE_EEEENSA_INSB_IlSD_SE_SE_EEEEZNS1_13binary_searchIS3_S5_PxSG_SI_NS1_21lower_bound_search_opENS9_16wrapped_functionI11custom_lessbEEEE10hipError_tPvRmT1_T2_T3_mmT4_T5_P12ihipStream_tbEUlRKxE_EESP_ST_SU_mSV_SY_bEUlT_E_NS1_11comp_targetILNS1_3genE10ELNS1_11target_archE1201ELNS1_3gpuE5ELNS1_3repE0EEENS1_30default_config_static_selectorELNS0_4arch9wavefront6targetE1EEEvSS_,@function
_ZN7rocprim17ROCPRIM_400000_NS6detail17trampoline_kernelINS0_14default_configENS1_27lower_bound_config_selectorIxlEEZNS1_14transform_implILb0ES3_S5_N6thrust23THRUST_200600_302600_NS6detail15normal_iteratorINS8_7pointerIxNS8_11hip_rocprim5par_tENS8_11use_defaultESE_EEEENSA_INSB_IlSD_SE_SE_EEEEZNS1_13binary_searchIS3_S5_PxSG_SI_NS1_21lower_bound_search_opENS9_16wrapped_functionI11custom_lessbEEEE10hipError_tPvRmT1_T2_T3_mmT4_T5_P12ihipStream_tbEUlRKxE_EESP_ST_SU_mSV_SY_bEUlT_E_NS1_11comp_targetILNS1_3genE10ELNS1_11target_archE1201ELNS1_3gpuE5ELNS1_3repE0EEENS1_30default_config_static_selectorELNS0_4arch9wavefront6targetE1EEEvSS_: ; @_ZN7rocprim17ROCPRIM_400000_NS6detail17trampoline_kernelINS0_14default_configENS1_27lower_bound_config_selectorIxlEEZNS1_14transform_implILb0ES3_S5_N6thrust23THRUST_200600_302600_NS6detail15normal_iteratorINS8_7pointerIxNS8_11hip_rocprim5par_tENS8_11use_defaultESE_EEEENSA_INSB_IlSD_SE_SE_EEEEZNS1_13binary_searchIS3_S5_PxSG_SI_NS1_21lower_bound_search_opENS9_16wrapped_functionI11custom_lessbEEEE10hipError_tPvRmT1_T2_T3_mmT4_T5_P12ihipStream_tbEUlRKxE_EESP_ST_SU_mSV_SY_bEUlT_E_NS1_11comp_targetILNS1_3genE10ELNS1_11target_archE1201ELNS1_3gpuE5ELNS1_3repE0EEENS1_30default_config_static_selectorELNS0_4arch9wavefront6targetE1EEEvSS_
; %bb.0:
	.section	.rodata,"a",@progbits
	.p2align	6, 0x0
	.amdhsa_kernel _ZN7rocprim17ROCPRIM_400000_NS6detail17trampoline_kernelINS0_14default_configENS1_27lower_bound_config_selectorIxlEEZNS1_14transform_implILb0ES3_S5_N6thrust23THRUST_200600_302600_NS6detail15normal_iteratorINS8_7pointerIxNS8_11hip_rocprim5par_tENS8_11use_defaultESE_EEEENSA_INSB_IlSD_SE_SE_EEEEZNS1_13binary_searchIS3_S5_PxSG_SI_NS1_21lower_bound_search_opENS9_16wrapped_functionI11custom_lessbEEEE10hipError_tPvRmT1_T2_T3_mmT4_T5_P12ihipStream_tbEUlRKxE_EESP_ST_SU_mSV_SY_bEUlT_E_NS1_11comp_targetILNS1_3genE10ELNS1_11target_archE1201ELNS1_3gpuE5ELNS1_3repE0EEENS1_30default_config_static_selectorELNS0_4arch9wavefront6targetE1EEEvSS_
		.amdhsa_group_segment_fixed_size 0
		.amdhsa_private_segment_fixed_size 0
		.amdhsa_kernarg_size 56
		.amdhsa_user_sgpr_count 6
		.amdhsa_user_sgpr_private_segment_buffer 1
		.amdhsa_user_sgpr_dispatch_ptr 0
		.amdhsa_user_sgpr_queue_ptr 0
		.amdhsa_user_sgpr_kernarg_segment_ptr 1
		.amdhsa_user_sgpr_dispatch_id 0
		.amdhsa_user_sgpr_flat_scratch_init 0
		.amdhsa_user_sgpr_private_segment_size 0
		.amdhsa_uses_dynamic_stack 0
		.amdhsa_system_sgpr_private_segment_wavefront_offset 0
		.amdhsa_system_sgpr_workgroup_id_x 1
		.amdhsa_system_sgpr_workgroup_id_y 0
		.amdhsa_system_sgpr_workgroup_id_z 0
		.amdhsa_system_sgpr_workgroup_info 0
		.amdhsa_system_vgpr_workitem_id 0
		.amdhsa_next_free_vgpr 1
		.amdhsa_next_free_sgpr 0
		.amdhsa_reserve_vcc 0
		.amdhsa_reserve_flat_scratch 0
		.amdhsa_float_round_mode_32 0
		.amdhsa_float_round_mode_16_64 0
		.amdhsa_float_denorm_mode_32 3
		.amdhsa_float_denorm_mode_16_64 3
		.amdhsa_dx10_clamp 1
		.amdhsa_ieee_mode 1
		.amdhsa_fp16_overflow 0
		.amdhsa_exception_fp_ieee_invalid_op 0
		.amdhsa_exception_fp_denorm_src 0
		.amdhsa_exception_fp_ieee_div_zero 0
		.amdhsa_exception_fp_ieee_overflow 0
		.amdhsa_exception_fp_ieee_underflow 0
		.amdhsa_exception_fp_ieee_inexact 0
		.amdhsa_exception_int_div_zero 0
	.end_amdhsa_kernel
	.section	.text._ZN7rocprim17ROCPRIM_400000_NS6detail17trampoline_kernelINS0_14default_configENS1_27lower_bound_config_selectorIxlEEZNS1_14transform_implILb0ES3_S5_N6thrust23THRUST_200600_302600_NS6detail15normal_iteratorINS8_7pointerIxNS8_11hip_rocprim5par_tENS8_11use_defaultESE_EEEENSA_INSB_IlSD_SE_SE_EEEEZNS1_13binary_searchIS3_S5_PxSG_SI_NS1_21lower_bound_search_opENS9_16wrapped_functionI11custom_lessbEEEE10hipError_tPvRmT1_T2_T3_mmT4_T5_P12ihipStream_tbEUlRKxE_EESP_ST_SU_mSV_SY_bEUlT_E_NS1_11comp_targetILNS1_3genE10ELNS1_11target_archE1201ELNS1_3gpuE5ELNS1_3repE0EEENS1_30default_config_static_selectorELNS0_4arch9wavefront6targetE1EEEvSS_,"axG",@progbits,_ZN7rocprim17ROCPRIM_400000_NS6detail17trampoline_kernelINS0_14default_configENS1_27lower_bound_config_selectorIxlEEZNS1_14transform_implILb0ES3_S5_N6thrust23THRUST_200600_302600_NS6detail15normal_iteratorINS8_7pointerIxNS8_11hip_rocprim5par_tENS8_11use_defaultESE_EEEENSA_INSB_IlSD_SE_SE_EEEEZNS1_13binary_searchIS3_S5_PxSG_SI_NS1_21lower_bound_search_opENS9_16wrapped_functionI11custom_lessbEEEE10hipError_tPvRmT1_T2_T3_mmT4_T5_P12ihipStream_tbEUlRKxE_EESP_ST_SU_mSV_SY_bEUlT_E_NS1_11comp_targetILNS1_3genE10ELNS1_11target_archE1201ELNS1_3gpuE5ELNS1_3repE0EEENS1_30default_config_static_selectorELNS0_4arch9wavefront6targetE1EEEvSS_,comdat
.Lfunc_end109:
	.size	_ZN7rocprim17ROCPRIM_400000_NS6detail17trampoline_kernelINS0_14default_configENS1_27lower_bound_config_selectorIxlEEZNS1_14transform_implILb0ES3_S5_N6thrust23THRUST_200600_302600_NS6detail15normal_iteratorINS8_7pointerIxNS8_11hip_rocprim5par_tENS8_11use_defaultESE_EEEENSA_INSB_IlSD_SE_SE_EEEEZNS1_13binary_searchIS3_S5_PxSG_SI_NS1_21lower_bound_search_opENS9_16wrapped_functionI11custom_lessbEEEE10hipError_tPvRmT1_T2_T3_mmT4_T5_P12ihipStream_tbEUlRKxE_EESP_ST_SU_mSV_SY_bEUlT_E_NS1_11comp_targetILNS1_3genE10ELNS1_11target_archE1201ELNS1_3gpuE5ELNS1_3repE0EEENS1_30default_config_static_selectorELNS0_4arch9wavefront6targetE1EEEvSS_, .Lfunc_end109-_ZN7rocprim17ROCPRIM_400000_NS6detail17trampoline_kernelINS0_14default_configENS1_27lower_bound_config_selectorIxlEEZNS1_14transform_implILb0ES3_S5_N6thrust23THRUST_200600_302600_NS6detail15normal_iteratorINS8_7pointerIxNS8_11hip_rocprim5par_tENS8_11use_defaultESE_EEEENSA_INSB_IlSD_SE_SE_EEEEZNS1_13binary_searchIS3_S5_PxSG_SI_NS1_21lower_bound_search_opENS9_16wrapped_functionI11custom_lessbEEEE10hipError_tPvRmT1_T2_T3_mmT4_T5_P12ihipStream_tbEUlRKxE_EESP_ST_SU_mSV_SY_bEUlT_E_NS1_11comp_targetILNS1_3genE10ELNS1_11target_archE1201ELNS1_3gpuE5ELNS1_3repE0EEENS1_30default_config_static_selectorELNS0_4arch9wavefront6targetE1EEEvSS_
                                        ; -- End function
	.set _ZN7rocprim17ROCPRIM_400000_NS6detail17trampoline_kernelINS0_14default_configENS1_27lower_bound_config_selectorIxlEEZNS1_14transform_implILb0ES3_S5_N6thrust23THRUST_200600_302600_NS6detail15normal_iteratorINS8_7pointerIxNS8_11hip_rocprim5par_tENS8_11use_defaultESE_EEEENSA_INSB_IlSD_SE_SE_EEEEZNS1_13binary_searchIS3_S5_PxSG_SI_NS1_21lower_bound_search_opENS9_16wrapped_functionI11custom_lessbEEEE10hipError_tPvRmT1_T2_T3_mmT4_T5_P12ihipStream_tbEUlRKxE_EESP_ST_SU_mSV_SY_bEUlT_E_NS1_11comp_targetILNS1_3genE10ELNS1_11target_archE1201ELNS1_3gpuE5ELNS1_3repE0EEENS1_30default_config_static_selectorELNS0_4arch9wavefront6targetE1EEEvSS_.num_vgpr, 0
	.set _ZN7rocprim17ROCPRIM_400000_NS6detail17trampoline_kernelINS0_14default_configENS1_27lower_bound_config_selectorIxlEEZNS1_14transform_implILb0ES3_S5_N6thrust23THRUST_200600_302600_NS6detail15normal_iteratorINS8_7pointerIxNS8_11hip_rocprim5par_tENS8_11use_defaultESE_EEEENSA_INSB_IlSD_SE_SE_EEEEZNS1_13binary_searchIS3_S5_PxSG_SI_NS1_21lower_bound_search_opENS9_16wrapped_functionI11custom_lessbEEEE10hipError_tPvRmT1_T2_T3_mmT4_T5_P12ihipStream_tbEUlRKxE_EESP_ST_SU_mSV_SY_bEUlT_E_NS1_11comp_targetILNS1_3genE10ELNS1_11target_archE1201ELNS1_3gpuE5ELNS1_3repE0EEENS1_30default_config_static_selectorELNS0_4arch9wavefront6targetE1EEEvSS_.num_agpr, 0
	.set _ZN7rocprim17ROCPRIM_400000_NS6detail17trampoline_kernelINS0_14default_configENS1_27lower_bound_config_selectorIxlEEZNS1_14transform_implILb0ES3_S5_N6thrust23THRUST_200600_302600_NS6detail15normal_iteratorINS8_7pointerIxNS8_11hip_rocprim5par_tENS8_11use_defaultESE_EEEENSA_INSB_IlSD_SE_SE_EEEEZNS1_13binary_searchIS3_S5_PxSG_SI_NS1_21lower_bound_search_opENS9_16wrapped_functionI11custom_lessbEEEE10hipError_tPvRmT1_T2_T3_mmT4_T5_P12ihipStream_tbEUlRKxE_EESP_ST_SU_mSV_SY_bEUlT_E_NS1_11comp_targetILNS1_3genE10ELNS1_11target_archE1201ELNS1_3gpuE5ELNS1_3repE0EEENS1_30default_config_static_selectorELNS0_4arch9wavefront6targetE1EEEvSS_.numbered_sgpr, 0
	.set _ZN7rocprim17ROCPRIM_400000_NS6detail17trampoline_kernelINS0_14default_configENS1_27lower_bound_config_selectorIxlEEZNS1_14transform_implILb0ES3_S5_N6thrust23THRUST_200600_302600_NS6detail15normal_iteratorINS8_7pointerIxNS8_11hip_rocprim5par_tENS8_11use_defaultESE_EEEENSA_INSB_IlSD_SE_SE_EEEEZNS1_13binary_searchIS3_S5_PxSG_SI_NS1_21lower_bound_search_opENS9_16wrapped_functionI11custom_lessbEEEE10hipError_tPvRmT1_T2_T3_mmT4_T5_P12ihipStream_tbEUlRKxE_EESP_ST_SU_mSV_SY_bEUlT_E_NS1_11comp_targetILNS1_3genE10ELNS1_11target_archE1201ELNS1_3gpuE5ELNS1_3repE0EEENS1_30default_config_static_selectorELNS0_4arch9wavefront6targetE1EEEvSS_.num_named_barrier, 0
	.set _ZN7rocprim17ROCPRIM_400000_NS6detail17trampoline_kernelINS0_14default_configENS1_27lower_bound_config_selectorIxlEEZNS1_14transform_implILb0ES3_S5_N6thrust23THRUST_200600_302600_NS6detail15normal_iteratorINS8_7pointerIxNS8_11hip_rocprim5par_tENS8_11use_defaultESE_EEEENSA_INSB_IlSD_SE_SE_EEEEZNS1_13binary_searchIS3_S5_PxSG_SI_NS1_21lower_bound_search_opENS9_16wrapped_functionI11custom_lessbEEEE10hipError_tPvRmT1_T2_T3_mmT4_T5_P12ihipStream_tbEUlRKxE_EESP_ST_SU_mSV_SY_bEUlT_E_NS1_11comp_targetILNS1_3genE10ELNS1_11target_archE1201ELNS1_3gpuE5ELNS1_3repE0EEENS1_30default_config_static_selectorELNS0_4arch9wavefront6targetE1EEEvSS_.private_seg_size, 0
	.set _ZN7rocprim17ROCPRIM_400000_NS6detail17trampoline_kernelINS0_14default_configENS1_27lower_bound_config_selectorIxlEEZNS1_14transform_implILb0ES3_S5_N6thrust23THRUST_200600_302600_NS6detail15normal_iteratorINS8_7pointerIxNS8_11hip_rocprim5par_tENS8_11use_defaultESE_EEEENSA_INSB_IlSD_SE_SE_EEEEZNS1_13binary_searchIS3_S5_PxSG_SI_NS1_21lower_bound_search_opENS9_16wrapped_functionI11custom_lessbEEEE10hipError_tPvRmT1_T2_T3_mmT4_T5_P12ihipStream_tbEUlRKxE_EESP_ST_SU_mSV_SY_bEUlT_E_NS1_11comp_targetILNS1_3genE10ELNS1_11target_archE1201ELNS1_3gpuE5ELNS1_3repE0EEENS1_30default_config_static_selectorELNS0_4arch9wavefront6targetE1EEEvSS_.uses_vcc, 0
	.set _ZN7rocprim17ROCPRIM_400000_NS6detail17trampoline_kernelINS0_14default_configENS1_27lower_bound_config_selectorIxlEEZNS1_14transform_implILb0ES3_S5_N6thrust23THRUST_200600_302600_NS6detail15normal_iteratorINS8_7pointerIxNS8_11hip_rocprim5par_tENS8_11use_defaultESE_EEEENSA_INSB_IlSD_SE_SE_EEEEZNS1_13binary_searchIS3_S5_PxSG_SI_NS1_21lower_bound_search_opENS9_16wrapped_functionI11custom_lessbEEEE10hipError_tPvRmT1_T2_T3_mmT4_T5_P12ihipStream_tbEUlRKxE_EESP_ST_SU_mSV_SY_bEUlT_E_NS1_11comp_targetILNS1_3genE10ELNS1_11target_archE1201ELNS1_3gpuE5ELNS1_3repE0EEENS1_30default_config_static_selectorELNS0_4arch9wavefront6targetE1EEEvSS_.uses_flat_scratch, 0
	.set _ZN7rocprim17ROCPRIM_400000_NS6detail17trampoline_kernelINS0_14default_configENS1_27lower_bound_config_selectorIxlEEZNS1_14transform_implILb0ES3_S5_N6thrust23THRUST_200600_302600_NS6detail15normal_iteratorINS8_7pointerIxNS8_11hip_rocprim5par_tENS8_11use_defaultESE_EEEENSA_INSB_IlSD_SE_SE_EEEEZNS1_13binary_searchIS3_S5_PxSG_SI_NS1_21lower_bound_search_opENS9_16wrapped_functionI11custom_lessbEEEE10hipError_tPvRmT1_T2_T3_mmT4_T5_P12ihipStream_tbEUlRKxE_EESP_ST_SU_mSV_SY_bEUlT_E_NS1_11comp_targetILNS1_3genE10ELNS1_11target_archE1201ELNS1_3gpuE5ELNS1_3repE0EEENS1_30default_config_static_selectorELNS0_4arch9wavefront6targetE1EEEvSS_.has_dyn_sized_stack, 0
	.set _ZN7rocprim17ROCPRIM_400000_NS6detail17trampoline_kernelINS0_14default_configENS1_27lower_bound_config_selectorIxlEEZNS1_14transform_implILb0ES3_S5_N6thrust23THRUST_200600_302600_NS6detail15normal_iteratorINS8_7pointerIxNS8_11hip_rocprim5par_tENS8_11use_defaultESE_EEEENSA_INSB_IlSD_SE_SE_EEEEZNS1_13binary_searchIS3_S5_PxSG_SI_NS1_21lower_bound_search_opENS9_16wrapped_functionI11custom_lessbEEEE10hipError_tPvRmT1_T2_T3_mmT4_T5_P12ihipStream_tbEUlRKxE_EESP_ST_SU_mSV_SY_bEUlT_E_NS1_11comp_targetILNS1_3genE10ELNS1_11target_archE1201ELNS1_3gpuE5ELNS1_3repE0EEENS1_30default_config_static_selectorELNS0_4arch9wavefront6targetE1EEEvSS_.has_recursion, 0
	.set _ZN7rocprim17ROCPRIM_400000_NS6detail17trampoline_kernelINS0_14default_configENS1_27lower_bound_config_selectorIxlEEZNS1_14transform_implILb0ES3_S5_N6thrust23THRUST_200600_302600_NS6detail15normal_iteratorINS8_7pointerIxNS8_11hip_rocprim5par_tENS8_11use_defaultESE_EEEENSA_INSB_IlSD_SE_SE_EEEEZNS1_13binary_searchIS3_S5_PxSG_SI_NS1_21lower_bound_search_opENS9_16wrapped_functionI11custom_lessbEEEE10hipError_tPvRmT1_T2_T3_mmT4_T5_P12ihipStream_tbEUlRKxE_EESP_ST_SU_mSV_SY_bEUlT_E_NS1_11comp_targetILNS1_3genE10ELNS1_11target_archE1201ELNS1_3gpuE5ELNS1_3repE0EEENS1_30default_config_static_selectorELNS0_4arch9wavefront6targetE1EEEvSS_.has_indirect_call, 0
	.section	.AMDGPU.csdata,"",@progbits
; Kernel info:
; codeLenInByte = 0
; TotalNumSgprs: 4
; NumVgprs: 0
; ScratchSize: 0
; MemoryBound: 0
; FloatMode: 240
; IeeeMode: 1
; LDSByteSize: 0 bytes/workgroup (compile time only)
; SGPRBlocks: 0
; VGPRBlocks: 0
; NumSGPRsForWavesPerEU: 4
; NumVGPRsForWavesPerEU: 1
; Occupancy: 10
; WaveLimiterHint : 0
; COMPUTE_PGM_RSRC2:SCRATCH_EN: 0
; COMPUTE_PGM_RSRC2:USER_SGPR: 6
; COMPUTE_PGM_RSRC2:TRAP_HANDLER: 0
; COMPUTE_PGM_RSRC2:TGID_X_EN: 1
; COMPUTE_PGM_RSRC2:TGID_Y_EN: 0
; COMPUTE_PGM_RSRC2:TGID_Z_EN: 0
; COMPUTE_PGM_RSRC2:TIDIG_COMP_CNT: 0
	.section	.text._ZN7rocprim17ROCPRIM_400000_NS6detail17trampoline_kernelINS0_14default_configENS1_27lower_bound_config_selectorIxlEEZNS1_14transform_implILb0ES3_S5_N6thrust23THRUST_200600_302600_NS6detail15normal_iteratorINS8_7pointerIxNS8_11hip_rocprim5par_tENS8_11use_defaultESE_EEEENSA_INSB_IlSD_SE_SE_EEEEZNS1_13binary_searchIS3_S5_PxSG_SI_NS1_21lower_bound_search_opENS9_16wrapped_functionI11custom_lessbEEEE10hipError_tPvRmT1_T2_T3_mmT4_T5_P12ihipStream_tbEUlRKxE_EESP_ST_SU_mSV_SY_bEUlT_E_NS1_11comp_targetILNS1_3genE10ELNS1_11target_archE1200ELNS1_3gpuE4ELNS1_3repE0EEENS1_30default_config_static_selectorELNS0_4arch9wavefront6targetE1EEEvSS_,"axG",@progbits,_ZN7rocprim17ROCPRIM_400000_NS6detail17trampoline_kernelINS0_14default_configENS1_27lower_bound_config_selectorIxlEEZNS1_14transform_implILb0ES3_S5_N6thrust23THRUST_200600_302600_NS6detail15normal_iteratorINS8_7pointerIxNS8_11hip_rocprim5par_tENS8_11use_defaultESE_EEEENSA_INSB_IlSD_SE_SE_EEEEZNS1_13binary_searchIS3_S5_PxSG_SI_NS1_21lower_bound_search_opENS9_16wrapped_functionI11custom_lessbEEEE10hipError_tPvRmT1_T2_T3_mmT4_T5_P12ihipStream_tbEUlRKxE_EESP_ST_SU_mSV_SY_bEUlT_E_NS1_11comp_targetILNS1_3genE10ELNS1_11target_archE1200ELNS1_3gpuE4ELNS1_3repE0EEENS1_30default_config_static_selectorELNS0_4arch9wavefront6targetE1EEEvSS_,comdat
	.protected	_ZN7rocprim17ROCPRIM_400000_NS6detail17trampoline_kernelINS0_14default_configENS1_27lower_bound_config_selectorIxlEEZNS1_14transform_implILb0ES3_S5_N6thrust23THRUST_200600_302600_NS6detail15normal_iteratorINS8_7pointerIxNS8_11hip_rocprim5par_tENS8_11use_defaultESE_EEEENSA_INSB_IlSD_SE_SE_EEEEZNS1_13binary_searchIS3_S5_PxSG_SI_NS1_21lower_bound_search_opENS9_16wrapped_functionI11custom_lessbEEEE10hipError_tPvRmT1_T2_T3_mmT4_T5_P12ihipStream_tbEUlRKxE_EESP_ST_SU_mSV_SY_bEUlT_E_NS1_11comp_targetILNS1_3genE10ELNS1_11target_archE1200ELNS1_3gpuE4ELNS1_3repE0EEENS1_30default_config_static_selectorELNS0_4arch9wavefront6targetE1EEEvSS_ ; -- Begin function _ZN7rocprim17ROCPRIM_400000_NS6detail17trampoline_kernelINS0_14default_configENS1_27lower_bound_config_selectorIxlEEZNS1_14transform_implILb0ES3_S5_N6thrust23THRUST_200600_302600_NS6detail15normal_iteratorINS8_7pointerIxNS8_11hip_rocprim5par_tENS8_11use_defaultESE_EEEENSA_INSB_IlSD_SE_SE_EEEEZNS1_13binary_searchIS3_S5_PxSG_SI_NS1_21lower_bound_search_opENS9_16wrapped_functionI11custom_lessbEEEE10hipError_tPvRmT1_T2_T3_mmT4_T5_P12ihipStream_tbEUlRKxE_EESP_ST_SU_mSV_SY_bEUlT_E_NS1_11comp_targetILNS1_3genE10ELNS1_11target_archE1200ELNS1_3gpuE4ELNS1_3repE0EEENS1_30default_config_static_selectorELNS0_4arch9wavefront6targetE1EEEvSS_
	.globl	_ZN7rocprim17ROCPRIM_400000_NS6detail17trampoline_kernelINS0_14default_configENS1_27lower_bound_config_selectorIxlEEZNS1_14transform_implILb0ES3_S5_N6thrust23THRUST_200600_302600_NS6detail15normal_iteratorINS8_7pointerIxNS8_11hip_rocprim5par_tENS8_11use_defaultESE_EEEENSA_INSB_IlSD_SE_SE_EEEEZNS1_13binary_searchIS3_S5_PxSG_SI_NS1_21lower_bound_search_opENS9_16wrapped_functionI11custom_lessbEEEE10hipError_tPvRmT1_T2_T3_mmT4_T5_P12ihipStream_tbEUlRKxE_EESP_ST_SU_mSV_SY_bEUlT_E_NS1_11comp_targetILNS1_3genE10ELNS1_11target_archE1200ELNS1_3gpuE4ELNS1_3repE0EEENS1_30default_config_static_selectorELNS0_4arch9wavefront6targetE1EEEvSS_
	.p2align	8
	.type	_ZN7rocprim17ROCPRIM_400000_NS6detail17trampoline_kernelINS0_14default_configENS1_27lower_bound_config_selectorIxlEEZNS1_14transform_implILb0ES3_S5_N6thrust23THRUST_200600_302600_NS6detail15normal_iteratorINS8_7pointerIxNS8_11hip_rocprim5par_tENS8_11use_defaultESE_EEEENSA_INSB_IlSD_SE_SE_EEEEZNS1_13binary_searchIS3_S5_PxSG_SI_NS1_21lower_bound_search_opENS9_16wrapped_functionI11custom_lessbEEEE10hipError_tPvRmT1_T2_T3_mmT4_T5_P12ihipStream_tbEUlRKxE_EESP_ST_SU_mSV_SY_bEUlT_E_NS1_11comp_targetILNS1_3genE10ELNS1_11target_archE1200ELNS1_3gpuE4ELNS1_3repE0EEENS1_30default_config_static_selectorELNS0_4arch9wavefront6targetE1EEEvSS_,@function
_ZN7rocprim17ROCPRIM_400000_NS6detail17trampoline_kernelINS0_14default_configENS1_27lower_bound_config_selectorIxlEEZNS1_14transform_implILb0ES3_S5_N6thrust23THRUST_200600_302600_NS6detail15normal_iteratorINS8_7pointerIxNS8_11hip_rocprim5par_tENS8_11use_defaultESE_EEEENSA_INSB_IlSD_SE_SE_EEEEZNS1_13binary_searchIS3_S5_PxSG_SI_NS1_21lower_bound_search_opENS9_16wrapped_functionI11custom_lessbEEEE10hipError_tPvRmT1_T2_T3_mmT4_T5_P12ihipStream_tbEUlRKxE_EESP_ST_SU_mSV_SY_bEUlT_E_NS1_11comp_targetILNS1_3genE10ELNS1_11target_archE1200ELNS1_3gpuE4ELNS1_3repE0EEENS1_30default_config_static_selectorELNS0_4arch9wavefront6targetE1EEEvSS_: ; @_ZN7rocprim17ROCPRIM_400000_NS6detail17trampoline_kernelINS0_14default_configENS1_27lower_bound_config_selectorIxlEEZNS1_14transform_implILb0ES3_S5_N6thrust23THRUST_200600_302600_NS6detail15normal_iteratorINS8_7pointerIxNS8_11hip_rocprim5par_tENS8_11use_defaultESE_EEEENSA_INSB_IlSD_SE_SE_EEEEZNS1_13binary_searchIS3_S5_PxSG_SI_NS1_21lower_bound_search_opENS9_16wrapped_functionI11custom_lessbEEEE10hipError_tPvRmT1_T2_T3_mmT4_T5_P12ihipStream_tbEUlRKxE_EESP_ST_SU_mSV_SY_bEUlT_E_NS1_11comp_targetILNS1_3genE10ELNS1_11target_archE1200ELNS1_3gpuE4ELNS1_3repE0EEENS1_30default_config_static_selectorELNS0_4arch9wavefront6targetE1EEEvSS_
; %bb.0:
	.section	.rodata,"a",@progbits
	.p2align	6, 0x0
	.amdhsa_kernel _ZN7rocprim17ROCPRIM_400000_NS6detail17trampoline_kernelINS0_14default_configENS1_27lower_bound_config_selectorIxlEEZNS1_14transform_implILb0ES3_S5_N6thrust23THRUST_200600_302600_NS6detail15normal_iteratorINS8_7pointerIxNS8_11hip_rocprim5par_tENS8_11use_defaultESE_EEEENSA_INSB_IlSD_SE_SE_EEEEZNS1_13binary_searchIS3_S5_PxSG_SI_NS1_21lower_bound_search_opENS9_16wrapped_functionI11custom_lessbEEEE10hipError_tPvRmT1_T2_T3_mmT4_T5_P12ihipStream_tbEUlRKxE_EESP_ST_SU_mSV_SY_bEUlT_E_NS1_11comp_targetILNS1_3genE10ELNS1_11target_archE1200ELNS1_3gpuE4ELNS1_3repE0EEENS1_30default_config_static_selectorELNS0_4arch9wavefront6targetE1EEEvSS_
		.amdhsa_group_segment_fixed_size 0
		.amdhsa_private_segment_fixed_size 0
		.amdhsa_kernarg_size 56
		.amdhsa_user_sgpr_count 6
		.amdhsa_user_sgpr_private_segment_buffer 1
		.amdhsa_user_sgpr_dispatch_ptr 0
		.amdhsa_user_sgpr_queue_ptr 0
		.amdhsa_user_sgpr_kernarg_segment_ptr 1
		.amdhsa_user_sgpr_dispatch_id 0
		.amdhsa_user_sgpr_flat_scratch_init 0
		.amdhsa_user_sgpr_private_segment_size 0
		.amdhsa_uses_dynamic_stack 0
		.amdhsa_system_sgpr_private_segment_wavefront_offset 0
		.amdhsa_system_sgpr_workgroup_id_x 1
		.amdhsa_system_sgpr_workgroup_id_y 0
		.amdhsa_system_sgpr_workgroup_id_z 0
		.amdhsa_system_sgpr_workgroup_info 0
		.amdhsa_system_vgpr_workitem_id 0
		.amdhsa_next_free_vgpr 1
		.amdhsa_next_free_sgpr 0
		.amdhsa_reserve_vcc 0
		.amdhsa_reserve_flat_scratch 0
		.amdhsa_float_round_mode_32 0
		.amdhsa_float_round_mode_16_64 0
		.amdhsa_float_denorm_mode_32 3
		.amdhsa_float_denorm_mode_16_64 3
		.amdhsa_dx10_clamp 1
		.amdhsa_ieee_mode 1
		.amdhsa_fp16_overflow 0
		.amdhsa_exception_fp_ieee_invalid_op 0
		.amdhsa_exception_fp_denorm_src 0
		.amdhsa_exception_fp_ieee_div_zero 0
		.amdhsa_exception_fp_ieee_overflow 0
		.amdhsa_exception_fp_ieee_underflow 0
		.amdhsa_exception_fp_ieee_inexact 0
		.amdhsa_exception_int_div_zero 0
	.end_amdhsa_kernel
	.section	.text._ZN7rocprim17ROCPRIM_400000_NS6detail17trampoline_kernelINS0_14default_configENS1_27lower_bound_config_selectorIxlEEZNS1_14transform_implILb0ES3_S5_N6thrust23THRUST_200600_302600_NS6detail15normal_iteratorINS8_7pointerIxNS8_11hip_rocprim5par_tENS8_11use_defaultESE_EEEENSA_INSB_IlSD_SE_SE_EEEEZNS1_13binary_searchIS3_S5_PxSG_SI_NS1_21lower_bound_search_opENS9_16wrapped_functionI11custom_lessbEEEE10hipError_tPvRmT1_T2_T3_mmT4_T5_P12ihipStream_tbEUlRKxE_EESP_ST_SU_mSV_SY_bEUlT_E_NS1_11comp_targetILNS1_3genE10ELNS1_11target_archE1200ELNS1_3gpuE4ELNS1_3repE0EEENS1_30default_config_static_selectorELNS0_4arch9wavefront6targetE1EEEvSS_,"axG",@progbits,_ZN7rocprim17ROCPRIM_400000_NS6detail17trampoline_kernelINS0_14default_configENS1_27lower_bound_config_selectorIxlEEZNS1_14transform_implILb0ES3_S5_N6thrust23THRUST_200600_302600_NS6detail15normal_iteratorINS8_7pointerIxNS8_11hip_rocprim5par_tENS8_11use_defaultESE_EEEENSA_INSB_IlSD_SE_SE_EEEEZNS1_13binary_searchIS3_S5_PxSG_SI_NS1_21lower_bound_search_opENS9_16wrapped_functionI11custom_lessbEEEE10hipError_tPvRmT1_T2_T3_mmT4_T5_P12ihipStream_tbEUlRKxE_EESP_ST_SU_mSV_SY_bEUlT_E_NS1_11comp_targetILNS1_3genE10ELNS1_11target_archE1200ELNS1_3gpuE4ELNS1_3repE0EEENS1_30default_config_static_selectorELNS0_4arch9wavefront6targetE1EEEvSS_,comdat
.Lfunc_end110:
	.size	_ZN7rocprim17ROCPRIM_400000_NS6detail17trampoline_kernelINS0_14default_configENS1_27lower_bound_config_selectorIxlEEZNS1_14transform_implILb0ES3_S5_N6thrust23THRUST_200600_302600_NS6detail15normal_iteratorINS8_7pointerIxNS8_11hip_rocprim5par_tENS8_11use_defaultESE_EEEENSA_INSB_IlSD_SE_SE_EEEEZNS1_13binary_searchIS3_S5_PxSG_SI_NS1_21lower_bound_search_opENS9_16wrapped_functionI11custom_lessbEEEE10hipError_tPvRmT1_T2_T3_mmT4_T5_P12ihipStream_tbEUlRKxE_EESP_ST_SU_mSV_SY_bEUlT_E_NS1_11comp_targetILNS1_3genE10ELNS1_11target_archE1200ELNS1_3gpuE4ELNS1_3repE0EEENS1_30default_config_static_selectorELNS0_4arch9wavefront6targetE1EEEvSS_, .Lfunc_end110-_ZN7rocprim17ROCPRIM_400000_NS6detail17trampoline_kernelINS0_14default_configENS1_27lower_bound_config_selectorIxlEEZNS1_14transform_implILb0ES3_S5_N6thrust23THRUST_200600_302600_NS6detail15normal_iteratorINS8_7pointerIxNS8_11hip_rocprim5par_tENS8_11use_defaultESE_EEEENSA_INSB_IlSD_SE_SE_EEEEZNS1_13binary_searchIS3_S5_PxSG_SI_NS1_21lower_bound_search_opENS9_16wrapped_functionI11custom_lessbEEEE10hipError_tPvRmT1_T2_T3_mmT4_T5_P12ihipStream_tbEUlRKxE_EESP_ST_SU_mSV_SY_bEUlT_E_NS1_11comp_targetILNS1_3genE10ELNS1_11target_archE1200ELNS1_3gpuE4ELNS1_3repE0EEENS1_30default_config_static_selectorELNS0_4arch9wavefront6targetE1EEEvSS_
                                        ; -- End function
	.set _ZN7rocprim17ROCPRIM_400000_NS6detail17trampoline_kernelINS0_14default_configENS1_27lower_bound_config_selectorIxlEEZNS1_14transform_implILb0ES3_S5_N6thrust23THRUST_200600_302600_NS6detail15normal_iteratorINS8_7pointerIxNS8_11hip_rocprim5par_tENS8_11use_defaultESE_EEEENSA_INSB_IlSD_SE_SE_EEEEZNS1_13binary_searchIS3_S5_PxSG_SI_NS1_21lower_bound_search_opENS9_16wrapped_functionI11custom_lessbEEEE10hipError_tPvRmT1_T2_T3_mmT4_T5_P12ihipStream_tbEUlRKxE_EESP_ST_SU_mSV_SY_bEUlT_E_NS1_11comp_targetILNS1_3genE10ELNS1_11target_archE1200ELNS1_3gpuE4ELNS1_3repE0EEENS1_30default_config_static_selectorELNS0_4arch9wavefront6targetE1EEEvSS_.num_vgpr, 0
	.set _ZN7rocprim17ROCPRIM_400000_NS6detail17trampoline_kernelINS0_14default_configENS1_27lower_bound_config_selectorIxlEEZNS1_14transform_implILb0ES3_S5_N6thrust23THRUST_200600_302600_NS6detail15normal_iteratorINS8_7pointerIxNS8_11hip_rocprim5par_tENS8_11use_defaultESE_EEEENSA_INSB_IlSD_SE_SE_EEEEZNS1_13binary_searchIS3_S5_PxSG_SI_NS1_21lower_bound_search_opENS9_16wrapped_functionI11custom_lessbEEEE10hipError_tPvRmT1_T2_T3_mmT4_T5_P12ihipStream_tbEUlRKxE_EESP_ST_SU_mSV_SY_bEUlT_E_NS1_11comp_targetILNS1_3genE10ELNS1_11target_archE1200ELNS1_3gpuE4ELNS1_3repE0EEENS1_30default_config_static_selectorELNS0_4arch9wavefront6targetE1EEEvSS_.num_agpr, 0
	.set _ZN7rocprim17ROCPRIM_400000_NS6detail17trampoline_kernelINS0_14default_configENS1_27lower_bound_config_selectorIxlEEZNS1_14transform_implILb0ES3_S5_N6thrust23THRUST_200600_302600_NS6detail15normal_iteratorINS8_7pointerIxNS8_11hip_rocprim5par_tENS8_11use_defaultESE_EEEENSA_INSB_IlSD_SE_SE_EEEEZNS1_13binary_searchIS3_S5_PxSG_SI_NS1_21lower_bound_search_opENS9_16wrapped_functionI11custom_lessbEEEE10hipError_tPvRmT1_T2_T3_mmT4_T5_P12ihipStream_tbEUlRKxE_EESP_ST_SU_mSV_SY_bEUlT_E_NS1_11comp_targetILNS1_3genE10ELNS1_11target_archE1200ELNS1_3gpuE4ELNS1_3repE0EEENS1_30default_config_static_selectorELNS0_4arch9wavefront6targetE1EEEvSS_.numbered_sgpr, 0
	.set _ZN7rocprim17ROCPRIM_400000_NS6detail17trampoline_kernelINS0_14default_configENS1_27lower_bound_config_selectorIxlEEZNS1_14transform_implILb0ES3_S5_N6thrust23THRUST_200600_302600_NS6detail15normal_iteratorINS8_7pointerIxNS8_11hip_rocprim5par_tENS8_11use_defaultESE_EEEENSA_INSB_IlSD_SE_SE_EEEEZNS1_13binary_searchIS3_S5_PxSG_SI_NS1_21lower_bound_search_opENS9_16wrapped_functionI11custom_lessbEEEE10hipError_tPvRmT1_T2_T3_mmT4_T5_P12ihipStream_tbEUlRKxE_EESP_ST_SU_mSV_SY_bEUlT_E_NS1_11comp_targetILNS1_3genE10ELNS1_11target_archE1200ELNS1_3gpuE4ELNS1_3repE0EEENS1_30default_config_static_selectorELNS0_4arch9wavefront6targetE1EEEvSS_.num_named_barrier, 0
	.set _ZN7rocprim17ROCPRIM_400000_NS6detail17trampoline_kernelINS0_14default_configENS1_27lower_bound_config_selectorIxlEEZNS1_14transform_implILb0ES3_S5_N6thrust23THRUST_200600_302600_NS6detail15normal_iteratorINS8_7pointerIxNS8_11hip_rocprim5par_tENS8_11use_defaultESE_EEEENSA_INSB_IlSD_SE_SE_EEEEZNS1_13binary_searchIS3_S5_PxSG_SI_NS1_21lower_bound_search_opENS9_16wrapped_functionI11custom_lessbEEEE10hipError_tPvRmT1_T2_T3_mmT4_T5_P12ihipStream_tbEUlRKxE_EESP_ST_SU_mSV_SY_bEUlT_E_NS1_11comp_targetILNS1_3genE10ELNS1_11target_archE1200ELNS1_3gpuE4ELNS1_3repE0EEENS1_30default_config_static_selectorELNS0_4arch9wavefront6targetE1EEEvSS_.private_seg_size, 0
	.set _ZN7rocprim17ROCPRIM_400000_NS6detail17trampoline_kernelINS0_14default_configENS1_27lower_bound_config_selectorIxlEEZNS1_14transform_implILb0ES3_S5_N6thrust23THRUST_200600_302600_NS6detail15normal_iteratorINS8_7pointerIxNS8_11hip_rocprim5par_tENS8_11use_defaultESE_EEEENSA_INSB_IlSD_SE_SE_EEEEZNS1_13binary_searchIS3_S5_PxSG_SI_NS1_21lower_bound_search_opENS9_16wrapped_functionI11custom_lessbEEEE10hipError_tPvRmT1_T2_T3_mmT4_T5_P12ihipStream_tbEUlRKxE_EESP_ST_SU_mSV_SY_bEUlT_E_NS1_11comp_targetILNS1_3genE10ELNS1_11target_archE1200ELNS1_3gpuE4ELNS1_3repE0EEENS1_30default_config_static_selectorELNS0_4arch9wavefront6targetE1EEEvSS_.uses_vcc, 0
	.set _ZN7rocprim17ROCPRIM_400000_NS6detail17trampoline_kernelINS0_14default_configENS1_27lower_bound_config_selectorIxlEEZNS1_14transform_implILb0ES3_S5_N6thrust23THRUST_200600_302600_NS6detail15normal_iteratorINS8_7pointerIxNS8_11hip_rocprim5par_tENS8_11use_defaultESE_EEEENSA_INSB_IlSD_SE_SE_EEEEZNS1_13binary_searchIS3_S5_PxSG_SI_NS1_21lower_bound_search_opENS9_16wrapped_functionI11custom_lessbEEEE10hipError_tPvRmT1_T2_T3_mmT4_T5_P12ihipStream_tbEUlRKxE_EESP_ST_SU_mSV_SY_bEUlT_E_NS1_11comp_targetILNS1_3genE10ELNS1_11target_archE1200ELNS1_3gpuE4ELNS1_3repE0EEENS1_30default_config_static_selectorELNS0_4arch9wavefront6targetE1EEEvSS_.uses_flat_scratch, 0
	.set _ZN7rocprim17ROCPRIM_400000_NS6detail17trampoline_kernelINS0_14default_configENS1_27lower_bound_config_selectorIxlEEZNS1_14transform_implILb0ES3_S5_N6thrust23THRUST_200600_302600_NS6detail15normal_iteratorINS8_7pointerIxNS8_11hip_rocprim5par_tENS8_11use_defaultESE_EEEENSA_INSB_IlSD_SE_SE_EEEEZNS1_13binary_searchIS3_S5_PxSG_SI_NS1_21lower_bound_search_opENS9_16wrapped_functionI11custom_lessbEEEE10hipError_tPvRmT1_T2_T3_mmT4_T5_P12ihipStream_tbEUlRKxE_EESP_ST_SU_mSV_SY_bEUlT_E_NS1_11comp_targetILNS1_3genE10ELNS1_11target_archE1200ELNS1_3gpuE4ELNS1_3repE0EEENS1_30default_config_static_selectorELNS0_4arch9wavefront6targetE1EEEvSS_.has_dyn_sized_stack, 0
	.set _ZN7rocprim17ROCPRIM_400000_NS6detail17trampoline_kernelINS0_14default_configENS1_27lower_bound_config_selectorIxlEEZNS1_14transform_implILb0ES3_S5_N6thrust23THRUST_200600_302600_NS6detail15normal_iteratorINS8_7pointerIxNS8_11hip_rocprim5par_tENS8_11use_defaultESE_EEEENSA_INSB_IlSD_SE_SE_EEEEZNS1_13binary_searchIS3_S5_PxSG_SI_NS1_21lower_bound_search_opENS9_16wrapped_functionI11custom_lessbEEEE10hipError_tPvRmT1_T2_T3_mmT4_T5_P12ihipStream_tbEUlRKxE_EESP_ST_SU_mSV_SY_bEUlT_E_NS1_11comp_targetILNS1_3genE10ELNS1_11target_archE1200ELNS1_3gpuE4ELNS1_3repE0EEENS1_30default_config_static_selectorELNS0_4arch9wavefront6targetE1EEEvSS_.has_recursion, 0
	.set _ZN7rocprim17ROCPRIM_400000_NS6detail17trampoline_kernelINS0_14default_configENS1_27lower_bound_config_selectorIxlEEZNS1_14transform_implILb0ES3_S5_N6thrust23THRUST_200600_302600_NS6detail15normal_iteratorINS8_7pointerIxNS8_11hip_rocprim5par_tENS8_11use_defaultESE_EEEENSA_INSB_IlSD_SE_SE_EEEEZNS1_13binary_searchIS3_S5_PxSG_SI_NS1_21lower_bound_search_opENS9_16wrapped_functionI11custom_lessbEEEE10hipError_tPvRmT1_T2_T3_mmT4_T5_P12ihipStream_tbEUlRKxE_EESP_ST_SU_mSV_SY_bEUlT_E_NS1_11comp_targetILNS1_3genE10ELNS1_11target_archE1200ELNS1_3gpuE4ELNS1_3repE0EEENS1_30default_config_static_selectorELNS0_4arch9wavefront6targetE1EEEvSS_.has_indirect_call, 0
	.section	.AMDGPU.csdata,"",@progbits
; Kernel info:
; codeLenInByte = 0
; TotalNumSgprs: 4
; NumVgprs: 0
; ScratchSize: 0
; MemoryBound: 0
; FloatMode: 240
; IeeeMode: 1
; LDSByteSize: 0 bytes/workgroup (compile time only)
; SGPRBlocks: 0
; VGPRBlocks: 0
; NumSGPRsForWavesPerEU: 4
; NumVGPRsForWavesPerEU: 1
; Occupancy: 10
; WaveLimiterHint : 0
; COMPUTE_PGM_RSRC2:SCRATCH_EN: 0
; COMPUTE_PGM_RSRC2:USER_SGPR: 6
; COMPUTE_PGM_RSRC2:TRAP_HANDLER: 0
; COMPUTE_PGM_RSRC2:TGID_X_EN: 1
; COMPUTE_PGM_RSRC2:TGID_Y_EN: 0
; COMPUTE_PGM_RSRC2:TGID_Z_EN: 0
; COMPUTE_PGM_RSRC2:TIDIG_COMP_CNT: 0
	.section	.text._ZN7rocprim17ROCPRIM_400000_NS6detail17trampoline_kernelINS0_14default_configENS1_27lower_bound_config_selectorIxlEEZNS1_14transform_implILb0ES3_S5_N6thrust23THRUST_200600_302600_NS6detail15normal_iteratorINS8_7pointerIxNS8_11hip_rocprim5par_tENS8_11use_defaultESE_EEEENSA_INSB_IlSD_SE_SE_EEEEZNS1_13binary_searchIS3_S5_PxSG_SI_NS1_21lower_bound_search_opENS9_16wrapped_functionI11custom_lessbEEEE10hipError_tPvRmT1_T2_T3_mmT4_T5_P12ihipStream_tbEUlRKxE_EESP_ST_SU_mSV_SY_bEUlT_E_NS1_11comp_targetILNS1_3genE9ELNS1_11target_archE1100ELNS1_3gpuE3ELNS1_3repE0EEENS1_30default_config_static_selectorELNS0_4arch9wavefront6targetE1EEEvSS_,"axG",@progbits,_ZN7rocprim17ROCPRIM_400000_NS6detail17trampoline_kernelINS0_14default_configENS1_27lower_bound_config_selectorIxlEEZNS1_14transform_implILb0ES3_S5_N6thrust23THRUST_200600_302600_NS6detail15normal_iteratorINS8_7pointerIxNS8_11hip_rocprim5par_tENS8_11use_defaultESE_EEEENSA_INSB_IlSD_SE_SE_EEEEZNS1_13binary_searchIS3_S5_PxSG_SI_NS1_21lower_bound_search_opENS9_16wrapped_functionI11custom_lessbEEEE10hipError_tPvRmT1_T2_T3_mmT4_T5_P12ihipStream_tbEUlRKxE_EESP_ST_SU_mSV_SY_bEUlT_E_NS1_11comp_targetILNS1_3genE9ELNS1_11target_archE1100ELNS1_3gpuE3ELNS1_3repE0EEENS1_30default_config_static_selectorELNS0_4arch9wavefront6targetE1EEEvSS_,comdat
	.protected	_ZN7rocprim17ROCPRIM_400000_NS6detail17trampoline_kernelINS0_14default_configENS1_27lower_bound_config_selectorIxlEEZNS1_14transform_implILb0ES3_S5_N6thrust23THRUST_200600_302600_NS6detail15normal_iteratorINS8_7pointerIxNS8_11hip_rocprim5par_tENS8_11use_defaultESE_EEEENSA_INSB_IlSD_SE_SE_EEEEZNS1_13binary_searchIS3_S5_PxSG_SI_NS1_21lower_bound_search_opENS9_16wrapped_functionI11custom_lessbEEEE10hipError_tPvRmT1_T2_T3_mmT4_T5_P12ihipStream_tbEUlRKxE_EESP_ST_SU_mSV_SY_bEUlT_E_NS1_11comp_targetILNS1_3genE9ELNS1_11target_archE1100ELNS1_3gpuE3ELNS1_3repE0EEENS1_30default_config_static_selectorELNS0_4arch9wavefront6targetE1EEEvSS_ ; -- Begin function _ZN7rocprim17ROCPRIM_400000_NS6detail17trampoline_kernelINS0_14default_configENS1_27lower_bound_config_selectorIxlEEZNS1_14transform_implILb0ES3_S5_N6thrust23THRUST_200600_302600_NS6detail15normal_iteratorINS8_7pointerIxNS8_11hip_rocprim5par_tENS8_11use_defaultESE_EEEENSA_INSB_IlSD_SE_SE_EEEEZNS1_13binary_searchIS3_S5_PxSG_SI_NS1_21lower_bound_search_opENS9_16wrapped_functionI11custom_lessbEEEE10hipError_tPvRmT1_T2_T3_mmT4_T5_P12ihipStream_tbEUlRKxE_EESP_ST_SU_mSV_SY_bEUlT_E_NS1_11comp_targetILNS1_3genE9ELNS1_11target_archE1100ELNS1_3gpuE3ELNS1_3repE0EEENS1_30default_config_static_selectorELNS0_4arch9wavefront6targetE1EEEvSS_
	.globl	_ZN7rocprim17ROCPRIM_400000_NS6detail17trampoline_kernelINS0_14default_configENS1_27lower_bound_config_selectorIxlEEZNS1_14transform_implILb0ES3_S5_N6thrust23THRUST_200600_302600_NS6detail15normal_iteratorINS8_7pointerIxNS8_11hip_rocprim5par_tENS8_11use_defaultESE_EEEENSA_INSB_IlSD_SE_SE_EEEEZNS1_13binary_searchIS3_S5_PxSG_SI_NS1_21lower_bound_search_opENS9_16wrapped_functionI11custom_lessbEEEE10hipError_tPvRmT1_T2_T3_mmT4_T5_P12ihipStream_tbEUlRKxE_EESP_ST_SU_mSV_SY_bEUlT_E_NS1_11comp_targetILNS1_3genE9ELNS1_11target_archE1100ELNS1_3gpuE3ELNS1_3repE0EEENS1_30default_config_static_selectorELNS0_4arch9wavefront6targetE1EEEvSS_
	.p2align	8
	.type	_ZN7rocprim17ROCPRIM_400000_NS6detail17trampoline_kernelINS0_14default_configENS1_27lower_bound_config_selectorIxlEEZNS1_14transform_implILb0ES3_S5_N6thrust23THRUST_200600_302600_NS6detail15normal_iteratorINS8_7pointerIxNS8_11hip_rocprim5par_tENS8_11use_defaultESE_EEEENSA_INSB_IlSD_SE_SE_EEEEZNS1_13binary_searchIS3_S5_PxSG_SI_NS1_21lower_bound_search_opENS9_16wrapped_functionI11custom_lessbEEEE10hipError_tPvRmT1_T2_T3_mmT4_T5_P12ihipStream_tbEUlRKxE_EESP_ST_SU_mSV_SY_bEUlT_E_NS1_11comp_targetILNS1_3genE9ELNS1_11target_archE1100ELNS1_3gpuE3ELNS1_3repE0EEENS1_30default_config_static_selectorELNS0_4arch9wavefront6targetE1EEEvSS_,@function
_ZN7rocprim17ROCPRIM_400000_NS6detail17trampoline_kernelINS0_14default_configENS1_27lower_bound_config_selectorIxlEEZNS1_14transform_implILb0ES3_S5_N6thrust23THRUST_200600_302600_NS6detail15normal_iteratorINS8_7pointerIxNS8_11hip_rocprim5par_tENS8_11use_defaultESE_EEEENSA_INSB_IlSD_SE_SE_EEEEZNS1_13binary_searchIS3_S5_PxSG_SI_NS1_21lower_bound_search_opENS9_16wrapped_functionI11custom_lessbEEEE10hipError_tPvRmT1_T2_T3_mmT4_T5_P12ihipStream_tbEUlRKxE_EESP_ST_SU_mSV_SY_bEUlT_E_NS1_11comp_targetILNS1_3genE9ELNS1_11target_archE1100ELNS1_3gpuE3ELNS1_3repE0EEENS1_30default_config_static_selectorELNS0_4arch9wavefront6targetE1EEEvSS_: ; @_ZN7rocprim17ROCPRIM_400000_NS6detail17trampoline_kernelINS0_14default_configENS1_27lower_bound_config_selectorIxlEEZNS1_14transform_implILb0ES3_S5_N6thrust23THRUST_200600_302600_NS6detail15normal_iteratorINS8_7pointerIxNS8_11hip_rocprim5par_tENS8_11use_defaultESE_EEEENSA_INSB_IlSD_SE_SE_EEEEZNS1_13binary_searchIS3_S5_PxSG_SI_NS1_21lower_bound_search_opENS9_16wrapped_functionI11custom_lessbEEEE10hipError_tPvRmT1_T2_T3_mmT4_T5_P12ihipStream_tbEUlRKxE_EESP_ST_SU_mSV_SY_bEUlT_E_NS1_11comp_targetILNS1_3genE9ELNS1_11target_archE1100ELNS1_3gpuE3ELNS1_3repE0EEENS1_30default_config_static_selectorELNS0_4arch9wavefront6targetE1EEEvSS_
; %bb.0:
	.section	.rodata,"a",@progbits
	.p2align	6, 0x0
	.amdhsa_kernel _ZN7rocprim17ROCPRIM_400000_NS6detail17trampoline_kernelINS0_14default_configENS1_27lower_bound_config_selectorIxlEEZNS1_14transform_implILb0ES3_S5_N6thrust23THRUST_200600_302600_NS6detail15normal_iteratorINS8_7pointerIxNS8_11hip_rocprim5par_tENS8_11use_defaultESE_EEEENSA_INSB_IlSD_SE_SE_EEEEZNS1_13binary_searchIS3_S5_PxSG_SI_NS1_21lower_bound_search_opENS9_16wrapped_functionI11custom_lessbEEEE10hipError_tPvRmT1_T2_T3_mmT4_T5_P12ihipStream_tbEUlRKxE_EESP_ST_SU_mSV_SY_bEUlT_E_NS1_11comp_targetILNS1_3genE9ELNS1_11target_archE1100ELNS1_3gpuE3ELNS1_3repE0EEENS1_30default_config_static_selectorELNS0_4arch9wavefront6targetE1EEEvSS_
		.amdhsa_group_segment_fixed_size 0
		.amdhsa_private_segment_fixed_size 0
		.amdhsa_kernarg_size 56
		.amdhsa_user_sgpr_count 6
		.amdhsa_user_sgpr_private_segment_buffer 1
		.amdhsa_user_sgpr_dispatch_ptr 0
		.amdhsa_user_sgpr_queue_ptr 0
		.amdhsa_user_sgpr_kernarg_segment_ptr 1
		.amdhsa_user_sgpr_dispatch_id 0
		.amdhsa_user_sgpr_flat_scratch_init 0
		.amdhsa_user_sgpr_private_segment_size 0
		.amdhsa_uses_dynamic_stack 0
		.amdhsa_system_sgpr_private_segment_wavefront_offset 0
		.amdhsa_system_sgpr_workgroup_id_x 1
		.amdhsa_system_sgpr_workgroup_id_y 0
		.amdhsa_system_sgpr_workgroup_id_z 0
		.amdhsa_system_sgpr_workgroup_info 0
		.amdhsa_system_vgpr_workitem_id 0
		.amdhsa_next_free_vgpr 1
		.amdhsa_next_free_sgpr 0
		.amdhsa_reserve_vcc 0
		.amdhsa_reserve_flat_scratch 0
		.amdhsa_float_round_mode_32 0
		.amdhsa_float_round_mode_16_64 0
		.amdhsa_float_denorm_mode_32 3
		.amdhsa_float_denorm_mode_16_64 3
		.amdhsa_dx10_clamp 1
		.amdhsa_ieee_mode 1
		.amdhsa_fp16_overflow 0
		.amdhsa_exception_fp_ieee_invalid_op 0
		.amdhsa_exception_fp_denorm_src 0
		.amdhsa_exception_fp_ieee_div_zero 0
		.amdhsa_exception_fp_ieee_overflow 0
		.amdhsa_exception_fp_ieee_underflow 0
		.amdhsa_exception_fp_ieee_inexact 0
		.amdhsa_exception_int_div_zero 0
	.end_amdhsa_kernel
	.section	.text._ZN7rocprim17ROCPRIM_400000_NS6detail17trampoline_kernelINS0_14default_configENS1_27lower_bound_config_selectorIxlEEZNS1_14transform_implILb0ES3_S5_N6thrust23THRUST_200600_302600_NS6detail15normal_iteratorINS8_7pointerIxNS8_11hip_rocprim5par_tENS8_11use_defaultESE_EEEENSA_INSB_IlSD_SE_SE_EEEEZNS1_13binary_searchIS3_S5_PxSG_SI_NS1_21lower_bound_search_opENS9_16wrapped_functionI11custom_lessbEEEE10hipError_tPvRmT1_T2_T3_mmT4_T5_P12ihipStream_tbEUlRKxE_EESP_ST_SU_mSV_SY_bEUlT_E_NS1_11comp_targetILNS1_3genE9ELNS1_11target_archE1100ELNS1_3gpuE3ELNS1_3repE0EEENS1_30default_config_static_selectorELNS0_4arch9wavefront6targetE1EEEvSS_,"axG",@progbits,_ZN7rocprim17ROCPRIM_400000_NS6detail17trampoline_kernelINS0_14default_configENS1_27lower_bound_config_selectorIxlEEZNS1_14transform_implILb0ES3_S5_N6thrust23THRUST_200600_302600_NS6detail15normal_iteratorINS8_7pointerIxNS8_11hip_rocprim5par_tENS8_11use_defaultESE_EEEENSA_INSB_IlSD_SE_SE_EEEEZNS1_13binary_searchIS3_S5_PxSG_SI_NS1_21lower_bound_search_opENS9_16wrapped_functionI11custom_lessbEEEE10hipError_tPvRmT1_T2_T3_mmT4_T5_P12ihipStream_tbEUlRKxE_EESP_ST_SU_mSV_SY_bEUlT_E_NS1_11comp_targetILNS1_3genE9ELNS1_11target_archE1100ELNS1_3gpuE3ELNS1_3repE0EEENS1_30default_config_static_selectorELNS0_4arch9wavefront6targetE1EEEvSS_,comdat
.Lfunc_end111:
	.size	_ZN7rocprim17ROCPRIM_400000_NS6detail17trampoline_kernelINS0_14default_configENS1_27lower_bound_config_selectorIxlEEZNS1_14transform_implILb0ES3_S5_N6thrust23THRUST_200600_302600_NS6detail15normal_iteratorINS8_7pointerIxNS8_11hip_rocprim5par_tENS8_11use_defaultESE_EEEENSA_INSB_IlSD_SE_SE_EEEEZNS1_13binary_searchIS3_S5_PxSG_SI_NS1_21lower_bound_search_opENS9_16wrapped_functionI11custom_lessbEEEE10hipError_tPvRmT1_T2_T3_mmT4_T5_P12ihipStream_tbEUlRKxE_EESP_ST_SU_mSV_SY_bEUlT_E_NS1_11comp_targetILNS1_3genE9ELNS1_11target_archE1100ELNS1_3gpuE3ELNS1_3repE0EEENS1_30default_config_static_selectorELNS0_4arch9wavefront6targetE1EEEvSS_, .Lfunc_end111-_ZN7rocprim17ROCPRIM_400000_NS6detail17trampoline_kernelINS0_14default_configENS1_27lower_bound_config_selectorIxlEEZNS1_14transform_implILb0ES3_S5_N6thrust23THRUST_200600_302600_NS6detail15normal_iteratorINS8_7pointerIxNS8_11hip_rocprim5par_tENS8_11use_defaultESE_EEEENSA_INSB_IlSD_SE_SE_EEEEZNS1_13binary_searchIS3_S5_PxSG_SI_NS1_21lower_bound_search_opENS9_16wrapped_functionI11custom_lessbEEEE10hipError_tPvRmT1_T2_T3_mmT4_T5_P12ihipStream_tbEUlRKxE_EESP_ST_SU_mSV_SY_bEUlT_E_NS1_11comp_targetILNS1_3genE9ELNS1_11target_archE1100ELNS1_3gpuE3ELNS1_3repE0EEENS1_30default_config_static_selectorELNS0_4arch9wavefront6targetE1EEEvSS_
                                        ; -- End function
	.set _ZN7rocprim17ROCPRIM_400000_NS6detail17trampoline_kernelINS0_14default_configENS1_27lower_bound_config_selectorIxlEEZNS1_14transform_implILb0ES3_S5_N6thrust23THRUST_200600_302600_NS6detail15normal_iteratorINS8_7pointerIxNS8_11hip_rocprim5par_tENS8_11use_defaultESE_EEEENSA_INSB_IlSD_SE_SE_EEEEZNS1_13binary_searchIS3_S5_PxSG_SI_NS1_21lower_bound_search_opENS9_16wrapped_functionI11custom_lessbEEEE10hipError_tPvRmT1_T2_T3_mmT4_T5_P12ihipStream_tbEUlRKxE_EESP_ST_SU_mSV_SY_bEUlT_E_NS1_11comp_targetILNS1_3genE9ELNS1_11target_archE1100ELNS1_3gpuE3ELNS1_3repE0EEENS1_30default_config_static_selectorELNS0_4arch9wavefront6targetE1EEEvSS_.num_vgpr, 0
	.set _ZN7rocprim17ROCPRIM_400000_NS6detail17trampoline_kernelINS0_14default_configENS1_27lower_bound_config_selectorIxlEEZNS1_14transform_implILb0ES3_S5_N6thrust23THRUST_200600_302600_NS6detail15normal_iteratorINS8_7pointerIxNS8_11hip_rocprim5par_tENS8_11use_defaultESE_EEEENSA_INSB_IlSD_SE_SE_EEEEZNS1_13binary_searchIS3_S5_PxSG_SI_NS1_21lower_bound_search_opENS9_16wrapped_functionI11custom_lessbEEEE10hipError_tPvRmT1_T2_T3_mmT4_T5_P12ihipStream_tbEUlRKxE_EESP_ST_SU_mSV_SY_bEUlT_E_NS1_11comp_targetILNS1_3genE9ELNS1_11target_archE1100ELNS1_3gpuE3ELNS1_3repE0EEENS1_30default_config_static_selectorELNS0_4arch9wavefront6targetE1EEEvSS_.num_agpr, 0
	.set _ZN7rocprim17ROCPRIM_400000_NS6detail17trampoline_kernelINS0_14default_configENS1_27lower_bound_config_selectorIxlEEZNS1_14transform_implILb0ES3_S5_N6thrust23THRUST_200600_302600_NS6detail15normal_iteratorINS8_7pointerIxNS8_11hip_rocprim5par_tENS8_11use_defaultESE_EEEENSA_INSB_IlSD_SE_SE_EEEEZNS1_13binary_searchIS3_S5_PxSG_SI_NS1_21lower_bound_search_opENS9_16wrapped_functionI11custom_lessbEEEE10hipError_tPvRmT1_T2_T3_mmT4_T5_P12ihipStream_tbEUlRKxE_EESP_ST_SU_mSV_SY_bEUlT_E_NS1_11comp_targetILNS1_3genE9ELNS1_11target_archE1100ELNS1_3gpuE3ELNS1_3repE0EEENS1_30default_config_static_selectorELNS0_4arch9wavefront6targetE1EEEvSS_.numbered_sgpr, 0
	.set _ZN7rocprim17ROCPRIM_400000_NS6detail17trampoline_kernelINS0_14default_configENS1_27lower_bound_config_selectorIxlEEZNS1_14transform_implILb0ES3_S5_N6thrust23THRUST_200600_302600_NS6detail15normal_iteratorINS8_7pointerIxNS8_11hip_rocprim5par_tENS8_11use_defaultESE_EEEENSA_INSB_IlSD_SE_SE_EEEEZNS1_13binary_searchIS3_S5_PxSG_SI_NS1_21lower_bound_search_opENS9_16wrapped_functionI11custom_lessbEEEE10hipError_tPvRmT1_T2_T3_mmT4_T5_P12ihipStream_tbEUlRKxE_EESP_ST_SU_mSV_SY_bEUlT_E_NS1_11comp_targetILNS1_3genE9ELNS1_11target_archE1100ELNS1_3gpuE3ELNS1_3repE0EEENS1_30default_config_static_selectorELNS0_4arch9wavefront6targetE1EEEvSS_.num_named_barrier, 0
	.set _ZN7rocprim17ROCPRIM_400000_NS6detail17trampoline_kernelINS0_14default_configENS1_27lower_bound_config_selectorIxlEEZNS1_14transform_implILb0ES3_S5_N6thrust23THRUST_200600_302600_NS6detail15normal_iteratorINS8_7pointerIxNS8_11hip_rocprim5par_tENS8_11use_defaultESE_EEEENSA_INSB_IlSD_SE_SE_EEEEZNS1_13binary_searchIS3_S5_PxSG_SI_NS1_21lower_bound_search_opENS9_16wrapped_functionI11custom_lessbEEEE10hipError_tPvRmT1_T2_T3_mmT4_T5_P12ihipStream_tbEUlRKxE_EESP_ST_SU_mSV_SY_bEUlT_E_NS1_11comp_targetILNS1_3genE9ELNS1_11target_archE1100ELNS1_3gpuE3ELNS1_3repE0EEENS1_30default_config_static_selectorELNS0_4arch9wavefront6targetE1EEEvSS_.private_seg_size, 0
	.set _ZN7rocprim17ROCPRIM_400000_NS6detail17trampoline_kernelINS0_14default_configENS1_27lower_bound_config_selectorIxlEEZNS1_14transform_implILb0ES3_S5_N6thrust23THRUST_200600_302600_NS6detail15normal_iteratorINS8_7pointerIxNS8_11hip_rocprim5par_tENS8_11use_defaultESE_EEEENSA_INSB_IlSD_SE_SE_EEEEZNS1_13binary_searchIS3_S5_PxSG_SI_NS1_21lower_bound_search_opENS9_16wrapped_functionI11custom_lessbEEEE10hipError_tPvRmT1_T2_T3_mmT4_T5_P12ihipStream_tbEUlRKxE_EESP_ST_SU_mSV_SY_bEUlT_E_NS1_11comp_targetILNS1_3genE9ELNS1_11target_archE1100ELNS1_3gpuE3ELNS1_3repE0EEENS1_30default_config_static_selectorELNS0_4arch9wavefront6targetE1EEEvSS_.uses_vcc, 0
	.set _ZN7rocprim17ROCPRIM_400000_NS6detail17trampoline_kernelINS0_14default_configENS1_27lower_bound_config_selectorIxlEEZNS1_14transform_implILb0ES3_S5_N6thrust23THRUST_200600_302600_NS6detail15normal_iteratorINS8_7pointerIxNS8_11hip_rocprim5par_tENS8_11use_defaultESE_EEEENSA_INSB_IlSD_SE_SE_EEEEZNS1_13binary_searchIS3_S5_PxSG_SI_NS1_21lower_bound_search_opENS9_16wrapped_functionI11custom_lessbEEEE10hipError_tPvRmT1_T2_T3_mmT4_T5_P12ihipStream_tbEUlRKxE_EESP_ST_SU_mSV_SY_bEUlT_E_NS1_11comp_targetILNS1_3genE9ELNS1_11target_archE1100ELNS1_3gpuE3ELNS1_3repE0EEENS1_30default_config_static_selectorELNS0_4arch9wavefront6targetE1EEEvSS_.uses_flat_scratch, 0
	.set _ZN7rocprim17ROCPRIM_400000_NS6detail17trampoline_kernelINS0_14default_configENS1_27lower_bound_config_selectorIxlEEZNS1_14transform_implILb0ES3_S5_N6thrust23THRUST_200600_302600_NS6detail15normal_iteratorINS8_7pointerIxNS8_11hip_rocprim5par_tENS8_11use_defaultESE_EEEENSA_INSB_IlSD_SE_SE_EEEEZNS1_13binary_searchIS3_S5_PxSG_SI_NS1_21lower_bound_search_opENS9_16wrapped_functionI11custom_lessbEEEE10hipError_tPvRmT1_T2_T3_mmT4_T5_P12ihipStream_tbEUlRKxE_EESP_ST_SU_mSV_SY_bEUlT_E_NS1_11comp_targetILNS1_3genE9ELNS1_11target_archE1100ELNS1_3gpuE3ELNS1_3repE0EEENS1_30default_config_static_selectorELNS0_4arch9wavefront6targetE1EEEvSS_.has_dyn_sized_stack, 0
	.set _ZN7rocprim17ROCPRIM_400000_NS6detail17trampoline_kernelINS0_14default_configENS1_27lower_bound_config_selectorIxlEEZNS1_14transform_implILb0ES3_S5_N6thrust23THRUST_200600_302600_NS6detail15normal_iteratorINS8_7pointerIxNS8_11hip_rocprim5par_tENS8_11use_defaultESE_EEEENSA_INSB_IlSD_SE_SE_EEEEZNS1_13binary_searchIS3_S5_PxSG_SI_NS1_21lower_bound_search_opENS9_16wrapped_functionI11custom_lessbEEEE10hipError_tPvRmT1_T2_T3_mmT4_T5_P12ihipStream_tbEUlRKxE_EESP_ST_SU_mSV_SY_bEUlT_E_NS1_11comp_targetILNS1_3genE9ELNS1_11target_archE1100ELNS1_3gpuE3ELNS1_3repE0EEENS1_30default_config_static_selectorELNS0_4arch9wavefront6targetE1EEEvSS_.has_recursion, 0
	.set _ZN7rocprim17ROCPRIM_400000_NS6detail17trampoline_kernelINS0_14default_configENS1_27lower_bound_config_selectorIxlEEZNS1_14transform_implILb0ES3_S5_N6thrust23THRUST_200600_302600_NS6detail15normal_iteratorINS8_7pointerIxNS8_11hip_rocprim5par_tENS8_11use_defaultESE_EEEENSA_INSB_IlSD_SE_SE_EEEEZNS1_13binary_searchIS3_S5_PxSG_SI_NS1_21lower_bound_search_opENS9_16wrapped_functionI11custom_lessbEEEE10hipError_tPvRmT1_T2_T3_mmT4_T5_P12ihipStream_tbEUlRKxE_EESP_ST_SU_mSV_SY_bEUlT_E_NS1_11comp_targetILNS1_3genE9ELNS1_11target_archE1100ELNS1_3gpuE3ELNS1_3repE0EEENS1_30default_config_static_selectorELNS0_4arch9wavefront6targetE1EEEvSS_.has_indirect_call, 0
	.section	.AMDGPU.csdata,"",@progbits
; Kernel info:
; codeLenInByte = 0
; TotalNumSgprs: 4
; NumVgprs: 0
; ScratchSize: 0
; MemoryBound: 0
; FloatMode: 240
; IeeeMode: 1
; LDSByteSize: 0 bytes/workgroup (compile time only)
; SGPRBlocks: 0
; VGPRBlocks: 0
; NumSGPRsForWavesPerEU: 4
; NumVGPRsForWavesPerEU: 1
; Occupancy: 10
; WaveLimiterHint : 0
; COMPUTE_PGM_RSRC2:SCRATCH_EN: 0
; COMPUTE_PGM_RSRC2:USER_SGPR: 6
; COMPUTE_PGM_RSRC2:TRAP_HANDLER: 0
; COMPUTE_PGM_RSRC2:TGID_X_EN: 1
; COMPUTE_PGM_RSRC2:TGID_Y_EN: 0
; COMPUTE_PGM_RSRC2:TGID_Z_EN: 0
; COMPUTE_PGM_RSRC2:TIDIG_COMP_CNT: 0
	.section	.text._ZN7rocprim17ROCPRIM_400000_NS6detail17trampoline_kernelINS0_14default_configENS1_27lower_bound_config_selectorIxlEEZNS1_14transform_implILb0ES3_S5_N6thrust23THRUST_200600_302600_NS6detail15normal_iteratorINS8_7pointerIxNS8_11hip_rocprim5par_tENS8_11use_defaultESE_EEEENSA_INSB_IlSD_SE_SE_EEEEZNS1_13binary_searchIS3_S5_PxSG_SI_NS1_21lower_bound_search_opENS9_16wrapped_functionI11custom_lessbEEEE10hipError_tPvRmT1_T2_T3_mmT4_T5_P12ihipStream_tbEUlRKxE_EESP_ST_SU_mSV_SY_bEUlT_E_NS1_11comp_targetILNS1_3genE8ELNS1_11target_archE1030ELNS1_3gpuE2ELNS1_3repE0EEENS1_30default_config_static_selectorELNS0_4arch9wavefront6targetE1EEEvSS_,"axG",@progbits,_ZN7rocprim17ROCPRIM_400000_NS6detail17trampoline_kernelINS0_14default_configENS1_27lower_bound_config_selectorIxlEEZNS1_14transform_implILb0ES3_S5_N6thrust23THRUST_200600_302600_NS6detail15normal_iteratorINS8_7pointerIxNS8_11hip_rocprim5par_tENS8_11use_defaultESE_EEEENSA_INSB_IlSD_SE_SE_EEEEZNS1_13binary_searchIS3_S5_PxSG_SI_NS1_21lower_bound_search_opENS9_16wrapped_functionI11custom_lessbEEEE10hipError_tPvRmT1_T2_T3_mmT4_T5_P12ihipStream_tbEUlRKxE_EESP_ST_SU_mSV_SY_bEUlT_E_NS1_11comp_targetILNS1_3genE8ELNS1_11target_archE1030ELNS1_3gpuE2ELNS1_3repE0EEENS1_30default_config_static_selectorELNS0_4arch9wavefront6targetE1EEEvSS_,comdat
	.protected	_ZN7rocprim17ROCPRIM_400000_NS6detail17trampoline_kernelINS0_14default_configENS1_27lower_bound_config_selectorIxlEEZNS1_14transform_implILb0ES3_S5_N6thrust23THRUST_200600_302600_NS6detail15normal_iteratorINS8_7pointerIxNS8_11hip_rocprim5par_tENS8_11use_defaultESE_EEEENSA_INSB_IlSD_SE_SE_EEEEZNS1_13binary_searchIS3_S5_PxSG_SI_NS1_21lower_bound_search_opENS9_16wrapped_functionI11custom_lessbEEEE10hipError_tPvRmT1_T2_T3_mmT4_T5_P12ihipStream_tbEUlRKxE_EESP_ST_SU_mSV_SY_bEUlT_E_NS1_11comp_targetILNS1_3genE8ELNS1_11target_archE1030ELNS1_3gpuE2ELNS1_3repE0EEENS1_30default_config_static_selectorELNS0_4arch9wavefront6targetE1EEEvSS_ ; -- Begin function _ZN7rocprim17ROCPRIM_400000_NS6detail17trampoline_kernelINS0_14default_configENS1_27lower_bound_config_selectorIxlEEZNS1_14transform_implILb0ES3_S5_N6thrust23THRUST_200600_302600_NS6detail15normal_iteratorINS8_7pointerIxNS8_11hip_rocprim5par_tENS8_11use_defaultESE_EEEENSA_INSB_IlSD_SE_SE_EEEEZNS1_13binary_searchIS3_S5_PxSG_SI_NS1_21lower_bound_search_opENS9_16wrapped_functionI11custom_lessbEEEE10hipError_tPvRmT1_T2_T3_mmT4_T5_P12ihipStream_tbEUlRKxE_EESP_ST_SU_mSV_SY_bEUlT_E_NS1_11comp_targetILNS1_3genE8ELNS1_11target_archE1030ELNS1_3gpuE2ELNS1_3repE0EEENS1_30default_config_static_selectorELNS0_4arch9wavefront6targetE1EEEvSS_
	.globl	_ZN7rocprim17ROCPRIM_400000_NS6detail17trampoline_kernelINS0_14default_configENS1_27lower_bound_config_selectorIxlEEZNS1_14transform_implILb0ES3_S5_N6thrust23THRUST_200600_302600_NS6detail15normal_iteratorINS8_7pointerIxNS8_11hip_rocprim5par_tENS8_11use_defaultESE_EEEENSA_INSB_IlSD_SE_SE_EEEEZNS1_13binary_searchIS3_S5_PxSG_SI_NS1_21lower_bound_search_opENS9_16wrapped_functionI11custom_lessbEEEE10hipError_tPvRmT1_T2_T3_mmT4_T5_P12ihipStream_tbEUlRKxE_EESP_ST_SU_mSV_SY_bEUlT_E_NS1_11comp_targetILNS1_3genE8ELNS1_11target_archE1030ELNS1_3gpuE2ELNS1_3repE0EEENS1_30default_config_static_selectorELNS0_4arch9wavefront6targetE1EEEvSS_
	.p2align	8
	.type	_ZN7rocprim17ROCPRIM_400000_NS6detail17trampoline_kernelINS0_14default_configENS1_27lower_bound_config_selectorIxlEEZNS1_14transform_implILb0ES3_S5_N6thrust23THRUST_200600_302600_NS6detail15normal_iteratorINS8_7pointerIxNS8_11hip_rocprim5par_tENS8_11use_defaultESE_EEEENSA_INSB_IlSD_SE_SE_EEEEZNS1_13binary_searchIS3_S5_PxSG_SI_NS1_21lower_bound_search_opENS9_16wrapped_functionI11custom_lessbEEEE10hipError_tPvRmT1_T2_T3_mmT4_T5_P12ihipStream_tbEUlRKxE_EESP_ST_SU_mSV_SY_bEUlT_E_NS1_11comp_targetILNS1_3genE8ELNS1_11target_archE1030ELNS1_3gpuE2ELNS1_3repE0EEENS1_30default_config_static_selectorELNS0_4arch9wavefront6targetE1EEEvSS_,@function
_ZN7rocprim17ROCPRIM_400000_NS6detail17trampoline_kernelINS0_14default_configENS1_27lower_bound_config_selectorIxlEEZNS1_14transform_implILb0ES3_S5_N6thrust23THRUST_200600_302600_NS6detail15normal_iteratorINS8_7pointerIxNS8_11hip_rocprim5par_tENS8_11use_defaultESE_EEEENSA_INSB_IlSD_SE_SE_EEEEZNS1_13binary_searchIS3_S5_PxSG_SI_NS1_21lower_bound_search_opENS9_16wrapped_functionI11custom_lessbEEEE10hipError_tPvRmT1_T2_T3_mmT4_T5_P12ihipStream_tbEUlRKxE_EESP_ST_SU_mSV_SY_bEUlT_E_NS1_11comp_targetILNS1_3genE8ELNS1_11target_archE1030ELNS1_3gpuE2ELNS1_3repE0EEENS1_30default_config_static_selectorELNS0_4arch9wavefront6targetE1EEEvSS_: ; @_ZN7rocprim17ROCPRIM_400000_NS6detail17trampoline_kernelINS0_14default_configENS1_27lower_bound_config_selectorIxlEEZNS1_14transform_implILb0ES3_S5_N6thrust23THRUST_200600_302600_NS6detail15normal_iteratorINS8_7pointerIxNS8_11hip_rocprim5par_tENS8_11use_defaultESE_EEEENSA_INSB_IlSD_SE_SE_EEEEZNS1_13binary_searchIS3_S5_PxSG_SI_NS1_21lower_bound_search_opENS9_16wrapped_functionI11custom_lessbEEEE10hipError_tPvRmT1_T2_T3_mmT4_T5_P12ihipStream_tbEUlRKxE_EESP_ST_SU_mSV_SY_bEUlT_E_NS1_11comp_targetILNS1_3genE8ELNS1_11target_archE1030ELNS1_3gpuE2ELNS1_3repE0EEENS1_30default_config_static_selectorELNS0_4arch9wavefront6targetE1EEEvSS_
; %bb.0:
	.section	.rodata,"a",@progbits
	.p2align	6, 0x0
	.amdhsa_kernel _ZN7rocprim17ROCPRIM_400000_NS6detail17trampoline_kernelINS0_14default_configENS1_27lower_bound_config_selectorIxlEEZNS1_14transform_implILb0ES3_S5_N6thrust23THRUST_200600_302600_NS6detail15normal_iteratorINS8_7pointerIxNS8_11hip_rocprim5par_tENS8_11use_defaultESE_EEEENSA_INSB_IlSD_SE_SE_EEEEZNS1_13binary_searchIS3_S5_PxSG_SI_NS1_21lower_bound_search_opENS9_16wrapped_functionI11custom_lessbEEEE10hipError_tPvRmT1_T2_T3_mmT4_T5_P12ihipStream_tbEUlRKxE_EESP_ST_SU_mSV_SY_bEUlT_E_NS1_11comp_targetILNS1_3genE8ELNS1_11target_archE1030ELNS1_3gpuE2ELNS1_3repE0EEENS1_30default_config_static_selectorELNS0_4arch9wavefront6targetE1EEEvSS_
		.amdhsa_group_segment_fixed_size 0
		.amdhsa_private_segment_fixed_size 0
		.amdhsa_kernarg_size 56
		.amdhsa_user_sgpr_count 6
		.amdhsa_user_sgpr_private_segment_buffer 1
		.amdhsa_user_sgpr_dispatch_ptr 0
		.amdhsa_user_sgpr_queue_ptr 0
		.amdhsa_user_sgpr_kernarg_segment_ptr 1
		.amdhsa_user_sgpr_dispatch_id 0
		.amdhsa_user_sgpr_flat_scratch_init 0
		.amdhsa_user_sgpr_private_segment_size 0
		.amdhsa_uses_dynamic_stack 0
		.amdhsa_system_sgpr_private_segment_wavefront_offset 0
		.amdhsa_system_sgpr_workgroup_id_x 1
		.amdhsa_system_sgpr_workgroup_id_y 0
		.amdhsa_system_sgpr_workgroup_id_z 0
		.amdhsa_system_sgpr_workgroup_info 0
		.amdhsa_system_vgpr_workitem_id 0
		.amdhsa_next_free_vgpr 1
		.amdhsa_next_free_sgpr 0
		.amdhsa_reserve_vcc 0
		.amdhsa_reserve_flat_scratch 0
		.amdhsa_float_round_mode_32 0
		.amdhsa_float_round_mode_16_64 0
		.amdhsa_float_denorm_mode_32 3
		.amdhsa_float_denorm_mode_16_64 3
		.amdhsa_dx10_clamp 1
		.amdhsa_ieee_mode 1
		.amdhsa_fp16_overflow 0
		.amdhsa_exception_fp_ieee_invalid_op 0
		.amdhsa_exception_fp_denorm_src 0
		.amdhsa_exception_fp_ieee_div_zero 0
		.amdhsa_exception_fp_ieee_overflow 0
		.amdhsa_exception_fp_ieee_underflow 0
		.amdhsa_exception_fp_ieee_inexact 0
		.amdhsa_exception_int_div_zero 0
	.end_amdhsa_kernel
	.section	.text._ZN7rocprim17ROCPRIM_400000_NS6detail17trampoline_kernelINS0_14default_configENS1_27lower_bound_config_selectorIxlEEZNS1_14transform_implILb0ES3_S5_N6thrust23THRUST_200600_302600_NS6detail15normal_iteratorINS8_7pointerIxNS8_11hip_rocprim5par_tENS8_11use_defaultESE_EEEENSA_INSB_IlSD_SE_SE_EEEEZNS1_13binary_searchIS3_S5_PxSG_SI_NS1_21lower_bound_search_opENS9_16wrapped_functionI11custom_lessbEEEE10hipError_tPvRmT1_T2_T3_mmT4_T5_P12ihipStream_tbEUlRKxE_EESP_ST_SU_mSV_SY_bEUlT_E_NS1_11comp_targetILNS1_3genE8ELNS1_11target_archE1030ELNS1_3gpuE2ELNS1_3repE0EEENS1_30default_config_static_selectorELNS0_4arch9wavefront6targetE1EEEvSS_,"axG",@progbits,_ZN7rocprim17ROCPRIM_400000_NS6detail17trampoline_kernelINS0_14default_configENS1_27lower_bound_config_selectorIxlEEZNS1_14transform_implILb0ES3_S5_N6thrust23THRUST_200600_302600_NS6detail15normal_iteratorINS8_7pointerIxNS8_11hip_rocprim5par_tENS8_11use_defaultESE_EEEENSA_INSB_IlSD_SE_SE_EEEEZNS1_13binary_searchIS3_S5_PxSG_SI_NS1_21lower_bound_search_opENS9_16wrapped_functionI11custom_lessbEEEE10hipError_tPvRmT1_T2_T3_mmT4_T5_P12ihipStream_tbEUlRKxE_EESP_ST_SU_mSV_SY_bEUlT_E_NS1_11comp_targetILNS1_3genE8ELNS1_11target_archE1030ELNS1_3gpuE2ELNS1_3repE0EEENS1_30default_config_static_selectorELNS0_4arch9wavefront6targetE1EEEvSS_,comdat
.Lfunc_end112:
	.size	_ZN7rocprim17ROCPRIM_400000_NS6detail17trampoline_kernelINS0_14default_configENS1_27lower_bound_config_selectorIxlEEZNS1_14transform_implILb0ES3_S5_N6thrust23THRUST_200600_302600_NS6detail15normal_iteratorINS8_7pointerIxNS8_11hip_rocprim5par_tENS8_11use_defaultESE_EEEENSA_INSB_IlSD_SE_SE_EEEEZNS1_13binary_searchIS3_S5_PxSG_SI_NS1_21lower_bound_search_opENS9_16wrapped_functionI11custom_lessbEEEE10hipError_tPvRmT1_T2_T3_mmT4_T5_P12ihipStream_tbEUlRKxE_EESP_ST_SU_mSV_SY_bEUlT_E_NS1_11comp_targetILNS1_3genE8ELNS1_11target_archE1030ELNS1_3gpuE2ELNS1_3repE0EEENS1_30default_config_static_selectorELNS0_4arch9wavefront6targetE1EEEvSS_, .Lfunc_end112-_ZN7rocprim17ROCPRIM_400000_NS6detail17trampoline_kernelINS0_14default_configENS1_27lower_bound_config_selectorIxlEEZNS1_14transform_implILb0ES3_S5_N6thrust23THRUST_200600_302600_NS6detail15normal_iteratorINS8_7pointerIxNS8_11hip_rocprim5par_tENS8_11use_defaultESE_EEEENSA_INSB_IlSD_SE_SE_EEEEZNS1_13binary_searchIS3_S5_PxSG_SI_NS1_21lower_bound_search_opENS9_16wrapped_functionI11custom_lessbEEEE10hipError_tPvRmT1_T2_T3_mmT4_T5_P12ihipStream_tbEUlRKxE_EESP_ST_SU_mSV_SY_bEUlT_E_NS1_11comp_targetILNS1_3genE8ELNS1_11target_archE1030ELNS1_3gpuE2ELNS1_3repE0EEENS1_30default_config_static_selectorELNS0_4arch9wavefront6targetE1EEEvSS_
                                        ; -- End function
	.set _ZN7rocprim17ROCPRIM_400000_NS6detail17trampoline_kernelINS0_14default_configENS1_27lower_bound_config_selectorIxlEEZNS1_14transform_implILb0ES3_S5_N6thrust23THRUST_200600_302600_NS6detail15normal_iteratorINS8_7pointerIxNS8_11hip_rocprim5par_tENS8_11use_defaultESE_EEEENSA_INSB_IlSD_SE_SE_EEEEZNS1_13binary_searchIS3_S5_PxSG_SI_NS1_21lower_bound_search_opENS9_16wrapped_functionI11custom_lessbEEEE10hipError_tPvRmT1_T2_T3_mmT4_T5_P12ihipStream_tbEUlRKxE_EESP_ST_SU_mSV_SY_bEUlT_E_NS1_11comp_targetILNS1_3genE8ELNS1_11target_archE1030ELNS1_3gpuE2ELNS1_3repE0EEENS1_30default_config_static_selectorELNS0_4arch9wavefront6targetE1EEEvSS_.num_vgpr, 0
	.set _ZN7rocprim17ROCPRIM_400000_NS6detail17trampoline_kernelINS0_14default_configENS1_27lower_bound_config_selectorIxlEEZNS1_14transform_implILb0ES3_S5_N6thrust23THRUST_200600_302600_NS6detail15normal_iteratorINS8_7pointerIxNS8_11hip_rocprim5par_tENS8_11use_defaultESE_EEEENSA_INSB_IlSD_SE_SE_EEEEZNS1_13binary_searchIS3_S5_PxSG_SI_NS1_21lower_bound_search_opENS9_16wrapped_functionI11custom_lessbEEEE10hipError_tPvRmT1_T2_T3_mmT4_T5_P12ihipStream_tbEUlRKxE_EESP_ST_SU_mSV_SY_bEUlT_E_NS1_11comp_targetILNS1_3genE8ELNS1_11target_archE1030ELNS1_3gpuE2ELNS1_3repE0EEENS1_30default_config_static_selectorELNS0_4arch9wavefront6targetE1EEEvSS_.num_agpr, 0
	.set _ZN7rocprim17ROCPRIM_400000_NS6detail17trampoline_kernelINS0_14default_configENS1_27lower_bound_config_selectorIxlEEZNS1_14transform_implILb0ES3_S5_N6thrust23THRUST_200600_302600_NS6detail15normal_iteratorINS8_7pointerIxNS8_11hip_rocprim5par_tENS8_11use_defaultESE_EEEENSA_INSB_IlSD_SE_SE_EEEEZNS1_13binary_searchIS3_S5_PxSG_SI_NS1_21lower_bound_search_opENS9_16wrapped_functionI11custom_lessbEEEE10hipError_tPvRmT1_T2_T3_mmT4_T5_P12ihipStream_tbEUlRKxE_EESP_ST_SU_mSV_SY_bEUlT_E_NS1_11comp_targetILNS1_3genE8ELNS1_11target_archE1030ELNS1_3gpuE2ELNS1_3repE0EEENS1_30default_config_static_selectorELNS0_4arch9wavefront6targetE1EEEvSS_.numbered_sgpr, 0
	.set _ZN7rocprim17ROCPRIM_400000_NS6detail17trampoline_kernelINS0_14default_configENS1_27lower_bound_config_selectorIxlEEZNS1_14transform_implILb0ES3_S5_N6thrust23THRUST_200600_302600_NS6detail15normal_iteratorINS8_7pointerIxNS8_11hip_rocprim5par_tENS8_11use_defaultESE_EEEENSA_INSB_IlSD_SE_SE_EEEEZNS1_13binary_searchIS3_S5_PxSG_SI_NS1_21lower_bound_search_opENS9_16wrapped_functionI11custom_lessbEEEE10hipError_tPvRmT1_T2_T3_mmT4_T5_P12ihipStream_tbEUlRKxE_EESP_ST_SU_mSV_SY_bEUlT_E_NS1_11comp_targetILNS1_3genE8ELNS1_11target_archE1030ELNS1_3gpuE2ELNS1_3repE0EEENS1_30default_config_static_selectorELNS0_4arch9wavefront6targetE1EEEvSS_.num_named_barrier, 0
	.set _ZN7rocprim17ROCPRIM_400000_NS6detail17trampoline_kernelINS0_14default_configENS1_27lower_bound_config_selectorIxlEEZNS1_14transform_implILb0ES3_S5_N6thrust23THRUST_200600_302600_NS6detail15normal_iteratorINS8_7pointerIxNS8_11hip_rocprim5par_tENS8_11use_defaultESE_EEEENSA_INSB_IlSD_SE_SE_EEEEZNS1_13binary_searchIS3_S5_PxSG_SI_NS1_21lower_bound_search_opENS9_16wrapped_functionI11custom_lessbEEEE10hipError_tPvRmT1_T2_T3_mmT4_T5_P12ihipStream_tbEUlRKxE_EESP_ST_SU_mSV_SY_bEUlT_E_NS1_11comp_targetILNS1_3genE8ELNS1_11target_archE1030ELNS1_3gpuE2ELNS1_3repE0EEENS1_30default_config_static_selectorELNS0_4arch9wavefront6targetE1EEEvSS_.private_seg_size, 0
	.set _ZN7rocprim17ROCPRIM_400000_NS6detail17trampoline_kernelINS0_14default_configENS1_27lower_bound_config_selectorIxlEEZNS1_14transform_implILb0ES3_S5_N6thrust23THRUST_200600_302600_NS6detail15normal_iteratorINS8_7pointerIxNS8_11hip_rocprim5par_tENS8_11use_defaultESE_EEEENSA_INSB_IlSD_SE_SE_EEEEZNS1_13binary_searchIS3_S5_PxSG_SI_NS1_21lower_bound_search_opENS9_16wrapped_functionI11custom_lessbEEEE10hipError_tPvRmT1_T2_T3_mmT4_T5_P12ihipStream_tbEUlRKxE_EESP_ST_SU_mSV_SY_bEUlT_E_NS1_11comp_targetILNS1_3genE8ELNS1_11target_archE1030ELNS1_3gpuE2ELNS1_3repE0EEENS1_30default_config_static_selectorELNS0_4arch9wavefront6targetE1EEEvSS_.uses_vcc, 0
	.set _ZN7rocprim17ROCPRIM_400000_NS6detail17trampoline_kernelINS0_14default_configENS1_27lower_bound_config_selectorIxlEEZNS1_14transform_implILb0ES3_S5_N6thrust23THRUST_200600_302600_NS6detail15normal_iteratorINS8_7pointerIxNS8_11hip_rocprim5par_tENS8_11use_defaultESE_EEEENSA_INSB_IlSD_SE_SE_EEEEZNS1_13binary_searchIS3_S5_PxSG_SI_NS1_21lower_bound_search_opENS9_16wrapped_functionI11custom_lessbEEEE10hipError_tPvRmT1_T2_T3_mmT4_T5_P12ihipStream_tbEUlRKxE_EESP_ST_SU_mSV_SY_bEUlT_E_NS1_11comp_targetILNS1_3genE8ELNS1_11target_archE1030ELNS1_3gpuE2ELNS1_3repE0EEENS1_30default_config_static_selectorELNS0_4arch9wavefront6targetE1EEEvSS_.uses_flat_scratch, 0
	.set _ZN7rocprim17ROCPRIM_400000_NS6detail17trampoline_kernelINS0_14default_configENS1_27lower_bound_config_selectorIxlEEZNS1_14transform_implILb0ES3_S5_N6thrust23THRUST_200600_302600_NS6detail15normal_iteratorINS8_7pointerIxNS8_11hip_rocprim5par_tENS8_11use_defaultESE_EEEENSA_INSB_IlSD_SE_SE_EEEEZNS1_13binary_searchIS3_S5_PxSG_SI_NS1_21lower_bound_search_opENS9_16wrapped_functionI11custom_lessbEEEE10hipError_tPvRmT1_T2_T3_mmT4_T5_P12ihipStream_tbEUlRKxE_EESP_ST_SU_mSV_SY_bEUlT_E_NS1_11comp_targetILNS1_3genE8ELNS1_11target_archE1030ELNS1_3gpuE2ELNS1_3repE0EEENS1_30default_config_static_selectorELNS0_4arch9wavefront6targetE1EEEvSS_.has_dyn_sized_stack, 0
	.set _ZN7rocprim17ROCPRIM_400000_NS6detail17trampoline_kernelINS0_14default_configENS1_27lower_bound_config_selectorIxlEEZNS1_14transform_implILb0ES3_S5_N6thrust23THRUST_200600_302600_NS6detail15normal_iteratorINS8_7pointerIxNS8_11hip_rocprim5par_tENS8_11use_defaultESE_EEEENSA_INSB_IlSD_SE_SE_EEEEZNS1_13binary_searchIS3_S5_PxSG_SI_NS1_21lower_bound_search_opENS9_16wrapped_functionI11custom_lessbEEEE10hipError_tPvRmT1_T2_T3_mmT4_T5_P12ihipStream_tbEUlRKxE_EESP_ST_SU_mSV_SY_bEUlT_E_NS1_11comp_targetILNS1_3genE8ELNS1_11target_archE1030ELNS1_3gpuE2ELNS1_3repE0EEENS1_30default_config_static_selectorELNS0_4arch9wavefront6targetE1EEEvSS_.has_recursion, 0
	.set _ZN7rocprim17ROCPRIM_400000_NS6detail17trampoline_kernelINS0_14default_configENS1_27lower_bound_config_selectorIxlEEZNS1_14transform_implILb0ES3_S5_N6thrust23THRUST_200600_302600_NS6detail15normal_iteratorINS8_7pointerIxNS8_11hip_rocprim5par_tENS8_11use_defaultESE_EEEENSA_INSB_IlSD_SE_SE_EEEEZNS1_13binary_searchIS3_S5_PxSG_SI_NS1_21lower_bound_search_opENS9_16wrapped_functionI11custom_lessbEEEE10hipError_tPvRmT1_T2_T3_mmT4_T5_P12ihipStream_tbEUlRKxE_EESP_ST_SU_mSV_SY_bEUlT_E_NS1_11comp_targetILNS1_3genE8ELNS1_11target_archE1030ELNS1_3gpuE2ELNS1_3repE0EEENS1_30default_config_static_selectorELNS0_4arch9wavefront6targetE1EEEvSS_.has_indirect_call, 0
	.section	.AMDGPU.csdata,"",@progbits
; Kernel info:
; codeLenInByte = 0
; TotalNumSgprs: 4
; NumVgprs: 0
; ScratchSize: 0
; MemoryBound: 0
; FloatMode: 240
; IeeeMode: 1
; LDSByteSize: 0 bytes/workgroup (compile time only)
; SGPRBlocks: 0
; VGPRBlocks: 0
; NumSGPRsForWavesPerEU: 4
; NumVGPRsForWavesPerEU: 1
; Occupancy: 10
; WaveLimiterHint : 0
; COMPUTE_PGM_RSRC2:SCRATCH_EN: 0
; COMPUTE_PGM_RSRC2:USER_SGPR: 6
; COMPUTE_PGM_RSRC2:TRAP_HANDLER: 0
; COMPUTE_PGM_RSRC2:TGID_X_EN: 1
; COMPUTE_PGM_RSRC2:TGID_Y_EN: 0
; COMPUTE_PGM_RSRC2:TGID_Z_EN: 0
; COMPUTE_PGM_RSRC2:TIDIG_COMP_CNT: 0
	.section	.text._ZN7rocprim17ROCPRIM_400000_NS6detail17trampoline_kernelINS0_14default_configENS1_27lower_bound_config_selectorIxlEEZNS1_14transform_implILb0ES3_S5_N6thrust23THRUST_200600_302600_NS6detail15normal_iteratorINS8_7pointerIxNS8_11hip_rocprim5par_tENS8_11use_defaultESE_EEEENSA_INSB_IlSD_SE_SE_EEEEZNS1_13binary_searchIS3_S5_PxSG_SI_NS1_21lower_bound_search_opENS9_16wrapped_functionINS8_6system6detail7generic6detail18binary_search_lessEbEEEE10hipError_tPvRmT1_T2_T3_mmT4_T5_P12ihipStream_tbEUlRKxE_EEST_SX_SY_mSZ_S12_bEUlT_E_NS1_11comp_targetILNS1_3genE0ELNS1_11target_archE4294967295ELNS1_3gpuE0ELNS1_3repE0EEENS1_30default_config_static_selectorELNS0_4arch9wavefront6targetE1EEEvSW_,"axG",@progbits,_ZN7rocprim17ROCPRIM_400000_NS6detail17trampoline_kernelINS0_14default_configENS1_27lower_bound_config_selectorIxlEEZNS1_14transform_implILb0ES3_S5_N6thrust23THRUST_200600_302600_NS6detail15normal_iteratorINS8_7pointerIxNS8_11hip_rocprim5par_tENS8_11use_defaultESE_EEEENSA_INSB_IlSD_SE_SE_EEEEZNS1_13binary_searchIS3_S5_PxSG_SI_NS1_21lower_bound_search_opENS9_16wrapped_functionINS8_6system6detail7generic6detail18binary_search_lessEbEEEE10hipError_tPvRmT1_T2_T3_mmT4_T5_P12ihipStream_tbEUlRKxE_EEST_SX_SY_mSZ_S12_bEUlT_E_NS1_11comp_targetILNS1_3genE0ELNS1_11target_archE4294967295ELNS1_3gpuE0ELNS1_3repE0EEENS1_30default_config_static_selectorELNS0_4arch9wavefront6targetE1EEEvSW_,comdat
	.protected	_ZN7rocprim17ROCPRIM_400000_NS6detail17trampoline_kernelINS0_14default_configENS1_27lower_bound_config_selectorIxlEEZNS1_14transform_implILb0ES3_S5_N6thrust23THRUST_200600_302600_NS6detail15normal_iteratorINS8_7pointerIxNS8_11hip_rocprim5par_tENS8_11use_defaultESE_EEEENSA_INSB_IlSD_SE_SE_EEEEZNS1_13binary_searchIS3_S5_PxSG_SI_NS1_21lower_bound_search_opENS9_16wrapped_functionINS8_6system6detail7generic6detail18binary_search_lessEbEEEE10hipError_tPvRmT1_T2_T3_mmT4_T5_P12ihipStream_tbEUlRKxE_EEST_SX_SY_mSZ_S12_bEUlT_E_NS1_11comp_targetILNS1_3genE0ELNS1_11target_archE4294967295ELNS1_3gpuE0ELNS1_3repE0EEENS1_30default_config_static_selectorELNS0_4arch9wavefront6targetE1EEEvSW_ ; -- Begin function _ZN7rocprim17ROCPRIM_400000_NS6detail17trampoline_kernelINS0_14default_configENS1_27lower_bound_config_selectorIxlEEZNS1_14transform_implILb0ES3_S5_N6thrust23THRUST_200600_302600_NS6detail15normal_iteratorINS8_7pointerIxNS8_11hip_rocprim5par_tENS8_11use_defaultESE_EEEENSA_INSB_IlSD_SE_SE_EEEEZNS1_13binary_searchIS3_S5_PxSG_SI_NS1_21lower_bound_search_opENS9_16wrapped_functionINS8_6system6detail7generic6detail18binary_search_lessEbEEEE10hipError_tPvRmT1_T2_T3_mmT4_T5_P12ihipStream_tbEUlRKxE_EEST_SX_SY_mSZ_S12_bEUlT_E_NS1_11comp_targetILNS1_3genE0ELNS1_11target_archE4294967295ELNS1_3gpuE0ELNS1_3repE0EEENS1_30default_config_static_selectorELNS0_4arch9wavefront6targetE1EEEvSW_
	.globl	_ZN7rocprim17ROCPRIM_400000_NS6detail17trampoline_kernelINS0_14default_configENS1_27lower_bound_config_selectorIxlEEZNS1_14transform_implILb0ES3_S5_N6thrust23THRUST_200600_302600_NS6detail15normal_iteratorINS8_7pointerIxNS8_11hip_rocprim5par_tENS8_11use_defaultESE_EEEENSA_INSB_IlSD_SE_SE_EEEEZNS1_13binary_searchIS3_S5_PxSG_SI_NS1_21lower_bound_search_opENS9_16wrapped_functionINS8_6system6detail7generic6detail18binary_search_lessEbEEEE10hipError_tPvRmT1_T2_T3_mmT4_T5_P12ihipStream_tbEUlRKxE_EEST_SX_SY_mSZ_S12_bEUlT_E_NS1_11comp_targetILNS1_3genE0ELNS1_11target_archE4294967295ELNS1_3gpuE0ELNS1_3repE0EEENS1_30default_config_static_selectorELNS0_4arch9wavefront6targetE1EEEvSW_
	.p2align	8
	.type	_ZN7rocprim17ROCPRIM_400000_NS6detail17trampoline_kernelINS0_14default_configENS1_27lower_bound_config_selectorIxlEEZNS1_14transform_implILb0ES3_S5_N6thrust23THRUST_200600_302600_NS6detail15normal_iteratorINS8_7pointerIxNS8_11hip_rocprim5par_tENS8_11use_defaultESE_EEEENSA_INSB_IlSD_SE_SE_EEEEZNS1_13binary_searchIS3_S5_PxSG_SI_NS1_21lower_bound_search_opENS9_16wrapped_functionINS8_6system6detail7generic6detail18binary_search_lessEbEEEE10hipError_tPvRmT1_T2_T3_mmT4_T5_P12ihipStream_tbEUlRKxE_EEST_SX_SY_mSZ_S12_bEUlT_E_NS1_11comp_targetILNS1_3genE0ELNS1_11target_archE4294967295ELNS1_3gpuE0ELNS1_3repE0EEENS1_30default_config_static_selectorELNS0_4arch9wavefront6targetE1EEEvSW_,@function
_ZN7rocprim17ROCPRIM_400000_NS6detail17trampoline_kernelINS0_14default_configENS1_27lower_bound_config_selectorIxlEEZNS1_14transform_implILb0ES3_S5_N6thrust23THRUST_200600_302600_NS6detail15normal_iteratorINS8_7pointerIxNS8_11hip_rocprim5par_tENS8_11use_defaultESE_EEEENSA_INSB_IlSD_SE_SE_EEEEZNS1_13binary_searchIS3_S5_PxSG_SI_NS1_21lower_bound_search_opENS9_16wrapped_functionINS8_6system6detail7generic6detail18binary_search_lessEbEEEE10hipError_tPvRmT1_T2_T3_mmT4_T5_P12ihipStream_tbEUlRKxE_EEST_SX_SY_mSZ_S12_bEUlT_E_NS1_11comp_targetILNS1_3genE0ELNS1_11target_archE4294967295ELNS1_3gpuE0ELNS1_3repE0EEENS1_30default_config_static_selectorELNS0_4arch9wavefront6targetE1EEEvSW_: ; @_ZN7rocprim17ROCPRIM_400000_NS6detail17trampoline_kernelINS0_14default_configENS1_27lower_bound_config_selectorIxlEEZNS1_14transform_implILb0ES3_S5_N6thrust23THRUST_200600_302600_NS6detail15normal_iteratorINS8_7pointerIxNS8_11hip_rocprim5par_tENS8_11use_defaultESE_EEEENSA_INSB_IlSD_SE_SE_EEEEZNS1_13binary_searchIS3_S5_PxSG_SI_NS1_21lower_bound_search_opENS9_16wrapped_functionINS8_6system6detail7generic6detail18binary_search_lessEbEEEE10hipError_tPvRmT1_T2_T3_mmT4_T5_P12ihipStream_tbEUlRKxE_EEST_SX_SY_mSZ_S12_bEUlT_E_NS1_11comp_targetILNS1_3genE0ELNS1_11target_archE4294967295ELNS1_3gpuE0ELNS1_3repE0EEENS1_30default_config_static_selectorELNS0_4arch9wavefront6targetE1EEEvSW_
; %bb.0:
	.section	.rodata,"a",@progbits
	.p2align	6, 0x0
	.amdhsa_kernel _ZN7rocprim17ROCPRIM_400000_NS6detail17trampoline_kernelINS0_14default_configENS1_27lower_bound_config_selectorIxlEEZNS1_14transform_implILb0ES3_S5_N6thrust23THRUST_200600_302600_NS6detail15normal_iteratorINS8_7pointerIxNS8_11hip_rocprim5par_tENS8_11use_defaultESE_EEEENSA_INSB_IlSD_SE_SE_EEEEZNS1_13binary_searchIS3_S5_PxSG_SI_NS1_21lower_bound_search_opENS9_16wrapped_functionINS8_6system6detail7generic6detail18binary_search_lessEbEEEE10hipError_tPvRmT1_T2_T3_mmT4_T5_P12ihipStream_tbEUlRKxE_EEST_SX_SY_mSZ_S12_bEUlT_E_NS1_11comp_targetILNS1_3genE0ELNS1_11target_archE4294967295ELNS1_3gpuE0ELNS1_3repE0EEENS1_30default_config_static_selectorELNS0_4arch9wavefront6targetE1EEEvSW_
		.amdhsa_group_segment_fixed_size 0
		.amdhsa_private_segment_fixed_size 0
		.amdhsa_kernarg_size 56
		.amdhsa_user_sgpr_count 6
		.amdhsa_user_sgpr_private_segment_buffer 1
		.amdhsa_user_sgpr_dispatch_ptr 0
		.amdhsa_user_sgpr_queue_ptr 0
		.amdhsa_user_sgpr_kernarg_segment_ptr 1
		.amdhsa_user_sgpr_dispatch_id 0
		.amdhsa_user_sgpr_flat_scratch_init 0
		.amdhsa_user_sgpr_private_segment_size 0
		.amdhsa_uses_dynamic_stack 0
		.amdhsa_system_sgpr_private_segment_wavefront_offset 0
		.amdhsa_system_sgpr_workgroup_id_x 1
		.amdhsa_system_sgpr_workgroup_id_y 0
		.amdhsa_system_sgpr_workgroup_id_z 0
		.amdhsa_system_sgpr_workgroup_info 0
		.amdhsa_system_vgpr_workitem_id 0
		.amdhsa_next_free_vgpr 1
		.amdhsa_next_free_sgpr 0
		.amdhsa_reserve_vcc 0
		.amdhsa_reserve_flat_scratch 0
		.amdhsa_float_round_mode_32 0
		.amdhsa_float_round_mode_16_64 0
		.amdhsa_float_denorm_mode_32 3
		.amdhsa_float_denorm_mode_16_64 3
		.amdhsa_dx10_clamp 1
		.amdhsa_ieee_mode 1
		.amdhsa_fp16_overflow 0
		.amdhsa_exception_fp_ieee_invalid_op 0
		.amdhsa_exception_fp_denorm_src 0
		.amdhsa_exception_fp_ieee_div_zero 0
		.amdhsa_exception_fp_ieee_overflow 0
		.amdhsa_exception_fp_ieee_underflow 0
		.amdhsa_exception_fp_ieee_inexact 0
		.amdhsa_exception_int_div_zero 0
	.end_amdhsa_kernel
	.section	.text._ZN7rocprim17ROCPRIM_400000_NS6detail17trampoline_kernelINS0_14default_configENS1_27lower_bound_config_selectorIxlEEZNS1_14transform_implILb0ES3_S5_N6thrust23THRUST_200600_302600_NS6detail15normal_iteratorINS8_7pointerIxNS8_11hip_rocprim5par_tENS8_11use_defaultESE_EEEENSA_INSB_IlSD_SE_SE_EEEEZNS1_13binary_searchIS3_S5_PxSG_SI_NS1_21lower_bound_search_opENS9_16wrapped_functionINS8_6system6detail7generic6detail18binary_search_lessEbEEEE10hipError_tPvRmT1_T2_T3_mmT4_T5_P12ihipStream_tbEUlRKxE_EEST_SX_SY_mSZ_S12_bEUlT_E_NS1_11comp_targetILNS1_3genE0ELNS1_11target_archE4294967295ELNS1_3gpuE0ELNS1_3repE0EEENS1_30default_config_static_selectorELNS0_4arch9wavefront6targetE1EEEvSW_,"axG",@progbits,_ZN7rocprim17ROCPRIM_400000_NS6detail17trampoline_kernelINS0_14default_configENS1_27lower_bound_config_selectorIxlEEZNS1_14transform_implILb0ES3_S5_N6thrust23THRUST_200600_302600_NS6detail15normal_iteratorINS8_7pointerIxNS8_11hip_rocprim5par_tENS8_11use_defaultESE_EEEENSA_INSB_IlSD_SE_SE_EEEEZNS1_13binary_searchIS3_S5_PxSG_SI_NS1_21lower_bound_search_opENS9_16wrapped_functionINS8_6system6detail7generic6detail18binary_search_lessEbEEEE10hipError_tPvRmT1_T2_T3_mmT4_T5_P12ihipStream_tbEUlRKxE_EEST_SX_SY_mSZ_S12_bEUlT_E_NS1_11comp_targetILNS1_3genE0ELNS1_11target_archE4294967295ELNS1_3gpuE0ELNS1_3repE0EEENS1_30default_config_static_selectorELNS0_4arch9wavefront6targetE1EEEvSW_,comdat
.Lfunc_end113:
	.size	_ZN7rocprim17ROCPRIM_400000_NS6detail17trampoline_kernelINS0_14default_configENS1_27lower_bound_config_selectorIxlEEZNS1_14transform_implILb0ES3_S5_N6thrust23THRUST_200600_302600_NS6detail15normal_iteratorINS8_7pointerIxNS8_11hip_rocprim5par_tENS8_11use_defaultESE_EEEENSA_INSB_IlSD_SE_SE_EEEEZNS1_13binary_searchIS3_S5_PxSG_SI_NS1_21lower_bound_search_opENS9_16wrapped_functionINS8_6system6detail7generic6detail18binary_search_lessEbEEEE10hipError_tPvRmT1_T2_T3_mmT4_T5_P12ihipStream_tbEUlRKxE_EEST_SX_SY_mSZ_S12_bEUlT_E_NS1_11comp_targetILNS1_3genE0ELNS1_11target_archE4294967295ELNS1_3gpuE0ELNS1_3repE0EEENS1_30default_config_static_selectorELNS0_4arch9wavefront6targetE1EEEvSW_, .Lfunc_end113-_ZN7rocprim17ROCPRIM_400000_NS6detail17trampoline_kernelINS0_14default_configENS1_27lower_bound_config_selectorIxlEEZNS1_14transform_implILb0ES3_S5_N6thrust23THRUST_200600_302600_NS6detail15normal_iteratorINS8_7pointerIxNS8_11hip_rocprim5par_tENS8_11use_defaultESE_EEEENSA_INSB_IlSD_SE_SE_EEEEZNS1_13binary_searchIS3_S5_PxSG_SI_NS1_21lower_bound_search_opENS9_16wrapped_functionINS8_6system6detail7generic6detail18binary_search_lessEbEEEE10hipError_tPvRmT1_T2_T3_mmT4_T5_P12ihipStream_tbEUlRKxE_EEST_SX_SY_mSZ_S12_bEUlT_E_NS1_11comp_targetILNS1_3genE0ELNS1_11target_archE4294967295ELNS1_3gpuE0ELNS1_3repE0EEENS1_30default_config_static_selectorELNS0_4arch9wavefront6targetE1EEEvSW_
                                        ; -- End function
	.set _ZN7rocprim17ROCPRIM_400000_NS6detail17trampoline_kernelINS0_14default_configENS1_27lower_bound_config_selectorIxlEEZNS1_14transform_implILb0ES3_S5_N6thrust23THRUST_200600_302600_NS6detail15normal_iteratorINS8_7pointerIxNS8_11hip_rocprim5par_tENS8_11use_defaultESE_EEEENSA_INSB_IlSD_SE_SE_EEEEZNS1_13binary_searchIS3_S5_PxSG_SI_NS1_21lower_bound_search_opENS9_16wrapped_functionINS8_6system6detail7generic6detail18binary_search_lessEbEEEE10hipError_tPvRmT1_T2_T3_mmT4_T5_P12ihipStream_tbEUlRKxE_EEST_SX_SY_mSZ_S12_bEUlT_E_NS1_11comp_targetILNS1_3genE0ELNS1_11target_archE4294967295ELNS1_3gpuE0ELNS1_3repE0EEENS1_30default_config_static_selectorELNS0_4arch9wavefront6targetE1EEEvSW_.num_vgpr, 0
	.set _ZN7rocprim17ROCPRIM_400000_NS6detail17trampoline_kernelINS0_14default_configENS1_27lower_bound_config_selectorIxlEEZNS1_14transform_implILb0ES3_S5_N6thrust23THRUST_200600_302600_NS6detail15normal_iteratorINS8_7pointerIxNS8_11hip_rocprim5par_tENS8_11use_defaultESE_EEEENSA_INSB_IlSD_SE_SE_EEEEZNS1_13binary_searchIS3_S5_PxSG_SI_NS1_21lower_bound_search_opENS9_16wrapped_functionINS8_6system6detail7generic6detail18binary_search_lessEbEEEE10hipError_tPvRmT1_T2_T3_mmT4_T5_P12ihipStream_tbEUlRKxE_EEST_SX_SY_mSZ_S12_bEUlT_E_NS1_11comp_targetILNS1_3genE0ELNS1_11target_archE4294967295ELNS1_3gpuE0ELNS1_3repE0EEENS1_30default_config_static_selectorELNS0_4arch9wavefront6targetE1EEEvSW_.num_agpr, 0
	.set _ZN7rocprim17ROCPRIM_400000_NS6detail17trampoline_kernelINS0_14default_configENS1_27lower_bound_config_selectorIxlEEZNS1_14transform_implILb0ES3_S5_N6thrust23THRUST_200600_302600_NS6detail15normal_iteratorINS8_7pointerIxNS8_11hip_rocprim5par_tENS8_11use_defaultESE_EEEENSA_INSB_IlSD_SE_SE_EEEEZNS1_13binary_searchIS3_S5_PxSG_SI_NS1_21lower_bound_search_opENS9_16wrapped_functionINS8_6system6detail7generic6detail18binary_search_lessEbEEEE10hipError_tPvRmT1_T2_T3_mmT4_T5_P12ihipStream_tbEUlRKxE_EEST_SX_SY_mSZ_S12_bEUlT_E_NS1_11comp_targetILNS1_3genE0ELNS1_11target_archE4294967295ELNS1_3gpuE0ELNS1_3repE0EEENS1_30default_config_static_selectorELNS0_4arch9wavefront6targetE1EEEvSW_.numbered_sgpr, 0
	.set _ZN7rocprim17ROCPRIM_400000_NS6detail17trampoline_kernelINS0_14default_configENS1_27lower_bound_config_selectorIxlEEZNS1_14transform_implILb0ES3_S5_N6thrust23THRUST_200600_302600_NS6detail15normal_iteratorINS8_7pointerIxNS8_11hip_rocprim5par_tENS8_11use_defaultESE_EEEENSA_INSB_IlSD_SE_SE_EEEEZNS1_13binary_searchIS3_S5_PxSG_SI_NS1_21lower_bound_search_opENS9_16wrapped_functionINS8_6system6detail7generic6detail18binary_search_lessEbEEEE10hipError_tPvRmT1_T2_T3_mmT4_T5_P12ihipStream_tbEUlRKxE_EEST_SX_SY_mSZ_S12_bEUlT_E_NS1_11comp_targetILNS1_3genE0ELNS1_11target_archE4294967295ELNS1_3gpuE0ELNS1_3repE0EEENS1_30default_config_static_selectorELNS0_4arch9wavefront6targetE1EEEvSW_.num_named_barrier, 0
	.set _ZN7rocprim17ROCPRIM_400000_NS6detail17trampoline_kernelINS0_14default_configENS1_27lower_bound_config_selectorIxlEEZNS1_14transform_implILb0ES3_S5_N6thrust23THRUST_200600_302600_NS6detail15normal_iteratorINS8_7pointerIxNS8_11hip_rocprim5par_tENS8_11use_defaultESE_EEEENSA_INSB_IlSD_SE_SE_EEEEZNS1_13binary_searchIS3_S5_PxSG_SI_NS1_21lower_bound_search_opENS9_16wrapped_functionINS8_6system6detail7generic6detail18binary_search_lessEbEEEE10hipError_tPvRmT1_T2_T3_mmT4_T5_P12ihipStream_tbEUlRKxE_EEST_SX_SY_mSZ_S12_bEUlT_E_NS1_11comp_targetILNS1_3genE0ELNS1_11target_archE4294967295ELNS1_3gpuE0ELNS1_3repE0EEENS1_30default_config_static_selectorELNS0_4arch9wavefront6targetE1EEEvSW_.private_seg_size, 0
	.set _ZN7rocprim17ROCPRIM_400000_NS6detail17trampoline_kernelINS0_14default_configENS1_27lower_bound_config_selectorIxlEEZNS1_14transform_implILb0ES3_S5_N6thrust23THRUST_200600_302600_NS6detail15normal_iteratorINS8_7pointerIxNS8_11hip_rocprim5par_tENS8_11use_defaultESE_EEEENSA_INSB_IlSD_SE_SE_EEEEZNS1_13binary_searchIS3_S5_PxSG_SI_NS1_21lower_bound_search_opENS9_16wrapped_functionINS8_6system6detail7generic6detail18binary_search_lessEbEEEE10hipError_tPvRmT1_T2_T3_mmT4_T5_P12ihipStream_tbEUlRKxE_EEST_SX_SY_mSZ_S12_bEUlT_E_NS1_11comp_targetILNS1_3genE0ELNS1_11target_archE4294967295ELNS1_3gpuE0ELNS1_3repE0EEENS1_30default_config_static_selectorELNS0_4arch9wavefront6targetE1EEEvSW_.uses_vcc, 0
	.set _ZN7rocprim17ROCPRIM_400000_NS6detail17trampoline_kernelINS0_14default_configENS1_27lower_bound_config_selectorIxlEEZNS1_14transform_implILb0ES3_S5_N6thrust23THRUST_200600_302600_NS6detail15normal_iteratorINS8_7pointerIxNS8_11hip_rocprim5par_tENS8_11use_defaultESE_EEEENSA_INSB_IlSD_SE_SE_EEEEZNS1_13binary_searchIS3_S5_PxSG_SI_NS1_21lower_bound_search_opENS9_16wrapped_functionINS8_6system6detail7generic6detail18binary_search_lessEbEEEE10hipError_tPvRmT1_T2_T3_mmT4_T5_P12ihipStream_tbEUlRKxE_EEST_SX_SY_mSZ_S12_bEUlT_E_NS1_11comp_targetILNS1_3genE0ELNS1_11target_archE4294967295ELNS1_3gpuE0ELNS1_3repE0EEENS1_30default_config_static_selectorELNS0_4arch9wavefront6targetE1EEEvSW_.uses_flat_scratch, 0
	.set _ZN7rocprim17ROCPRIM_400000_NS6detail17trampoline_kernelINS0_14default_configENS1_27lower_bound_config_selectorIxlEEZNS1_14transform_implILb0ES3_S5_N6thrust23THRUST_200600_302600_NS6detail15normal_iteratorINS8_7pointerIxNS8_11hip_rocprim5par_tENS8_11use_defaultESE_EEEENSA_INSB_IlSD_SE_SE_EEEEZNS1_13binary_searchIS3_S5_PxSG_SI_NS1_21lower_bound_search_opENS9_16wrapped_functionINS8_6system6detail7generic6detail18binary_search_lessEbEEEE10hipError_tPvRmT1_T2_T3_mmT4_T5_P12ihipStream_tbEUlRKxE_EEST_SX_SY_mSZ_S12_bEUlT_E_NS1_11comp_targetILNS1_3genE0ELNS1_11target_archE4294967295ELNS1_3gpuE0ELNS1_3repE0EEENS1_30default_config_static_selectorELNS0_4arch9wavefront6targetE1EEEvSW_.has_dyn_sized_stack, 0
	.set _ZN7rocprim17ROCPRIM_400000_NS6detail17trampoline_kernelINS0_14default_configENS1_27lower_bound_config_selectorIxlEEZNS1_14transform_implILb0ES3_S5_N6thrust23THRUST_200600_302600_NS6detail15normal_iteratorINS8_7pointerIxNS8_11hip_rocprim5par_tENS8_11use_defaultESE_EEEENSA_INSB_IlSD_SE_SE_EEEEZNS1_13binary_searchIS3_S5_PxSG_SI_NS1_21lower_bound_search_opENS9_16wrapped_functionINS8_6system6detail7generic6detail18binary_search_lessEbEEEE10hipError_tPvRmT1_T2_T3_mmT4_T5_P12ihipStream_tbEUlRKxE_EEST_SX_SY_mSZ_S12_bEUlT_E_NS1_11comp_targetILNS1_3genE0ELNS1_11target_archE4294967295ELNS1_3gpuE0ELNS1_3repE0EEENS1_30default_config_static_selectorELNS0_4arch9wavefront6targetE1EEEvSW_.has_recursion, 0
	.set _ZN7rocprim17ROCPRIM_400000_NS6detail17trampoline_kernelINS0_14default_configENS1_27lower_bound_config_selectorIxlEEZNS1_14transform_implILb0ES3_S5_N6thrust23THRUST_200600_302600_NS6detail15normal_iteratorINS8_7pointerIxNS8_11hip_rocprim5par_tENS8_11use_defaultESE_EEEENSA_INSB_IlSD_SE_SE_EEEEZNS1_13binary_searchIS3_S5_PxSG_SI_NS1_21lower_bound_search_opENS9_16wrapped_functionINS8_6system6detail7generic6detail18binary_search_lessEbEEEE10hipError_tPvRmT1_T2_T3_mmT4_T5_P12ihipStream_tbEUlRKxE_EEST_SX_SY_mSZ_S12_bEUlT_E_NS1_11comp_targetILNS1_3genE0ELNS1_11target_archE4294967295ELNS1_3gpuE0ELNS1_3repE0EEENS1_30default_config_static_selectorELNS0_4arch9wavefront6targetE1EEEvSW_.has_indirect_call, 0
	.section	.AMDGPU.csdata,"",@progbits
; Kernel info:
; codeLenInByte = 0
; TotalNumSgprs: 4
; NumVgprs: 0
; ScratchSize: 0
; MemoryBound: 0
; FloatMode: 240
; IeeeMode: 1
; LDSByteSize: 0 bytes/workgroup (compile time only)
; SGPRBlocks: 0
; VGPRBlocks: 0
; NumSGPRsForWavesPerEU: 4
; NumVGPRsForWavesPerEU: 1
; Occupancy: 10
; WaveLimiterHint : 0
; COMPUTE_PGM_RSRC2:SCRATCH_EN: 0
; COMPUTE_PGM_RSRC2:USER_SGPR: 6
; COMPUTE_PGM_RSRC2:TRAP_HANDLER: 0
; COMPUTE_PGM_RSRC2:TGID_X_EN: 1
; COMPUTE_PGM_RSRC2:TGID_Y_EN: 0
; COMPUTE_PGM_RSRC2:TGID_Z_EN: 0
; COMPUTE_PGM_RSRC2:TIDIG_COMP_CNT: 0
	.section	.text._ZN7rocprim17ROCPRIM_400000_NS6detail17trampoline_kernelINS0_14default_configENS1_27lower_bound_config_selectorIxlEEZNS1_14transform_implILb0ES3_S5_N6thrust23THRUST_200600_302600_NS6detail15normal_iteratorINS8_7pointerIxNS8_11hip_rocprim5par_tENS8_11use_defaultESE_EEEENSA_INSB_IlSD_SE_SE_EEEEZNS1_13binary_searchIS3_S5_PxSG_SI_NS1_21lower_bound_search_opENS9_16wrapped_functionINS8_6system6detail7generic6detail18binary_search_lessEbEEEE10hipError_tPvRmT1_T2_T3_mmT4_T5_P12ihipStream_tbEUlRKxE_EEST_SX_SY_mSZ_S12_bEUlT_E_NS1_11comp_targetILNS1_3genE5ELNS1_11target_archE942ELNS1_3gpuE9ELNS1_3repE0EEENS1_30default_config_static_selectorELNS0_4arch9wavefront6targetE1EEEvSW_,"axG",@progbits,_ZN7rocprim17ROCPRIM_400000_NS6detail17trampoline_kernelINS0_14default_configENS1_27lower_bound_config_selectorIxlEEZNS1_14transform_implILb0ES3_S5_N6thrust23THRUST_200600_302600_NS6detail15normal_iteratorINS8_7pointerIxNS8_11hip_rocprim5par_tENS8_11use_defaultESE_EEEENSA_INSB_IlSD_SE_SE_EEEEZNS1_13binary_searchIS3_S5_PxSG_SI_NS1_21lower_bound_search_opENS9_16wrapped_functionINS8_6system6detail7generic6detail18binary_search_lessEbEEEE10hipError_tPvRmT1_T2_T3_mmT4_T5_P12ihipStream_tbEUlRKxE_EEST_SX_SY_mSZ_S12_bEUlT_E_NS1_11comp_targetILNS1_3genE5ELNS1_11target_archE942ELNS1_3gpuE9ELNS1_3repE0EEENS1_30default_config_static_selectorELNS0_4arch9wavefront6targetE1EEEvSW_,comdat
	.protected	_ZN7rocprim17ROCPRIM_400000_NS6detail17trampoline_kernelINS0_14default_configENS1_27lower_bound_config_selectorIxlEEZNS1_14transform_implILb0ES3_S5_N6thrust23THRUST_200600_302600_NS6detail15normal_iteratorINS8_7pointerIxNS8_11hip_rocprim5par_tENS8_11use_defaultESE_EEEENSA_INSB_IlSD_SE_SE_EEEEZNS1_13binary_searchIS3_S5_PxSG_SI_NS1_21lower_bound_search_opENS9_16wrapped_functionINS8_6system6detail7generic6detail18binary_search_lessEbEEEE10hipError_tPvRmT1_T2_T3_mmT4_T5_P12ihipStream_tbEUlRKxE_EEST_SX_SY_mSZ_S12_bEUlT_E_NS1_11comp_targetILNS1_3genE5ELNS1_11target_archE942ELNS1_3gpuE9ELNS1_3repE0EEENS1_30default_config_static_selectorELNS0_4arch9wavefront6targetE1EEEvSW_ ; -- Begin function _ZN7rocprim17ROCPRIM_400000_NS6detail17trampoline_kernelINS0_14default_configENS1_27lower_bound_config_selectorIxlEEZNS1_14transform_implILb0ES3_S5_N6thrust23THRUST_200600_302600_NS6detail15normal_iteratorINS8_7pointerIxNS8_11hip_rocprim5par_tENS8_11use_defaultESE_EEEENSA_INSB_IlSD_SE_SE_EEEEZNS1_13binary_searchIS3_S5_PxSG_SI_NS1_21lower_bound_search_opENS9_16wrapped_functionINS8_6system6detail7generic6detail18binary_search_lessEbEEEE10hipError_tPvRmT1_T2_T3_mmT4_T5_P12ihipStream_tbEUlRKxE_EEST_SX_SY_mSZ_S12_bEUlT_E_NS1_11comp_targetILNS1_3genE5ELNS1_11target_archE942ELNS1_3gpuE9ELNS1_3repE0EEENS1_30default_config_static_selectorELNS0_4arch9wavefront6targetE1EEEvSW_
	.globl	_ZN7rocprim17ROCPRIM_400000_NS6detail17trampoline_kernelINS0_14default_configENS1_27lower_bound_config_selectorIxlEEZNS1_14transform_implILb0ES3_S5_N6thrust23THRUST_200600_302600_NS6detail15normal_iteratorINS8_7pointerIxNS8_11hip_rocprim5par_tENS8_11use_defaultESE_EEEENSA_INSB_IlSD_SE_SE_EEEEZNS1_13binary_searchIS3_S5_PxSG_SI_NS1_21lower_bound_search_opENS9_16wrapped_functionINS8_6system6detail7generic6detail18binary_search_lessEbEEEE10hipError_tPvRmT1_T2_T3_mmT4_T5_P12ihipStream_tbEUlRKxE_EEST_SX_SY_mSZ_S12_bEUlT_E_NS1_11comp_targetILNS1_3genE5ELNS1_11target_archE942ELNS1_3gpuE9ELNS1_3repE0EEENS1_30default_config_static_selectorELNS0_4arch9wavefront6targetE1EEEvSW_
	.p2align	8
	.type	_ZN7rocprim17ROCPRIM_400000_NS6detail17trampoline_kernelINS0_14default_configENS1_27lower_bound_config_selectorIxlEEZNS1_14transform_implILb0ES3_S5_N6thrust23THRUST_200600_302600_NS6detail15normal_iteratorINS8_7pointerIxNS8_11hip_rocprim5par_tENS8_11use_defaultESE_EEEENSA_INSB_IlSD_SE_SE_EEEEZNS1_13binary_searchIS3_S5_PxSG_SI_NS1_21lower_bound_search_opENS9_16wrapped_functionINS8_6system6detail7generic6detail18binary_search_lessEbEEEE10hipError_tPvRmT1_T2_T3_mmT4_T5_P12ihipStream_tbEUlRKxE_EEST_SX_SY_mSZ_S12_bEUlT_E_NS1_11comp_targetILNS1_3genE5ELNS1_11target_archE942ELNS1_3gpuE9ELNS1_3repE0EEENS1_30default_config_static_selectorELNS0_4arch9wavefront6targetE1EEEvSW_,@function
_ZN7rocprim17ROCPRIM_400000_NS6detail17trampoline_kernelINS0_14default_configENS1_27lower_bound_config_selectorIxlEEZNS1_14transform_implILb0ES3_S5_N6thrust23THRUST_200600_302600_NS6detail15normal_iteratorINS8_7pointerIxNS8_11hip_rocprim5par_tENS8_11use_defaultESE_EEEENSA_INSB_IlSD_SE_SE_EEEEZNS1_13binary_searchIS3_S5_PxSG_SI_NS1_21lower_bound_search_opENS9_16wrapped_functionINS8_6system6detail7generic6detail18binary_search_lessEbEEEE10hipError_tPvRmT1_T2_T3_mmT4_T5_P12ihipStream_tbEUlRKxE_EEST_SX_SY_mSZ_S12_bEUlT_E_NS1_11comp_targetILNS1_3genE5ELNS1_11target_archE942ELNS1_3gpuE9ELNS1_3repE0EEENS1_30default_config_static_selectorELNS0_4arch9wavefront6targetE1EEEvSW_: ; @_ZN7rocprim17ROCPRIM_400000_NS6detail17trampoline_kernelINS0_14default_configENS1_27lower_bound_config_selectorIxlEEZNS1_14transform_implILb0ES3_S5_N6thrust23THRUST_200600_302600_NS6detail15normal_iteratorINS8_7pointerIxNS8_11hip_rocprim5par_tENS8_11use_defaultESE_EEEENSA_INSB_IlSD_SE_SE_EEEEZNS1_13binary_searchIS3_S5_PxSG_SI_NS1_21lower_bound_search_opENS9_16wrapped_functionINS8_6system6detail7generic6detail18binary_search_lessEbEEEE10hipError_tPvRmT1_T2_T3_mmT4_T5_P12ihipStream_tbEUlRKxE_EEST_SX_SY_mSZ_S12_bEUlT_E_NS1_11comp_targetILNS1_3genE5ELNS1_11target_archE942ELNS1_3gpuE9ELNS1_3repE0EEENS1_30default_config_static_selectorELNS0_4arch9wavefront6targetE1EEEvSW_
; %bb.0:
	.section	.rodata,"a",@progbits
	.p2align	6, 0x0
	.amdhsa_kernel _ZN7rocprim17ROCPRIM_400000_NS6detail17trampoline_kernelINS0_14default_configENS1_27lower_bound_config_selectorIxlEEZNS1_14transform_implILb0ES3_S5_N6thrust23THRUST_200600_302600_NS6detail15normal_iteratorINS8_7pointerIxNS8_11hip_rocprim5par_tENS8_11use_defaultESE_EEEENSA_INSB_IlSD_SE_SE_EEEEZNS1_13binary_searchIS3_S5_PxSG_SI_NS1_21lower_bound_search_opENS9_16wrapped_functionINS8_6system6detail7generic6detail18binary_search_lessEbEEEE10hipError_tPvRmT1_T2_T3_mmT4_T5_P12ihipStream_tbEUlRKxE_EEST_SX_SY_mSZ_S12_bEUlT_E_NS1_11comp_targetILNS1_3genE5ELNS1_11target_archE942ELNS1_3gpuE9ELNS1_3repE0EEENS1_30default_config_static_selectorELNS0_4arch9wavefront6targetE1EEEvSW_
		.amdhsa_group_segment_fixed_size 0
		.amdhsa_private_segment_fixed_size 0
		.amdhsa_kernarg_size 56
		.amdhsa_user_sgpr_count 6
		.amdhsa_user_sgpr_private_segment_buffer 1
		.amdhsa_user_sgpr_dispatch_ptr 0
		.amdhsa_user_sgpr_queue_ptr 0
		.amdhsa_user_sgpr_kernarg_segment_ptr 1
		.amdhsa_user_sgpr_dispatch_id 0
		.amdhsa_user_sgpr_flat_scratch_init 0
		.amdhsa_user_sgpr_private_segment_size 0
		.amdhsa_uses_dynamic_stack 0
		.amdhsa_system_sgpr_private_segment_wavefront_offset 0
		.amdhsa_system_sgpr_workgroup_id_x 1
		.amdhsa_system_sgpr_workgroup_id_y 0
		.amdhsa_system_sgpr_workgroup_id_z 0
		.amdhsa_system_sgpr_workgroup_info 0
		.amdhsa_system_vgpr_workitem_id 0
		.amdhsa_next_free_vgpr 1
		.amdhsa_next_free_sgpr 0
		.amdhsa_reserve_vcc 0
		.amdhsa_reserve_flat_scratch 0
		.amdhsa_float_round_mode_32 0
		.amdhsa_float_round_mode_16_64 0
		.amdhsa_float_denorm_mode_32 3
		.amdhsa_float_denorm_mode_16_64 3
		.amdhsa_dx10_clamp 1
		.amdhsa_ieee_mode 1
		.amdhsa_fp16_overflow 0
		.amdhsa_exception_fp_ieee_invalid_op 0
		.amdhsa_exception_fp_denorm_src 0
		.amdhsa_exception_fp_ieee_div_zero 0
		.amdhsa_exception_fp_ieee_overflow 0
		.amdhsa_exception_fp_ieee_underflow 0
		.amdhsa_exception_fp_ieee_inexact 0
		.amdhsa_exception_int_div_zero 0
	.end_amdhsa_kernel
	.section	.text._ZN7rocprim17ROCPRIM_400000_NS6detail17trampoline_kernelINS0_14default_configENS1_27lower_bound_config_selectorIxlEEZNS1_14transform_implILb0ES3_S5_N6thrust23THRUST_200600_302600_NS6detail15normal_iteratorINS8_7pointerIxNS8_11hip_rocprim5par_tENS8_11use_defaultESE_EEEENSA_INSB_IlSD_SE_SE_EEEEZNS1_13binary_searchIS3_S5_PxSG_SI_NS1_21lower_bound_search_opENS9_16wrapped_functionINS8_6system6detail7generic6detail18binary_search_lessEbEEEE10hipError_tPvRmT1_T2_T3_mmT4_T5_P12ihipStream_tbEUlRKxE_EEST_SX_SY_mSZ_S12_bEUlT_E_NS1_11comp_targetILNS1_3genE5ELNS1_11target_archE942ELNS1_3gpuE9ELNS1_3repE0EEENS1_30default_config_static_selectorELNS0_4arch9wavefront6targetE1EEEvSW_,"axG",@progbits,_ZN7rocprim17ROCPRIM_400000_NS6detail17trampoline_kernelINS0_14default_configENS1_27lower_bound_config_selectorIxlEEZNS1_14transform_implILb0ES3_S5_N6thrust23THRUST_200600_302600_NS6detail15normal_iteratorINS8_7pointerIxNS8_11hip_rocprim5par_tENS8_11use_defaultESE_EEEENSA_INSB_IlSD_SE_SE_EEEEZNS1_13binary_searchIS3_S5_PxSG_SI_NS1_21lower_bound_search_opENS9_16wrapped_functionINS8_6system6detail7generic6detail18binary_search_lessEbEEEE10hipError_tPvRmT1_T2_T3_mmT4_T5_P12ihipStream_tbEUlRKxE_EEST_SX_SY_mSZ_S12_bEUlT_E_NS1_11comp_targetILNS1_3genE5ELNS1_11target_archE942ELNS1_3gpuE9ELNS1_3repE0EEENS1_30default_config_static_selectorELNS0_4arch9wavefront6targetE1EEEvSW_,comdat
.Lfunc_end114:
	.size	_ZN7rocprim17ROCPRIM_400000_NS6detail17trampoline_kernelINS0_14default_configENS1_27lower_bound_config_selectorIxlEEZNS1_14transform_implILb0ES3_S5_N6thrust23THRUST_200600_302600_NS6detail15normal_iteratorINS8_7pointerIxNS8_11hip_rocprim5par_tENS8_11use_defaultESE_EEEENSA_INSB_IlSD_SE_SE_EEEEZNS1_13binary_searchIS3_S5_PxSG_SI_NS1_21lower_bound_search_opENS9_16wrapped_functionINS8_6system6detail7generic6detail18binary_search_lessEbEEEE10hipError_tPvRmT1_T2_T3_mmT4_T5_P12ihipStream_tbEUlRKxE_EEST_SX_SY_mSZ_S12_bEUlT_E_NS1_11comp_targetILNS1_3genE5ELNS1_11target_archE942ELNS1_3gpuE9ELNS1_3repE0EEENS1_30default_config_static_selectorELNS0_4arch9wavefront6targetE1EEEvSW_, .Lfunc_end114-_ZN7rocprim17ROCPRIM_400000_NS6detail17trampoline_kernelINS0_14default_configENS1_27lower_bound_config_selectorIxlEEZNS1_14transform_implILb0ES3_S5_N6thrust23THRUST_200600_302600_NS6detail15normal_iteratorINS8_7pointerIxNS8_11hip_rocprim5par_tENS8_11use_defaultESE_EEEENSA_INSB_IlSD_SE_SE_EEEEZNS1_13binary_searchIS3_S5_PxSG_SI_NS1_21lower_bound_search_opENS9_16wrapped_functionINS8_6system6detail7generic6detail18binary_search_lessEbEEEE10hipError_tPvRmT1_T2_T3_mmT4_T5_P12ihipStream_tbEUlRKxE_EEST_SX_SY_mSZ_S12_bEUlT_E_NS1_11comp_targetILNS1_3genE5ELNS1_11target_archE942ELNS1_3gpuE9ELNS1_3repE0EEENS1_30default_config_static_selectorELNS0_4arch9wavefront6targetE1EEEvSW_
                                        ; -- End function
	.set _ZN7rocprim17ROCPRIM_400000_NS6detail17trampoline_kernelINS0_14default_configENS1_27lower_bound_config_selectorIxlEEZNS1_14transform_implILb0ES3_S5_N6thrust23THRUST_200600_302600_NS6detail15normal_iteratorINS8_7pointerIxNS8_11hip_rocprim5par_tENS8_11use_defaultESE_EEEENSA_INSB_IlSD_SE_SE_EEEEZNS1_13binary_searchIS3_S5_PxSG_SI_NS1_21lower_bound_search_opENS9_16wrapped_functionINS8_6system6detail7generic6detail18binary_search_lessEbEEEE10hipError_tPvRmT1_T2_T3_mmT4_T5_P12ihipStream_tbEUlRKxE_EEST_SX_SY_mSZ_S12_bEUlT_E_NS1_11comp_targetILNS1_3genE5ELNS1_11target_archE942ELNS1_3gpuE9ELNS1_3repE0EEENS1_30default_config_static_selectorELNS0_4arch9wavefront6targetE1EEEvSW_.num_vgpr, 0
	.set _ZN7rocprim17ROCPRIM_400000_NS6detail17trampoline_kernelINS0_14default_configENS1_27lower_bound_config_selectorIxlEEZNS1_14transform_implILb0ES3_S5_N6thrust23THRUST_200600_302600_NS6detail15normal_iteratorINS8_7pointerIxNS8_11hip_rocprim5par_tENS8_11use_defaultESE_EEEENSA_INSB_IlSD_SE_SE_EEEEZNS1_13binary_searchIS3_S5_PxSG_SI_NS1_21lower_bound_search_opENS9_16wrapped_functionINS8_6system6detail7generic6detail18binary_search_lessEbEEEE10hipError_tPvRmT1_T2_T3_mmT4_T5_P12ihipStream_tbEUlRKxE_EEST_SX_SY_mSZ_S12_bEUlT_E_NS1_11comp_targetILNS1_3genE5ELNS1_11target_archE942ELNS1_3gpuE9ELNS1_3repE0EEENS1_30default_config_static_selectorELNS0_4arch9wavefront6targetE1EEEvSW_.num_agpr, 0
	.set _ZN7rocprim17ROCPRIM_400000_NS6detail17trampoline_kernelINS0_14default_configENS1_27lower_bound_config_selectorIxlEEZNS1_14transform_implILb0ES3_S5_N6thrust23THRUST_200600_302600_NS6detail15normal_iteratorINS8_7pointerIxNS8_11hip_rocprim5par_tENS8_11use_defaultESE_EEEENSA_INSB_IlSD_SE_SE_EEEEZNS1_13binary_searchIS3_S5_PxSG_SI_NS1_21lower_bound_search_opENS9_16wrapped_functionINS8_6system6detail7generic6detail18binary_search_lessEbEEEE10hipError_tPvRmT1_T2_T3_mmT4_T5_P12ihipStream_tbEUlRKxE_EEST_SX_SY_mSZ_S12_bEUlT_E_NS1_11comp_targetILNS1_3genE5ELNS1_11target_archE942ELNS1_3gpuE9ELNS1_3repE0EEENS1_30default_config_static_selectorELNS0_4arch9wavefront6targetE1EEEvSW_.numbered_sgpr, 0
	.set _ZN7rocprim17ROCPRIM_400000_NS6detail17trampoline_kernelINS0_14default_configENS1_27lower_bound_config_selectorIxlEEZNS1_14transform_implILb0ES3_S5_N6thrust23THRUST_200600_302600_NS6detail15normal_iteratorINS8_7pointerIxNS8_11hip_rocprim5par_tENS8_11use_defaultESE_EEEENSA_INSB_IlSD_SE_SE_EEEEZNS1_13binary_searchIS3_S5_PxSG_SI_NS1_21lower_bound_search_opENS9_16wrapped_functionINS8_6system6detail7generic6detail18binary_search_lessEbEEEE10hipError_tPvRmT1_T2_T3_mmT4_T5_P12ihipStream_tbEUlRKxE_EEST_SX_SY_mSZ_S12_bEUlT_E_NS1_11comp_targetILNS1_3genE5ELNS1_11target_archE942ELNS1_3gpuE9ELNS1_3repE0EEENS1_30default_config_static_selectorELNS0_4arch9wavefront6targetE1EEEvSW_.num_named_barrier, 0
	.set _ZN7rocprim17ROCPRIM_400000_NS6detail17trampoline_kernelINS0_14default_configENS1_27lower_bound_config_selectorIxlEEZNS1_14transform_implILb0ES3_S5_N6thrust23THRUST_200600_302600_NS6detail15normal_iteratorINS8_7pointerIxNS8_11hip_rocprim5par_tENS8_11use_defaultESE_EEEENSA_INSB_IlSD_SE_SE_EEEEZNS1_13binary_searchIS3_S5_PxSG_SI_NS1_21lower_bound_search_opENS9_16wrapped_functionINS8_6system6detail7generic6detail18binary_search_lessEbEEEE10hipError_tPvRmT1_T2_T3_mmT4_T5_P12ihipStream_tbEUlRKxE_EEST_SX_SY_mSZ_S12_bEUlT_E_NS1_11comp_targetILNS1_3genE5ELNS1_11target_archE942ELNS1_3gpuE9ELNS1_3repE0EEENS1_30default_config_static_selectorELNS0_4arch9wavefront6targetE1EEEvSW_.private_seg_size, 0
	.set _ZN7rocprim17ROCPRIM_400000_NS6detail17trampoline_kernelINS0_14default_configENS1_27lower_bound_config_selectorIxlEEZNS1_14transform_implILb0ES3_S5_N6thrust23THRUST_200600_302600_NS6detail15normal_iteratorINS8_7pointerIxNS8_11hip_rocprim5par_tENS8_11use_defaultESE_EEEENSA_INSB_IlSD_SE_SE_EEEEZNS1_13binary_searchIS3_S5_PxSG_SI_NS1_21lower_bound_search_opENS9_16wrapped_functionINS8_6system6detail7generic6detail18binary_search_lessEbEEEE10hipError_tPvRmT1_T2_T3_mmT4_T5_P12ihipStream_tbEUlRKxE_EEST_SX_SY_mSZ_S12_bEUlT_E_NS1_11comp_targetILNS1_3genE5ELNS1_11target_archE942ELNS1_3gpuE9ELNS1_3repE0EEENS1_30default_config_static_selectorELNS0_4arch9wavefront6targetE1EEEvSW_.uses_vcc, 0
	.set _ZN7rocprim17ROCPRIM_400000_NS6detail17trampoline_kernelINS0_14default_configENS1_27lower_bound_config_selectorIxlEEZNS1_14transform_implILb0ES3_S5_N6thrust23THRUST_200600_302600_NS6detail15normal_iteratorINS8_7pointerIxNS8_11hip_rocprim5par_tENS8_11use_defaultESE_EEEENSA_INSB_IlSD_SE_SE_EEEEZNS1_13binary_searchIS3_S5_PxSG_SI_NS1_21lower_bound_search_opENS9_16wrapped_functionINS8_6system6detail7generic6detail18binary_search_lessEbEEEE10hipError_tPvRmT1_T2_T3_mmT4_T5_P12ihipStream_tbEUlRKxE_EEST_SX_SY_mSZ_S12_bEUlT_E_NS1_11comp_targetILNS1_3genE5ELNS1_11target_archE942ELNS1_3gpuE9ELNS1_3repE0EEENS1_30default_config_static_selectorELNS0_4arch9wavefront6targetE1EEEvSW_.uses_flat_scratch, 0
	.set _ZN7rocprim17ROCPRIM_400000_NS6detail17trampoline_kernelINS0_14default_configENS1_27lower_bound_config_selectorIxlEEZNS1_14transform_implILb0ES3_S5_N6thrust23THRUST_200600_302600_NS6detail15normal_iteratorINS8_7pointerIxNS8_11hip_rocprim5par_tENS8_11use_defaultESE_EEEENSA_INSB_IlSD_SE_SE_EEEEZNS1_13binary_searchIS3_S5_PxSG_SI_NS1_21lower_bound_search_opENS9_16wrapped_functionINS8_6system6detail7generic6detail18binary_search_lessEbEEEE10hipError_tPvRmT1_T2_T3_mmT4_T5_P12ihipStream_tbEUlRKxE_EEST_SX_SY_mSZ_S12_bEUlT_E_NS1_11comp_targetILNS1_3genE5ELNS1_11target_archE942ELNS1_3gpuE9ELNS1_3repE0EEENS1_30default_config_static_selectorELNS0_4arch9wavefront6targetE1EEEvSW_.has_dyn_sized_stack, 0
	.set _ZN7rocprim17ROCPRIM_400000_NS6detail17trampoline_kernelINS0_14default_configENS1_27lower_bound_config_selectorIxlEEZNS1_14transform_implILb0ES3_S5_N6thrust23THRUST_200600_302600_NS6detail15normal_iteratorINS8_7pointerIxNS8_11hip_rocprim5par_tENS8_11use_defaultESE_EEEENSA_INSB_IlSD_SE_SE_EEEEZNS1_13binary_searchIS3_S5_PxSG_SI_NS1_21lower_bound_search_opENS9_16wrapped_functionINS8_6system6detail7generic6detail18binary_search_lessEbEEEE10hipError_tPvRmT1_T2_T3_mmT4_T5_P12ihipStream_tbEUlRKxE_EEST_SX_SY_mSZ_S12_bEUlT_E_NS1_11comp_targetILNS1_3genE5ELNS1_11target_archE942ELNS1_3gpuE9ELNS1_3repE0EEENS1_30default_config_static_selectorELNS0_4arch9wavefront6targetE1EEEvSW_.has_recursion, 0
	.set _ZN7rocprim17ROCPRIM_400000_NS6detail17trampoline_kernelINS0_14default_configENS1_27lower_bound_config_selectorIxlEEZNS1_14transform_implILb0ES3_S5_N6thrust23THRUST_200600_302600_NS6detail15normal_iteratorINS8_7pointerIxNS8_11hip_rocprim5par_tENS8_11use_defaultESE_EEEENSA_INSB_IlSD_SE_SE_EEEEZNS1_13binary_searchIS3_S5_PxSG_SI_NS1_21lower_bound_search_opENS9_16wrapped_functionINS8_6system6detail7generic6detail18binary_search_lessEbEEEE10hipError_tPvRmT1_T2_T3_mmT4_T5_P12ihipStream_tbEUlRKxE_EEST_SX_SY_mSZ_S12_bEUlT_E_NS1_11comp_targetILNS1_3genE5ELNS1_11target_archE942ELNS1_3gpuE9ELNS1_3repE0EEENS1_30default_config_static_selectorELNS0_4arch9wavefront6targetE1EEEvSW_.has_indirect_call, 0
	.section	.AMDGPU.csdata,"",@progbits
; Kernel info:
; codeLenInByte = 0
; TotalNumSgprs: 4
; NumVgprs: 0
; ScratchSize: 0
; MemoryBound: 0
; FloatMode: 240
; IeeeMode: 1
; LDSByteSize: 0 bytes/workgroup (compile time only)
; SGPRBlocks: 0
; VGPRBlocks: 0
; NumSGPRsForWavesPerEU: 4
; NumVGPRsForWavesPerEU: 1
; Occupancy: 10
; WaveLimiterHint : 0
; COMPUTE_PGM_RSRC2:SCRATCH_EN: 0
; COMPUTE_PGM_RSRC2:USER_SGPR: 6
; COMPUTE_PGM_RSRC2:TRAP_HANDLER: 0
; COMPUTE_PGM_RSRC2:TGID_X_EN: 1
; COMPUTE_PGM_RSRC2:TGID_Y_EN: 0
; COMPUTE_PGM_RSRC2:TGID_Z_EN: 0
; COMPUTE_PGM_RSRC2:TIDIG_COMP_CNT: 0
	.section	.text._ZN7rocprim17ROCPRIM_400000_NS6detail17trampoline_kernelINS0_14default_configENS1_27lower_bound_config_selectorIxlEEZNS1_14transform_implILb0ES3_S5_N6thrust23THRUST_200600_302600_NS6detail15normal_iteratorINS8_7pointerIxNS8_11hip_rocprim5par_tENS8_11use_defaultESE_EEEENSA_INSB_IlSD_SE_SE_EEEEZNS1_13binary_searchIS3_S5_PxSG_SI_NS1_21lower_bound_search_opENS9_16wrapped_functionINS8_6system6detail7generic6detail18binary_search_lessEbEEEE10hipError_tPvRmT1_T2_T3_mmT4_T5_P12ihipStream_tbEUlRKxE_EEST_SX_SY_mSZ_S12_bEUlT_E_NS1_11comp_targetILNS1_3genE4ELNS1_11target_archE910ELNS1_3gpuE8ELNS1_3repE0EEENS1_30default_config_static_selectorELNS0_4arch9wavefront6targetE1EEEvSW_,"axG",@progbits,_ZN7rocprim17ROCPRIM_400000_NS6detail17trampoline_kernelINS0_14default_configENS1_27lower_bound_config_selectorIxlEEZNS1_14transform_implILb0ES3_S5_N6thrust23THRUST_200600_302600_NS6detail15normal_iteratorINS8_7pointerIxNS8_11hip_rocprim5par_tENS8_11use_defaultESE_EEEENSA_INSB_IlSD_SE_SE_EEEEZNS1_13binary_searchIS3_S5_PxSG_SI_NS1_21lower_bound_search_opENS9_16wrapped_functionINS8_6system6detail7generic6detail18binary_search_lessEbEEEE10hipError_tPvRmT1_T2_T3_mmT4_T5_P12ihipStream_tbEUlRKxE_EEST_SX_SY_mSZ_S12_bEUlT_E_NS1_11comp_targetILNS1_3genE4ELNS1_11target_archE910ELNS1_3gpuE8ELNS1_3repE0EEENS1_30default_config_static_selectorELNS0_4arch9wavefront6targetE1EEEvSW_,comdat
	.protected	_ZN7rocprim17ROCPRIM_400000_NS6detail17trampoline_kernelINS0_14default_configENS1_27lower_bound_config_selectorIxlEEZNS1_14transform_implILb0ES3_S5_N6thrust23THRUST_200600_302600_NS6detail15normal_iteratorINS8_7pointerIxNS8_11hip_rocprim5par_tENS8_11use_defaultESE_EEEENSA_INSB_IlSD_SE_SE_EEEEZNS1_13binary_searchIS3_S5_PxSG_SI_NS1_21lower_bound_search_opENS9_16wrapped_functionINS8_6system6detail7generic6detail18binary_search_lessEbEEEE10hipError_tPvRmT1_T2_T3_mmT4_T5_P12ihipStream_tbEUlRKxE_EEST_SX_SY_mSZ_S12_bEUlT_E_NS1_11comp_targetILNS1_3genE4ELNS1_11target_archE910ELNS1_3gpuE8ELNS1_3repE0EEENS1_30default_config_static_selectorELNS0_4arch9wavefront6targetE1EEEvSW_ ; -- Begin function _ZN7rocprim17ROCPRIM_400000_NS6detail17trampoline_kernelINS0_14default_configENS1_27lower_bound_config_selectorIxlEEZNS1_14transform_implILb0ES3_S5_N6thrust23THRUST_200600_302600_NS6detail15normal_iteratorINS8_7pointerIxNS8_11hip_rocprim5par_tENS8_11use_defaultESE_EEEENSA_INSB_IlSD_SE_SE_EEEEZNS1_13binary_searchIS3_S5_PxSG_SI_NS1_21lower_bound_search_opENS9_16wrapped_functionINS8_6system6detail7generic6detail18binary_search_lessEbEEEE10hipError_tPvRmT1_T2_T3_mmT4_T5_P12ihipStream_tbEUlRKxE_EEST_SX_SY_mSZ_S12_bEUlT_E_NS1_11comp_targetILNS1_3genE4ELNS1_11target_archE910ELNS1_3gpuE8ELNS1_3repE0EEENS1_30default_config_static_selectorELNS0_4arch9wavefront6targetE1EEEvSW_
	.globl	_ZN7rocprim17ROCPRIM_400000_NS6detail17trampoline_kernelINS0_14default_configENS1_27lower_bound_config_selectorIxlEEZNS1_14transform_implILb0ES3_S5_N6thrust23THRUST_200600_302600_NS6detail15normal_iteratorINS8_7pointerIxNS8_11hip_rocprim5par_tENS8_11use_defaultESE_EEEENSA_INSB_IlSD_SE_SE_EEEEZNS1_13binary_searchIS3_S5_PxSG_SI_NS1_21lower_bound_search_opENS9_16wrapped_functionINS8_6system6detail7generic6detail18binary_search_lessEbEEEE10hipError_tPvRmT1_T2_T3_mmT4_T5_P12ihipStream_tbEUlRKxE_EEST_SX_SY_mSZ_S12_bEUlT_E_NS1_11comp_targetILNS1_3genE4ELNS1_11target_archE910ELNS1_3gpuE8ELNS1_3repE0EEENS1_30default_config_static_selectorELNS0_4arch9wavefront6targetE1EEEvSW_
	.p2align	8
	.type	_ZN7rocprim17ROCPRIM_400000_NS6detail17trampoline_kernelINS0_14default_configENS1_27lower_bound_config_selectorIxlEEZNS1_14transform_implILb0ES3_S5_N6thrust23THRUST_200600_302600_NS6detail15normal_iteratorINS8_7pointerIxNS8_11hip_rocprim5par_tENS8_11use_defaultESE_EEEENSA_INSB_IlSD_SE_SE_EEEEZNS1_13binary_searchIS3_S5_PxSG_SI_NS1_21lower_bound_search_opENS9_16wrapped_functionINS8_6system6detail7generic6detail18binary_search_lessEbEEEE10hipError_tPvRmT1_T2_T3_mmT4_T5_P12ihipStream_tbEUlRKxE_EEST_SX_SY_mSZ_S12_bEUlT_E_NS1_11comp_targetILNS1_3genE4ELNS1_11target_archE910ELNS1_3gpuE8ELNS1_3repE0EEENS1_30default_config_static_selectorELNS0_4arch9wavefront6targetE1EEEvSW_,@function
_ZN7rocprim17ROCPRIM_400000_NS6detail17trampoline_kernelINS0_14default_configENS1_27lower_bound_config_selectorIxlEEZNS1_14transform_implILb0ES3_S5_N6thrust23THRUST_200600_302600_NS6detail15normal_iteratorINS8_7pointerIxNS8_11hip_rocprim5par_tENS8_11use_defaultESE_EEEENSA_INSB_IlSD_SE_SE_EEEEZNS1_13binary_searchIS3_S5_PxSG_SI_NS1_21lower_bound_search_opENS9_16wrapped_functionINS8_6system6detail7generic6detail18binary_search_lessEbEEEE10hipError_tPvRmT1_T2_T3_mmT4_T5_P12ihipStream_tbEUlRKxE_EEST_SX_SY_mSZ_S12_bEUlT_E_NS1_11comp_targetILNS1_3genE4ELNS1_11target_archE910ELNS1_3gpuE8ELNS1_3repE0EEENS1_30default_config_static_selectorELNS0_4arch9wavefront6targetE1EEEvSW_: ; @_ZN7rocprim17ROCPRIM_400000_NS6detail17trampoline_kernelINS0_14default_configENS1_27lower_bound_config_selectorIxlEEZNS1_14transform_implILb0ES3_S5_N6thrust23THRUST_200600_302600_NS6detail15normal_iteratorINS8_7pointerIxNS8_11hip_rocprim5par_tENS8_11use_defaultESE_EEEENSA_INSB_IlSD_SE_SE_EEEEZNS1_13binary_searchIS3_S5_PxSG_SI_NS1_21lower_bound_search_opENS9_16wrapped_functionINS8_6system6detail7generic6detail18binary_search_lessEbEEEE10hipError_tPvRmT1_T2_T3_mmT4_T5_P12ihipStream_tbEUlRKxE_EEST_SX_SY_mSZ_S12_bEUlT_E_NS1_11comp_targetILNS1_3genE4ELNS1_11target_archE910ELNS1_3gpuE8ELNS1_3repE0EEENS1_30default_config_static_selectorELNS0_4arch9wavefront6targetE1EEEvSW_
; %bb.0:
	.section	.rodata,"a",@progbits
	.p2align	6, 0x0
	.amdhsa_kernel _ZN7rocprim17ROCPRIM_400000_NS6detail17trampoline_kernelINS0_14default_configENS1_27lower_bound_config_selectorIxlEEZNS1_14transform_implILb0ES3_S5_N6thrust23THRUST_200600_302600_NS6detail15normal_iteratorINS8_7pointerIxNS8_11hip_rocprim5par_tENS8_11use_defaultESE_EEEENSA_INSB_IlSD_SE_SE_EEEEZNS1_13binary_searchIS3_S5_PxSG_SI_NS1_21lower_bound_search_opENS9_16wrapped_functionINS8_6system6detail7generic6detail18binary_search_lessEbEEEE10hipError_tPvRmT1_T2_T3_mmT4_T5_P12ihipStream_tbEUlRKxE_EEST_SX_SY_mSZ_S12_bEUlT_E_NS1_11comp_targetILNS1_3genE4ELNS1_11target_archE910ELNS1_3gpuE8ELNS1_3repE0EEENS1_30default_config_static_selectorELNS0_4arch9wavefront6targetE1EEEvSW_
		.amdhsa_group_segment_fixed_size 0
		.amdhsa_private_segment_fixed_size 0
		.amdhsa_kernarg_size 56
		.amdhsa_user_sgpr_count 6
		.amdhsa_user_sgpr_private_segment_buffer 1
		.amdhsa_user_sgpr_dispatch_ptr 0
		.amdhsa_user_sgpr_queue_ptr 0
		.amdhsa_user_sgpr_kernarg_segment_ptr 1
		.amdhsa_user_sgpr_dispatch_id 0
		.amdhsa_user_sgpr_flat_scratch_init 0
		.amdhsa_user_sgpr_private_segment_size 0
		.amdhsa_uses_dynamic_stack 0
		.amdhsa_system_sgpr_private_segment_wavefront_offset 0
		.amdhsa_system_sgpr_workgroup_id_x 1
		.amdhsa_system_sgpr_workgroup_id_y 0
		.amdhsa_system_sgpr_workgroup_id_z 0
		.amdhsa_system_sgpr_workgroup_info 0
		.amdhsa_system_vgpr_workitem_id 0
		.amdhsa_next_free_vgpr 1
		.amdhsa_next_free_sgpr 0
		.amdhsa_reserve_vcc 0
		.amdhsa_reserve_flat_scratch 0
		.amdhsa_float_round_mode_32 0
		.amdhsa_float_round_mode_16_64 0
		.amdhsa_float_denorm_mode_32 3
		.amdhsa_float_denorm_mode_16_64 3
		.amdhsa_dx10_clamp 1
		.amdhsa_ieee_mode 1
		.amdhsa_fp16_overflow 0
		.amdhsa_exception_fp_ieee_invalid_op 0
		.amdhsa_exception_fp_denorm_src 0
		.amdhsa_exception_fp_ieee_div_zero 0
		.amdhsa_exception_fp_ieee_overflow 0
		.amdhsa_exception_fp_ieee_underflow 0
		.amdhsa_exception_fp_ieee_inexact 0
		.amdhsa_exception_int_div_zero 0
	.end_amdhsa_kernel
	.section	.text._ZN7rocprim17ROCPRIM_400000_NS6detail17trampoline_kernelINS0_14default_configENS1_27lower_bound_config_selectorIxlEEZNS1_14transform_implILb0ES3_S5_N6thrust23THRUST_200600_302600_NS6detail15normal_iteratorINS8_7pointerIxNS8_11hip_rocprim5par_tENS8_11use_defaultESE_EEEENSA_INSB_IlSD_SE_SE_EEEEZNS1_13binary_searchIS3_S5_PxSG_SI_NS1_21lower_bound_search_opENS9_16wrapped_functionINS8_6system6detail7generic6detail18binary_search_lessEbEEEE10hipError_tPvRmT1_T2_T3_mmT4_T5_P12ihipStream_tbEUlRKxE_EEST_SX_SY_mSZ_S12_bEUlT_E_NS1_11comp_targetILNS1_3genE4ELNS1_11target_archE910ELNS1_3gpuE8ELNS1_3repE0EEENS1_30default_config_static_selectorELNS0_4arch9wavefront6targetE1EEEvSW_,"axG",@progbits,_ZN7rocprim17ROCPRIM_400000_NS6detail17trampoline_kernelINS0_14default_configENS1_27lower_bound_config_selectorIxlEEZNS1_14transform_implILb0ES3_S5_N6thrust23THRUST_200600_302600_NS6detail15normal_iteratorINS8_7pointerIxNS8_11hip_rocprim5par_tENS8_11use_defaultESE_EEEENSA_INSB_IlSD_SE_SE_EEEEZNS1_13binary_searchIS3_S5_PxSG_SI_NS1_21lower_bound_search_opENS9_16wrapped_functionINS8_6system6detail7generic6detail18binary_search_lessEbEEEE10hipError_tPvRmT1_T2_T3_mmT4_T5_P12ihipStream_tbEUlRKxE_EEST_SX_SY_mSZ_S12_bEUlT_E_NS1_11comp_targetILNS1_3genE4ELNS1_11target_archE910ELNS1_3gpuE8ELNS1_3repE0EEENS1_30default_config_static_selectorELNS0_4arch9wavefront6targetE1EEEvSW_,comdat
.Lfunc_end115:
	.size	_ZN7rocprim17ROCPRIM_400000_NS6detail17trampoline_kernelINS0_14default_configENS1_27lower_bound_config_selectorIxlEEZNS1_14transform_implILb0ES3_S5_N6thrust23THRUST_200600_302600_NS6detail15normal_iteratorINS8_7pointerIxNS8_11hip_rocprim5par_tENS8_11use_defaultESE_EEEENSA_INSB_IlSD_SE_SE_EEEEZNS1_13binary_searchIS3_S5_PxSG_SI_NS1_21lower_bound_search_opENS9_16wrapped_functionINS8_6system6detail7generic6detail18binary_search_lessEbEEEE10hipError_tPvRmT1_T2_T3_mmT4_T5_P12ihipStream_tbEUlRKxE_EEST_SX_SY_mSZ_S12_bEUlT_E_NS1_11comp_targetILNS1_3genE4ELNS1_11target_archE910ELNS1_3gpuE8ELNS1_3repE0EEENS1_30default_config_static_selectorELNS0_4arch9wavefront6targetE1EEEvSW_, .Lfunc_end115-_ZN7rocprim17ROCPRIM_400000_NS6detail17trampoline_kernelINS0_14default_configENS1_27lower_bound_config_selectorIxlEEZNS1_14transform_implILb0ES3_S5_N6thrust23THRUST_200600_302600_NS6detail15normal_iteratorINS8_7pointerIxNS8_11hip_rocprim5par_tENS8_11use_defaultESE_EEEENSA_INSB_IlSD_SE_SE_EEEEZNS1_13binary_searchIS3_S5_PxSG_SI_NS1_21lower_bound_search_opENS9_16wrapped_functionINS8_6system6detail7generic6detail18binary_search_lessEbEEEE10hipError_tPvRmT1_T2_T3_mmT4_T5_P12ihipStream_tbEUlRKxE_EEST_SX_SY_mSZ_S12_bEUlT_E_NS1_11comp_targetILNS1_3genE4ELNS1_11target_archE910ELNS1_3gpuE8ELNS1_3repE0EEENS1_30default_config_static_selectorELNS0_4arch9wavefront6targetE1EEEvSW_
                                        ; -- End function
	.set _ZN7rocprim17ROCPRIM_400000_NS6detail17trampoline_kernelINS0_14default_configENS1_27lower_bound_config_selectorIxlEEZNS1_14transform_implILb0ES3_S5_N6thrust23THRUST_200600_302600_NS6detail15normal_iteratorINS8_7pointerIxNS8_11hip_rocprim5par_tENS8_11use_defaultESE_EEEENSA_INSB_IlSD_SE_SE_EEEEZNS1_13binary_searchIS3_S5_PxSG_SI_NS1_21lower_bound_search_opENS9_16wrapped_functionINS8_6system6detail7generic6detail18binary_search_lessEbEEEE10hipError_tPvRmT1_T2_T3_mmT4_T5_P12ihipStream_tbEUlRKxE_EEST_SX_SY_mSZ_S12_bEUlT_E_NS1_11comp_targetILNS1_3genE4ELNS1_11target_archE910ELNS1_3gpuE8ELNS1_3repE0EEENS1_30default_config_static_selectorELNS0_4arch9wavefront6targetE1EEEvSW_.num_vgpr, 0
	.set _ZN7rocprim17ROCPRIM_400000_NS6detail17trampoline_kernelINS0_14default_configENS1_27lower_bound_config_selectorIxlEEZNS1_14transform_implILb0ES3_S5_N6thrust23THRUST_200600_302600_NS6detail15normal_iteratorINS8_7pointerIxNS8_11hip_rocprim5par_tENS8_11use_defaultESE_EEEENSA_INSB_IlSD_SE_SE_EEEEZNS1_13binary_searchIS3_S5_PxSG_SI_NS1_21lower_bound_search_opENS9_16wrapped_functionINS8_6system6detail7generic6detail18binary_search_lessEbEEEE10hipError_tPvRmT1_T2_T3_mmT4_T5_P12ihipStream_tbEUlRKxE_EEST_SX_SY_mSZ_S12_bEUlT_E_NS1_11comp_targetILNS1_3genE4ELNS1_11target_archE910ELNS1_3gpuE8ELNS1_3repE0EEENS1_30default_config_static_selectorELNS0_4arch9wavefront6targetE1EEEvSW_.num_agpr, 0
	.set _ZN7rocprim17ROCPRIM_400000_NS6detail17trampoline_kernelINS0_14default_configENS1_27lower_bound_config_selectorIxlEEZNS1_14transform_implILb0ES3_S5_N6thrust23THRUST_200600_302600_NS6detail15normal_iteratorINS8_7pointerIxNS8_11hip_rocprim5par_tENS8_11use_defaultESE_EEEENSA_INSB_IlSD_SE_SE_EEEEZNS1_13binary_searchIS3_S5_PxSG_SI_NS1_21lower_bound_search_opENS9_16wrapped_functionINS8_6system6detail7generic6detail18binary_search_lessEbEEEE10hipError_tPvRmT1_T2_T3_mmT4_T5_P12ihipStream_tbEUlRKxE_EEST_SX_SY_mSZ_S12_bEUlT_E_NS1_11comp_targetILNS1_3genE4ELNS1_11target_archE910ELNS1_3gpuE8ELNS1_3repE0EEENS1_30default_config_static_selectorELNS0_4arch9wavefront6targetE1EEEvSW_.numbered_sgpr, 0
	.set _ZN7rocprim17ROCPRIM_400000_NS6detail17trampoline_kernelINS0_14default_configENS1_27lower_bound_config_selectorIxlEEZNS1_14transform_implILb0ES3_S5_N6thrust23THRUST_200600_302600_NS6detail15normal_iteratorINS8_7pointerIxNS8_11hip_rocprim5par_tENS8_11use_defaultESE_EEEENSA_INSB_IlSD_SE_SE_EEEEZNS1_13binary_searchIS3_S5_PxSG_SI_NS1_21lower_bound_search_opENS9_16wrapped_functionINS8_6system6detail7generic6detail18binary_search_lessEbEEEE10hipError_tPvRmT1_T2_T3_mmT4_T5_P12ihipStream_tbEUlRKxE_EEST_SX_SY_mSZ_S12_bEUlT_E_NS1_11comp_targetILNS1_3genE4ELNS1_11target_archE910ELNS1_3gpuE8ELNS1_3repE0EEENS1_30default_config_static_selectorELNS0_4arch9wavefront6targetE1EEEvSW_.num_named_barrier, 0
	.set _ZN7rocprim17ROCPRIM_400000_NS6detail17trampoline_kernelINS0_14default_configENS1_27lower_bound_config_selectorIxlEEZNS1_14transform_implILb0ES3_S5_N6thrust23THRUST_200600_302600_NS6detail15normal_iteratorINS8_7pointerIxNS8_11hip_rocprim5par_tENS8_11use_defaultESE_EEEENSA_INSB_IlSD_SE_SE_EEEEZNS1_13binary_searchIS3_S5_PxSG_SI_NS1_21lower_bound_search_opENS9_16wrapped_functionINS8_6system6detail7generic6detail18binary_search_lessEbEEEE10hipError_tPvRmT1_T2_T3_mmT4_T5_P12ihipStream_tbEUlRKxE_EEST_SX_SY_mSZ_S12_bEUlT_E_NS1_11comp_targetILNS1_3genE4ELNS1_11target_archE910ELNS1_3gpuE8ELNS1_3repE0EEENS1_30default_config_static_selectorELNS0_4arch9wavefront6targetE1EEEvSW_.private_seg_size, 0
	.set _ZN7rocprim17ROCPRIM_400000_NS6detail17trampoline_kernelINS0_14default_configENS1_27lower_bound_config_selectorIxlEEZNS1_14transform_implILb0ES3_S5_N6thrust23THRUST_200600_302600_NS6detail15normal_iteratorINS8_7pointerIxNS8_11hip_rocprim5par_tENS8_11use_defaultESE_EEEENSA_INSB_IlSD_SE_SE_EEEEZNS1_13binary_searchIS3_S5_PxSG_SI_NS1_21lower_bound_search_opENS9_16wrapped_functionINS8_6system6detail7generic6detail18binary_search_lessEbEEEE10hipError_tPvRmT1_T2_T3_mmT4_T5_P12ihipStream_tbEUlRKxE_EEST_SX_SY_mSZ_S12_bEUlT_E_NS1_11comp_targetILNS1_3genE4ELNS1_11target_archE910ELNS1_3gpuE8ELNS1_3repE0EEENS1_30default_config_static_selectorELNS0_4arch9wavefront6targetE1EEEvSW_.uses_vcc, 0
	.set _ZN7rocprim17ROCPRIM_400000_NS6detail17trampoline_kernelINS0_14default_configENS1_27lower_bound_config_selectorIxlEEZNS1_14transform_implILb0ES3_S5_N6thrust23THRUST_200600_302600_NS6detail15normal_iteratorINS8_7pointerIxNS8_11hip_rocprim5par_tENS8_11use_defaultESE_EEEENSA_INSB_IlSD_SE_SE_EEEEZNS1_13binary_searchIS3_S5_PxSG_SI_NS1_21lower_bound_search_opENS9_16wrapped_functionINS8_6system6detail7generic6detail18binary_search_lessEbEEEE10hipError_tPvRmT1_T2_T3_mmT4_T5_P12ihipStream_tbEUlRKxE_EEST_SX_SY_mSZ_S12_bEUlT_E_NS1_11comp_targetILNS1_3genE4ELNS1_11target_archE910ELNS1_3gpuE8ELNS1_3repE0EEENS1_30default_config_static_selectorELNS0_4arch9wavefront6targetE1EEEvSW_.uses_flat_scratch, 0
	.set _ZN7rocprim17ROCPRIM_400000_NS6detail17trampoline_kernelINS0_14default_configENS1_27lower_bound_config_selectorIxlEEZNS1_14transform_implILb0ES3_S5_N6thrust23THRUST_200600_302600_NS6detail15normal_iteratorINS8_7pointerIxNS8_11hip_rocprim5par_tENS8_11use_defaultESE_EEEENSA_INSB_IlSD_SE_SE_EEEEZNS1_13binary_searchIS3_S5_PxSG_SI_NS1_21lower_bound_search_opENS9_16wrapped_functionINS8_6system6detail7generic6detail18binary_search_lessEbEEEE10hipError_tPvRmT1_T2_T3_mmT4_T5_P12ihipStream_tbEUlRKxE_EEST_SX_SY_mSZ_S12_bEUlT_E_NS1_11comp_targetILNS1_3genE4ELNS1_11target_archE910ELNS1_3gpuE8ELNS1_3repE0EEENS1_30default_config_static_selectorELNS0_4arch9wavefront6targetE1EEEvSW_.has_dyn_sized_stack, 0
	.set _ZN7rocprim17ROCPRIM_400000_NS6detail17trampoline_kernelINS0_14default_configENS1_27lower_bound_config_selectorIxlEEZNS1_14transform_implILb0ES3_S5_N6thrust23THRUST_200600_302600_NS6detail15normal_iteratorINS8_7pointerIxNS8_11hip_rocprim5par_tENS8_11use_defaultESE_EEEENSA_INSB_IlSD_SE_SE_EEEEZNS1_13binary_searchIS3_S5_PxSG_SI_NS1_21lower_bound_search_opENS9_16wrapped_functionINS8_6system6detail7generic6detail18binary_search_lessEbEEEE10hipError_tPvRmT1_T2_T3_mmT4_T5_P12ihipStream_tbEUlRKxE_EEST_SX_SY_mSZ_S12_bEUlT_E_NS1_11comp_targetILNS1_3genE4ELNS1_11target_archE910ELNS1_3gpuE8ELNS1_3repE0EEENS1_30default_config_static_selectorELNS0_4arch9wavefront6targetE1EEEvSW_.has_recursion, 0
	.set _ZN7rocprim17ROCPRIM_400000_NS6detail17trampoline_kernelINS0_14default_configENS1_27lower_bound_config_selectorIxlEEZNS1_14transform_implILb0ES3_S5_N6thrust23THRUST_200600_302600_NS6detail15normal_iteratorINS8_7pointerIxNS8_11hip_rocprim5par_tENS8_11use_defaultESE_EEEENSA_INSB_IlSD_SE_SE_EEEEZNS1_13binary_searchIS3_S5_PxSG_SI_NS1_21lower_bound_search_opENS9_16wrapped_functionINS8_6system6detail7generic6detail18binary_search_lessEbEEEE10hipError_tPvRmT1_T2_T3_mmT4_T5_P12ihipStream_tbEUlRKxE_EEST_SX_SY_mSZ_S12_bEUlT_E_NS1_11comp_targetILNS1_3genE4ELNS1_11target_archE910ELNS1_3gpuE8ELNS1_3repE0EEENS1_30default_config_static_selectorELNS0_4arch9wavefront6targetE1EEEvSW_.has_indirect_call, 0
	.section	.AMDGPU.csdata,"",@progbits
; Kernel info:
; codeLenInByte = 0
; TotalNumSgprs: 4
; NumVgprs: 0
; ScratchSize: 0
; MemoryBound: 0
; FloatMode: 240
; IeeeMode: 1
; LDSByteSize: 0 bytes/workgroup (compile time only)
; SGPRBlocks: 0
; VGPRBlocks: 0
; NumSGPRsForWavesPerEU: 4
; NumVGPRsForWavesPerEU: 1
; Occupancy: 10
; WaveLimiterHint : 0
; COMPUTE_PGM_RSRC2:SCRATCH_EN: 0
; COMPUTE_PGM_RSRC2:USER_SGPR: 6
; COMPUTE_PGM_RSRC2:TRAP_HANDLER: 0
; COMPUTE_PGM_RSRC2:TGID_X_EN: 1
; COMPUTE_PGM_RSRC2:TGID_Y_EN: 0
; COMPUTE_PGM_RSRC2:TGID_Z_EN: 0
; COMPUTE_PGM_RSRC2:TIDIG_COMP_CNT: 0
	.section	.text._ZN7rocprim17ROCPRIM_400000_NS6detail17trampoline_kernelINS0_14default_configENS1_27lower_bound_config_selectorIxlEEZNS1_14transform_implILb0ES3_S5_N6thrust23THRUST_200600_302600_NS6detail15normal_iteratorINS8_7pointerIxNS8_11hip_rocprim5par_tENS8_11use_defaultESE_EEEENSA_INSB_IlSD_SE_SE_EEEEZNS1_13binary_searchIS3_S5_PxSG_SI_NS1_21lower_bound_search_opENS9_16wrapped_functionINS8_6system6detail7generic6detail18binary_search_lessEbEEEE10hipError_tPvRmT1_T2_T3_mmT4_T5_P12ihipStream_tbEUlRKxE_EEST_SX_SY_mSZ_S12_bEUlT_E_NS1_11comp_targetILNS1_3genE3ELNS1_11target_archE908ELNS1_3gpuE7ELNS1_3repE0EEENS1_30default_config_static_selectorELNS0_4arch9wavefront6targetE1EEEvSW_,"axG",@progbits,_ZN7rocprim17ROCPRIM_400000_NS6detail17trampoline_kernelINS0_14default_configENS1_27lower_bound_config_selectorIxlEEZNS1_14transform_implILb0ES3_S5_N6thrust23THRUST_200600_302600_NS6detail15normal_iteratorINS8_7pointerIxNS8_11hip_rocprim5par_tENS8_11use_defaultESE_EEEENSA_INSB_IlSD_SE_SE_EEEEZNS1_13binary_searchIS3_S5_PxSG_SI_NS1_21lower_bound_search_opENS9_16wrapped_functionINS8_6system6detail7generic6detail18binary_search_lessEbEEEE10hipError_tPvRmT1_T2_T3_mmT4_T5_P12ihipStream_tbEUlRKxE_EEST_SX_SY_mSZ_S12_bEUlT_E_NS1_11comp_targetILNS1_3genE3ELNS1_11target_archE908ELNS1_3gpuE7ELNS1_3repE0EEENS1_30default_config_static_selectorELNS0_4arch9wavefront6targetE1EEEvSW_,comdat
	.protected	_ZN7rocprim17ROCPRIM_400000_NS6detail17trampoline_kernelINS0_14default_configENS1_27lower_bound_config_selectorIxlEEZNS1_14transform_implILb0ES3_S5_N6thrust23THRUST_200600_302600_NS6detail15normal_iteratorINS8_7pointerIxNS8_11hip_rocprim5par_tENS8_11use_defaultESE_EEEENSA_INSB_IlSD_SE_SE_EEEEZNS1_13binary_searchIS3_S5_PxSG_SI_NS1_21lower_bound_search_opENS9_16wrapped_functionINS8_6system6detail7generic6detail18binary_search_lessEbEEEE10hipError_tPvRmT1_T2_T3_mmT4_T5_P12ihipStream_tbEUlRKxE_EEST_SX_SY_mSZ_S12_bEUlT_E_NS1_11comp_targetILNS1_3genE3ELNS1_11target_archE908ELNS1_3gpuE7ELNS1_3repE0EEENS1_30default_config_static_selectorELNS0_4arch9wavefront6targetE1EEEvSW_ ; -- Begin function _ZN7rocprim17ROCPRIM_400000_NS6detail17trampoline_kernelINS0_14default_configENS1_27lower_bound_config_selectorIxlEEZNS1_14transform_implILb0ES3_S5_N6thrust23THRUST_200600_302600_NS6detail15normal_iteratorINS8_7pointerIxNS8_11hip_rocprim5par_tENS8_11use_defaultESE_EEEENSA_INSB_IlSD_SE_SE_EEEEZNS1_13binary_searchIS3_S5_PxSG_SI_NS1_21lower_bound_search_opENS9_16wrapped_functionINS8_6system6detail7generic6detail18binary_search_lessEbEEEE10hipError_tPvRmT1_T2_T3_mmT4_T5_P12ihipStream_tbEUlRKxE_EEST_SX_SY_mSZ_S12_bEUlT_E_NS1_11comp_targetILNS1_3genE3ELNS1_11target_archE908ELNS1_3gpuE7ELNS1_3repE0EEENS1_30default_config_static_selectorELNS0_4arch9wavefront6targetE1EEEvSW_
	.globl	_ZN7rocprim17ROCPRIM_400000_NS6detail17trampoline_kernelINS0_14default_configENS1_27lower_bound_config_selectorIxlEEZNS1_14transform_implILb0ES3_S5_N6thrust23THRUST_200600_302600_NS6detail15normal_iteratorINS8_7pointerIxNS8_11hip_rocprim5par_tENS8_11use_defaultESE_EEEENSA_INSB_IlSD_SE_SE_EEEEZNS1_13binary_searchIS3_S5_PxSG_SI_NS1_21lower_bound_search_opENS9_16wrapped_functionINS8_6system6detail7generic6detail18binary_search_lessEbEEEE10hipError_tPvRmT1_T2_T3_mmT4_T5_P12ihipStream_tbEUlRKxE_EEST_SX_SY_mSZ_S12_bEUlT_E_NS1_11comp_targetILNS1_3genE3ELNS1_11target_archE908ELNS1_3gpuE7ELNS1_3repE0EEENS1_30default_config_static_selectorELNS0_4arch9wavefront6targetE1EEEvSW_
	.p2align	8
	.type	_ZN7rocprim17ROCPRIM_400000_NS6detail17trampoline_kernelINS0_14default_configENS1_27lower_bound_config_selectorIxlEEZNS1_14transform_implILb0ES3_S5_N6thrust23THRUST_200600_302600_NS6detail15normal_iteratorINS8_7pointerIxNS8_11hip_rocprim5par_tENS8_11use_defaultESE_EEEENSA_INSB_IlSD_SE_SE_EEEEZNS1_13binary_searchIS3_S5_PxSG_SI_NS1_21lower_bound_search_opENS9_16wrapped_functionINS8_6system6detail7generic6detail18binary_search_lessEbEEEE10hipError_tPvRmT1_T2_T3_mmT4_T5_P12ihipStream_tbEUlRKxE_EEST_SX_SY_mSZ_S12_bEUlT_E_NS1_11comp_targetILNS1_3genE3ELNS1_11target_archE908ELNS1_3gpuE7ELNS1_3repE0EEENS1_30default_config_static_selectorELNS0_4arch9wavefront6targetE1EEEvSW_,@function
_ZN7rocprim17ROCPRIM_400000_NS6detail17trampoline_kernelINS0_14default_configENS1_27lower_bound_config_selectorIxlEEZNS1_14transform_implILb0ES3_S5_N6thrust23THRUST_200600_302600_NS6detail15normal_iteratorINS8_7pointerIxNS8_11hip_rocprim5par_tENS8_11use_defaultESE_EEEENSA_INSB_IlSD_SE_SE_EEEEZNS1_13binary_searchIS3_S5_PxSG_SI_NS1_21lower_bound_search_opENS9_16wrapped_functionINS8_6system6detail7generic6detail18binary_search_lessEbEEEE10hipError_tPvRmT1_T2_T3_mmT4_T5_P12ihipStream_tbEUlRKxE_EEST_SX_SY_mSZ_S12_bEUlT_E_NS1_11comp_targetILNS1_3genE3ELNS1_11target_archE908ELNS1_3gpuE7ELNS1_3repE0EEENS1_30default_config_static_selectorELNS0_4arch9wavefront6targetE1EEEvSW_: ; @_ZN7rocprim17ROCPRIM_400000_NS6detail17trampoline_kernelINS0_14default_configENS1_27lower_bound_config_selectorIxlEEZNS1_14transform_implILb0ES3_S5_N6thrust23THRUST_200600_302600_NS6detail15normal_iteratorINS8_7pointerIxNS8_11hip_rocprim5par_tENS8_11use_defaultESE_EEEENSA_INSB_IlSD_SE_SE_EEEEZNS1_13binary_searchIS3_S5_PxSG_SI_NS1_21lower_bound_search_opENS9_16wrapped_functionINS8_6system6detail7generic6detail18binary_search_lessEbEEEE10hipError_tPvRmT1_T2_T3_mmT4_T5_P12ihipStream_tbEUlRKxE_EEST_SX_SY_mSZ_S12_bEUlT_E_NS1_11comp_targetILNS1_3genE3ELNS1_11target_archE908ELNS1_3gpuE7ELNS1_3repE0EEENS1_30default_config_static_selectorELNS0_4arch9wavefront6targetE1EEEvSW_
; %bb.0:
	.section	.rodata,"a",@progbits
	.p2align	6, 0x0
	.amdhsa_kernel _ZN7rocprim17ROCPRIM_400000_NS6detail17trampoline_kernelINS0_14default_configENS1_27lower_bound_config_selectorIxlEEZNS1_14transform_implILb0ES3_S5_N6thrust23THRUST_200600_302600_NS6detail15normal_iteratorINS8_7pointerIxNS8_11hip_rocprim5par_tENS8_11use_defaultESE_EEEENSA_INSB_IlSD_SE_SE_EEEEZNS1_13binary_searchIS3_S5_PxSG_SI_NS1_21lower_bound_search_opENS9_16wrapped_functionINS8_6system6detail7generic6detail18binary_search_lessEbEEEE10hipError_tPvRmT1_T2_T3_mmT4_T5_P12ihipStream_tbEUlRKxE_EEST_SX_SY_mSZ_S12_bEUlT_E_NS1_11comp_targetILNS1_3genE3ELNS1_11target_archE908ELNS1_3gpuE7ELNS1_3repE0EEENS1_30default_config_static_selectorELNS0_4arch9wavefront6targetE1EEEvSW_
		.amdhsa_group_segment_fixed_size 0
		.amdhsa_private_segment_fixed_size 0
		.amdhsa_kernarg_size 56
		.amdhsa_user_sgpr_count 6
		.amdhsa_user_sgpr_private_segment_buffer 1
		.amdhsa_user_sgpr_dispatch_ptr 0
		.amdhsa_user_sgpr_queue_ptr 0
		.amdhsa_user_sgpr_kernarg_segment_ptr 1
		.amdhsa_user_sgpr_dispatch_id 0
		.amdhsa_user_sgpr_flat_scratch_init 0
		.amdhsa_user_sgpr_private_segment_size 0
		.amdhsa_uses_dynamic_stack 0
		.amdhsa_system_sgpr_private_segment_wavefront_offset 0
		.amdhsa_system_sgpr_workgroup_id_x 1
		.amdhsa_system_sgpr_workgroup_id_y 0
		.amdhsa_system_sgpr_workgroup_id_z 0
		.amdhsa_system_sgpr_workgroup_info 0
		.amdhsa_system_vgpr_workitem_id 0
		.amdhsa_next_free_vgpr 1
		.amdhsa_next_free_sgpr 0
		.amdhsa_reserve_vcc 0
		.amdhsa_reserve_flat_scratch 0
		.amdhsa_float_round_mode_32 0
		.amdhsa_float_round_mode_16_64 0
		.amdhsa_float_denorm_mode_32 3
		.amdhsa_float_denorm_mode_16_64 3
		.amdhsa_dx10_clamp 1
		.amdhsa_ieee_mode 1
		.amdhsa_fp16_overflow 0
		.amdhsa_exception_fp_ieee_invalid_op 0
		.amdhsa_exception_fp_denorm_src 0
		.amdhsa_exception_fp_ieee_div_zero 0
		.amdhsa_exception_fp_ieee_overflow 0
		.amdhsa_exception_fp_ieee_underflow 0
		.amdhsa_exception_fp_ieee_inexact 0
		.amdhsa_exception_int_div_zero 0
	.end_amdhsa_kernel
	.section	.text._ZN7rocprim17ROCPRIM_400000_NS6detail17trampoline_kernelINS0_14default_configENS1_27lower_bound_config_selectorIxlEEZNS1_14transform_implILb0ES3_S5_N6thrust23THRUST_200600_302600_NS6detail15normal_iteratorINS8_7pointerIxNS8_11hip_rocprim5par_tENS8_11use_defaultESE_EEEENSA_INSB_IlSD_SE_SE_EEEEZNS1_13binary_searchIS3_S5_PxSG_SI_NS1_21lower_bound_search_opENS9_16wrapped_functionINS8_6system6detail7generic6detail18binary_search_lessEbEEEE10hipError_tPvRmT1_T2_T3_mmT4_T5_P12ihipStream_tbEUlRKxE_EEST_SX_SY_mSZ_S12_bEUlT_E_NS1_11comp_targetILNS1_3genE3ELNS1_11target_archE908ELNS1_3gpuE7ELNS1_3repE0EEENS1_30default_config_static_selectorELNS0_4arch9wavefront6targetE1EEEvSW_,"axG",@progbits,_ZN7rocprim17ROCPRIM_400000_NS6detail17trampoline_kernelINS0_14default_configENS1_27lower_bound_config_selectorIxlEEZNS1_14transform_implILb0ES3_S5_N6thrust23THRUST_200600_302600_NS6detail15normal_iteratorINS8_7pointerIxNS8_11hip_rocprim5par_tENS8_11use_defaultESE_EEEENSA_INSB_IlSD_SE_SE_EEEEZNS1_13binary_searchIS3_S5_PxSG_SI_NS1_21lower_bound_search_opENS9_16wrapped_functionINS8_6system6detail7generic6detail18binary_search_lessEbEEEE10hipError_tPvRmT1_T2_T3_mmT4_T5_P12ihipStream_tbEUlRKxE_EEST_SX_SY_mSZ_S12_bEUlT_E_NS1_11comp_targetILNS1_3genE3ELNS1_11target_archE908ELNS1_3gpuE7ELNS1_3repE0EEENS1_30default_config_static_selectorELNS0_4arch9wavefront6targetE1EEEvSW_,comdat
.Lfunc_end116:
	.size	_ZN7rocprim17ROCPRIM_400000_NS6detail17trampoline_kernelINS0_14default_configENS1_27lower_bound_config_selectorIxlEEZNS1_14transform_implILb0ES3_S5_N6thrust23THRUST_200600_302600_NS6detail15normal_iteratorINS8_7pointerIxNS8_11hip_rocprim5par_tENS8_11use_defaultESE_EEEENSA_INSB_IlSD_SE_SE_EEEEZNS1_13binary_searchIS3_S5_PxSG_SI_NS1_21lower_bound_search_opENS9_16wrapped_functionINS8_6system6detail7generic6detail18binary_search_lessEbEEEE10hipError_tPvRmT1_T2_T3_mmT4_T5_P12ihipStream_tbEUlRKxE_EEST_SX_SY_mSZ_S12_bEUlT_E_NS1_11comp_targetILNS1_3genE3ELNS1_11target_archE908ELNS1_3gpuE7ELNS1_3repE0EEENS1_30default_config_static_selectorELNS0_4arch9wavefront6targetE1EEEvSW_, .Lfunc_end116-_ZN7rocprim17ROCPRIM_400000_NS6detail17trampoline_kernelINS0_14default_configENS1_27lower_bound_config_selectorIxlEEZNS1_14transform_implILb0ES3_S5_N6thrust23THRUST_200600_302600_NS6detail15normal_iteratorINS8_7pointerIxNS8_11hip_rocprim5par_tENS8_11use_defaultESE_EEEENSA_INSB_IlSD_SE_SE_EEEEZNS1_13binary_searchIS3_S5_PxSG_SI_NS1_21lower_bound_search_opENS9_16wrapped_functionINS8_6system6detail7generic6detail18binary_search_lessEbEEEE10hipError_tPvRmT1_T2_T3_mmT4_T5_P12ihipStream_tbEUlRKxE_EEST_SX_SY_mSZ_S12_bEUlT_E_NS1_11comp_targetILNS1_3genE3ELNS1_11target_archE908ELNS1_3gpuE7ELNS1_3repE0EEENS1_30default_config_static_selectorELNS0_4arch9wavefront6targetE1EEEvSW_
                                        ; -- End function
	.set _ZN7rocprim17ROCPRIM_400000_NS6detail17trampoline_kernelINS0_14default_configENS1_27lower_bound_config_selectorIxlEEZNS1_14transform_implILb0ES3_S5_N6thrust23THRUST_200600_302600_NS6detail15normal_iteratorINS8_7pointerIxNS8_11hip_rocprim5par_tENS8_11use_defaultESE_EEEENSA_INSB_IlSD_SE_SE_EEEEZNS1_13binary_searchIS3_S5_PxSG_SI_NS1_21lower_bound_search_opENS9_16wrapped_functionINS8_6system6detail7generic6detail18binary_search_lessEbEEEE10hipError_tPvRmT1_T2_T3_mmT4_T5_P12ihipStream_tbEUlRKxE_EEST_SX_SY_mSZ_S12_bEUlT_E_NS1_11comp_targetILNS1_3genE3ELNS1_11target_archE908ELNS1_3gpuE7ELNS1_3repE0EEENS1_30default_config_static_selectorELNS0_4arch9wavefront6targetE1EEEvSW_.num_vgpr, 0
	.set _ZN7rocprim17ROCPRIM_400000_NS6detail17trampoline_kernelINS0_14default_configENS1_27lower_bound_config_selectorIxlEEZNS1_14transform_implILb0ES3_S5_N6thrust23THRUST_200600_302600_NS6detail15normal_iteratorINS8_7pointerIxNS8_11hip_rocprim5par_tENS8_11use_defaultESE_EEEENSA_INSB_IlSD_SE_SE_EEEEZNS1_13binary_searchIS3_S5_PxSG_SI_NS1_21lower_bound_search_opENS9_16wrapped_functionINS8_6system6detail7generic6detail18binary_search_lessEbEEEE10hipError_tPvRmT1_T2_T3_mmT4_T5_P12ihipStream_tbEUlRKxE_EEST_SX_SY_mSZ_S12_bEUlT_E_NS1_11comp_targetILNS1_3genE3ELNS1_11target_archE908ELNS1_3gpuE7ELNS1_3repE0EEENS1_30default_config_static_selectorELNS0_4arch9wavefront6targetE1EEEvSW_.num_agpr, 0
	.set _ZN7rocprim17ROCPRIM_400000_NS6detail17trampoline_kernelINS0_14default_configENS1_27lower_bound_config_selectorIxlEEZNS1_14transform_implILb0ES3_S5_N6thrust23THRUST_200600_302600_NS6detail15normal_iteratorINS8_7pointerIxNS8_11hip_rocprim5par_tENS8_11use_defaultESE_EEEENSA_INSB_IlSD_SE_SE_EEEEZNS1_13binary_searchIS3_S5_PxSG_SI_NS1_21lower_bound_search_opENS9_16wrapped_functionINS8_6system6detail7generic6detail18binary_search_lessEbEEEE10hipError_tPvRmT1_T2_T3_mmT4_T5_P12ihipStream_tbEUlRKxE_EEST_SX_SY_mSZ_S12_bEUlT_E_NS1_11comp_targetILNS1_3genE3ELNS1_11target_archE908ELNS1_3gpuE7ELNS1_3repE0EEENS1_30default_config_static_selectorELNS0_4arch9wavefront6targetE1EEEvSW_.numbered_sgpr, 0
	.set _ZN7rocprim17ROCPRIM_400000_NS6detail17trampoline_kernelINS0_14default_configENS1_27lower_bound_config_selectorIxlEEZNS1_14transform_implILb0ES3_S5_N6thrust23THRUST_200600_302600_NS6detail15normal_iteratorINS8_7pointerIxNS8_11hip_rocprim5par_tENS8_11use_defaultESE_EEEENSA_INSB_IlSD_SE_SE_EEEEZNS1_13binary_searchIS3_S5_PxSG_SI_NS1_21lower_bound_search_opENS9_16wrapped_functionINS8_6system6detail7generic6detail18binary_search_lessEbEEEE10hipError_tPvRmT1_T2_T3_mmT4_T5_P12ihipStream_tbEUlRKxE_EEST_SX_SY_mSZ_S12_bEUlT_E_NS1_11comp_targetILNS1_3genE3ELNS1_11target_archE908ELNS1_3gpuE7ELNS1_3repE0EEENS1_30default_config_static_selectorELNS0_4arch9wavefront6targetE1EEEvSW_.num_named_barrier, 0
	.set _ZN7rocprim17ROCPRIM_400000_NS6detail17trampoline_kernelINS0_14default_configENS1_27lower_bound_config_selectorIxlEEZNS1_14transform_implILb0ES3_S5_N6thrust23THRUST_200600_302600_NS6detail15normal_iteratorINS8_7pointerIxNS8_11hip_rocprim5par_tENS8_11use_defaultESE_EEEENSA_INSB_IlSD_SE_SE_EEEEZNS1_13binary_searchIS3_S5_PxSG_SI_NS1_21lower_bound_search_opENS9_16wrapped_functionINS8_6system6detail7generic6detail18binary_search_lessEbEEEE10hipError_tPvRmT1_T2_T3_mmT4_T5_P12ihipStream_tbEUlRKxE_EEST_SX_SY_mSZ_S12_bEUlT_E_NS1_11comp_targetILNS1_3genE3ELNS1_11target_archE908ELNS1_3gpuE7ELNS1_3repE0EEENS1_30default_config_static_selectorELNS0_4arch9wavefront6targetE1EEEvSW_.private_seg_size, 0
	.set _ZN7rocprim17ROCPRIM_400000_NS6detail17trampoline_kernelINS0_14default_configENS1_27lower_bound_config_selectorIxlEEZNS1_14transform_implILb0ES3_S5_N6thrust23THRUST_200600_302600_NS6detail15normal_iteratorINS8_7pointerIxNS8_11hip_rocprim5par_tENS8_11use_defaultESE_EEEENSA_INSB_IlSD_SE_SE_EEEEZNS1_13binary_searchIS3_S5_PxSG_SI_NS1_21lower_bound_search_opENS9_16wrapped_functionINS8_6system6detail7generic6detail18binary_search_lessEbEEEE10hipError_tPvRmT1_T2_T3_mmT4_T5_P12ihipStream_tbEUlRKxE_EEST_SX_SY_mSZ_S12_bEUlT_E_NS1_11comp_targetILNS1_3genE3ELNS1_11target_archE908ELNS1_3gpuE7ELNS1_3repE0EEENS1_30default_config_static_selectorELNS0_4arch9wavefront6targetE1EEEvSW_.uses_vcc, 0
	.set _ZN7rocprim17ROCPRIM_400000_NS6detail17trampoline_kernelINS0_14default_configENS1_27lower_bound_config_selectorIxlEEZNS1_14transform_implILb0ES3_S5_N6thrust23THRUST_200600_302600_NS6detail15normal_iteratorINS8_7pointerIxNS8_11hip_rocprim5par_tENS8_11use_defaultESE_EEEENSA_INSB_IlSD_SE_SE_EEEEZNS1_13binary_searchIS3_S5_PxSG_SI_NS1_21lower_bound_search_opENS9_16wrapped_functionINS8_6system6detail7generic6detail18binary_search_lessEbEEEE10hipError_tPvRmT1_T2_T3_mmT4_T5_P12ihipStream_tbEUlRKxE_EEST_SX_SY_mSZ_S12_bEUlT_E_NS1_11comp_targetILNS1_3genE3ELNS1_11target_archE908ELNS1_3gpuE7ELNS1_3repE0EEENS1_30default_config_static_selectorELNS0_4arch9wavefront6targetE1EEEvSW_.uses_flat_scratch, 0
	.set _ZN7rocprim17ROCPRIM_400000_NS6detail17trampoline_kernelINS0_14default_configENS1_27lower_bound_config_selectorIxlEEZNS1_14transform_implILb0ES3_S5_N6thrust23THRUST_200600_302600_NS6detail15normal_iteratorINS8_7pointerIxNS8_11hip_rocprim5par_tENS8_11use_defaultESE_EEEENSA_INSB_IlSD_SE_SE_EEEEZNS1_13binary_searchIS3_S5_PxSG_SI_NS1_21lower_bound_search_opENS9_16wrapped_functionINS8_6system6detail7generic6detail18binary_search_lessEbEEEE10hipError_tPvRmT1_T2_T3_mmT4_T5_P12ihipStream_tbEUlRKxE_EEST_SX_SY_mSZ_S12_bEUlT_E_NS1_11comp_targetILNS1_3genE3ELNS1_11target_archE908ELNS1_3gpuE7ELNS1_3repE0EEENS1_30default_config_static_selectorELNS0_4arch9wavefront6targetE1EEEvSW_.has_dyn_sized_stack, 0
	.set _ZN7rocprim17ROCPRIM_400000_NS6detail17trampoline_kernelINS0_14default_configENS1_27lower_bound_config_selectorIxlEEZNS1_14transform_implILb0ES3_S5_N6thrust23THRUST_200600_302600_NS6detail15normal_iteratorINS8_7pointerIxNS8_11hip_rocprim5par_tENS8_11use_defaultESE_EEEENSA_INSB_IlSD_SE_SE_EEEEZNS1_13binary_searchIS3_S5_PxSG_SI_NS1_21lower_bound_search_opENS9_16wrapped_functionINS8_6system6detail7generic6detail18binary_search_lessEbEEEE10hipError_tPvRmT1_T2_T3_mmT4_T5_P12ihipStream_tbEUlRKxE_EEST_SX_SY_mSZ_S12_bEUlT_E_NS1_11comp_targetILNS1_3genE3ELNS1_11target_archE908ELNS1_3gpuE7ELNS1_3repE0EEENS1_30default_config_static_selectorELNS0_4arch9wavefront6targetE1EEEvSW_.has_recursion, 0
	.set _ZN7rocprim17ROCPRIM_400000_NS6detail17trampoline_kernelINS0_14default_configENS1_27lower_bound_config_selectorIxlEEZNS1_14transform_implILb0ES3_S5_N6thrust23THRUST_200600_302600_NS6detail15normal_iteratorINS8_7pointerIxNS8_11hip_rocprim5par_tENS8_11use_defaultESE_EEEENSA_INSB_IlSD_SE_SE_EEEEZNS1_13binary_searchIS3_S5_PxSG_SI_NS1_21lower_bound_search_opENS9_16wrapped_functionINS8_6system6detail7generic6detail18binary_search_lessEbEEEE10hipError_tPvRmT1_T2_T3_mmT4_T5_P12ihipStream_tbEUlRKxE_EEST_SX_SY_mSZ_S12_bEUlT_E_NS1_11comp_targetILNS1_3genE3ELNS1_11target_archE908ELNS1_3gpuE7ELNS1_3repE0EEENS1_30default_config_static_selectorELNS0_4arch9wavefront6targetE1EEEvSW_.has_indirect_call, 0
	.section	.AMDGPU.csdata,"",@progbits
; Kernel info:
; codeLenInByte = 0
; TotalNumSgprs: 4
; NumVgprs: 0
; ScratchSize: 0
; MemoryBound: 0
; FloatMode: 240
; IeeeMode: 1
; LDSByteSize: 0 bytes/workgroup (compile time only)
; SGPRBlocks: 0
; VGPRBlocks: 0
; NumSGPRsForWavesPerEU: 4
; NumVGPRsForWavesPerEU: 1
; Occupancy: 10
; WaveLimiterHint : 0
; COMPUTE_PGM_RSRC2:SCRATCH_EN: 0
; COMPUTE_PGM_RSRC2:USER_SGPR: 6
; COMPUTE_PGM_RSRC2:TRAP_HANDLER: 0
; COMPUTE_PGM_RSRC2:TGID_X_EN: 1
; COMPUTE_PGM_RSRC2:TGID_Y_EN: 0
; COMPUTE_PGM_RSRC2:TGID_Z_EN: 0
; COMPUTE_PGM_RSRC2:TIDIG_COMP_CNT: 0
	.section	.text._ZN7rocprim17ROCPRIM_400000_NS6detail17trampoline_kernelINS0_14default_configENS1_27lower_bound_config_selectorIxlEEZNS1_14transform_implILb0ES3_S5_N6thrust23THRUST_200600_302600_NS6detail15normal_iteratorINS8_7pointerIxNS8_11hip_rocprim5par_tENS8_11use_defaultESE_EEEENSA_INSB_IlSD_SE_SE_EEEEZNS1_13binary_searchIS3_S5_PxSG_SI_NS1_21lower_bound_search_opENS9_16wrapped_functionINS8_6system6detail7generic6detail18binary_search_lessEbEEEE10hipError_tPvRmT1_T2_T3_mmT4_T5_P12ihipStream_tbEUlRKxE_EEST_SX_SY_mSZ_S12_bEUlT_E_NS1_11comp_targetILNS1_3genE2ELNS1_11target_archE906ELNS1_3gpuE6ELNS1_3repE0EEENS1_30default_config_static_selectorELNS0_4arch9wavefront6targetE1EEEvSW_,"axG",@progbits,_ZN7rocprim17ROCPRIM_400000_NS6detail17trampoline_kernelINS0_14default_configENS1_27lower_bound_config_selectorIxlEEZNS1_14transform_implILb0ES3_S5_N6thrust23THRUST_200600_302600_NS6detail15normal_iteratorINS8_7pointerIxNS8_11hip_rocprim5par_tENS8_11use_defaultESE_EEEENSA_INSB_IlSD_SE_SE_EEEEZNS1_13binary_searchIS3_S5_PxSG_SI_NS1_21lower_bound_search_opENS9_16wrapped_functionINS8_6system6detail7generic6detail18binary_search_lessEbEEEE10hipError_tPvRmT1_T2_T3_mmT4_T5_P12ihipStream_tbEUlRKxE_EEST_SX_SY_mSZ_S12_bEUlT_E_NS1_11comp_targetILNS1_3genE2ELNS1_11target_archE906ELNS1_3gpuE6ELNS1_3repE0EEENS1_30default_config_static_selectorELNS0_4arch9wavefront6targetE1EEEvSW_,comdat
	.protected	_ZN7rocprim17ROCPRIM_400000_NS6detail17trampoline_kernelINS0_14default_configENS1_27lower_bound_config_selectorIxlEEZNS1_14transform_implILb0ES3_S5_N6thrust23THRUST_200600_302600_NS6detail15normal_iteratorINS8_7pointerIxNS8_11hip_rocprim5par_tENS8_11use_defaultESE_EEEENSA_INSB_IlSD_SE_SE_EEEEZNS1_13binary_searchIS3_S5_PxSG_SI_NS1_21lower_bound_search_opENS9_16wrapped_functionINS8_6system6detail7generic6detail18binary_search_lessEbEEEE10hipError_tPvRmT1_T2_T3_mmT4_T5_P12ihipStream_tbEUlRKxE_EEST_SX_SY_mSZ_S12_bEUlT_E_NS1_11comp_targetILNS1_3genE2ELNS1_11target_archE906ELNS1_3gpuE6ELNS1_3repE0EEENS1_30default_config_static_selectorELNS0_4arch9wavefront6targetE1EEEvSW_ ; -- Begin function _ZN7rocprim17ROCPRIM_400000_NS6detail17trampoline_kernelINS0_14default_configENS1_27lower_bound_config_selectorIxlEEZNS1_14transform_implILb0ES3_S5_N6thrust23THRUST_200600_302600_NS6detail15normal_iteratorINS8_7pointerIxNS8_11hip_rocprim5par_tENS8_11use_defaultESE_EEEENSA_INSB_IlSD_SE_SE_EEEEZNS1_13binary_searchIS3_S5_PxSG_SI_NS1_21lower_bound_search_opENS9_16wrapped_functionINS8_6system6detail7generic6detail18binary_search_lessEbEEEE10hipError_tPvRmT1_T2_T3_mmT4_T5_P12ihipStream_tbEUlRKxE_EEST_SX_SY_mSZ_S12_bEUlT_E_NS1_11comp_targetILNS1_3genE2ELNS1_11target_archE906ELNS1_3gpuE6ELNS1_3repE0EEENS1_30default_config_static_selectorELNS0_4arch9wavefront6targetE1EEEvSW_
	.globl	_ZN7rocprim17ROCPRIM_400000_NS6detail17trampoline_kernelINS0_14default_configENS1_27lower_bound_config_selectorIxlEEZNS1_14transform_implILb0ES3_S5_N6thrust23THRUST_200600_302600_NS6detail15normal_iteratorINS8_7pointerIxNS8_11hip_rocprim5par_tENS8_11use_defaultESE_EEEENSA_INSB_IlSD_SE_SE_EEEEZNS1_13binary_searchIS3_S5_PxSG_SI_NS1_21lower_bound_search_opENS9_16wrapped_functionINS8_6system6detail7generic6detail18binary_search_lessEbEEEE10hipError_tPvRmT1_T2_T3_mmT4_T5_P12ihipStream_tbEUlRKxE_EEST_SX_SY_mSZ_S12_bEUlT_E_NS1_11comp_targetILNS1_3genE2ELNS1_11target_archE906ELNS1_3gpuE6ELNS1_3repE0EEENS1_30default_config_static_selectorELNS0_4arch9wavefront6targetE1EEEvSW_
	.p2align	8
	.type	_ZN7rocprim17ROCPRIM_400000_NS6detail17trampoline_kernelINS0_14default_configENS1_27lower_bound_config_selectorIxlEEZNS1_14transform_implILb0ES3_S5_N6thrust23THRUST_200600_302600_NS6detail15normal_iteratorINS8_7pointerIxNS8_11hip_rocprim5par_tENS8_11use_defaultESE_EEEENSA_INSB_IlSD_SE_SE_EEEEZNS1_13binary_searchIS3_S5_PxSG_SI_NS1_21lower_bound_search_opENS9_16wrapped_functionINS8_6system6detail7generic6detail18binary_search_lessEbEEEE10hipError_tPvRmT1_T2_T3_mmT4_T5_P12ihipStream_tbEUlRKxE_EEST_SX_SY_mSZ_S12_bEUlT_E_NS1_11comp_targetILNS1_3genE2ELNS1_11target_archE906ELNS1_3gpuE6ELNS1_3repE0EEENS1_30default_config_static_selectorELNS0_4arch9wavefront6targetE1EEEvSW_,@function
_ZN7rocprim17ROCPRIM_400000_NS6detail17trampoline_kernelINS0_14default_configENS1_27lower_bound_config_selectorIxlEEZNS1_14transform_implILb0ES3_S5_N6thrust23THRUST_200600_302600_NS6detail15normal_iteratorINS8_7pointerIxNS8_11hip_rocprim5par_tENS8_11use_defaultESE_EEEENSA_INSB_IlSD_SE_SE_EEEEZNS1_13binary_searchIS3_S5_PxSG_SI_NS1_21lower_bound_search_opENS9_16wrapped_functionINS8_6system6detail7generic6detail18binary_search_lessEbEEEE10hipError_tPvRmT1_T2_T3_mmT4_T5_P12ihipStream_tbEUlRKxE_EEST_SX_SY_mSZ_S12_bEUlT_E_NS1_11comp_targetILNS1_3genE2ELNS1_11target_archE906ELNS1_3gpuE6ELNS1_3repE0EEENS1_30default_config_static_selectorELNS0_4arch9wavefront6targetE1EEEvSW_: ; @_ZN7rocprim17ROCPRIM_400000_NS6detail17trampoline_kernelINS0_14default_configENS1_27lower_bound_config_selectorIxlEEZNS1_14transform_implILb0ES3_S5_N6thrust23THRUST_200600_302600_NS6detail15normal_iteratorINS8_7pointerIxNS8_11hip_rocprim5par_tENS8_11use_defaultESE_EEEENSA_INSB_IlSD_SE_SE_EEEEZNS1_13binary_searchIS3_S5_PxSG_SI_NS1_21lower_bound_search_opENS9_16wrapped_functionINS8_6system6detail7generic6detail18binary_search_lessEbEEEE10hipError_tPvRmT1_T2_T3_mmT4_T5_P12ihipStream_tbEUlRKxE_EEST_SX_SY_mSZ_S12_bEUlT_E_NS1_11comp_targetILNS1_3genE2ELNS1_11target_archE906ELNS1_3gpuE6ELNS1_3repE0EEENS1_30default_config_static_selectorELNS0_4arch9wavefront6targetE1EEEvSW_
; %bb.0:
	s_load_dwordx4 s[0:3], s[4:5], 0x0
	s_load_dwordx4 s[8:11], s[4:5], 0x18
	s_load_dwordx2 s[12:13], s[4:5], 0x28
	s_load_dword s16, s[4:5], 0x38
	s_waitcnt lgkmcnt(0)
	s_lshl_b64 s[14:15], s[2:3], 3
	s_add_u32 s2, s0, s14
	s_addc_u32 s3, s1, s15
	s_add_u32 s7, s8, s14
	s_addc_u32 s14, s9, s15
	s_lshl_b32 s8, s6, 8
	s_add_i32 s16, s16, -1
	s_mov_b32 s9, 0
	s_cmp_lg_u32 s6, s16
	s_mov_b64 s[0:1], -1
	s_cbranch_scc0 .LBB117_7
; %bb.1:
	s_cmp_eq_u64 s[12:13], 0
	s_mov_b64 s[0:1], 0
	s_cbranch_scc1 .LBB117_5
; %bb.2:
	s_lshl_b64 s[16:17], s[8:9], 3
	s_add_u32 s6, s2, s16
	s_addc_u32 s15, s3, s17
	v_lshlrev_b32_e32 v1, 3, v0
	v_mov_b32_e32 v2, s15
	v_add_co_u32_e32 v1, vcc, s6, v1
	v_addc_co_u32_e32 v2, vcc, 0, v2, vcc
	flat_load_dwordx2 v[3:4], v[1:2]
	v_mov_b32_e32 v1, 0
	v_mov_b32_e32 v5, s12
	;; [unrolled: 1-line block ×5, first 2 shown]
.LBB117_3:                              ; =>This Inner Loop Header: Depth=1
	v_sub_co_u32_e32 v8, vcc, v5, v1
	v_subb_co_u32_e32 v9, vcc, v6, v2, vcc
	v_lshrrev_b64 v[10:11], 1, v[8:9]
	v_lshrrev_b64 v[8:9], 6, v[8:9]
	v_add_co_u32_e32 v10, vcc, v10, v1
	v_addc_co_u32_e32 v11, vcc, v11, v2, vcc
	v_add_co_u32_e32 v8, vcc, v10, v8
	v_addc_co_u32_e32 v9, vcc, v11, v9, vcc
	v_lshlrev_b64 v[10:11], 3, v[8:9]
	v_add_co_u32_e32 v10, vcc, s10, v10
	v_addc_co_u32_e32 v11, vcc, v7, v11, vcc
	global_load_dwordx2 v[10:11], v[10:11], off
	v_add_co_u32_e32 v12, vcc, 1, v8
	v_addc_co_u32_e32 v13, vcc, 0, v9, vcc
	s_waitcnt vmcnt(0) lgkmcnt(0)
	v_cmp_lt_i64_e32 vcc, v[10:11], v[3:4]
	v_cndmask_b32_e32 v6, v9, v6, vcc
	v_cndmask_b32_e32 v5, v8, v5, vcc
	;; [unrolled: 1-line block ×4, first 2 shown]
	v_cmp_ge_u64_e32 vcc, v[1:2], v[5:6]
	s_or_b64 s[0:1], vcc, s[0:1]
	s_andn2_b64 exec, exec, s[0:1]
	s_cbranch_execnz .LBB117_3
; %bb.4:
	s_or_b64 exec, exec, s[0:1]
	s_branch .LBB117_6
.LBB117_5:
	v_mov_b32_e32 v1, 0
	v_mov_b32_e32 v2, 0
.LBB117_6:
	s_lshl_b64 s[0:1], s[8:9], 3
	s_add_u32 s0, s7, s0
	s_addc_u32 s1, s14, s1
	v_lshlrev_b32_e32 v3, 3, v0
	v_mov_b32_e32 v4, s1
	v_add_co_u32_e32 v3, vcc, s0, v3
	v_addc_co_u32_e32 v4, vcc, 0, v4, vcc
	s_mov_b64 s[0:1], 0
	flat_store_dwordx2 v[3:4], v[1:2]
.LBB117_7:
	s_and_b64 vcc, exec, s[0:1]
	s_cbranch_vccz .LBB117_16
; %bb.8:
	s_load_dword s0, s[4:5], 0x10
                                        ; implicit-def: $vgpr3_vgpr4
	s_waitcnt lgkmcnt(0)
	s_sub_i32 s4, s0, s8
	v_cmp_le_u32_e64 s[0:1], s4, v0
	v_cmp_gt_u32_e32 vcc, s4, v0
	s_and_saveexec_b64 s[4:5], vcc
	s_cbranch_execz .LBB117_10
; %bb.9:
	s_lshl_b64 s[16:17], s[8:9], 3
	s_add_u32 s2, s2, s16
	s_addc_u32 s3, s3, s17
	v_lshlrev_b32_e32 v1, 3, v0
	v_mov_b32_e32 v2, s3
	v_add_co_u32_e64 v1, s[2:3], s2, v1
	v_addc_co_u32_e64 v2, s[2:3], 0, v2, s[2:3]
	flat_load_dwordx2 v[3:4], v[1:2]
.LBB117_10:
	s_or_b64 exec, exec, s[4:5]
	s_cmp_lg_u64 s[12:13], 0
	s_cselect_b64 s[4:5], -1, 0
	s_xor_b64 s[0:1], s[0:1], -1
	v_mov_b32_e32 v1, 0
	s_mov_b64 s[2:3], 0
	v_mov_b32_e32 v2, 0
	s_and_b64 s[0:1], s[0:1], s[4:5]
	s_and_saveexec_b64 s[4:5], s[0:1]
	s_cbranch_execz .LBB117_14
; %bb.11:
	v_mov_b32_e32 v1, 0
	v_mov_b32_e32 v5, s12
	;; [unrolled: 1-line block ×5, first 2 shown]
.LBB117_12:                             ; =>This Inner Loop Header: Depth=1
	v_sub_co_u32_e64 v8, s[0:1], v5, v1
	v_subb_co_u32_e64 v9, s[0:1], v6, v2, s[0:1]
	v_lshrrev_b64 v[10:11], 1, v[8:9]
	v_lshrrev_b64 v[8:9], 6, v[8:9]
	v_add_co_u32_e64 v10, s[0:1], v10, v1
	v_addc_co_u32_e64 v11, s[0:1], v11, v2, s[0:1]
	v_add_co_u32_e64 v8, s[0:1], v10, v8
	v_addc_co_u32_e64 v9, s[0:1], v11, v9, s[0:1]
	v_lshlrev_b64 v[10:11], 3, v[8:9]
	v_add_co_u32_e64 v10, s[0:1], s10, v10
	v_addc_co_u32_e64 v11, s[0:1], v7, v11, s[0:1]
	global_load_dwordx2 v[10:11], v[10:11], off
	v_add_co_u32_e64 v12, s[0:1], 1, v8
	v_addc_co_u32_e64 v13, s[0:1], 0, v9, s[0:1]
	s_waitcnt vmcnt(0) lgkmcnt(0)
	v_cmp_lt_i64_e64 s[0:1], v[10:11], v[3:4]
	v_cndmask_b32_e64 v6, v9, v6, s[0:1]
	v_cndmask_b32_e64 v5, v8, v5, s[0:1]
	;; [unrolled: 1-line block ×4, first 2 shown]
	v_cmp_ge_u64_e64 s[0:1], v[1:2], v[5:6]
	s_or_b64 s[2:3], s[0:1], s[2:3]
	s_andn2_b64 exec, exec, s[2:3]
	s_cbranch_execnz .LBB117_12
; %bb.13:
	s_or_b64 exec, exec, s[2:3]
.LBB117_14:
	s_or_b64 exec, exec, s[4:5]
	s_and_saveexec_b64 s[0:1], vcc
	s_cbranch_execz .LBB117_16
; %bb.15:
	s_lshl_b64 s[0:1], s[8:9], 3
	s_add_u32 s0, s7, s0
	s_addc_u32 s1, s14, s1
	v_lshlrev_b32_e32 v0, 3, v0
	s_waitcnt vmcnt(0) lgkmcnt(0)
	v_mov_b32_e32 v4, s1
	v_add_co_u32_e32 v3, vcc, s0, v0
	v_addc_co_u32_e32 v4, vcc, 0, v4, vcc
	flat_store_dwordx2 v[3:4], v[1:2]
.LBB117_16:
	s_endpgm
	.section	.rodata,"a",@progbits
	.p2align	6, 0x0
	.amdhsa_kernel _ZN7rocprim17ROCPRIM_400000_NS6detail17trampoline_kernelINS0_14default_configENS1_27lower_bound_config_selectorIxlEEZNS1_14transform_implILb0ES3_S5_N6thrust23THRUST_200600_302600_NS6detail15normal_iteratorINS8_7pointerIxNS8_11hip_rocprim5par_tENS8_11use_defaultESE_EEEENSA_INSB_IlSD_SE_SE_EEEEZNS1_13binary_searchIS3_S5_PxSG_SI_NS1_21lower_bound_search_opENS9_16wrapped_functionINS8_6system6detail7generic6detail18binary_search_lessEbEEEE10hipError_tPvRmT1_T2_T3_mmT4_T5_P12ihipStream_tbEUlRKxE_EEST_SX_SY_mSZ_S12_bEUlT_E_NS1_11comp_targetILNS1_3genE2ELNS1_11target_archE906ELNS1_3gpuE6ELNS1_3repE0EEENS1_30default_config_static_selectorELNS0_4arch9wavefront6targetE1EEEvSW_
		.amdhsa_group_segment_fixed_size 0
		.amdhsa_private_segment_fixed_size 0
		.amdhsa_kernarg_size 312
		.amdhsa_user_sgpr_count 6
		.amdhsa_user_sgpr_private_segment_buffer 1
		.amdhsa_user_sgpr_dispatch_ptr 0
		.amdhsa_user_sgpr_queue_ptr 0
		.amdhsa_user_sgpr_kernarg_segment_ptr 1
		.amdhsa_user_sgpr_dispatch_id 0
		.amdhsa_user_sgpr_flat_scratch_init 0
		.amdhsa_user_sgpr_private_segment_size 0
		.amdhsa_uses_dynamic_stack 0
		.amdhsa_system_sgpr_private_segment_wavefront_offset 0
		.amdhsa_system_sgpr_workgroup_id_x 1
		.amdhsa_system_sgpr_workgroup_id_y 0
		.amdhsa_system_sgpr_workgroup_id_z 0
		.amdhsa_system_sgpr_workgroup_info 0
		.amdhsa_system_vgpr_workitem_id 0
		.amdhsa_next_free_vgpr 14
		.amdhsa_next_free_sgpr 18
		.amdhsa_reserve_vcc 1
		.amdhsa_reserve_flat_scratch 0
		.amdhsa_float_round_mode_32 0
		.amdhsa_float_round_mode_16_64 0
		.amdhsa_float_denorm_mode_32 3
		.amdhsa_float_denorm_mode_16_64 3
		.amdhsa_dx10_clamp 1
		.amdhsa_ieee_mode 1
		.amdhsa_fp16_overflow 0
		.amdhsa_exception_fp_ieee_invalid_op 0
		.amdhsa_exception_fp_denorm_src 0
		.amdhsa_exception_fp_ieee_div_zero 0
		.amdhsa_exception_fp_ieee_overflow 0
		.amdhsa_exception_fp_ieee_underflow 0
		.amdhsa_exception_fp_ieee_inexact 0
		.amdhsa_exception_int_div_zero 0
	.end_amdhsa_kernel
	.section	.text._ZN7rocprim17ROCPRIM_400000_NS6detail17trampoline_kernelINS0_14default_configENS1_27lower_bound_config_selectorIxlEEZNS1_14transform_implILb0ES3_S5_N6thrust23THRUST_200600_302600_NS6detail15normal_iteratorINS8_7pointerIxNS8_11hip_rocprim5par_tENS8_11use_defaultESE_EEEENSA_INSB_IlSD_SE_SE_EEEEZNS1_13binary_searchIS3_S5_PxSG_SI_NS1_21lower_bound_search_opENS9_16wrapped_functionINS8_6system6detail7generic6detail18binary_search_lessEbEEEE10hipError_tPvRmT1_T2_T3_mmT4_T5_P12ihipStream_tbEUlRKxE_EEST_SX_SY_mSZ_S12_bEUlT_E_NS1_11comp_targetILNS1_3genE2ELNS1_11target_archE906ELNS1_3gpuE6ELNS1_3repE0EEENS1_30default_config_static_selectorELNS0_4arch9wavefront6targetE1EEEvSW_,"axG",@progbits,_ZN7rocprim17ROCPRIM_400000_NS6detail17trampoline_kernelINS0_14default_configENS1_27lower_bound_config_selectorIxlEEZNS1_14transform_implILb0ES3_S5_N6thrust23THRUST_200600_302600_NS6detail15normal_iteratorINS8_7pointerIxNS8_11hip_rocprim5par_tENS8_11use_defaultESE_EEEENSA_INSB_IlSD_SE_SE_EEEEZNS1_13binary_searchIS3_S5_PxSG_SI_NS1_21lower_bound_search_opENS9_16wrapped_functionINS8_6system6detail7generic6detail18binary_search_lessEbEEEE10hipError_tPvRmT1_T2_T3_mmT4_T5_P12ihipStream_tbEUlRKxE_EEST_SX_SY_mSZ_S12_bEUlT_E_NS1_11comp_targetILNS1_3genE2ELNS1_11target_archE906ELNS1_3gpuE6ELNS1_3repE0EEENS1_30default_config_static_selectorELNS0_4arch9wavefront6targetE1EEEvSW_,comdat
.Lfunc_end117:
	.size	_ZN7rocprim17ROCPRIM_400000_NS6detail17trampoline_kernelINS0_14default_configENS1_27lower_bound_config_selectorIxlEEZNS1_14transform_implILb0ES3_S5_N6thrust23THRUST_200600_302600_NS6detail15normal_iteratorINS8_7pointerIxNS8_11hip_rocprim5par_tENS8_11use_defaultESE_EEEENSA_INSB_IlSD_SE_SE_EEEEZNS1_13binary_searchIS3_S5_PxSG_SI_NS1_21lower_bound_search_opENS9_16wrapped_functionINS8_6system6detail7generic6detail18binary_search_lessEbEEEE10hipError_tPvRmT1_T2_T3_mmT4_T5_P12ihipStream_tbEUlRKxE_EEST_SX_SY_mSZ_S12_bEUlT_E_NS1_11comp_targetILNS1_3genE2ELNS1_11target_archE906ELNS1_3gpuE6ELNS1_3repE0EEENS1_30default_config_static_selectorELNS0_4arch9wavefront6targetE1EEEvSW_, .Lfunc_end117-_ZN7rocprim17ROCPRIM_400000_NS6detail17trampoline_kernelINS0_14default_configENS1_27lower_bound_config_selectorIxlEEZNS1_14transform_implILb0ES3_S5_N6thrust23THRUST_200600_302600_NS6detail15normal_iteratorINS8_7pointerIxNS8_11hip_rocprim5par_tENS8_11use_defaultESE_EEEENSA_INSB_IlSD_SE_SE_EEEEZNS1_13binary_searchIS3_S5_PxSG_SI_NS1_21lower_bound_search_opENS9_16wrapped_functionINS8_6system6detail7generic6detail18binary_search_lessEbEEEE10hipError_tPvRmT1_T2_T3_mmT4_T5_P12ihipStream_tbEUlRKxE_EEST_SX_SY_mSZ_S12_bEUlT_E_NS1_11comp_targetILNS1_3genE2ELNS1_11target_archE906ELNS1_3gpuE6ELNS1_3repE0EEENS1_30default_config_static_selectorELNS0_4arch9wavefront6targetE1EEEvSW_
                                        ; -- End function
	.set _ZN7rocprim17ROCPRIM_400000_NS6detail17trampoline_kernelINS0_14default_configENS1_27lower_bound_config_selectorIxlEEZNS1_14transform_implILb0ES3_S5_N6thrust23THRUST_200600_302600_NS6detail15normal_iteratorINS8_7pointerIxNS8_11hip_rocprim5par_tENS8_11use_defaultESE_EEEENSA_INSB_IlSD_SE_SE_EEEEZNS1_13binary_searchIS3_S5_PxSG_SI_NS1_21lower_bound_search_opENS9_16wrapped_functionINS8_6system6detail7generic6detail18binary_search_lessEbEEEE10hipError_tPvRmT1_T2_T3_mmT4_T5_P12ihipStream_tbEUlRKxE_EEST_SX_SY_mSZ_S12_bEUlT_E_NS1_11comp_targetILNS1_3genE2ELNS1_11target_archE906ELNS1_3gpuE6ELNS1_3repE0EEENS1_30default_config_static_selectorELNS0_4arch9wavefront6targetE1EEEvSW_.num_vgpr, 14
	.set _ZN7rocprim17ROCPRIM_400000_NS6detail17trampoline_kernelINS0_14default_configENS1_27lower_bound_config_selectorIxlEEZNS1_14transform_implILb0ES3_S5_N6thrust23THRUST_200600_302600_NS6detail15normal_iteratorINS8_7pointerIxNS8_11hip_rocprim5par_tENS8_11use_defaultESE_EEEENSA_INSB_IlSD_SE_SE_EEEEZNS1_13binary_searchIS3_S5_PxSG_SI_NS1_21lower_bound_search_opENS9_16wrapped_functionINS8_6system6detail7generic6detail18binary_search_lessEbEEEE10hipError_tPvRmT1_T2_T3_mmT4_T5_P12ihipStream_tbEUlRKxE_EEST_SX_SY_mSZ_S12_bEUlT_E_NS1_11comp_targetILNS1_3genE2ELNS1_11target_archE906ELNS1_3gpuE6ELNS1_3repE0EEENS1_30default_config_static_selectorELNS0_4arch9wavefront6targetE1EEEvSW_.num_agpr, 0
	.set _ZN7rocprim17ROCPRIM_400000_NS6detail17trampoline_kernelINS0_14default_configENS1_27lower_bound_config_selectorIxlEEZNS1_14transform_implILb0ES3_S5_N6thrust23THRUST_200600_302600_NS6detail15normal_iteratorINS8_7pointerIxNS8_11hip_rocprim5par_tENS8_11use_defaultESE_EEEENSA_INSB_IlSD_SE_SE_EEEEZNS1_13binary_searchIS3_S5_PxSG_SI_NS1_21lower_bound_search_opENS9_16wrapped_functionINS8_6system6detail7generic6detail18binary_search_lessEbEEEE10hipError_tPvRmT1_T2_T3_mmT4_T5_P12ihipStream_tbEUlRKxE_EEST_SX_SY_mSZ_S12_bEUlT_E_NS1_11comp_targetILNS1_3genE2ELNS1_11target_archE906ELNS1_3gpuE6ELNS1_3repE0EEENS1_30default_config_static_selectorELNS0_4arch9wavefront6targetE1EEEvSW_.numbered_sgpr, 18
	.set _ZN7rocprim17ROCPRIM_400000_NS6detail17trampoline_kernelINS0_14default_configENS1_27lower_bound_config_selectorIxlEEZNS1_14transform_implILb0ES3_S5_N6thrust23THRUST_200600_302600_NS6detail15normal_iteratorINS8_7pointerIxNS8_11hip_rocprim5par_tENS8_11use_defaultESE_EEEENSA_INSB_IlSD_SE_SE_EEEEZNS1_13binary_searchIS3_S5_PxSG_SI_NS1_21lower_bound_search_opENS9_16wrapped_functionINS8_6system6detail7generic6detail18binary_search_lessEbEEEE10hipError_tPvRmT1_T2_T3_mmT4_T5_P12ihipStream_tbEUlRKxE_EEST_SX_SY_mSZ_S12_bEUlT_E_NS1_11comp_targetILNS1_3genE2ELNS1_11target_archE906ELNS1_3gpuE6ELNS1_3repE0EEENS1_30default_config_static_selectorELNS0_4arch9wavefront6targetE1EEEvSW_.num_named_barrier, 0
	.set _ZN7rocprim17ROCPRIM_400000_NS6detail17trampoline_kernelINS0_14default_configENS1_27lower_bound_config_selectorIxlEEZNS1_14transform_implILb0ES3_S5_N6thrust23THRUST_200600_302600_NS6detail15normal_iteratorINS8_7pointerIxNS8_11hip_rocprim5par_tENS8_11use_defaultESE_EEEENSA_INSB_IlSD_SE_SE_EEEEZNS1_13binary_searchIS3_S5_PxSG_SI_NS1_21lower_bound_search_opENS9_16wrapped_functionINS8_6system6detail7generic6detail18binary_search_lessEbEEEE10hipError_tPvRmT1_T2_T3_mmT4_T5_P12ihipStream_tbEUlRKxE_EEST_SX_SY_mSZ_S12_bEUlT_E_NS1_11comp_targetILNS1_3genE2ELNS1_11target_archE906ELNS1_3gpuE6ELNS1_3repE0EEENS1_30default_config_static_selectorELNS0_4arch9wavefront6targetE1EEEvSW_.private_seg_size, 0
	.set _ZN7rocprim17ROCPRIM_400000_NS6detail17trampoline_kernelINS0_14default_configENS1_27lower_bound_config_selectorIxlEEZNS1_14transform_implILb0ES3_S5_N6thrust23THRUST_200600_302600_NS6detail15normal_iteratorINS8_7pointerIxNS8_11hip_rocprim5par_tENS8_11use_defaultESE_EEEENSA_INSB_IlSD_SE_SE_EEEEZNS1_13binary_searchIS3_S5_PxSG_SI_NS1_21lower_bound_search_opENS9_16wrapped_functionINS8_6system6detail7generic6detail18binary_search_lessEbEEEE10hipError_tPvRmT1_T2_T3_mmT4_T5_P12ihipStream_tbEUlRKxE_EEST_SX_SY_mSZ_S12_bEUlT_E_NS1_11comp_targetILNS1_3genE2ELNS1_11target_archE906ELNS1_3gpuE6ELNS1_3repE0EEENS1_30default_config_static_selectorELNS0_4arch9wavefront6targetE1EEEvSW_.uses_vcc, 1
	.set _ZN7rocprim17ROCPRIM_400000_NS6detail17trampoline_kernelINS0_14default_configENS1_27lower_bound_config_selectorIxlEEZNS1_14transform_implILb0ES3_S5_N6thrust23THRUST_200600_302600_NS6detail15normal_iteratorINS8_7pointerIxNS8_11hip_rocprim5par_tENS8_11use_defaultESE_EEEENSA_INSB_IlSD_SE_SE_EEEEZNS1_13binary_searchIS3_S5_PxSG_SI_NS1_21lower_bound_search_opENS9_16wrapped_functionINS8_6system6detail7generic6detail18binary_search_lessEbEEEE10hipError_tPvRmT1_T2_T3_mmT4_T5_P12ihipStream_tbEUlRKxE_EEST_SX_SY_mSZ_S12_bEUlT_E_NS1_11comp_targetILNS1_3genE2ELNS1_11target_archE906ELNS1_3gpuE6ELNS1_3repE0EEENS1_30default_config_static_selectorELNS0_4arch9wavefront6targetE1EEEvSW_.uses_flat_scratch, 0
	.set _ZN7rocprim17ROCPRIM_400000_NS6detail17trampoline_kernelINS0_14default_configENS1_27lower_bound_config_selectorIxlEEZNS1_14transform_implILb0ES3_S5_N6thrust23THRUST_200600_302600_NS6detail15normal_iteratorINS8_7pointerIxNS8_11hip_rocprim5par_tENS8_11use_defaultESE_EEEENSA_INSB_IlSD_SE_SE_EEEEZNS1_13binary_searchIS3_S5_PxSG_SI_NS1_21lower_bound_search_opENS9_16wrapped_functionINS8_6system6detail7generic6detail18binary_search_lessEbEEEE10hipError_tPvRmT1_T2_T3_mmT4_T5_P12ihipStream_tbEUlRKxE_EEST_SX_SY_mSZ_S12_bEUlT_E_NS1_11comp_targetILNS1_3genE2ELNS1_11target_archE906ELNS1_3gpuE6ELNS1_3repE0EEENS1_30default_config_static_selectorELNS0_4arch9wavefront6targetE1EEEvSW_.has_dyn_sized_stack, 0
	.set _ZN7rocprim17ROCPRIM_400000_NS6detail17trampoline_kernelINS0_14default_configENS1_27lower_bound_config_selectorIxlEEZNS1_14transform_implILb0ES3_S5_N6thrust23THRUST_200600_302600_NS6detail15normal_iteratorINS8_7pointerIxNS8_11hip_rocprim5par_tENS8_11use_defaultESE_EEEENSA_INSB_IlSD_SE_SE_EEEEZNS1_13binary_searchIS3_S5_PxSG_SI_NS1_21lower_bound_search_opENS9_16wrapped_functionINS8_6system6detail7generic6detail18binary_search_lessEbEEEE10hipError_tPvRmT1_T2_T3_mmT4_T5_P12ihipStream_tbEUlRKxE_EEST_SX_SY_mSZ_S12_bEUlT_E_NS1_11comp_targetILNS1_3genE2ELNS1_11target_archE906ELNS1_3gpuE6ELNS1_3repE0EEENS1_30default_config_static_selectorELNS0_4arch9wavefront6targetE1EEEvSW_.has_recursion, 0
	.set _ZN7rocprim17ROCPRIM_400000_NS6detail17trampoline_kernelINS0_14default_configENS1_27lower_bound_config_selectorIxlEEZNS1_14transform_implILb0ES3_S5_N6thrust23THRUST_200600_302600_NS6detail15normal_iteratorINS8_7pointerIxNS8_11hip_rocprim5par_tENS8_11use_defaultESE_EEEENSA_INSB_IlSD_SE_SE_EEEEZNS1_13binary_searchIS3_S5_PxSG_SI_NS1_21lower_bound_search_opENS9_16wrapped_functionINS8_6system6detail7generic6detail18binary_search_lessEbEEEE10hipError_tPvRmT1_T2_T3_mmT4_T5_P12ihipStream_tbEUlRKxE_EEST_SX_SY_mSZ_S12_bEUlT_E_NS1_11comp_targetILNS1_3genE2ELNS1_11target_archE906ELNS1_3gpuE6ELNS1_3repE0EEENS1_30default_config_static_selectorELNS0_4arch9wavefront6targetE1EEEvSW_.has_indirect_call, 0
	.section	.AMDGPU.csdata,"",@progbits
; Kernel info:
; codeLenInByte = 700
; TotalNumSgprs: 22
; NumVgprs: 14
; ScratchSize: 0
; MemoryBound: 0
; FloatMode: 240
; IeeeMode: 1
; LDSByteSize: 0 bytes/workgroup (compile time only)
; SGPRBlocks: 2
; VGPRBlocks: 3
; NumSGPRsForWavesPerEU: 22
; NumVGPRsForWavesPerEU: 14
; Occupancy: 10
; WaveLimiterHint : 0
; COMPUTE_PGM_RSRC2:SCRATCH_EN: 0
; COMPUTE_PGM_RSRC2:USER_SGPR: 6
; COMPUTE_PGM_RSRC2:TRAP_HANDLER: 0
; COMPUTE_PGM_RSRC2:TGID_X_EN: 1
; COMPUTE_PGM_RSRC2:TGID_Y_EN: 0
; COMPUTE_PGM_RSRC2:TGID_Z_EN: 0
; COMPUTE_PGM_RSRC2:TIDIG_COMP_CNT: 0
	.section	.text._ZN7rocprim17ROCPRIM_400000_NS6detail17trampoline_kernelINS0_14default_configENS1_27lower_bound_config_selectorIxlEEZNS1_14transform_implILb0ES3_S5_N6thrust23THRUST_200600_302600_NS6detail15normal_iteratorINS8_7pointerIxNS8_11hip_rocprim5par_tENS8_11use_defaultESE_EEEENSA_INSB_IlSD_SE_SE_EEEEZNS1_13binary_searchIS3_S5_PxSG_SI_NS1_21lower_bound_search_opENS9_16wrapped_functionINS8_6system6detail7generic6detail18binary_search_lessEbEEEE10hipError_tPvRmT1_T2_T3_mmT4_T5_P12ihipStream_tbEUlRKxE_EEST_SX_SY_mSZ_S12_bEUlT_E_NS1_11comp_targetILNS1_3genE10ELNS1_11target_archE1201ELNS1_3gpuE5ELNS1_3repE0EEENS1_30default_config_static_selectorELNS0_4arch9wavefront6targetE1EEEvSW_,"axG",@progbits,_ZN7rocprim17ROCPRIM_400000_NS6detail17trampoline_kernelINS0_14default_configENS1_27lower_bound_config_selectorIxlEEZNS1_14transform_implILb0ES3_S5_N6thrust23THRUST_200600_302600_NS6detail15normal_iteratorINS8_7pointerIxNS8_11hip_rocprim5par_tENS8_11use_defaultESE_EEEENSA_INSB_IlSD_SE_SE_EEEEZNS1_13binary_searchIS3_S5_PxSG_SI_NS1_21lower_bound_search_opENS9_16wrapped_functionINS8_6system6detail7generic6detail18binary_search_lessEbEEEE10hipError_tPvRmT1_T2_T3_mmT4_T5_P12ihipStream_tbEUlRKxE_EEST_SX_SY_mSZ_S12_bEUlT_E_NS1_11comp_targetILNS1_3genE10ELNS1_11target_archE1201ELNS1_3gpuE5ELNS1_3repE0EEENS1_30default_config_static_selectorELNS0_4arch9wavefront6targetE1EEEvSW_,comdat
	.protected	_ZN7rocprim17ROCPRIM_400000_NS6detail17trampoline_kernelINS0_14default_configENS1_27lower_bound_config_selectorIxlEEZNS1_14transform_implILb0ES3_S5_N6thrust23THRUST_200600_302600_NS6detail15normal_iteratorINS8_7pointerIxNS8_11hip_rocprim5par_tENS8_11use_defaultESE_EEEENSA_INSB_IlSD_SE_SE_EEEEZNS1_13binary_searchIS3_S5_PxSG_SI_NS1_21lower_bound_search_opENS9_16wrapped_functionINS8_6system6detail7generic6detail18binary_search_lessEbEEEE10hipError_tPvRmT1_T2_T3_mmT4_T5_P12ihipStream_tbEUlRKxE_EEST_SX_SY_mSZ_S12_bEUlT_E_NS1_11comp_targetILNS1_3genE10ELNS1_11target_archE1201ELNS1_3gpuE5ELNS1_3repE0EEENS1_30default_config_static_selectorELNS0_4arch9wavefront6targetE1EEEvSW_ ; -- Begin function _ZN7rocprim17ROCPRIM_400000_NS6detail17trampoline_kernelINS0_14default_configENS1_27lower_bound_config_selectorIxlEEZNS1_14transform_implILb0ES3_S5_N6thrust23THRUST_200600_302600_NS6detail15normal_iteratorINS8_7pointerIxNS8_11hip_rocprim5par_tENS8_11use_defaultESE_EEEENSA_INSB_IlSD_SE_SE_EEEEZNS1_13binary_searchIS3_S5_PxSG_SI_NS1_21lower_bound_search_opENS9_16wrapped_functionINS8_6system6detail7generic6detail18binary_search_lessEbEEEE10hipError_tPvRmT1_T2_T3_mmT4_T5_P12ihipStream_tbEUlRKxE_EEST_SX_SY_mSZ_S12_bEUlT_E_NS1_11comp_targetILNS1_3genE10ELNS1_11target_archE1201ELNS1_3gpuE5ELNS1_3repE0EEENS1_30default_config_static_selectorELNS0_4arch9wavefront6targetE1EEEvSW_
	.globl	_ZN7rocprim17ROCPRIM_400000_NS6detail17trampoline_kernelINS0_14default_configENS1_27lower_bound_config_selectorIxlEEZNS1_14transform_implILb0ES3_S5_N6thrust23THRUST_200600_302600_NS6detail15normal_iteratorINS8_7pointerIxNS8_11hip_rocprim5par_tENS8_11use_defaultESE_EEEENSA_INSB_IlSD_SE_SE_EEEEZNS1_13binary_searchIS3_S5_PxSG_SI_NS1_21lower_bound_search_opENS9_16wrapped_functionINS8_6system6detail7generic6detail18binary_search_lessEbEEEE10hipError_tPvRmT1_T2_T3_mmT4_T5_P12ihipStream_tbEUlRKxE_EEST_SX_SY_mSZ_S12_bEUlT_E_NS1_11comp_targetILNS1_3genE10ELNS1_11target_archE1201ELNS1_3gpuE5ELNS1_3repE0EEENS1_30default_config_static_selectorELNS0_4arch9wavefront6targetE1EEEvSW_
	.p2align	8
	.type	_ZN7rocprim17ROCPRIM_400000_NS6detail17trampoline_kernelINS0_14default_configENS1_27lower_bound_config_selectorIxlEEZNS1_14transform_implILb0ES3_S5_N6thrust23THRUST_200600_302600_NS6detail15normal_iteratorINS8_7pointerIxNS8_11hip_rocprim5par_tENS8_11use_defaultESE_EEEENSA_INSB_IlSD_SE_SE_EEEEZNS1_13binary_searchIS3_S5_PxSG_SI_NS1_21lower_bound_search_opENS9_16wrapped_functionINS8_6system6detail7generic6detail18binary_search_lessEbEEEE10hipError_tPvRmT1_T2_T3_mmT4_T5_P12ihipStream_tbEUlRKxE_EEST_SX_SY_mSZ_S12_bEUlT_E_NS1_11comp_targetILNS1_3genE10ELNS1_11target_archE1201ELNS1_3gpuE5ELNS1_3repE0EEENS1_30default_config_static_selectorELNS0_4arch9wavefront6targetE1EEEvSW_,@function
_ZN7rocprim17ROCPRIM_400000_NS6detail17trampoline_kernelINS0_14default_configENS1_27lower_bound_config_selectorIxlEEZNS1_14transform_implILb0ES3_S5_N6thrust23THRUST_200600_302600_NS6detail15normal_iteratorINS8_7pointerIxNS8_11hip_rocprim5par_tENS8_11use_defaultESE_EEEENSA_INSB_IlSD_SE_SE_EEEEZNS1_13binary_searchIS3_S5_PxSG_SI_NS1_21lower_bound_search_opENS9_16wrapped_functionINS8_6system6detail7generic6detail18binary_search_lessEbEEEE10hipError_tPvRmT1_T2_T3_mmT4_T5_P12ihipStream_tbEUlRKxE_EEST_SX_SY_mSZ_S12_bEUlT_E_NS1_11comp_targetILNS1_3genE10ELNS1_11target_archE1201ELNS1_3gpuE5ELNS1_3repE0EEENS1_30default_config_static_selectorELNS0_4arch9wavefront6targetE1EEEvSW_: ; @_ZN7rocprim17ROCPRIM_400000_NS6detail17trampoline_kernelINS0_14default_configENS1_27lower_bound_config_selectorIxlEEZNS1_14transform_implILb0ES3_S5_N6thrust23THRUST_200600_302600_NS6detail15normal_iteratorINS8_7pointerIxNS8_11hip_rocprim5par_tENS8_11use_defaultESE_EEEENSA_INSB_IlSD_SE_SE_EEEEZNS1_13binary_searchIS3_S5_PxSG_SI_NS1_21lower_bound_search_opENS9_16wrapped_functionINS8_6system6detail7generic6detail18binary_search_lessEbEEEE10hipError_tPvRmT1_T2_T3_mmT4_T5_P12ihipStream_tbEUlRKxE_EEST_SX_SY_mSZ_S12_bEUlT_E_NS1_11comp_targetILNS1_3genE10ELNS1_11target_archE1201ELNS1_3gpuE5ELNS1_3repE0EEENS1_30default_config_static_selectorELNS0_4arch9wavefront6targetE1EEEvSW_
; %bb.0:
	.section	.rodata,"a",@progbits
	.p2align	6, 0x0
	.amdhsa_kernel _ZN7rocprim17ROCPRIM_400000_NS6detail17trampoline_kernelINS0_14default_configENS1_27lower_bound_config_selectorIxlEEZNS1_14transform_implILb0ES3_S5_N6thrust23THRUST_200600_302600_NS6detail15normal_iteratorINS8_7pointerIxNS8_11hip_rocprim5par_tENS8_11use_defaultESE_EEEENSA_INSB_IlSD_SE_SE_EEEEZNS1_13binary_searchIS3_S5_PxSG_SI_NS1_21lower_bound_search_opENS9_16wrapped_functionINS8_6system6detail7generic6detail18binary_search_lessEbEEEE10hipError_tPvRmT1_T2_T3_mmT4_T5_P12ihipStream_tbEUlRKxE_EEST_SX_SY_mSZ_S12_bEUlT_E_NS1_11comp_targetILNS1_3genE10ELNS1_11target_archE1201ELNS1_3gpuE5ELNS1_3repE0EEENS1_30default_config_static_selectorELNS0_4arch9wavefront6targetE1EEEvSW_
		.amdhsa_group_segment_fixed_size 0
		.amdhsa_private_segment_fixed_size 0
		.amdhsa_kernarg_size 56
		.amdhsa_user_sgpr_count 6
		.amdhsa_user_sgpr_private_segment_buffer 1
		.amdhsa_user_sgpr_dispatch_ptr 0
		.amdhsa_user_sgpr_queue_ptr 0
		.amdhsa_user_sgpr_kernarg_segment_ptr 1
		.amdhsa_user_sgpr_dispatch_id 0
		.amdhsa_user_sgpr_flat_scratch_init 0
		.amdhsa_user_sgpr_private_segment_size 0
		.amdhsa_uses_dynamic_stack 0
		.amdhsa_system_sgpr_private_segment_wavefront_offset 0
		.amdhsa_system_sgpr_workgroup_id_x 1
		.amdhsa_system_sgpr_workgroup_id_y 0
		.amdhsa_system_sgpr_workgroup_id_z 0
		.amdhsa_system_sgpr_workgroup_info 0
		.amdhsa_system_vgpr_workitem_id 0
		.amdhsa_next_free_vgpr 1
		.amdhsa_next_free_sgpr 0
		.amdhsa_reserve_vcc 0
		.amdhsa_reserve_flat_scratch 0
		.amdhsa_float_round_mode_32 0
		.amdhsa_float_round_mode_16_64 0
		.amdhsa_float_denorm_mode_32 3
		.amdhsa_float_denorm_mode_16_64 3
		.amdhsa_dx10_clamp 1
		.amdhsa_ieee_mode 1
		.amdhsa_fp16_overflow 0
		.amdhsa_exception_fp_ieee_invalid_op 0
		.amdhsa_exception_fp_denorm_src 0
		.amdhsa_exception_fp_ieee_div_zero 0
		.amdhsa_exception_fp_ieee_overflow 0
		.amdhsa_exception_fp_ieee_underflow 0
		.amdhsa_exception_fp_ieee_inexact 0
		.amdhsa_exception_int_div_zero 0
	.end_amdhsa_kernel
	.section	.text._ZN7rocprim17ROCPRIM_400000_NS6detail17trampoline_kernelINS0_14default_configENS1_27lower_bound_config_selectorIxlEEZNS1_14transform_implILb0ES3_S5_N6thrust23THRUST_200600_302600_NS6detail15normal_iteratorINS8_7pointerIxNS8_11hip_rocprim5par_tENS8_11use_defaultESE_EEEENSA_INSB_IlSD_SE_SE_EEEEZNS1_13binary_searchIS3_S5_PxSG_SI_NS1_21lower_bound_search_opENS9_16wrapped_functionINS8_6system6detail7generic6detail18binary_search_lessEbEEEE10hipError_tPvRmT1_T2_T3_mmT4_T5_P12ihipStream_tbEUlRKxE_EEST_SX_SY_mSZ_S12_bEUlT_E_NS1_11comp_targetILNS1_3genE10ELNS1_11target_archE1201ELNS1_3gpuE5ELNS1_3repE0EEENS1_30default_config_static_selectorELNS0_4arch9wavefront6targetE1EEEvSW_,"axG",@progbits,_ZN7rocprim17ROCPRIM_400000_NS6detail17trampoline_kernelINS0_14default_configENS1_27lower_bound_config_selectorIxlEEZNS1_14transform_implILb0ES3_S5_N6thrust23THRUST_200600_302600_NS6detail15normal_iteratorINS8_7pointerIxNS8_11hip_rocprim5par_tENS8_11use_defaultESE_EEEENSA_INSB_IlSD_SE_SE_EEEEZNS1_13binary_searchIS3_S5_PxSG_SI_NS1_21lower_bound_search_opENS9_16wrapped_functionINS8_6system6detail7generic6detail18binary_search_lessEbEEEE10hipError_tPvRmT1_T2_T3_mmT4_T5_P12ihipStream_tbEUlRKxE_EEST_SX_SY_mSZ_S12_bEUlT_E_NS1_11comp_targetILNS1_3genE10ELNS1_11target_archE1201ELNS1_3gpuE5ELNS1_3repE0EEENS1_30default_config_static_selectorELNS0_4arch9wavefront6targetE1EEEvSW_,comdat
.Lfunc_end118:
	.size	_ZN7rocprim17ROCPRIM_400000_NS6detail17trampoline_kernelINS0_14default_configENS1_27lower_bound_config_selectorIxlEEZNS1_14transform_implILb0ES3_S5_N6thrust23THRUST_200600_302600_NS6detail15normal_iteratorINS8_7pointerIxNS8_11hip_rocprim5par_tENS8_11use_defaultESE_EEEENSA_INSB_IlSD_SE_SE_EEEEZNS1_13binary_searchIS3_S5_PxSG_SI_NS1_21lower_bound_search_opENS9_16wrapped_functionINS8_6system6detail7generic6detail18binary_search_lessEbEEEE10hipError_tPvRmT1_T2_T3_mmT4_T5_P12ihipStream_tbEUlRKxE_EEST_SX_SY_mSZ_S12_bEUlT_E_NS1_11comp_targetILNS1_3genE10ELNS1_11target_archE1201ELNS1_3gpuE5ELNS1_3repE0EEENS1_30default_config_static_selectorELNS0_4arch9wavefront6targetE1EEEvSW_, .Lfunc_end118-_ZN7rocprim17ROCPRIM_400000_NS6detail17trampoline_kernelINS0_14default_configENS1_27lower_bound_config_selectorIxlEEZNS1_14transform_implILb0ES3_S5_N6thrust23THRUST_200600_302600_NS6detail15normal_iteratorINS8_7pointerIxNS8_11hip_rocprim5par_tENS8_11use_defaultESE_EEEENSA_INSB_IlSD_SE_SE_EEEEZNS1_13binary_searchIS3_S5_PxSG_SI_NS1_21lower_bound_search_opENS9_16wrapped_functionINS8_6system6detail7generic6detail18binary_search_lessEbEEEE10hipError_tPvRmT1_T2_T3_mmT4_T5_P12ihipStream_tbEUlRKxE_EEST_SX_SY_mSZ_S12_bEUlT_E_NS1_11comp_targetILNS1_3genE10ELNS1_11target_archE1201ELNS1_3gpuE5ELNS1_3repE0EEENS1_30default_config_static_selectorELNS0_4arch9wavefront6targetE1EEEvSW_
                                        ; -- End function
	.set _ZN7rocprim17ROCPRIM_400000_NS6detail17trampoline_kernelINS0_14default_configENS1_27lower_bound_config_selectorIxlEEZNS1_14transform_implILb0ES3_S5_N6thrust23THRUST_200600_302600_NS6detail15normal_iteratorINS8_7pointerIxNS8_11hip_rocprim5par_tENS8_11use_defaultESE_EEEENSA_INSB_IlSD_SE_SE_EEEEZNS1_13binary_searchIS3_S5_PxSG_SI_NS1_21lower_bound_search_opENS9_16wrapped_functionINS8_6system6detail7generic6detail18binary_search_lessEbEEEE10hipError_tPvRmT1_T2_T3_mmT4_T5_P12ihipStream_tbEUlRKxE_EEST_SX_SY_mSZ_S12_bEUlT_E_NS1_11comp_targetILNS1_3genE10ELNS1_11target_archE1201ELNS1_3gpuE5ELNS1_3repE0EEENS1_30default_config_static_selectorELNS0_4arch9wavefront6targetE1EEEvSW_.num_vgpr, 0
	.set _ZN7rocprim17ROCPRIM_400000_NS6detail17trampoline_kernelINS0_14default_configENS1_27lower_bound_config_selectorIxlEEZNS1_14transform_implILb0ES3_S5_N6thrust23THRUST_200600_302600_NS6detail15normal_iteratorINS8_7pointerIxNS8_11hip_rocprim5par_tENS8_11use_defaultESE_EEEENSA_INSB_IlSD_SE_SE_EEEEZNS1_13binary_searchIS3_S5_PxSG_SI_NS1_21lower_bound_search_opENS9_16wrapped_functionINS8_6system6detail7generic6detail18binary_search_lessEbEEEE10hipError_tPvRmT1_T2_T3_mmT4_T5_P12ihipStream_tbEUlRKxE_EEST_SX_SY_mSZ_S12_bEUlT_E_NS1_11comp_targetILNS1_3genE10ELNS1_11target_archE1201ELNS1_3gpuE5ELNS1_3repE0EEENS1_30default_config_static_selectorELNS0_4arch9wavefront6targetE1EEEvSW_.num_agpr, 0
	.set _ZN7rocprim17ROCPRIM_400000_NS6detail17trampoline_kernelINS0_14default_configENS1_27lower_bound_config_selectorIxlEEZNS1_14transform_implILb0ES3_S5_N6thrust23THRUST_200600_302600_NS6detail15normal_iteratorINS8_7pointerIxNS8_11hip_rocprim5par_tENS8_11use_defaultESE_EEEENSA_INSB_IlSD_SE_SE_EEEEZNS1_13binary_searchIS3_S5_PxSG_SI_NS1_21lower_bound_search_opENS9_16wrapped_functionINS8_6system6detail7generic6detail18binary_search_lessEbEEEE10hipError_tPvRmT1_T2_T3_mmT4_T5_P12ihipStream_tbEUlRKxE_EEST_SX_SY_mSZ_S12_bEUlT_E_NS1_11comp_targetILNS1_3genE10ELNS1_11target_archE1201ELNS1_3gpuE5ELNS1_3repE0EEENS1_30default_config_static_selectorELNS0_4arch9wavefront6targetE1EEEvSW_.numbered_sgpr, 0
	.set _ZN7rocprim17ROCPRIM_400000_NS6detail17trampoline_kernelINS0_14default_configENS1_27lower_bound_config_selectorIxlEEZNS1_14transform_implILb0ES3_S5_N6thrust23THRUST_200600_302600_NS6detail15normal_iteratorINS8_7pointerIxNS8_11hip_rocprim5par_tENS8_11use_defaultESE_EEEENSA_INSB_IlSD_SE_SE_EEEEZNS1_13binary_searchIS3_S5_PxSG_SI_NS1_21lower_bound_search_opENS9_16wrapped_functionINS8_6system6detail7generic6detail18binary_search_lessEbEEEE10hipError_tPvRmT1_T2_T3_mmT4_T5_P12ihipStream_tbEUlRKxE_EEST_SX_SY_mSZ_S12_bEUlT_E_NS1_11comp_targetILNS1_3genE10ELNS1_11target_archE1201ELNS1_3gpuE5ELNS1_3repE0EEENS1_30default_config_static_selectorELNS0_4arch9wavefront6targetE1EEEvSW_.num_named_barrier, 0
	.set _ZN7rocprim17ROCPRIM_400000_NS6detail17trampoline_kernelINS0_14default_configENS1_27lower_bound_config_selectorIxlEEZNS1_14transform_implILb0ES3_S5_N6thrust23THRUST_200600_302600_NS6detail15normal_iteratorINS8_7pointerIxNS8_11hip_rocprim5par_tENS8_11use_defaultESE_EEEENSA_INSB_IlSD_SE_SE_EEEEZNS1_13binary_searchIS3_S5_PxSG_SI_NS1_21lower_bound_search_opENS9_16wrapped_functionINS8_6system6detail7generic6detail18binary_search_lessEbEEEE10hipError_tPvRmT1_T2_T3_mmT4_T5_P12ihipStream_tbEUlRKxE_EEST_SX_SY_mSZ_S12_bEUlT_E_NS1_11comp_targetILNS1_3genE10ELNS1_11target_archE1201ELNS1_3gpuE5ELNS1_3repE0EEENS1_30default_config_static_selectorELNS0_4arch9wavefront6targetE1EEEvSW_.private_seg_size, 0
	.set _ZN7rocprim17ROCPRIM_400000_NS6detail17trampoline_kernelINS0_14default_configENS1_27lower_bound_config_selectorIxlEEZNS1_14transform_implILb0ES3_S5_N6thrust23THRUST_200600_302600_NS6detail15normal_iteratorINS8_7pointerIxNS8_11hip_rocprim5par_tENS8_11use_defaultESE_EEEENSA_INSB_IlSD_SE_SE_EEEEZNS1_13binary_searchIS3_S5_PxSG_SI_NS1_21lower_bound_search_opENS9_16wrapped_functionINS8_6system6detail7generic6detail18binary_search_lessEbEEEE10hipError_tPvRmT1_T2_T3_mmT4_T5_P12ihipStream_tbEUlRKxE_EEST_SX_SY_mSZ_S12_bEUlT_E_NS1_11comp_targetILNS1_3genE10ELNS1_11target_archE1201ELNS1_3gpuE5ELNS1_3repE0EEENS1_30default_config_static_selectorELNS0_4arch9wavefront6targetE1EEEvSW_.uses_vcc, 0
	.set _ZN7rocprim17ROCPRIM_400000_NS6detail17trampoline_kernelINS0_14default_configENS1_27lower_bound_config_selectorIxlEEZNS1_14transform_implILb0ES3_S5_N6thrust23THRUST_200600_302600_NS6detail15normal_iteratorINS8_7pointerIxNS8_11hip_rocprim5par_tENS8_11use_defaultESE_EEEENSA_INSB_IlSD_SE_SE_EEEEZNS1_13binary_searchIS3_S5_PxSG_SI_NS1_21lower_bound_search_opENS9_16wrapped_functionINS8_6system6detail7generic6detail18binary_search_lessEbEEEE10hipError_tPvRmT1_T2_T3_mmT4_T5_P12ihipStream_tbEUlRKxE_EEST_SX_SY_mSZ_S12_bEUlT_E_NS1_11comp_targetILNS1_3genE10ELNS1_11target_archE1201ELNS1_3gpuE5ELNS1_3repE0EEENS1_30default_config_static_selectorELNS0_4arch9wavefront6targetE1EEEvSW_.uses_flat_scratch, 0
	.set _ZN7rocprim17ROCPRIM_400000_NS6detail17trampoline_kernelINS0_14default_configENS1_27lower_bound_config_selectorIxlEEZNS1_14transform_implILb0ES3_S5_N6thrust23THRUST_200600_302600_NS6detail15normal_iteratorINS8_7pointerIxNS8_11hip_rocprim5par_tENS8_11use_defaultESE_EEEENSA_INSB_IlSD_SE_SE_EEEEZNS1_13binary_searchIS3_S5_PxSG_SI_NS1_21lower_bound_search_opENS9_16wrapped_functionINS8_6system6detail7generic6detail18binary_search_lessEbEEEE10hipError_tPvRmT1_T2_T3_mmT4_T5_P12ihipStream_tbEUlRKxE_EEST_SX_SY_mSZ_S12_bEUlT_E_NS1_11comp_targetILNS1_3genE10ELNS1_11target_archE1201ELNS1_3gpuE5ELNS1_3repE0EEENS1_30default_config_static_selectorELNS0_4arch9wavefront6targetE1EEEvSW_.has_dyn_sized_stack, 0
	.set _ZN7rocprim17ROCPRIM_400000_NS6detail17trampoline_kernelINS0_14default_configENS1_27lower_bound_config_selectorIxlEEZNS1_14transform_implILb0ES3_S5_N6thrust23THRUST_200600_302600_NS6detail15normal_iteratorINS8_7pointerIxNS8_11hip_rocprim5par_tENS8_11use_defaultESE_EEEENSA_INSB_IlSD_SE_SE_EEEEZNS1_13binary_searchIS3_S5_PxSG_SI_NS1_21lower_bound_search_opENS9_16wrapped_functionINS8_6system6detail7generic6detail18binary_search_lessEbEEEE10hipError_tPvRmT1_T2_T3_mmT4_T5_P12ihipStream_tbEUlRKxE_EEST_SX_SY_mSZ_S12_bEUlT_E_NS1_11comp_targetILNS1_3genE10ELNS1_11target_archE1201ELNS1_3gpuE5ELNS1_3repE0EEENS1_30default_config_static_selectorELNS0_4arch9wavefront6targetE1EEEvSW_.has_recursion, 0
	.set _ZN7rocprim17ROCPRIM_400000_NS6detail17trampoline_kernelINS0_14default_configENS1_27lower_bound_config_selectorIxlEEZNS1_14transform_implILb0ES3_S5_N6thrust23THRUST_200600_302600_NS6detail15normal_iteratorINS8_7pointerIxNS8_11hip_rocprim5par_tENS8_11use_defaultESE_EEEENSA_INSB_IlSD_SE_SE_EEEEZNS1_13binary_searchIS3_S5_PxSG_SI_NS1_21lower_bound_search_opENS9_16wrapped_functionINS8_6system6detail7generic6detail18binary_search_lessEbEEEE10hipError_tPvRmT1_T2_T3_mmT4_T5_P12ihipStream_tbEUlRKxE_EEST_SX_SY_mSZ_S12_bEUlT_E_NS1_11comp_targetILNS1_3genE10ELNS1_11target_archE1201ELNS1_3gpuE5ELNS1_3repE0EEENS1_30default_config_static_selectorELNS0_4arch9wavefront6targetE1EEEvSW_.has_indirect_call, 0
	.section	.AMDGPU.csdata,"",@progbits
; Kernel info:
; codeLenInByte = 0
; TotalNumSgprs: 4
; NumVgprs: 0
; ScratchSize: 0
; MemoryBound: 0
; FloatMode: 240
; IeeeMode: 1
; LDSByteSize: 0 bytes/workgroup (compile time only)
; SGPRBlocks: 0
; VGPRBlocks: 0
; NumSGPRsForWavesPerEU: 4
; NumVGPRsForWavesPerEU: 1
; Occupancy: 10
; WaveLimiterHint : 0
; COMPUTE_PGM_RSRC2:SCRATCH_EN: 0
; COMPUTE_PGM_RSRC2:USER_SGPR: 6
; COMPUTE_PGM_RSRC2:TRAP_HANDLER: 0
; COMPUTE_PGM_RSRC2:TGID_X_EN: 1
; COMPUTE_PGM_RSRC2:TGID_Y_EN: 0
; COMPUTE_PGM_RSRC2:TGID_Z_EN: 0
; COMPUTE_PGM_RSRC2:TIDIG_COMP_CNT: 0
	.section	.text._ZN7rocprim17ROCPRIM_400000_NS6detail17trampoline_kernelINS0_14default_configENS1_27lower_bound_config_selectorIxlEEZNS1_14transform_implILb0ES3_S5_N6thrust23THRUST_200600_302600_NS6detail15normal_iteratorINS8_7pointerIxNS8_11hip_rocprim5par_tENS8_11use_defaultESE_EEEENSA_INSB_IlSD_SE_SE_EEEEZNS1_13binary_searchIS3_S5_PxSG_SI_NS1_21lower_bound_search_opENS9_16wrapped_functionINS8_6system6detail7generic6detail18binary_search_lessEbEEEE10hipError_tPvRmT1_T2_T3_mmT4_T5_P12ihipStream_tbEUlRKxE_EEST_SX_SY_mSZ_S12_bEUlT_E_NS1_11comp_targetILNS1_3genE10ELNS1_11target_archE1200ELNS1_3gpuE4ELNS1_3repE0EEENS1_30default_config_static_selectorELNS0_4arch9wavefront6targetE1EEEvSW_,"axG",@progbits,_ZN7rocprim17ROCPRIM_400000_NS6detail17trampoline_kernelINS0_14default_configENS1_27lower_bound_config_selectorIxlEEZNS1_14transform_implILb0ES3_S5_N6thrust23THRUST_200600_302600_NS6detail15normal_iteratorINS8_7pointerIxNS8_11hip_rocprim5par_tENS8_11use_defaultESE_EEEENSA_INSB_IlSD_SE_SE_EEEEZNS1_13binary_searchIS3_S5_PxSG_SI_NS1_21lower_bound_search_opENS9_16wrapped_functionINS8_6system6detail7generic6detail18binary_search_lessEbEEEE10hipError_tPvRmT1_T2_T3_mmT4_T5_P12ihipStream_tbEUlRKxE_EEST_SX_SY_mSZ_S12_bEUlT_E_NS1_11comp_targetILNS1_3genE10ELNS1_11target_archE1200ELNS1_3gpuE4ELNS1_3repE0EEENS1_30default_config_static_selectorELNS0_4arch9wavefront6targetE1EEEvSW_,comdat
	.protected	_ZN7rocprim17ROCPRIM_400000_NS6detail17trampoline_kernelINS0_14default_configENS1_27lower_bound_config_selectorIxlEEZNS1_14transform_implILb0ES3_S5_N6thrust23THRUST_200600_302600_NS6detail15normal_iteratorINS8_7pointerIxNS8_11hip_rocprim5par_tENS8_11use_defaultESE_EEEENSA_INSB_IlSD_SE_SE_EEEEZNS1_13binary_searchIS3_S5_PxSG_SI_NS1_21lower_bound_search_opENS9_16wrapped_functionINS8_6system6detail7generic6detail18binary_search_lessEbEEEE10hipError_tPvRmT1_T2_T3_mmT4_T5_P12ihipStream_tbEUlRKxE_EEST_SX_SY_mSZ_S12_bEUlT_E_NS1_11comp_targetILNS1_3genE10ELNS1_11target_archE1200ELNS1_3gpuE4ELNS1_3repE0EEENS1_30default_config_static_selectorELNS0_4arch9wavefront6targetE1EEEvSW_ ; -- Begin function _ZN7rocprim17ROCPRIM_400000_NS6detail17trampoline_kernelINS0_14default_configENS1_27lower_bound_config_selectorIxlEEZNS1_14transform_implILb0ES3_S5_N6thrust23THRUST_200600_302600_NS6detail15normal_iteratorINS8_7pointerIxNS8_11hip_rocprim5par_tENS8_11use_defaultESE_EEEENSA_INSB_IlSD_SE_SE_EEEEZNS1_13binary_searchIS3_S5_PxSG_SI_NS1_21lower_bound_search_opENS9_16wrapped_functionINS8_6system6detail7generic6detail18binary_search_lessEbEEEE10hipError_tPvRmT1_T2_T3_mmT4_T5_P12ihipStream_tbEUlRKxE_EEST_SX_SY_mSZ_S12_bEUlT_E_NS1_11comp_targetILNS1_3genE10ELNS1_11target_archE1200ELNS1_3gpuE4ELNS1_3repE0EEENS1_30default_config_static_selectorELNS0_4arch9wavefront6targetE1EEEvSW_
	.globl	_ZN7rocprim17ROCPRIM_400000_NS6detail17trampoline_kernelINS0_14default_configENS1_27lower_bound_config_selectorIxlEEZNS1_14transform_implILb0ES3_S5_N6thrust23THRUST_200600_302600_NS6detail15normal_iteratorINS8_7pointerIxNS8_11hip_rocprim5par_tENS8_11use_defaultESE_EEEENSA_INSB_IlSD_SE_SE_EEEEZNS1_13binary_searchIS3_S5_PxSG_SI_NS1_21lower_bound_search_opENS9_16wrapped_functionINS8_6system6detail7generic6detail18binary_search_lessEbEEEE10hipError_tPvRmT1_T2_T3_mmT4_T5_P12ihipStream_tbEUlRKxE_EEST_SX_SY_mSZ_S12_bEUlT_E_NS1_11comp_targetILNS1_3genE10ELNS1_11target_archE1200ELNS1_3gpuE4ELNS1_3repE0EEENS1_30default_config_static_selectorELNS0_4arch9wavefront6targetE1EEEvSW_
	.p2align	8
	.type	_ZN7rocprim17ROCPRIM_400000_NS6detail17trampoline_kernelINS0_14default_configENS1_27lower_bound_config_selectorIxlEEZNS1_14transform_implILb0ES3_S5_N6thrust23THRUST_200600_302600_NS6detail15normal_iteratorINS8_7pointerIxNS8_11hip_rocprim5par_tENS8_11use_defaultESE_EEEENSA_INSB_IlSD_SE_SE_EEEEZNS1_13binary_searchIS3_S5_PxSG_SI_NS1_21lower_bound_search_opENS9_16wrapped_functionINS8_6system6detail7generic6detail18binary_search_lessEbEEEE10hipError_tPvRmT1_T2_T3_mmT4_T5_P12ihipStream_tbEUlRKxE_EEST_SX_SY_mSZ_S12_bEUlT_E_NS1_11comp_targetILNS1_3genE10ELNS1_11target_archE1200ELNS1_3gpuE4ELNS1_3repE0EEENS1_30default_config_static_selectorELNS0_4arch9wavefront6targetE1EEEvSW_,@function
_ZN7rocprim17ROCPRIM_400000_NS6detail17trampoline_kernelINS0_14default_configENS1_27lower_bound_config_selectorIxlEEZNS1_14transform_implILb0ES3_S5_N6thrust23THRUST_200600_302600_NS6detail15normal_iteratorINS8_7pointerIxNS8_11hip_rocprim5par_tENS8_11use_defaultESE_EEEENSA_INSB_IlSD_SE_SE_EEEEZNS1_13binary_searchIS3_S5_PxSG_SI_NS1_21lower_bound_search_opENS9_16wrapped_functionINS8_6system6detail7generic6detail18binary_search_lessEbEEEE10hipError_tPvRmT1_T2_T3_mmT4_T5_P12ihipStream_tbEUlRKxE_EEST_SX_SY_mSZ_S12_bEUlT_E_NS1_11comp_targetILNS1_3genE10ELNS1_11target_archE1200ELNS1_3gpuE4ELNS1_3repE0EEENS1_30default_config_static_selectorELNS0_4arch9wavefront6targetE1EEEvSW_: ; @_ZN7rocprim17ROCPRIM_400000_NS6detail17trampoline_kernelINS0_14default_configENS1_27lower_bound_config_selectorIxlEEZNS1_14transform_implILb0ES3_S5_N6thrust23THRUST_200600_302600_NS6detail15normal_iteratorINS8_7pointerIxNS8_11hip_rocprim5par_tENS8_11use_defaultESE_EEEENSA_INSB_IlSD_SE_SE_EEEEZNS1_13binary_searchIS3_S5_PxSG_SI_NS1_21lower_bound_search_opENS9_16wrapped_functionINS8_6system6detail7generic6detail18binary_search_lessEbEEEE10hipError_tPvRmT1_T2_T3_mmT4_T5_P12ihipStream_tbEUlRKxE_EEST_SX_SY_mSZ_S12_bEUlT_E_NS1_11comp_targetILNS1_3genE10ELNS1_11target_archE1200ELNS1_3gpuE4ELNS1_3repE0EEENS1_30default_config_static_selectorELNS0_4arch9wavefront6targetE1EEEvSW_
; %bb.0:
	.section	.rodata,"a",@progbits
	.p2align	6, 0x0
	.amdhsa_kernel _ZN7rocprim17ROCPRIM_400000_NS6detail17trampoline_kernelINS0_14default_configENS1_27lower_bound_config_selectorIxlEEZNS1_14transform_implILb0ES3_S5_N6thrust23THRUST_200600_302600_NS6detail15normal_iteratorINS8_7pointerIxNS8_11hip_rocprim5par_tENS8_11use_defaultESE_EEEENSA_INSB_IlSD_SE_SE_EEEEZNS1_13binary_searchIS3_S5_PxSG_SI_NS1_21lower_bound_search_opENS9_16wrapped_functionINS8_6system6detail7generic6detail18binary_search_lessEbEEEE10hipError_tPvRmT1_T2_T3_mmT4_T5_P12ihipStream_tbEUlRKxE_EEST_SX_SY_mSZ_S12_bEUlT_E_NS1_11comp_targetILNS1_3genE10ELNS1_11target_archE1200ELNS1_3gpuE4ELNS1_3repE0EEENS1_30default_config_static_selectorELNS0_4arch9wavefront6targetE1EEEvSW_
		.amdhsa_group_segment_fixed_size 0
		.amdhsa_private_segment_fixed_size 0
		.amdhsa_kernarg_size 56
		.amdhsa_user_sgpr_count 6
		.amdhsa_user_sgpr_private_segment_buffer 1
		.amdhsa_user_sgpr_dispatch_ptr 0
		.amdhsa_user_sgpr_queue_ptr 0
		.amdhsa_user_sgpr_kernarg_segment_ptr 1
		.amdhsa_user_sgpr_dispatch_id 0
		.amdhsa_user_sgpr_flat_scratch_init 0
		.amdhsa_user_sgpr_private_segment_size 0
		.amdhsa_uses_dynamic_stack 0
		.amdhsa_system_sgpr_private_segment_wavefront_offset 0
		.amdhsa_system_sgpr_workgroup_id_x 1
		.amdhsa_system_sgpr_workgroup_id_y 0
		.amdhsa_system_sgpr_workgroup_id_z 0
		.amdhsa_system_sgpr_workgroup_info 0
		.amdhsa_system_vgpr_workitem_id 0
		.amdhsa_next_free_vgpr 1
		.amdhsa_next_free_sgpr 0
		.amdhsa_reserve_vcc 0
		.amdhsa_reserve_flat_scratch 0
		.amdhsa_float_round_mode_32 0
		.amdhsa_float_round_mode_16_64 0
		.amdhsa_float_denorm_mode_32 3
		.amdhsa_float_denorm_mode_16_64 3
		.amdhsa_dx10_clamp 1
		.amdhsa_ieee_mode 1
		.amdhsa_fp16_overflow 0
		.amdhsa_exception_fp_ieee_invalid_op 0
		.amdhsa_exception_fp_denorm_src 0
		.amdhsa_exception_fp_ieee_div_zero 0
		.amdhsa_exception_fp_ieee_overflow 0
		.amdhsa_exception_fp_ieee_underflow 0
		.amdhsa_exception_fp_ieee_inexact 0
		.amdhsa_exception_int_div_zero 0
	.end_amdhsa_kernel
	.section	.text._ZN7rocprim17ROCPRIM_400000_NS6detail17trampoline_kernelINS0_14default_configENS1_27lower_bound_config_selectorIxlEEZNS1_14transform_implILb0ES3_S5_N6thrust23THRUST_200600_302600_NS6detail15normal_iteratorINS8_7pointerIxNS8_11hip_rocprim5par_tENS8_11use_defaultESE_EEEENSA_INSB_IlSD_SE_SE_EEEEZNS1_13binary_searchIS3_S5_PxSG_SI_NS1_21lower_bound_search_opENS9_16wrapped_functionINS8_6system6detail7generic6detail18binary_search_lessEbEEEE10hipError_tPvRmT1_T2_T3_mmT4_T5_P12ihipStream_tbEUlRKxE_EEST_SX_SY_mSZ_S12_bEUlT_E_NS1_11comp_targetILNS1_3genE10ELNS1_11target_archE1200ELNS1_3gpuE4ELNS1_3repE0EEENS1_30default_config_static_selectorELNS0_4arch9wavefront6targetE1EEEvSW_,"axG",@progbits,_ZN7rocprim17ROCPRIM_400000_NS6detail17trampoline_kernelINS0_14default_configENS1_27lower_bound_config_selectorIxlEEZNS1_14transform_implILb0ES3_S5_N6thrust23THRUST_200600_302600_NS6detail15normal_iteratorINS8_7pointerIxNS8_11hip_rocprim5par_tENS8_11use_defaultESE_EEEENSA_INSB_IlSD_SE_SE_EEEEZNS1_13binary_searchIS3_S5_PxSG_SI_NS1_21lower_bound_search_opENS9_16wrapped_functionINS8_6system6detail7generic6detail18binary_search_lessEbEEEE10hipError_tPvRmT1_T2_T3_mmT4_T5_P12ihipStream_tbEUlRKxE_EEST_SX_SY_mSZ_S12_bEUlT_E_NS1_11comp_targetILNS1_3genE10ELNS1_11target_archE1200ELNS1_3gpuE4ELNS1_3repE0EEENS1_30default_config_static_selectorELNS0_4arch9wavefront6targetE1EEEvSW_,comdat
.Lfunc_end119:
	.size	_ZN7rocprim17ROCPRIM_400000_NS6detail17trampoline_kernelINS0_14default_configENS1_27lower_bound_config_selectorIxlEEZNS1_14transform_implILb0ES3_S5_N6thrust23THRUST_200600_302600_NS6detail15normal_iteratorINS8_7pointerIxNS8_11hip_rocprim5par_tENS8_11use_defaultESE_EEEENSA_INSB_IlSD_SE_SE_EEEEZNS1_13binary_searchIS3_S5_PxSG_SI_NS1_21lower_bound_search_opENS9_16wrapped_functionINS8_6system6detail7generic6detail18binary_search_lessEbEEEE10hipError_tPvRmT1_T2_T3_mmT4_T5_P12ihipStream_tbEUlRKxE_EEST_SX_SY_mSZ_S12_bEUlT_E_NS1_11comp_targetILNS1_3genE10ELNS1_11target_archE1200ELNS1_3gpuE4ELNS1_3repE0EEENS1_30default_config_static_selectorELNS0_4arch9wavefront6targetE1EEEvSW_, .Lfunc_end119-_ZN7rocprim17ROCPRIM_400000_NS6detail17trampoline_kernelINS0_14default_configENS1_27lower_bound_config_selectorIxlEEZNS1_14transform_implILb0ES3_S5_N6thrust23THRUST_200600_302600_NS6detail15normal_iteratorINS8_7pointerIxNS8_11hip_rocprim5par_tENS8_11use_defaultESE_EEEENSA_INSB_IlSD_SE_SE_EEEEZNS1_13binary_searchIS3_S5_PxSG_SI_NS1_21lower_bound_search_opENS9_16wrapped_functionINS8_6system6detail7generic6detail18binary_search_lessEbEEEE10hipError_tPvRmT1_T2_T3_mmT4_T5_P12ihipStream_tbEUlRKxE_EEST_SX_SY_mSZ_S12_bEUlT_E_NS1_11comp_targetILNS1_3genE10ELNS1_11target_archE1200ELNS1_3gpuE4ELNS1_3repE0EEENS1_30default_config_static_selectorELNS0_4arch9wavefront6targetE1EEEvSW_
                                        ; -- End function
	.set _ZN7rocprim17ROCPRIM_400000_NS6detail17trampoline_kernelINS0_14default_configENS1_27lower_bound_config_selectorIxlEEZNS1_14transform_implILb0ES3_S5_N6thrust23THRUST_200600_302600_NS6detail15normal_iteratorINS8_7pointerIxNS8_11hip_rocprim5par_tENS8_11use_defaultESE_EEEENSA_INSB_IlSD_SE_SE_EEEEZNS1_13binary_searchIS3_S5_PxSG_SI_NS1_21lower_bound_search_opENS9_16wrapped_functionINS8_6system6detail7generic6detail18binary_search_lessEbEEEE10hipError_tPvRmT1_T2_T3_mmT4_T5_P12ihipStream_tbEUlRKxE_EEST_SX_SY_mSZ_S12_bEUlT_E_NS1_11comp_targetILNS1_3genE10ELNS1_11target_archE1200ELNS1_3gpuE4ELNS1_3repE0EEENS1_30default_config_static_selectorELNS0_4arch9wavefront6targetE1EEEvSW_.num_vgpr, 0
	.set _ZN7rocprim17ROCPRIM_400000_NS6detail17trampoline_kernelINS0_14default_configENS1_27lower_bound_config_selectorIxlEEZNS1_14transform_implILb0ES3_S5_N6thrust23THRUST_200600_302600_NS6detail15normal_iteratorINS8_7pointerIxNS8_11hip_rocprim5par_tENS8_11use_defaultESE_EEEENSA_INSB_IlSD_SE_SE_EEEEZNS1_13binary_searchIS3_S5_PxSG_SI_NS1_21lower_bound_search_opENS9_16wrapped_functionINS8_6system6detail7generic6detail18binary_search_lessEbEEEE10hipError_tPvRmT1_T2_T3_mmT4_T5_P12ihipStream_tbEUlRKxE_EEST_SX_SY_mSZ_S12_bEUlT_E_NS1_11comp_targetILNS1_3genE10ELNS1_11target_archE1200ELNS1_3gpuE4ELNS1_3repE0EEENS1_30default_config_static_selectorELNS0_4arch9wavefront6targetE1EEEvSW_.num_agpr, 0
	.set _ZN7rocprim17ROCPRIM_400000_NS6detail17trampoline_kernelINS0_14default_configENS1_27lower_bound_config_selectorIxlEEZNS1_14transform_implILb0ES3_S5_N6thrust23THRUST_200600_302600_NS6detail15normal_iteratorINS8_7pointerIxNS8_11hip_rocprim5par_tENS8_11use_defaultESE_EEEENSA_INSB_IlSD_SE_SE_EEEEZNS1_13binary_searchIS3_S5_PxSG_SI_NS1_21lower_bound_search_opENS9_16wrapped_functionINS8_6system6detail7generic6detail18binary_search_lessEbEEEE10hipError_tPvRmT1_T2_T3_mmT4_T5_P12ihipStream_tbEUlRKxE_EEST_SX_SY_mSZ_S12_bEUlT_E_NS1_11comp_targetILNS1_3genE10ELNS1_11target_archE1200ELNS1_3gpuE4ELNS1_3repE0EEENS1_30default_config_static_selectorELNS0_4arch9wavefront6targetE1EEEvSW_.numbered_sgpr, 0
	.set _ZN7rocprim17ROCPRIM_400000_NS6detail17trampoline_kernelINS0_14default_configENS1_27lower_bound_config_selectorIxlEEZNS1_14transform_implILb0ES3_S5_N6thrust23THRUST_200600_302600_NS6detail15normal_iteratorINS8_7pointerIxNS8_11hip_rocprim5par_tENS8_11use_defaultESE_EEEENSA_INSB_IlSD_SE_SE_EEEEZNS1_13binary_searchIS3_S5_PxSG_SI_NS1_21lower_bound_search_opENS9_16wrapped_functionINS8_6system6detail7generic6detail18binary_search_lessEbEEEE10hipError_tPvRmT1_T2_T3_mmT4_T5_P12ihipStream_tbEUlRKxE_EEST_SX_SY_mSZ_S12_bEUlT_E_NS1_11comp_targetILNS1_3genE10ELNS1_11target_archE1200ELNS1_3gpuE4ELNS1_3repE0EEENS1_30default_config_static_selectorELNS0_4arch9wavefront6targetE1EEEvSW_.num_named_barrier, 0
	.set _ZN7rocprim17ROCPRIM_400000_NS6detail17trampoline_kernelINS0_14default_configENS1_27lower_bound_config_selectorIxlEEZNS1_14transform_implILb0ES3_S5_N6thrust23THRUST_200600_302600_NS6detail15normal_iteratorINS8_7pointerIxNS8_11hip_rocprim5par_tENS8_11use_defaultESE_EEEENSA_INSB_IlSD_SE_SE_EEEEZNS1_13binary_searchIS3_S5_PxSG_SI_NS1_21lower_bound_search_opENS9_16wrapped_functionINS8_6system6detail7generic6detail18binary_search_lessEbEEEE10hipError_tPvRmT1_T2_T3_mmT4_T5_P12ihipStream_tbEUlRKxE_EEST_SX_SY_mSZ_S12_bEUlT_E_NS1_11comp_targetILNS1_3genE10ELNS1_11target_archE1200ELNS1_3gpuE4ELNS1_3repE0EEENS1_30default_config_static_selectorELNS0_4arch9wavefront6targetE1EEEvSW_.private_seg_size, 0
	.set _ZN7rocprim17ROCPRIM_400000_NS6detail17trampoline_kernelINS0_14default_configENS1_27lower_bound_config_selectorIxlEEZNS1_14transform_implILb0ES3_S5_N6thrust23THRUST_200600_302600_NS6detail15normal_iteratorINS8_7pointerIxNS8_11hip_rocprim5par_tENS8_11use_defaultESE_EEEENSA_INSB_IlSD_SE_SE_EEEEZNS1_13binary_searchIS3_S5_PxSG_SI_NS1_21lower_bound_search_opENS9_16wrapped_functionINS8_6system6detail7generic6detail18binary_search_lessEbEEEE10hipError_tPvRmT1_T2_T3_mmT4_T5_P12ihipStream_tbEUlRKxE_EEST_SX_SY_mSZ_S12_bEUlT_E_NS1_11comp_targetILNS1_3genE10ELNS1_11target_archE1200ELNS1_3gpuE4ELNS1_3repE0EEENS1_30default_config_static_selectorELNS0_4arch9wavefront6targetE1EEEvSW_.uses_vcc, 0
	.set _ZN7rocprim17ROCPRIM_400000_NS6detail17trampoline_kernelINS0_14default_configENS1_27lower_bound_config_selectorIxlEEZNS1_14transform_implILb0ES3_S5_N6thrust23THRUST_200600_302600_NS6detail15normal_iteratorINS8_7pointerIxNS8_11hip_rocprim5par_tENS8_11use_defaultESE_EEEENSA_INSB_IlSD_SE_SE_EEEEZNS1_13binary_searchIS3_S5_PxSG_SI_NS1_21lower_bound_search_opENS9_16wrapped_functionINS8_6system6detail7generic6detail18binary_search_lessEbEEEE10hipError_tPvRmT1_T2_T3_mmT4_T5_P12ihipStream_tbEUlRKxE_EEST_SX_SY_mSZ_S12_bEUlT_E_NS1_11comp_targetILNS1_3genE10ELNS1_11target_archE1200ELNS1_3gpuE4ELNS1_3repE0EEENS1_30default_config_static_selectorELNS0_4arch9wavefront6targetE1EEEvSW_.uses_flat_scratch, 0
	.set _ZN7rocprim17ROCPRIM_400000_NS6detail17trampoline_kernelINS0_14default_configENS1_27lower_bound_config_selectorIxlEEZNS1_14transform_implILb0ES3_S5_N6thrust23THRUST_200600_302600_NS6detail15normal_iteratorINS8_7pointerIxNS8_11hip_rocprim5par_tENS8_11use_defaultESE_EEEENSA_INSB_IlSD_SE_SE_EEEEZNS1_13binary_searchIS3_S5_PxSG_SI_NS1_21lower_bound_search_opENS9_16wrapped_functionINS8_6system6detail7generic6detail18binary_search_lessEbEEEE10hipError_tPvRmT1_T2_T3_mmT4_T5_P12ihipStream_tbEUlRKxE_EEST_SX_SY_mSZ_S12_bEUlT_E_NS1_11comp_targetILNS1_3genE10ELNS1_11target_archE1200ELNS1_3gpuE4ELNS1_3repE0EEENS1_30default_config_static_selectorELNS0_4arch9wavefront6targetE1EEEvSW_.has_dyn_sized_stack, 0
	.set _ZN7rocprim17ROCPRIM_400000_NS6detail17trampoline_kernelINS0_14default_configENS1_27lower_bound_config_selectorIxlEEZNS1_14transform_implILb0ES3_S5_N6thrust23THRUST_200600_302600_NS6detail15normal_iteratorINS8_7pointerIxNS8_11hip_rocprim5par_tENS8_11use_defaultESE_EEEENSA_INSB_IlSD_SE_SE_EEEEZNS1_13binary_searchIS3_S5_PxSG_SI_NS1_21lower_bound_search_opENS9_16wrapped_functionINS8_6system6detail7generic6detail18binary_search_lessEbEEEE10hipError_tPvRmT1_T2_T3_mmT4_T5_P12ihipStream_tbEUlRKxE_EEST_SX_SY_mSZ_S12_bEUlT_E_NS1_11comp_targetILNS1_3genE10ELNS1_11target_archE1200ELNS1_3gpuE4ELNS1_3repE0EEENS1_30default_config_static_selectorELNS0_4arch9wavefront6targetE1EEEvSW_.has_recursion, 0
	.set _ZN7rocprim17ROCPRIM_400000_NS6detail17trampoline_kernelINS0_14default_configENS1_27lower_bound_config_selectorIxlEEZNS1_14transform_implILb0ES3_S5_N6thrust23THRUST_200600_302600_NS6detail15normal_iteratorINS8_7pointerIxNS8_11hip_rocprim5par_tENS8_11use_defaultESE_EEEENSA_INSB_IlSD_SE_SE_EEEEZNS1_13binary_searchIS3_S5_PxSG_SI_NS1_21lower_bound_search_opENS9_16wrapped_functionINS8_6system6detail7generic6detail18binary_search_lessEbEEEE10hipError_tPvRmT1_T2_T3_mmT4_T5_P12ihipStream_tbEUlRKxE_EEST_SX_SY_mSZ_S12_bEUlT_E_NS1_11comp_targetILNS1_3genE10ELNS1_11target_archE1200ELNS1_3gpuE4ELNS1_3repE0EEENS1_30default_config_static_selectorELNS0_4arch9wavefront6targetE1EEEvSW_.has_indirect_call, 0
	.section	.AMDGPU.csdata,"",@progbits
; Kernel info:
; codeLenInByte = 0
; TotalNumSgprs: 4
; NumVgprs: 0
; ScratchSize: 0
; MemoryBound: 0
; FloatMode: 240
; IeeeMode: 1
; LDSByteSize: 0 bytes/workgroup (compile time only)
; SGPRBlocks: 0
; VGPRBlocks: 0
; NumSGPRsForWavesPerEU: 4
; NumVGPRsForWavesPerEU: 1
; Occupancy: 10
; WaveLimiterHint : 0
; COMPUTE_PGM_RSRC2:SCRATCH_EN: 0
; COMPUTE_PGM_RSRC2:USER_SGPR: 6
; COMPUTE_PGM_RSRC2:TRAP_HANDLER: 0
; COMPUTE_PGM_RSRC2:TGID_X_EN: 1
; COMPUTE_PGM_RSRC2:TGID_Y_EN: 0
; COMPUTE_PGM_RSRC2:TGID_Z_EN: 0
; COMPUTE_PGM_RSRC2:TIDIG_COMP_CNT: 0
	.section	.text._ZN7rocprim17ROCPRIM_400000_NS6detail17trampoline_kernelINS0_14default_configENS1_27lower_bound_config_selectorIxlEEZNS1_14transform_implILb0ES3_S5_N6thrust23THRUST_200600_302600_NS6detail15normal_iteratorINS8_7pointerIxNS8_11hip_rocprim5par_tENS8_11use_defaultESE_EEEENSA_INSB_IlSD_SE_SE_EEEEZNS1_13binary_searchIS3_S5_PxSG_SI_NS1_21lower_bound_search_opENS9_16wrapped_functionINS8_6system6detail7generic6detail18binary_search_lessEbEEEE10hipError_tPvRmT1_T2_T3_mmT4_T5_P12ihipStream_tbEUlRKxE_EEST_SX_SY_mSZ_S12_bEUlT_E_NS1_11comp_targetILNS1_3genE9ELNS1_11target_archE1100ELNS1_3gpuE3ELNS1_3repE0EEENS1_30default_config_static_selectorELNS0_4arch9wavefront6targetE1EEEvSW_,"axG",@progbits,_ZN7rocprim17ROCPRIM_400000_NS6detail17trampoline_kernelINS0_14default_configENS1_27lower_bound_config_selectorIxlEEZNS1_14transform_implILb0ES3_S5_N6thrust23THRUST_200600_302600_NS6detail15normal_iteratorINS8_7pointerIxNS8_11hip_rocprim5par_tENS8_11use_defaultESE_EEEENSA_INSB_IlSD_SE_SE_EEEEZNS1_13binary_searchIS3_S5_PxSG_SI_NS1_21lower_bound_search_opENS9_16wrapped_functionINS8_6system6detail7generic6detail18binary_search_lessEbEEEE10hipError_tPvRmT1_T2_T3_mmT4_T5_P12ihipStream_tbEUlRKxE_EEST_SX_SY_mSZ_S12_bEUlT_E_NS1_11comp_targetILNS1_3genE9ELNS1_11target_archE1100ELNS1_3gpuE3ELNS1_3repE0EEENS1_30default_config_static_selectorELNS0_4arch9wavefront6targetE1EEEvSW_,comdat
	.protected	_ZN7rocprim17ROCPRIM_400000_NS6detail17trampoline_kernelINS0_14default_configENS1_27lower_bound_config_selectorIxlEEZNS1_14transform_implILb0ES3_S5_N6thrust23THRUST_200600_302600_NS6detail15normal_iteratorINS8_7pointerIxNS8_11hip_rocprim5par_tENS8_11use_defaultESE_EEEENSA_INSB_IlSD_SE_SE_EEEEZNS1_13binary_searchIS3_S5_PxSG_SI_NS1_21lower_bound_search_opENS9_16wrapped_functionINS8_6system6detail7generic6detail18binary_search_lessEbEEEE10hipError_tPvRmT1_T2_T3_mmT4_T5_P12ihipStream_tbEUlRKxE_EEST_SX_SY_mSZ_S12_bEUlT_E_NS1_11comp_targetILNS1_3genE9ELNS1_11target_archE1100ELNS1_3gpuE3ELNS1_3repE0EEENS1_30default_config_static_selectorELNS0_4arch9wavefront6targetE1EEEvSW_ ; -- Begin function _ZN7rocprim17ROCPRIM_400000_NS6detail17trampoline_kernelINS0_14default_configENS1_27lower_bound_config_selectorIxlEEZNS1_14transform_implILb0ES3_S5_N6thrust23THRUST_200600_302600_NS6detail15normal_iteratorINS8_7pointerIxNS8_11hip_rocprim5par_tENS8_11use_defaultESE_EEEENSA_INSB_IlSD_SE_SE_EEEEZNS1_13binary_searchIS3_S5_PxSG_SI_NS1_21lower_bound_search_opENS9_16wrapped_functionINS8_6system6detail7generic6detail18binary_search_lessEbEEEE10hipError_tPvRmT1_T2_T3_mmT4_T5_P12ihipStream_tbEUlRKxE_EEST_SX_SY_mSZ_S12_bEUlT_E_NS1_11comp_targetILNS1_3genE9ELNS1_11target_archE1100ELNS1_3gpuE3ELNS1_3repE0EEENS1_30default_config_static_selectorELNS0_4arch9wavefront6targetE1EEEvSW_
	.globl	_ZN7rocprim17ROCPRIM_400000_NS6detail17trampoline_kernelINS0_14default_configENS1_27lower_bound_config_selectorIxlEEZNS1_14transform_implILb0ES3_S5_N6thrust23THRUST_200600_302600_NS6detail15normal_iteratorINS8_7pointerIxNS8_11hip_rocprim5par_tENS8_11use_defaultESE_EEEENSA_INSB_IlSD_SE_SE_EEEEZNS1_13binary_searchIS3_S5_PxSG_SI_NS1_21lower_bound_search_opENS9_16wrapped_functionINS8_6system6detail7generic6detail18binary_search_lessEbEEEE10hipError_tPvRmT1_T2_T3_mmT4_T5_P12ihipStream_tbEUlRKxE_EEST_SX_SY_mSZ_S12_bEUlT_E_NS1_11comp_targetILNS1_3genE9ELNS1_11target_archE1100ELNS1_3gpuE3ELNS1_3repE0EEENS1_30default_config_static_selectorELNS0_4arch9wavefront6targetE1EEEvSW_
	.p2align	8
	.type	_ZN7rocprim17ROCPRIM_400000_NS6detail17trampoline_kernelINS0_14default_configENS1_27lower_bound_config_selectorIxlEEZNS1_14transform_implILb0ES3_S5_N6thrust23THRUST_200600_302600_NS6detail15normal_iteratorINS8_7pointerIxNS8_11hip_rocprim5par_tENS8_11use_defaultESE_EEEENSA_INSB_IlSD_SE_SE_EEEEZNS1_13binary_searchIS3_S5_PxSG_SI_NS1_21lower_bound_search_opENS9_16wrapped_functionINS8_6system6detail7generic6detail18binary_search_lessEbEEEE10hipError_tPvRmT1_T2_T3_mmT4_T5_P12ihipStream_tbEUlRKxE_EEST_SX_SY_mSZ_S12_bEUlT_E_NS1_11comp_targetILNS1_3genE9ELNS1_11target_archE1100ELNS1_3gpuE3ELNS1_3repE0EEENS1_30default_config_static_selectorELNS0_4arch9wavefront6targetE1EEEvSW_,@function
_ZN7rocprim17ROCPRIM_400000_NS6detail17trampoline_kernelINS0_14default_configENS1_27lower_bound_config_selectorIxlEEZNS1_14transform_implILb0ES3_S5_N6thrust23THRUST_200600_302600_NS6detail15normal_iteratorINS8_7pointerIxNS8_11hip_rocprim5par_tENS8_11use_defaultESE_EEEENSA_INSB_IlSD_SE_SE_EEEEZNS1_13binary_searchIS3_S5_PxSG_SI_NS1_21lower_bound_search_opENS9_16wrapped_functionINS8_6system6detail7generic6detail18binary_search_lessEbEEEE10hipError_tPvRmT1_T2_T3_mmT4_T5_P12ihipStream_tbEUlRKxE_EEST_SX_SY_mSZ_S12_bEUlT_E_NS1_11comp_targetILNS1_3genE9ELNS1_11target_archE1100ELNS1_3gpuE3ELNS1_3repE0EEENS1_30default_config_static_selectorELNS0_4arch9wavefront6targetE1EEEvSW_: ; @_ZN7rocprim17ROCPRIM_400000_NS6detail17trampoline_kernelINS0_14default_configENS1_27lower_bound_config_selectorIxlEEZNS1_14transform_implILb0ES3_S5_N6thrust23THRUST_200600_302600_NS6detail15normal_iteratorINS8_7pointerIxNS8_11hip_rocprim5par_tENS8_11use_defaultESE_EEEENSA_INSB_IlSD_SE_SE_EEEEZNS1_13binary_searchIS3_S5_PxSG_SI_NS1_21lower_bound_search_opENS9_16wrapped_functionINS8_6system6detail7generic6detail18binary_search_lessEbEEEE10hipError_tPvRmT1_T2_T3_mmT4_T5_P12ihipStream_tbEUlRKxE_EEST_SX_SY_mSZ_S12_bEUlT_E_NS1_11comp_targetILNS1_3genE9ELNS1_11target_archE1100ELNS1_3gpuE3ELNS1_3repE0EEENS1_30default_config_static_selectorELNS0_4arch9wavefront6targetE1EEEvSW_
; %bb.0:
	.section	.rodata,"a",@progbits
	.p2align	6, 0x0
	.amdhsa_kernel _ZN7rocprim17ROCPRIM_400000_NS6detail17trampoline_kernelINS0_14default_configENS1_27lower_bound_config_selectorIxlEEZNS1_14transform_implILb0ES3_S5_N6thrust23THRUST_200600_302600_NS6detail15normal_iteratorINS8_7pointerIxNS8_11hip_rocprim5par_tENS8_11use_defaultESE_EEEENSA_INSB_IlSD_SE_SE_EEEEZNS1_13binary_searchIS3_S5_PxSG_SI_NS1_21lower_bound_search_opENS9_16wrapped_functionINS8_6system6detail7generic6detail18binary_search_lessEbEEEE10hipError_tPvRmT1_T2_T3_mmT4_T5_P12ihipStream_tbEUlRKxE_EEST_SX_SY_mSZ_S12_bEUlT_E_NS1_11comp_targetILNS1_3genE9ELNS1_11target_archE1100ELNS1_3gpuE3ELNS1_3repE0EEENS1_30default_config_static_selectorELNS0_4arch9wavefront6targetE1EEEvSW_
		.amdhsa_group_segment_fixed_size 0
		.amdhsa_private_segment_fixed_size 0
		.amdhsa_kernarg_size 56
		.amdhsa_user_sgpr_count 6
		.amdhsa_user_sgpr_private_segment_buffer 1
		.amdhsa_user_sgpr_dispatch_ptr 0
		.amdhsa_user_sgpr_queue_ptr 0
		.amdhsa_user_sgpr_kernarg_segment_ptr 1
		.amdhsa_user_sgpr_dispatch_id 0
		.amdhsa_user_sgpr_flat_scratch_init 0
		.amdhsa_user_sgpr_private_segment_size 0
		.amdhsa_uses_dynamic_stack 0
		.amdhsa_system_sgpr_private_segment_wavefront_offset 0
		.amdhsa_system_sgpr_workgroup_id_x 1
		.amdhsa_system_sgpr_workgroup_id_y 0
		.amdhsa_system_sgpr_workgroup_id_z 0
		.amdhsa_system_sgpr_workgroup_info 0
		.amdhsa_system_vgpr_workitem_id 0
		.amdhsa_next_free_vgpr 1
		.amdhsa_next_free_sgpr 0
		.amdhsa_reserve_vcc 0
		.amdhsa_reserve_flat_scratch 0
		.amdhsa_float_round_mode_32 0
		.amdhsa_float_round_mode_16_64 0
		.amdhsa_float_denorm_mode_32 3
		.amdhsa_float_denorm_mode_16_64 3
		.amdhsa_dx10_clamp 1
		.amdhsa_ieee_mode 1
		.amdhsa_fp16_overflow 0
		.amdhsa_exception_fp_ieee_invalid_op 0
		.amdhsa_exception_fp_denorm_src 0
		.amdhsa_exception_fp_ieee_div_zero 0
		.amdhsa_exception_fp_ieee_overflow 0
		.amdhsa_exception_fp_ieee_underflow 0
		.amdhsa_exception_fp_ieee_inexact 0
		.amdhsa_exception_int_div_zero 0
	.end_amdhsa_kernel
	.section	.text._ZN7rocprim17ROCPRIM_400000_NS6detail17trampoline_kernelINS0_14default_configENS1_27lower_bound_config_selectorIxlEEZNS1_14transform_implILb0ES3_S5_N6thrust23THRUST_200600_302600_NS6detail15normal_iteratorINS8_7pointerIxNS8_11hip_rocprim5par_tENS8_11use_defaultESE_EEEENSA_INSB_IlSD_SE_SE_EEEEZNS1_13binary_searchIS3_S5_PxSG_SI_NS1_21lower_bound_search_opENS9_16wrapped_functionINS8_6system6detail7generic6detail18binary_search_lessEbEEEE10hipError_tPvRmT1_T2_T3_mmT4_T5_P12ihipStream_tbEUlRKxE_EEST_SX_SY_mSZ_S12_bEUlT_E_NS1_11comp_targetILNS1_3genE9ELNS1_11target_archE1100ELNS1_3gpuE3ELNS1_3repE0EEENS1_30default_config_static_selectorELNS0_4arch9wavefront6targetE1EEEvSW_,"axG",@progbits,_ZN7rocprim17ROCPRIM_400000_NS6detail17trampoline_kernelINS0_14default_configENS1_27lower_bound_config_selectorIxlEEZNS1_14transform_implILb0ES3_S5_N6thrust23THRUST_200600_302600_NS6detail15normal_iteratorINS8_7pointerIxNS8_11hip_rocprim5par_tENS8_11use_defaultESE_EEEENSA_INSB_IlSD_SE_SE_EEEEZNS1_13binary_searchIS3_S5_PxSG_SI_NS1_21lower_bound_search_opENS9_16wrapped_functionINS8_6system6detail7generic6detail18binary_search_lessEbEEEE10hipError_tPvRmT1_T2_T3_mmT4_T5_P12ihipStream_tbEUlRKxE_EEST_SX_SY_mSZ_S12_bEUlT_E_NS1_11comp_targetILNS1_3genE9ELNS1_11target_archE1100ELNS1_3gpuE3ELNS1_3repE0EEENS1_30default_config_static_selectorELNS0_4arch9wavefront6targetE1EEEvSW_,comdat
.Lfunc_end120:
	.size	_ZN7rocprim17ROCPRIM_400000_NS6detail17trampoline_kernelINS0_14default_configENS1_27lower_bound_config_selectorIxlEEZNS1_14transform_implILb0ES3_S5_N6thrust23THRUST_200600_302600_NS6detail15normal_iteratorINS8_7pointerIxNS8_11hip_rocprim5par_tENS8_11use_defaultESE_EEEENSA_INSB_IlSD_SE_SE_EEEEZNS1_13binary_searchIS3_S5_PxSG_SI_NS1_21lower_bound_search_opENS9_16wrapped_functionINS8_6system6detail7generic6detail18binary_search_lessEbEEEE10hipError_tPvRmT1_T2_T3_mmT4_T5_P12ihipStream_tbEUlRKxE_EEST_SX_SY_mSZ_S12_bEUlT_E_NS1_11comp_targetILNS1_3genE9ELNS1_11target_archE1100ELNS1_3gpuE3ELNS1_3repE0EEENS1_30default_config_static_selectorELNS0_4arch9wavefront6targetE1EEEvSW_, .Lfunc_end120-_ZN7rocprim17ROCPRIM_400000_NS6detail17trampoline_kernelINS0_14default_configENS1_27lower_bound_config_selectorIxlEEZNS1_14transform_implILb0ES3_S5_N6thrust23THRUST_200600_302600_NS6detail15normal_iteratorINS8_7pointerIxNS8_11hip_rocprim5par_tENS8_11use_defaultESE_EEEENSA_INSB_IlSD_SE_SE_EEEEZNS1_13binary_searchIS3_S5_PxSG_SI_NS1_21lower_bound_search_opENS9_16wrapped_functionINS8_6system6detail7generic6detail18binary_search_lessEbEEEE10hipError_tPvRmT1_T2_T3_mmT4_T5_P12ihipStream_tbEUlRKxE_EEST_SX_SY_mSZ_S12_bEUlT_E_NS1_11comp_targetILNS1_3genE9ELNS1_11target_archE1100ELNS1_3gpuE3ELNS1_3repE0EEENS1_30default_config_static_selectorELNS0_4arch9wavefront6targetE1EEEvSW_
                                        ; -- End function
	.set _ZN7rocprim17ROCPRIM_400000_NS6detail17trampoline_kernelINS0_14default_configENS1_27lower_bound_config_selectorIxlEEZNS1_14transform_implILb0ES3_S5_N6thrust23THRUST_200600_302600_NS6detail15normal_iteratorINS8_7pointerIxNS8_11hip_rocprim5par_tENS8_11use_defaultESE_EEEENSA_INSB_IlSD_SE_SE_EEEEZNS1_13binary_searchIS3_S5_PxSG_SI_NS1_21lower_bound_search_opENS9_16wrapped_functionINS8_6system6detail7generic6detail18binary_search_lessEbEEEE10hipError_tPvRmT1_T2_T3_mmT4_T5_P12ihipStream_tbEUlRKxE_EEST_SX_SY_mSZ_S12_bEUlT_E_NS1_11comp_targetILNS1_3genE9ELNS1_11target_archE1100ELNS1_3gpuE3ELNS1_3repE0EEENS1_30default_config_static_selectorELNS0_4arch9wavefront6targetE1EEEvSW_.num_vgpr, 0
	.set _ZN7rocprim17ROCPRIM_400000_NS6detail17trampoline_kernelINS0_14default_configENS1_27lower_bound_config_selectorIxlEEZNS1_14transform_implILb0ES3_S5_N6thrust23THRUST_200600_302600_NS6detail15normal_iteratorINS8_7pointerIxNS8_11hip_rocprim5par_tENS8_11use_defaultESE_EEEENSA_INSB_IlSD_SE_SE_EEEEZNS1_13binary_searchIS3_S5_PxSG_SI_NS1_21lower_bound_search_opENS9_16wrapped_functionINS8_6system6detail7generic6detail18binary_search_lessEbEEEE10hipError_tPvRmT1_T2_T3_mmT4_T5_P12ihipStream_tbEUlRKxE_EEST_SX_SY_mSZ_S12_bEUlT_E_NS1_11comp_targetILNS1_3genE9ELNS1_11target_archE1100ELNS1_3gpuE3ELNS1_3repE0EEENS1_30default_config_static_selectorELNS0_4arch9wavefront6targetE1EEEvSW_.num_agpr, 0
	.set _ZN7rocprim17ROCPRIM_400000_NS6detail17trampoline_kernelINS0_14default_configENS1_27lower_bound_config_selectorIxlEEZNS1_14transform_implILb0ES3_S5_N6thrust23THRUST_200600_302600_NS6detail15normal_iteratorINS8_7pointerIxNS8_11hip_rocprim5par_tENS8_11use_defaultESE_EEEENSA_INSB_IlSD_SE_SE_EEEEZNS1_13binary_searchIS3_S5_PxSG_SI_NS1_21lower_bound_search_opENS9_16wrapped_functionINS8_6system6detail7generic6detail18binary_search_lessEbEEEE10hipError_tPvRmT1_T2_T3_mmT4_T5_P12ihipStream_tbEUlRKxE_EEST_SX_SY_mSZ_S12_bEUlT_E_NS1_11comp_targetILNS1_3genE9ELNS1_11target_archE1100ELNS1_3gpuE3ELNS1_3repE0EEENS1_30default_config_static_selectorELNS0_4arch9wavefront6targetE1EEEvSW_.numbered_sgpr, 0
	.set _ZN7rocprim17ROCPRIM_400000_NS6detail17trampoline_kernelINS0_14default_configENS1_27lower_bound_config_selectorIxlEEZNS1_14transform_implILb0ES3_S5_N6thrust23THRUST_200600_302600_NS6detail15normal_iteratorINS8_7pointerIxNS8_11hip_rocprim5par_tENS8_11use_defaultESE_EEEENSA_INSB_IlSD_SE_SE_EEEEZNS1_13binary_searchIS3_S5_PxSG_SI_NS1_21lower_bound_search_opENS9_16wrapped_functionINS8_6system6detail7generic6detail18binary_search_lessEbEEEE10hipError_tPvRmT1_T2_T3_mmT4_T5_P12ihipStream_tbEUlRKxE_EEST_SX_SY_mSZ_S12_bEUlT_E_NS1_11comp_targetILNS1_3genE9ELNS1_11target_archE1100ELNS1_3gpuE3ELNS1_3repE0EEENS1_30default_config_static_selectorELNS0_4arch9wavefront6targetE1EEEvSW_.num_named_barrier, 0
	.set _ZN7rocprim17ROCPRIM_400000_NS6detail17trampoline_kernelINS0_14default_configENS1_27lower_bound_config_selectorIxlEEZNS1_14transform_implILb0ES3_S5_N6thrust23THRUST_200600_302600_NS6detail15normal_iteratorINS8_7pointerIxNS8_11hip_rocprim5par_tENS8_11use_defaultESE_EEEENSA_INSB_IlSD_SE_SE_EEEEZNS1_13binary_searchIS3_S5_PxSG_SI_NS1_21lower_bound_search_opENS9_16wrapped_functionINS8_6system6detail7generic6detail18binary_search_lessEbEEEE10hipError_tPvRmT1_T2_T3_mmT4_T5_P12ihipStream_tbEUlRKxE_EEST_SX_SY_mSZ_S12_bEUlT_E_NS1_11comp_targetILNS1_3genE9ELNS1_11target_archE1100ELNS1_3gpuE3ELNS1_3repE0EEENS1_30default_config_static_selectorELNS0_4arch9wavefront6targetE1EEEvSW_.private_seg_size, 0
	.set _ZN7rocprim17ROCPRIM_400000_NS6detail17trampoline_kernelINS0_14default_configENS1_27lower_bound_config_selectorIxlEEZNS1_14transform_implILb0ES3_S5_N6thrust23THRUST_200600_302600_NS6detail15normal_iteratorINS8_7pointerIxNS8_11hip_rocprim5par_tENS8_11use_defaultESE_EEEENSA_INSB_IlSD_SE_SE_EEEEZNS1_13binary_searchIS3_S5_PxSG_SI_NS1_21lower_bound_search_opENS9_16wrapped_functionINS8_6system6detail7generic6detail18binary_search_lessEbEEEE10hipError_tPvRmT1_T2_T3_mmT4_T5_P12ihipStream_tbEUlRKxE_EEST_SX_SY_mSZ_S12_bEUlT_E_NS1_11comp_targetILNS1_3genE9ELNS1_11target_archE1100ELNS1_3gpuE3ELNS1_3repE0EEENS1_30default_config_static_selectorELNS0_4arch9wavefront6targetE1EEEvSW_.uses_vcc, 0
	.set _ZN7rocprim17ROCPRIM_400000_NS6detail17trampoline_kernelINS0_14default_configENS1_27lower_bound_config_selectorIxlEEZNS1_14transform_implILb0ES3_S5_N6thrust23THRUST_200600_302600_NS6detail15normal_iteratorINS8_7pointerIxNS8_11hip_rocprim5par_tENS8_11use_defaultESE_EEEENSA_INSB_IlSD_SE_SE_EEEEZNS1_13binary_searchIS3_S5_PxSG_SI_NS1_21lower_bound_search_opENS9_16wrapped_functionINS8_6system6detail7generic6detail18binary_search_lessEbEEEE10hipError_tPvRmT1_T2_T3_mmT4_T5_P12ihipStream_tbEUlRKxE_EEST_SX_SY_mSZ_S12_bEUlT_E_NS1_11comp_targetILNS1_3genE9ELNS1_11target_archE1100ELNS1_3gpuE3ELNS1_3repE0EEENS1_30default_config_static_selectorELNS0_4arch9wavefront6targetE1EEEvSW_.uses_flat_scratch, 0
	.set _ZN7rocprim17ROCPRIM_400000_NS6detail17trampoline_kernelINS0_14default_configENS1_27lower_bound_config_selectorIxlEEZNS1_14transform_implILb0ES3_S5_N6thrust23THRUST_200600_302600_NS6detail15normal_iteratorINS8_7pointerIxNS8_11hip_rocprim5par_tENS8_11use_defaultESE_EEEENSA_INSB_IlSD_SE_SE_EEEEZNS1_13binary_searchIS3_S5_PxSG_SI_NS1_21lower_bound_search_opENS9_16wrapped_functionINS8_6system6detail7generic6detail18binary_search_lessEbEEEE10hipError_tPvRmT1_T2_T3_mmT4_T5_P12ihipStream_tbEUlRKxE_EEST_SX_SY_mSZ_S12_bEUlT_E_NS1_11comp_targetILNS1_3genE9ELNS1_11target_archE1100ELNS1_3gpuE3ELNS1_3repE0EEENS1_30default_config_static_selectorELNS0_4arch9wavefront6targetE1EEEvSW_.has_dyn_sized_stack, 0
	.set _ZN7rocprim17ROCPRIM_400000_NS6detail17trampoline_kernelINS0_14default_configENS1_27lower_bound_config_selectorIxlEEZNS1_14transform_implILb0ES3_S5_N6thrust23THRUST_200600_302600_NS6detail15normal_iteratorINS8_7pointerIxNS8_11hip_rocprim5par_tENS8_11use_defaultESE_EEEENSA_INSB_IlSD_SE_SE_EEEEZNS1_13binary_searchIS3_S5_PxSG_SI_NS1_21lower_bound_search_opENS9_16wrapped_functionINS8_6system6detail7generic6detail18binary_search_lessEbEEEE10hipError_tPvRmT1_T2_T3_mmT4_T5_P12ihipStream_tbEUlRKxE_EEST_SX_SY_mSZ_S12_bEUlT_E_NS1_11comp_targetILNS1_3genE9ELNS1_11target_archE1100ELNS1_3gpuE3ELNS1_3repE0EEENS1_30default_config_static_selectorELNS0_4arch9wavefront6targetE1EEEvSW_.has_recursion, 0
	.set _ZN7rocprim17ROCPRIM_400000_NS6detail17trampoline_kernelINS0_14default_configENS1_27lower_bound_config_selectorIxlEEZNS1_14transform_implILb0ES3_S5_N6thrust23THRUST_200600_302600_NS6detail15normal_iteratorINS8_7pointerIxNS8_11hip_rocprim5par_tENS8_11use_defaultESE_EEEENSA_INSB_IlSD_SE_SE_EEEEZNS1_13binary_searchIS3_S5_PxSG_SI_NS1_21lower_bound_search_opENS9_16wrapped_functionINS8_6system6detail7generic6detail18binary_search_lessEbEEEE10hipError_tPvRmT1_T2_T3_mmT4_T5_P12ihipStream_tbEUlRKxE_EEST_SX_SY_mSZ_S12_bEUlT_E_NS1_11comp_targetILNS1_3genE9ELNS1_11target_archE1100ELNS1_3gpuE3ELNS1_3repE0EEENS1_30default_config_static_selectorELNS0_4arch9wavefront6targetE1EEEvSW_.has_indirect_call, 0
	.section	.AMDGPU.csdata,"",@progbits
; Kernel info:
; codeLenInByte = 0
; TotalNumSgprs: 4
; NumVgprs: 0
; ScratchSize: 0
; MemoryBound: 0
; FloatMode: 240
; IeeeMode: 1
; LDSByteSize: 0 bytes/workgroup (compile time only)
; SGPRBlocks: 0
; VGPRBlocks: 0
; NumSGPRsForWavesPerEU: 4
; NumVGPRsForWavesPerEU: 1
; Occupancy: 10
; WaveLimiterHint : 0
; COMPUTE_PGM_RSRC2:SCRATCH_EN: 0
; COMPUTE_PGM_RSRC2:USER_SGPR: 6
; COMPUTE_PGM_RSRC2:TRAP_HANDLER: 0
; COMPUTE_PGM_RSRC2:TGID_X_EN: 1
; COMPUTE_PGM_RSRC2:TGID_Y_EN: 0
; COMPUTE_PGM_RSRC2:TGID_Z_EN: 0
; COMPUTE_PGM_RSRC2:TIDIG_COMP_CNT: 0
	.section	.text._ZN7rocprim17ROCPRIM_400000_NS6detail17trampoline_kernelINS0_14default_configENS1_27lower_bound_config_selectorIxlEEZNS1_14transform_implILb0ES3_S5_N6thrust23THRUST_200600_302600_NS6detail15normal_iteratorINS8_7pointerIxNS8_11hip_rocprim5par_tENS8_11use_defaultESE_EEEENSA_INSB_IlSD_SE_SE_EEEEZNS1_13binary_searchIS3_S5_PxSG_SI_NS1_21lower_bound_search_opENS9_16wrapped_functionINS8_6system6detail7generic6detail18binary_search_lessEbEEEE10hipError_tPvRmT1_T2_T3_mmT4_T5_P12ihipStream_tbEUlRKxE_EEST_SX_SY_mSZ_S12_bEUlT_E_NS1_11comp_targetILNS1_3genE8ELNS1_11target_archE1030ELNS1_3gpuE2ELNS1_3repE0EEENS1_30default_config_static_selectorELNS0_4arch9wavefront6targetE1EEEvSW_,"axG",@progbits,_ZN7rocprim17ROCPRIM_400000_NS6detail17trampoline_kernelINS0_14default_configENS1_27lower_bound_config_selectorIxlEEZNS1_14transform_implILb0ES3_S5_N6thrust23THRUST_200600_302600_NS6detail15normal_iteratorINS8_7pointerIxNS8_11hip_rocprim5par_tENS8_11use_defaultESE_EEEENSA_INSB_IlSD_SE_SE_EEEEZNS1_13binary_searchIS3_S5_PxSG_SI_NS1_21lower_bound_search_opENS9_16wrapped_functionINS8_6system6detail7generic6detail18binary_search_lessEbEEEE10hipError_tPvRmT1_T2_T3_mmT4_T5_P12ihipStream_tbEUlRKxE_EEST_SX_SY_mSZ_S12_bEUlT_E_NS1_11comp_targetILNS1_3genE8ELNS1_11target_archE1030ELNS1_3gpuE2ELNS1_3repE0EEENS1_30default_config_static_selectorELNS0_4arch9wavefront6targetE1EEEvSW_,comdat
	.protected	_ZN7rocprim17ROCPRIM_400000_NS6detail17trampoline_kernelINS0_14default_configENS1_27lower_bound_config_selectorIxlEEZNS1_14transform_implILb0ES3_S5_N6thrust23THRUST_200600_302600_NS6detail15normal_iteratorINS8_7pointerIxNS8_11hip_rocprim5par_tENS8_11use_defaultESE_EEEENSA_INSB_IlSD_SE_SE_EEEEZNS1_13binary_searchIS3_S5_PxSG_SI_NS1_21lower_bound_search_opENS9_16wrapped_functionINS8_6system6detail7generic6detail18binary_search_lessEbEEEE10hipError_tPvRmT1_T2_T3_mmT4_T5_P12ihipStream_tbEUlRKxE_EEST_SX_SY_mSZ_S12_bEUlT_E_NS1_11comp_targetILNS1_3genE8ELNS1_11target_archE1030ELNS1_3gpuE2ELNS1_3repE0EEENS1_30default_config_static_selectorELNS0_4arch9wavefront6targetE1EEEvSW_ ; -- Begin function _ZN7rocprim17ROCPRIM_400000_NS6detail17trampoline_kernelINS0_14default_configENS1_27lower_bound_config_selectorIxlEEZNS1_14transform_implILb0ES3_S5_N6thrust23THRUST_200600_302600_NS6detail15normal_iteratorINS8_7pointerIxNS8_11hip_rocprim5par_tENS8_11use_defaultESE_EEEENSA_INSB_IlSD_SE_SE_EEEEZNS1_13binary_searchIS3_S5_PxSG_SI_NS1_21lower_bound_search_opENS9_16wrapped_functionINS8_6system6detail7generic6detail18binary_search_lessEbEEEE10hipError_tPvRmT1_T2_T3_mmT4_T5_P12ihipStream_tbEUlRKxE_EEST_SX_SY_mSZ_S12_bEUlT_E_NS1_11comp_targetILNS1_3genE8ELNS1_11target_archE1030ELNS1_3gpuE2ELNS1_3repE0EEENS1_30default_config_static_selectorELNS0_4arch9wavefront6targetE1EEEvSW_
	.globl	_ZN7rocprim17ROCPRIM_400000_NS6detail17trampoline_kernelINS0_14default_configENS1_27lower_bound_config_selectorIxlEEZNS1_14transform_implILb0ES3_S5_N6thrust23THRUST_200600_302600_NS6detail15normal_iteratorINS8_7pointerIxNS8_11hip_rocprim5par_tENS8_11use_defaultESE_EEEENSA_INSB_IlSD_SE_SE_EEEEZNS1_13binary_searchIS3_S5_PxSG_SI_NS1_21lower_bound_search_opENS9_16wrapped_functionINS8_6system6detail7generic6detail18binary_search_lessEbEEEE10hipError_tPvRmT1_T2_T3_mmT4_T5_P12ihipStream_tbEUlRKxE_EEST_SX_SY_mSZ_S12_bEUlT_E_NS1_11comp_targetILNS1_3genE8ELNS1_11target_archE1030ELNS1_3gpuE2ELNS1_3repE0EEENS1_30default_config_static_selectorELNS0_4arch9wavefront6targetE1EEEvSW_
	.p2align	8
	.type	_ZN7rocprim17ROCPRIM_400000_NS6detail17trampoline_kernelINS0_14default_configENS1_27lower_bound_config_selectorIxlEEZNS1_14transform_implILb0ES3_S5_N6thrust23THRUST_200600_302600_NS6detail15normal_iteratorINS8_7pointerIxNS8_11hip_rocprim5par_tENS8_11use_defaultESE_EEEENSA_INSB_IlSD_SE_SE_EEEEZNS1_13binary_searchIS3_S5_PxSG_SI_NS1_21lower_bound_search_opENS9_16wrapped_functionINS8_6system6detail7generic6detail18binary_search_lessEbEEEE10hipError_tPvRmT1_T2_T3_mmT4_T5_P12ihipStream_tbEUlRKxE_EEST_SX_SY_mSZ_S12_bEUlT_E_NS1_11comp_targetILNS1_3genE8ELNS1_11target_archE1030ELNS1_3gpuE2ELNS1_3repE0EEENS1_30default_config_static_selectorELNS0_4arch9wavefront6targetE1EEEvSW_,@function
_ZN7rocprim17ROCPRIM_400000_NS6detail17trampoline_kernelINS0_14default_configENS1_27lower_bound_config_selectorIxlEEZNS1_14transform_implILb0ES3_S5_N6thrust23THRUST_200600_302600_NS6detail15normal_iteratorINS8_7pointerIxNS8_11hip_rocprim5par_tENS8_11use_defaultESE_EEEENSA_INSB_IlSD_SE_SE_EEEEZNS1_13binary_searchIS3_S5_PxSG_SI_NS1_21lower_bound_search_opENS9_16wrapped_functionINS8_6system6detail7generic6detail18binary_search_lessEbEEEE10hipError_tPvRmT1_T2_T3_mmT4_T5_P12ihipStream_tbEUlRKxE_EEST_SX_SY_mSZ_S12_bEUlT_E_NS1_11comp_targetILNS1_3genE8ELNS1_11target_archE1030ELNS1_3gpuE2ELNS1_3repE0EEENS1_30default_config_static_selectorELNS0_4arch9wavefront6targetE1EEEvSW_: ; @_ZN7rocprim17ROCPRIM_400000_NS6detail17trampoline_kernelINS0_14default_configENS1_27lower_bound_config_selectorIxlEEZNS1_14transform_implILb0ES3_S5_N6thrust23THRUST_200600_302600_NS6detail15normal_iteratorINS8_7pointerIxNS8_11hip_rocprim5par_tENS8_11use_defaultESE_EEEENSA_INSB_IlSD_SE_SE_EEEEZNS1_13binary_searchIS3_S5_PxSG_SI_NS1_21lower_bound_search_opENS9_16wrapped_functionINS8_6system6detail7generic6detail18binary_search_lessEbEEEE10hipError_tPvRmT1_T2_T3_mmT4_T5_P12ihipStream_tbEUlRKxE_EEST_SX_SY_mSZ_S12_bEUlT_E_NS1_11comp_targetILNS1_3genE8ELNS1_11target_archE1030ELNS1_3gpuE2ELNS1_3repE0EEENS1_30default_config_static_selectorELNS0_4arch9wavefront6targetE1EEEvSW_
; %bb.0:
	.section	.rodata,"a",@progbits
	.p2align	6, 0x0
	.amdhsa_kernel _ZN7rocprim17ROCPRIM_400000_NS6detail17trampoline_kernelINS0_14default_configENS1_27lower_bound_config_selectorIxlEEZNS1_14transform_implILb0ES3_S5_N6thrust23THRUST_200600_302600_NS6detail15normal_iteratorINS8_7pointerIxNS8_11hip_rocprim5par_tENS8_11use_defaultESE_EEEENSA_INSB_IlSD_SE_SE_EEEEZNS1_13binary_searchIS3_S5_PxSG_SI_NS1_21lower_bound_search_opENS9_16wrapped_functionINS8_6system6detail7generic6detail18binary_search_lessEbEEEE10hipError_tPvRmT1_T2_T3_mmT4_T5_P12ihipStream_tbEUlRKxE_EEST_SX_SY_mSZ_S12_bEUlT_E_NS1_11comp_targetILNS1_3genE8ELNS1_11target_archE1030ELNS1_3gpuE2ELNS1_3repE0EEENS1_30default_config_static_selectorELNS0_4arch9wavefront6targetE1EEEvSW_
		.amdhsa_group_segment_fixed_size 0
		.amdhsa_private_segment_fixed_size 0
		.amdhsa_kernarg_size 56
		.amdhsa_user_sgpr_count 6
		.amdhsa_user_sgpr_private_segment_buffer 1
		.amdhsa_user_sgpr_dispatch_ptr 0
		.amdhsa_user_sgpr_queue_ptr 0
		.amdhsa_user_sgpr_kernarg_segment_ptr 1
		.amdhsa_user_sgpr_dispatch_id 0
		.amdhsa_user_sgpr_flat_scratch_init 0
		.amdhsa_user_sgpr_private_segment_size 0
		.amdhsa_uses_dynamic_stack 0
		.amdhsa_system_sgpr_private_segment_wavefront_offset 0
		.amdhsa_system_sgpr_workgroup_id_x 1
		.amdhsa_system_sgpr_workgroup_id_y 0
		.amdhsa_system_sgpr_workgroup_id_z 0
		.amdhsa_system_sgpr_workgroup_info 0
		.amdhsa_system_vgpr_workitem_id 0
		.amdhsa_next_free_vgpr 1
		.amdhsa_next_free_sgpr 0
		.amdhsa_reserve_vcc 0
		.amdhsa_reserve_flat_scratch 0
		.amdhsa_float_round_mode_32 0
		.amdhsa_float_round_mode_16_64 0
		.amdhsa_float_denorm_mode_32 3
		.amdhsa_float_denorm_mode_16_64 3
		.amdhsa_dx10_clamp 1
		.amdhsa_ieee_mode 1
		.amdhsa_fp16_overflow 0
		.amdhsa_exception_fp_ieee_invalid_op 0
		.amdhsa_exception_fp_denorm_src 0
		.amdhsa_exception_fp_ieee_div_zero 0
		.amdhsa_exception_fp_ieee_overflow 0
		.amdhsa_exception_fp_ieee_underflow 0
		.amdhsa_exception_fp_ieee_inexact 0
		.amdhsa_exception_int_div_zero 0
	.end_amdhsa_kernel
	.section	.text._ZN7rocprim17ROCPRIM_400000_NS6detail17trampoline_kernelINS0_14default_configENS1_27lower_bound_config_selectorIxlEEZNS1_14transform_implILb0ES3_S5_N6thrust23THRUST_200600_302600_NS6detail15normal_iteratorINS8_7pointerIxNS8_11hip_rocprim5par_tENS8_11use_defaultESE_EEEENSA_INSB_IlSD_SE_SE_EEEEZNS1_13binary_searchIS3_S5_PxSG_SI_NS1_21lower_bound_search_opENS9_16wrapped_functionINS8_6system6detail7generic6detail18binary_search_lessEbEEEE10hipError_tPvRmT1_T2_T3_mmT4_T5_P12ihipStream_tbEUlRKxE_EEST_SX_SY_mSZ_S12_bEUlT_E_NS1_11comp_targetILNS1_3genE8ELNS1_11target_archE1030ELNS1_3gpuE2ELNS1_3repE0EEENS1_30default_config_static_selectorELNS0_4arch9wavefront6targetE1EEEvSW_,"axG",@progbits,_ZN7rocprim17ROCPRIM_400000_NS6detail17trampoline_kernelINS0_14default_configENS1_27lower_bound_config_selectorIxlEEZNS1_14transform_implILb0ES3_S5_N6thrust23THRUST_200600_302600_NS6detail15normal_iteratorINS8_7pointerIxNS8_11hip_rocprim5par_tENS8_11use_defaultESE_EEEENSA_INSB_IlSD_SE_SE_EEEEZNS1_13binary_searchIS3_S5_PxSG_SI_NS1_21lower_bound_search_opENS9_16wrapped_functionINS8_6system6detail7generic6detail18binary_search_lessEbEEEE10hipError_tPvRmT1_T2_T3_mmT4_T5_P12ihipStream_tbEUlRKxE_EEST_SX_SY_mSZ_S12_bEUlT_E_NS1_11comp_targetILNS1_3genE8ELNS1_11target_archE1030ELNS1_3gpuE2ELNS1_3repE0EEENS1_30default_config_static_selectorELNS0_4arch9wavefront6targetE1EEEvSW_,comdat
.Lfunc_end121:
	.size	_ZN7rocprim17ROCPRIM_400000_NS6detail17trampoline_kernelINS0_14default_configENS1_27lower_bound_config_selectorIxlEEZNS1_14transform_implILb0ES3_S5_N6thrust23THRUST_200600_302600_NS6detail15normal_iteratorINS8_7pointerIxNS8_11hip_rocprim5par_tENS8_11use_defaultESE_EEEENSA_INSB_IlSD_SE_SE_EEEEZNS1_13binary_searchIS3_S5_PxSG_SI_NS1_21lower_bound_search_opENS9_16wrapped_functionINS8_6system6detail7generic6detail18binary_search_lessEbEEEE10hipError_tPvRmT1_T2_T3_mmT4_T5_P12ihipStream_tbEUlRKxE_EEST_SX_SY_mSZ_S12_bEUlT_E_NS1_11comp_targetILNS1_3genE8ELNS1_11target_archE1030ELNS1_3gpuE2ELNS1_3repE0EEENS1_30default_config_static_selectorELNS0_4arch9wavefront6targetE1EEEvSW_, .Lfunc_end121-_ZN7rocprim17ROCPRIM_400000_NS6detail17trampoline_kernelINS0_14default_configENS1_27lower_bound_config_selectorIxlEEZNS1_14transform_implILb0ES3_S5_N6thrust23THRUST_200600_302600_NS6detail15normal_iteratorINS8_7pointerIxNS8_11hip_rocprim5par_tENS8_11use_defaultESE_EEEENSA_INSB_IlSD_SE_SE_EEEEZNS1_13binary_searchIS3_S5_PxSG_SI_NS1_21lower_bound_search_opENS9_16wrapped_functionINS8_6system6detail7generic6detail18binary_search_lessEbEEEE10hipError_tPvRmT1_T2_T3_mmT4_T5_P12ihipStream_tbEUlRKxE_EEST_SX_SY_mSZ_S12_bEUlT_E_NS1_11comp_targetILNS1_3genE8ELNS1_11target_archE1030ELNS1_3gpuE2ELNS1_3repE0EEENS1_30default_config_static_selectorELNS0_4arch9wavefront6targetE1EEEvSW_
                                        ; -- End function
	.set _ZN7rocprim17ROCPRIM_400000_NS6detail17trampoline_kernelINS0_14default_configENS1_27lower_bound_config_selectorIxlEEZNS1_14transform_implILb0ES3_S5_N6thrust23THRUST_200600_302600_NS6detail15normal_iteratorINS8_7pointerIxNS8_11hip_rocprim5par_tENS8_11use_defaultESE_EEEENSA_INSB_IlSD_SE_SE_EEEEZNS1_13binary_searchIS3_S5_PxSG_SI_NS1_21lower_bound_search_opENS9_16wrapped_functionINS8_6system6detail7generic6detail18binary_search_lessEbEEEE10hipError_tPvRmT1_T2_T3_mmT4_T5_P12ihipStream_tbEUlRKxE_EEST_SX_SY_mSZ_S12_bEUlT_E_NS1_11comp_targetILNS1_3genE8ELNS1_11target_archE1030ELNS1_3gpuE2ELNS1_3repE0EEENS1_30default_config_static_selectorELNS0_4arch9wavefront6targetE1EEEvSW_.num_vgpr, 0
	.set _ZN7rocprim17ROCPRIM_400000_NS6detail17trampoline_kernelINS0_14default_configENS1_27lower_bound_config_selectorIxlEEZNS1_14transform_implILb0ES3_S5_N6thrust23THRUST_200600_302600_NS6detail15normal_iteratorINS8_7pointerIxNS8_11hip_rocprim5par_tENS8_11use_defaultESE_EEEENSA_INSB_IlSD_SE_SE_EEEEZNS1_13binary_searchIS3_S5_PxSG_SI_NS1_21lower_bound_search_opENS9_16wrapped_functionINS8_6system6detail7generic6detail18binary_search_lessEbEEEE10hipError_tPvRmT1_T2_T3_mmT4_T5_P12ihipStream_tbEUlRKxE_EEST_SX_SY_mSZ_S12_bEUlT_E_NS1_11comp_targetILNS1_3genE8ELNS1_11target_archE1030ELNS1_3gpuE2ELNS1_3repE0EEENS1_30default_config_static_selectorELNS0_4arch9wavefront6targetE1EEEvSW_.num_agpr, 0
	.set _ZN7rocprim17ROCPRIM_400000_NS6detail17trampoline_kernelINS0_14default_configENS1_27lower_bound_config_selectorIxlEEZNS1_14transform_implILb0ES3_S5_N6thrust23THRUST_200600_302600_NS6detail15normal_iteratorINS8_7pointerIxNS8_11hip_rocprim5par_tENS8_11use_defaultESE_EEEENSA_INSB_IlSD_SE_SE_EEEEZNS1_13binary_searchIS3_S5_PxSG_SI_NS1_21lower_bound_search_opENS9_16wrapped_functionINS8_6system6detail7generic6detail18binary_search_lessEbEEEE10hipError_tPvRmT1_T2_T3_mmT4_T5_P12ihipStream_tbEUlRKxE_EEST_SX_SY_mSZ_S12_bEUlT_E_NS1_11comp_targetILNS1_3genE8ELNS1_11target_archE1030ELNS1_3gpuE2ELNS1_3repE0EEENS1_30default_config_static_selectorELNS0_4arch9wavefront6targetE1EEEvSW_.numbered_sgpr, 0
	.set _ZN7rocprim17ROCPRIM_400000_NS6detail17trampoline_kernelINS0_14default_configENS1_27lower_bound_config_selectorIxlEEZNS1_14transform_implILb0ES3_S5_N6thrust23THRUST_200600_302600_NS6detail15normal_iteratorINS8_7pointerIxNS8_11hip_rocprim5par_tENS8_11use_defaultESE_EEEENSA_INSB_IlSD_SE_SE_EEEEZNS1_13binary_searchIS3_S5_PxSG_SI_NS1_21lower_bound_search_opENS9_16wrapped_functionINS8_6system6detail7generic6detail18binary_search_lessEbEEEE10hipError_tPvRmT1_T2_T3_mmT4_T5_P12ihipStream_tbEUlRKxE_EEST_SX_SY_mSZ_S12_bEUlT_E_NS1_11comp_targetILNS1_3genE8ELNS1_11target_archE1030ELNS1_3gpuE2ELNS1_3repE0EEENS1_30default_config_static_selectorELNS0_4arch9wavefront6targetE1EEEvSW_.num_named_barrier, 0
	.set _ZN7rocprim17ROCPRIM_400000_NS6detail17trampoline_kernelINS0_14default_configENS1_27lower_bound_config_selectorIxlEEZNS1_14transform_implILb0ES3_S5_N6thrust23THRUST_200600_302600_NS6detail15normal_iteratorINS8_7pointerIxNS8_11hip_rocprim5par_tENS8_11use_defaultESE_EEEENSA_INSB_IlSD_SE_SE_EEEEZNS1_13binary_searchIS3_S5_PxSG_SI_NS1_21lower_bound_search_opENS9_16wrapped_functionINS8_6system6detail7generic6detail18binary_search_lessEbEEEE10hipError_tPvRmT1_T2_T3_mmT4_T5_P12ihipStream_tbEUlRKxE_EEST_SX_SY_mSZ_S12_bEUlT_E_NS1_11comp_targetILNS1_3genE8ELNS1_11target_archE1030ELNS1_3gpuE2ELNS1_3repE0EEENS1_30default_config_static_selectorELNS0_4arch9wavefront6targetE1EEEvSW_.private_seg_size, 0
	.set _ZN7rocprim17ROCPRIM_400000_NS6detail17trampoline_kernelINS0_14default_configENS1_27lower_bound_config_selectorIxlEEZNS1_14transform_implILb0ES3_S5_N6thrust23THRUST_200600_302600_NS6detail15normal_iteratorINS8_7pointerIxNS8_11hip_rocprim5par_tENS8_11use_defaultESE_EEEENSA_INSB_IlSD_SE_SE_EEEEZNS1_13binary_searchIS3_S5_PxSG_SI_NS1_21lower_bound_search_opENS9_16wrapped_functionINS8_6system6detail7generic6detail18binary_search_lessEbEEEE10hipError_tPvRmT1_T2_T3_mmT4_T5_P12ihipStream_tbEUlRKxE_EEST_SX_SY_mSZ_S12_bEUlT_E_NS1_11comp_targetILNS1_3genE8ELNS1_11target_archE1030ELNS1_3gpuE2ELNS1_3repE0EEENS1_30default_config_static_selectorELNS0_4arch9wavefront6targetE1EEEvSW_.uses_vcc, 0
	.set _ZN7rocprim17ROCPRIM_400000_NS6detail17trampoline_kernelINS0_14default_configENS1_27lower_bound_config_selectorIxlEEZNS1_14transform_implILb0ES3_S5_N6thrust23THRUST_200600_302600_NS6detail15normal_iteratorINS8_7pointerIxNS8_11hip_rocprim5par_tENS8_11use_defaultESE_EEEENSA_INSB_IlSD_SE_SE_EEEEZNS1_13binary_searchIS3_S5_PxSG_SI_NS1_21lower_bound_search_opENS9_16wrapped_functionINS8_6system6detail7generic6detail18binary_search_lessEbEEEE10hipError_tPvRmT1_T2_T3_mmT4_T5_P12ihipStream_tbEUlRKxE_EEST_SX_SY_mSZ_S12_bEUlT_E_NS1_11comp_targetILNS1_3genE8ELNS1_11target_archE1030ELNS1_3gpuE2ELNS1_3repE0EEENS1_30default_config_static_selectorELNS0_4arch9wavefront6targetE1EEEvSW_.uses_flat_scratch, 0
	.set _ZN7rocprim17ROCPRIM_400000_NS6detail17trampoline_kernelINS0_14default_configENS1_27lower_bound_config_selectorIxlEEZNS1_14transform_implILb0ES3_S5_N6thrust23THRUST_200600_302600_NS6detail15normal_iteratorINS8_7pointerIxNS8_11hip_rocprim5par_tENS8_11use_defaultESE_EEEENSA_INSB_IlSD_SE_SE_EEEEZNS1_13binary_searchIS3_S5_PxSG_SI_NS1_21lower_bound_search_opENS9_16wrapped_functionINS8_6system6detail7generic6detail18binary_search_lessEbEEEE10hipError_tPvRmT1_T2_T3_mmT4_T5_P12ihipStream_tbEUlRKxE_EEST_SX_SY_mSZ_S12_bEUlT_E_NS1_11comp_targetILNS1_3genE8ELNS1_11target_archE1030ELNS1_3gpuE2ELNS1_3repE0EEENS1_30default_config_static_selectorELNS0_4arch9wavefront6targetE1EEEvSW_.has_dyn_sized_stack, 0
	.set _ZN7rocprim17ROCPRIM_400000_NS6detail17trampoline_kernelINS0_14default_configENS1_27lower_bound_config_selectorIxlEEZNS1_14transform_implILb0ES3_S5_N6thrust23THRUST_200600_302600_NS6detail15normal_iteratorINS8_7pointerIxNS8_11hip_rocprim5par_tENS8_11use_defaultESE_EEEENSA_INSB_IlSD_SE_SE_EEEEZNS1_13binary_searchIS3_S5_PxSG_SI_NS1_21lower_bound_search_opENS9_16wrapped_functionINS8_6system6detail7generic6detail18binary_search_lessEbEEEE10hipError_tPvRmT1_T2_T3_mmT4_T5_P12ihipStream_tbEUlRKxE_EEST_SX_SY_mSZ_S12_bEUlT_E_NS1_11comp_targetILNS1_3genE8ELNS1_11target_archE1030ELNS1_3gpuE2ELNS1_3repE0EEENS1_30default_config_static_selectorELNS0_4arch9wavefront6targetE1EEEvSW_.has_recursion, 0
	.set _ZN7rocprim17ROCPRIM_400000_NS6detail17trampoline_kernelINS0_14default_configENS1_27lower_bound_config_selectorIxlEEZNS1_14transform_implILb0ES3_S5_N6thrust23THRUST_200600_302600_NS6detail15normal_iteratorINS8_7pointerIxNS8_11hip_rocprim5par_tENS8_11use_defaultESE_EEEENSA_INSB_IlSD_SE_SE_EEEEZNS1_13binary_searchIS3_S5_PxSG_SI_NS1_21lower_bound_search_opENS9_16wrapped_functionINS8_6system6detail7generic6detail18binary_search_lessEbEEEE10hipError_tPvRmT1_T2_T3_mmT4_T5_P12ihipStream_tbEUlRKxE_EEST_SX_SY_mSZ_S12_bEUlT_E_NS1_11comp_targetILNS1_3genE8ELNS1_11target_archE1030ELNS1_3gpuE2ELNS1_3repE0EEENS1_30default_config_static_selectorELNS0_4arch9wavefront6targetE1EEEvSW_.has_indirect_call, 0
	.section	.AMDGPU.csdata,"",@progbits
; Kernel info:
; codeLenInByte = 0
; TotalNumSgprs: 4
; NumVgprs: 0
; ScratchSize: 0
; MemoryBound: 0
; FloatMode: 240
; IeeeMode: 1
; LDSByteSize: 0 bytes/workgroup (compile time only)
; SGPRBlocks: 0
; VGPRBlocks: 0
; NumSGPRsForWavesPerEU: 4
; NumVGPRsForWavesPerEU: 1
; Occupancy: 10
; WaveLimiterHint : 0
; COMPUTE_PGM_RSRC2:SCRATCH_EN: 0
; COMPUTE_PGM_RSRC2:USER_SGPR: 6
; COMPUTE_PGM_RSRC2:TRAP_HANDLER: 0
; COMPUTE_PGM_RSRC2:TGID_X_EN: 1
; COMPUTE_PGM_RSRC2:TGID_Y_EN: 0
; COMPUTE_PGM_RSRC2:TGID_Z_EN: 0
; COMPUTE_PGM_RSRC2:TIDIG_COMP_CNT: 0
	.section	.text._Z18lower_bound_kernelIiEvmPT_Pl,"axG",@progbits,_Z18lower_bound_kernelIiEvmPT_Pl,comdat
	.protected	_Z18lower_bound_kernelIiEvmPT_Pl ; -- Begin function _Z18lower_bound_kernelIiEvmPT_Pl
	.globl	_Z18lower_bound_kernelIiEvmPT_Pl
	.p2align	8
	.type	_Z18lower_bound_kernelIiEvmPT_Pl,@function
_Z18lower_bound_kernelIiEvmPT_Pl:       ; @_Z18lower_bound_kernelIiEvmPT_Pl
; %bb.0:
	s_load_dwordx4 s[0:3], s[4:5], 0x0
	s_load_dwordx2 s[6:7], s[4:5], 0x10
	s_mov_b64 s[8:9], -1
	s_waitcnt lgkmcnt(0)
	s_lshl_b64 s[0:1], s[0:1], 2
	s_add_u32 s0, s2, s0
	s_addc_u32 s1, s3, s1
	s_sub_u32 s0, s0, s2
	s_subb_u32 s1, s1, s3
	s_ashr_i64 s[4:5], s[0:1], 2
	v_cmp_lt_i64_e64 s[0:1], s[4:5], 1
	s_and_b64 s[0:1], exec, s[0:1]
	s_mov_b64 vcc, s[0:1]
	s_cbranch_vccz .LBB122_2
; %bb.1:
	v_mov_b32_e32 v0, 0
	v_mov_b32_e32 v1, v0
	global_store_dwordx2 v0, v[0:1], s[6:7]
	s_mov_b64 s[8:9], 0
.LBB122_2:
	s_andn2_b64 vcc, exec, s[8:9]
	s_mov_b64 s[8:9], 0
	s_cbranch_vccnz .LBB122_7
; %bb.3:
	s_mov_b64 s[10:11], s[4:5]
.LBB122_4:                              ; =>This Inner Loop Header: Depth=1
	s_sub_u32 s12, s10, s8
	s_subb_u32 s13, s11, s9
	s_lshr_b64 s[12:13], s[12:13], 1
	s_add_u32 s12, s12, s8
	s_addc_u32 s13, s13, s9
	s_lshl_b64 s[14:15], s[12:13], 2
	s_add_u32 s14, s2, s14
	s_addc_u32 s15, s3, s15
	s_load_dword s14, s[14:15], 0x0
	s_add_u32 s15, s12, 1
	s_addc_u32 s16, s13, 0
	s_waitcnt lgkmcnt(0)
	s_cmp_lt_i32 s14, 0
	s_cselect_b32 s10, s10, s12
	s_cselect_b32 s11, s11, s13
	v_mov_b32_e32 v0, s10
	s_cselect_b32 s9, s16, s9
	s_cselect_b32 s8, s15, s8
	v_mov_b32_e32 v1, s11
	v_cmp_lt_i64_e32 vcc, s[8:9], v[0:1]
	s_cbranch_vccnz .LBB122_4
; %bb.5:
	s_lshl_b64 s[8:9], s[8:9], 2
	s_add_u32 s8, s2, s8
	s_addc_u32 s9, s3, s9
	s_sub_u32 s8, s8, s2
	s_subb_u32 s9, s9, s3
	s_ashr_i64 s[8:9], s[8:9], 2
	v_mov_b32_e32 v0, s8
	v_mov_b32_e32 v2, 0
	;; [unrolled: 1-line block ×3, first 2 shown]
	s_mov_b64 s[8:9], 0
	s_mov_b64 s[10:11], s[4:5]
	global_store_dwordx2 v2, v[0:1], s[6:7]
.LBB122_6:                              ; =>This Inner Loop Header: Depth=1
	s_sub_u32 s12, s10, s8
	s_subb_u32 s13, s11, s9
	s_lshr_b64 s[12:13], s[12:13], 1
	s_add_u32 s12, s12, s8
	s_addc_u32 s13, s13, s9
	s_lshl_b64 s[14:15], s[12:13], 2
	s_add_u32 s14, s2, s14
	s_addc_u32 s15, s3, s15
	s_load_dword s14, s[14:15], 0x0
	s_add_u32 s15, s12, 1
	s_addc_u32 s16, s13, 0
	s_waitcnt lgkmcnt(0)
	s_cmp_lt_i32 s14, 1
	s_cselect_b32 s10, s10, s12
	s_cselect_b32 s11, s11, s13
	v_mov_b32_e32 v0, s10
	s_cselect_b32 s9, s16, s9
	s_cselect_b32 s8, s15, s8
	v_mov_b32_e32 v1, s11
	v_cmp_ge_i64_e32 vcc, s[8:9], v[0:1]
	s_cbranch_vccz .LBB122_6
.LBB122_7:
	s_lshl_b64 s[8:9], s[8:9], 2
	s_add_u32 s8, s2, s8
	s_addc_u32 s9, s3, s9
	s_sub_u32 s8, s8, s2
	s_subb_u32 s9, s9, s3
	s_ashr_i64 s[8:9], s[8:9], 2
	v_mov_b32_e32 v1, s8
	v_mov_b32_e32 v0, 0
	;; [unrolled: 1-line block ×3, first 2 shown]
	s_mov_b64 s[8:9], -1
	s_mov_b64 vcc, s[0:1]
	global_store_dwordx2 v0, v[1:2], s[6:7] offset:8
	s_cbranch_vccz .LBB122_9
; %bb.8:
	v_mov_b32_e32 v1, v0
	global_store_dwordx2 v0, v[0:1], s[6:7] offset:16
	s_mov_b64 s[8:9], 0
.LBB122_9:
	s_andn2_b64 vcc, exec, s[8:9]
	s_mov_b64 s[8:9], 0
	s_cbranch_vccnz .LBB122_14
; %bb.10:
	s_mov_b64 s[10:11], s[4:5]
.LBB122_11:                             ; =>This Inner Loop Header: Depth=1
	s_sub_u32 s12, s10, s8
	s_subb_u32 s13, s11, s9
	s_lshr_b64 s[12:13], s[12:13], 1
	s_add_u32 s12, s12, s8
	s_addc_u32 s13, s13, s9
	s_lshl_b64 s[14:15], s[12:13], 2
	s_add_u32 s14, s2, s14
	s_addc_u32 s15, s3, s15
	s_load_dword s14, s[14:15], 0x0
	s_add_u32 s15, s12, 1
	s_addc_u32 s16, s13, 0
	s_waitcnt lgkmcnt(0)
	s_cmp_lt_i32 s14, 2
	s_cselect_b32 s10, s10, s12
	s_cselect_b32 s11, s11, s13
	v_mov_b32_e32 v0, s10
	s_cselect_b32 s9, s16, s9
	s_cselect_b32 s8, s15, s8
	v_mov_b32_e32 v1, s11
	v_cmp_lt_i64_e32 vcc, s[8:9], v[0:1]
	s_cbranch_vccnz .LBB122_11
; %bb.12:
	s_lshl_b64 s[8:9], s[8:9], 2
	s_add_u32 s8, s2, s8
	s_addc_u32 s9, s3, s9
	s_sub_u32 s8, s8, s2
	s_subb_u32 s9, s9, s3
	s_ashr_i64 s[8:9], s[8:9], 2
	v_mov_b32_e32 v0, s8
	v_mov_b32_e32 v2, 0
	;; [unrolled: 1-line block ×3, first 2 shown]
	s_mov_b64 s[8:9], 0
	s_mov_b64 s[10:11], s[4:5]
	global_store_dwordx2 v2, v[0:1], s[6:7] offset:16
.LBB122_13:                             ; =>This Inner Loop Header: Depth=1
	s_sub_u32 s12, s10, s8
	s_subb_u32 s13, s11, s9
	s_lshr_b64 s[12:13], s[12:13], 1
	s_add_u32 s12, s12, s8
	s_addc_u32 s13, s13, s9
	s_lshl_b64 s[14:15], s[12:13], 2
	s_add_u32 s14, s2, s14
	s_addc_u32 s15, s3, s15
	s_load_dword s14, s[14:15], 0x0
	s_add_u32 s15, s12, 1
	s_addc_u32 s16, s13, 0
	s_waitcnt lgkmcnt(0)
	s_cmp_lt_i32 s14, 3
	s_cselect_b32 s10, s10, s12
	s_cselect_b32 s11, s11, s13
	v_mov_b32_e32 v0, s10
	s_cselect_b32 s9, s16, s9
	s_cselect_b32 s8, s15, s8
	v_mov_b32_e32 v1, s11
	v_cmp_ge_i64_e32 vcc, s[8:9], v[0:1]
	s_cbranch_vccz .LBB122_13
.LBB122_14:
	s_lshl_b64 s[8:9], s[8:9], 2
	s_add_u32 s8, s2, s8
	s_addc_u32 s9, s3, s9
	s_sub_u32 s8, s8, s2
	s_subb_u32 s9, s9, s3
	s_ashr_i64 s[8:9], s[8:9], 2
	v_mov_b32_e32 v1, s8
	v_mov_b32_e32 v0, 0
	;; [unrolled: 1-line block ×3, first 2 shown]
	s_mov_b64 s[8:9], -1
	s_mov_b64 vcc, s[0:1]
	global_store_dwordx2 v0, v[1:2], s[6:7] offset:24
	s_cbranch_vccz .LBB122_16
; %bb.15:
	v_mov_b32_e32 v1, v0
	global_store_dwordx2 v0, v[0:1], s[6:7] offset:32
	s_mov_b64 s[8:9], 0
.LBB122_16:
	s_andn2_b64 vcc, exec, s[8:9]
	s_mov_b64 s[8:9], 0
	s_cbranch_vccnz .LBB122_21
; %bb.17:
	s_mov_b64 s[10:11], s[4:5]
.LBB122_18:                             ; =>This Inner Loop Header: Depth=1
	s_sub_u32 s12, s10, s8
	s_subb_u32 s13, s11, s9
	s_lshr_b64 s[12:13], s[12:13], 1
	s_add_u32 s12, s12, s8
	s_addc_u32 s13, s13, s9
	s_lshl_b64 s[14:15], s[12:13], 2
	s_add_u32 s14, s2, s14
	s_addc_u32 s15, s3, s15
	s_load_dword s14, s[14:15], 0x0
	s_add_u32 s15, s12, 1
	s_addc_u32 s16, s13, 0
	s_waitcnt lgkmcnt(0)
	s_cmp_lt_i32 s14, 4
	s_cselect_b32 s10, s10, s12
	s_cselect_b32 s11, s11, s13
	v_mov_b32_e32 v0, s10
	s_cselect_b32 s9, s16, s9
	s_cselect_b32 s8, s15, s8
	v_mov_b32_e32 v1, s11
	v_cmp_lt_i64_e32 vcc, s[8:9], v[0:1]
	s_cbranch_vccnz .LBB122_18
; %bb.19:
	s_lshl_b64 s[8:9], s[8:9], 2
	s_add_u32 s8, s2, s8
	s_addc_u32 s9, s3, s9
	s_sub_u32 s8, s8, s2
	s_subb_u32 s9, s9, s3
	s_ashr_i64 s[8:9], s[8:9], 2
	v_mov_b32_e32 v0, s8
	v_mov_b32_e32 v2, 0
	;; [unrolled: 1-line block ×3, first 2 shown]
	s_mov_b64 s[8:9], 0
	s_mov_b64 s[10:11], s[4:5]
	global_store_dwordx2 v2, v[0:1], s[6:7] offset:32
.LBB122_20:                             ; =>This Inner Loop Header: Depth=1
	s_sub_u32 s12, s10, s8
	s_subb_u32 s13, s11, s9
	s_lshr_b64 s[12:13], s[12:13], 1
	s_add_u32 s12, s12, s8
	s_addc_u32 s13, s13, s9
	s_lshl_b64 s[14:15], s[12:13], 2
	s_add_u32 s14, s2, s14
	s_addc_u32 s15, s3, s15
	s_load_dword s14, s[14:15], 0x0
	s_add_u32 s15, s12, 1
	s_addc_u32 s16, s13, 0
	s_waitcnt lgkmcnt(0)
	s_cmp_lt_i32 s14, 5
	s_cselect_b32 s10, s10, s12
	s_cselect_b32 s11, s11, s13
	v_mov_b32_e32 v0, s10
	s_cselect_b32 s9, s16, s9
	s_cselect_b32 s8, s15, s8
	v_mov_b32_e32 v1, s11
	v_cmp_ge_i64_e32 vcc, s[8:9], v[0:1]
	s_cbranch_vccz .LBB122_20
.LBB122_21:
	s_lshl_b64 s[8:9], s[8:9], 2
	s_add_u32 s8, s2, s8
	s_addc_u32 s9, s3, s9
	s_sub_u32 s8, s8, s2
	s_subb_u32 s9, s9, s3
	s_ashr_i64 s[8:9], s[8:9], 2
	v_mov_b32_e32 v1, s8
	v_mov_b32_e32 v0, 0
	;; [unrolled: 1-line block ×3, first 2 shown]
	s_mov_b64 s[8:9], -1
	s_mov_b64 vcc, s[0:1]
	global_store_dwordx2 v0, v[1:2], s[6:7] offset:40
	s_cbranch_vccz .LBB122_23
; %bb.22:
	v_mov_b32_e32 v1, v0
	global_store_dwordx2 v0, v[0:1], s[6:7] offset:48
	s_mov_b64 s[8:9], 0
.LBB122_23:
	s_andn2_b64 vcc, exec, s[8:9]
	s_mov_b64 s[8:9], 0
	s_cbranch_vccnz .LBB122_28
; %bb.24:
	s_mov_b64 s[10:11], s[4:5]
.LBB122_25:                             ; =>This Inner Loop Header: Depth=1
	s_sub_u32 s12, s10, s8
	s_subb_u32 s13, s11, s9
	s_lshr_b64 s[12:13], s[12:13], 1
	s_add_u32 s12, s12, s8
	s_addc_u32 s13, s13, s9
	s_lshl_b64 s[14:15], s[12:13], 2
	s_add_u32 s14, s2, s14
	s_addc_u32 s15, s3, s15
	s_load_dword s14, s[14:15], 0x0
	s_add_u32 s15, s12, 1
	s_addc_u32 s16, s13, 0
	s_waitcnt lgkmcnt(0)
	s_cmp_lt_i32 s14, 6
	s_cselect_b32 s10, s10, s12
	s_cselect_b32 s11, s11, s13
	v_mov_b32_e32 v0, s10
	s_cselect_b32 s9, s16, s9
	s_cselect_b32 s8, s15, s8
	v_mov_b32_e32 v1, s11
	v_cmp_lt_i64_e32 vcc, s[8:9], v[0:1]
	s_cbranch_vccnz .LBB122_25
; %bb.26:
	s_lshl_b64 s[8:9], s[8:9], 2
	s_add_u32 s8, s2, s8
	s_addc_u32 s9, s3, s9
	s_sub_u32 s8, s8, s2
	s_subb_u32 s9, s9, s3
	s_ashr_i64 s[8:9], s[8:9], 2
	v_mov_b32_e32 v0, s8
	v_mov_b32_e32 v2, 0
	;; [unrolled: 1-line block ×3, first 2 shown]
	s_mov_b64 s[8:9], 0
	s_mov_b64 s[10:11], s[4:5]
	global_store_dwordx2 v2, v[0:1], s[6:7] offset:48
.LBB122_27:                             ; =>This Inner Loop Header: Depth=1
	s_sub_u32 s12, s10, s8
	s_subb_u32 s13, s11, s9
	s_lshr_b64 s[12:13], s[12:13], 1
	s_add_u32 s12, s12, s8
	s_addc_u32 s13, s13, s9
	s_lshl_b64 s[14:15], s[12:13], 2
	s_add_u32 s14, s2, s14
	s_addc_u32 s15, s3, s15
	s_load_dword s14, s[14:15], 0x0
	s_add_u32 s15, s12, 1
	s_addc_u32 s16, s13, 0
	s_waitcnt lgkmcnt(0)
	s_cmp_lt_i32 s14, 7
	s_cselect_b32 s10, s10, s12
	s_cselect_b32 s11, s11, s13
	v_mov_b32_e32 v0, s10
	s_cselect_b32 s9, s16, s9
	s_cselect_b32 s8, s15, s8
	v_mov_b32_e32 v1, s11
	v_cmp_ge_i64_e32 vcc, s[8:9], v[0:1]
	s_cbranch_vccz .LBB122_27
.LBB122_28:
	s_lshl_b64 s[8:9], s[8:9], 2
	s_add_u32 s8, s2, s8
	s_addc_u32 s9, s3, s9
	s_sub_u32 s8, s8, s2
	s_subb_u32 s9, s9, s3
	s_ashr_i64 s[8:9], s[8:9], 2
	v_mov_b32_e32 v1, s8
	v_mov_b32_e32 v0, 0
	;; [unrolled: 1-line block ×3, first 2 shown]
	s_mov_b64 s[8:9], -1
	s_mov_b64 vcc, s[0:1]
	global_store_dwordx2 v0, v[1:2], s[6:7] offset:56
	s_cbranch_vccz .LBB122_30
; %bb.29:
	v_mov_b32_e32 v1, v0
	global_store_dwordx2 v0, v[0:1], s[6:7] offset:64
	s_mov_b64 s[8:9], 0
.LBB122_30:
	s_andn2_b64 vcc, exec, s[8:9]
	s_mov_b64 s[0:1], 0
	s_cbranch_vccnz .LBB122_35
; %bb.31:
	s_mov_b64 s[8:9], s[4:5]
.LBB122_32:                             ; =>This Inner Loop Header: Depth=1
	s_sub_u32 s10, s8, s0
	s_subb_u32 s11, s9, s1
	s_lshr_b64 s[10:11], s[10:11], 1
	s_add_u32 s10, s10, s0
	s_addc_u32 s11, s11, s1
	s_lshl_b64 s[12:13], s[10:11], 2
	s_add_u32 s12, s2, s12
	s_addc_u32 s13, s3, s13
	s_load_dword s12, s[12:13], 0x0
	s_add_u32 s13, s10, 1
	s_addc_u32 s14, s11, 0
	s_waitcnt lgkmcnt(0)
	s_cmp_lt_i32 s12, 8
	s_cselect_b32 s8, s8, s10
	s_cselect_b32 s9, s9, s11
	v_mov_b32_e32 v0, s8
	s_cselect_b32 s1, s14, s1
	s_cselect_b32 s0, s13, s0
	v_mov_b32_e32 v1, s9
	v_cmp_lt_i64_e32 vcc, s[0:1], v[0:1]
	s_cbranch_vccnz .LBB122_32
; %bb.33:
	s_lshl_b64 s[0:1], s[0:1], 2
	s_add_u32 s0, s2, s0
	s_addc_u32 s1, s3, s1
	s_sub_u32 s0, s0, s2
	s_subb_u32 s1, s1, s3
	s_ashr_i64 s[0:1], s[0:1], 2
	v_mov_b32_e32 v0, s0
	v_mov_b32_e32 v2, 0
	;; [unrolled: 1-line block ×3, first 2 shown]
	s_mov_b64 s[0:1], 0
	global_store_dwordx2 v2, v[0:1], s[6:7] offset:64
.LBB122_34:                             ; =>This Inner Loop Header: Depth=1
	s_sub_u32 s8, s4, s0
	s_subb_u32 s9, s5, s1
	s_lshr_b64 s[8:9], s[8:9], 1
	s_add_u32 s8, s8, s0
	s_addc_u32 s9, s9, s1
	s_lshl_b64 s[10:11], s[8:9], 2
	s_add_u32 s10, s2, s10
	s_addc_u32 s11, s3, s11
	s_load_dword s10, s[10:11], 0x0
	s_add_u32 s11, s8, 1
	s_addc_u32 s12, s9, 0
	s_waitcnt lgkmcnt(0)
	s_cmp_lt_i32 s10, 9
	s_cselect_b32 s4, s4, s8
	s_cselect_b32 s5, s5, s9
	v_mov_b32_e32 v0, s4
	s_cselect_b32 s1, s12, s1
	s_cselect_b32 s0, s11, s0
	v_mov_b32_e32 v1, s5
	v_cmp_ge_i64_e32 vcc, s[0:1], v[0:1]
	s_cbranch_vccz .LBB122_34
.LBB122_35:
	s_lshl_b64 s[0:1], s[0:1], 2
	s_add_u32 s0, s2, s0
	s_addc_u32 s1, s3, s1
	s_sub_u32 s0, s0, s2
	s_subb_u32 s1, s1, s3
	s_ashr_i64 s[0:1], s[0:1], 2
	v_mov_b32_e32 v0, s0
	v_mov_b32_e32 v2, 0
	;; [unrolled: 1-line block ×3, first 2 shown]
	global_store_dwordx2 v2, v[0:1], s[6:7] offset:72
	s_endpgm
	.section	.rodata,"a",@progbits
	.p2align	6, 0x0
	.amdhsa_kernel _Z18lower_bound_kernelIiEvmPT_Pl
		.amdhsa_group_segment_fixed_size 0
		.amdhsa_private_segment_fixed_size 0
		.amdhsa_kernarg_size 24
		.amdhsa_user_sgpr_count 6
		.amdhsa_user_sgpr_private_segment_buffer 1
		.amdhsa_user_sgpr_dispatch_ptr 0
		.amdhsa_user_sgpr_queue_ptr 0
		.amdhsa_user_sgpr_kernarg_segment_ptr 1
		.amdhsa_user_sgpr_dispatch_id 0
		.amdhsa_user_sgpr_flat_scratch_init 0
		.amdhsa_user_sgpr_private_segment_size 0
		.amdhsa_uses_dynamic_stack 0
		.amdhsa_system_sgpr_private_segment_wavefront_offset 0
		.amdhsa_system_sgpr_workgroup_id_x 1
		.amdhsa_system_sgpr_workgroup_id_y 0
		.amdhsa_system_sgpr_workgroup_id_z 0
		.amdhsa_system_sgpr_workgroup_info 0
		.amdhsa_system_vgpr_workitem_id 0
		.amdhsa_next_free_vgpr 3
		.amdhsa_next_free_sgpr 17
		.amdhsa_reserve_vcc 1
		.amdhsa_reserve_flat_scratch 0
		.amdhsa_float_round_mode_32 0
		.amdhsa_float_round_mode_16_64 0
		.amdhsa_float_denorm_mode_32 3
		.amdhsa_float_denorm_mode_16_64 3
		.amdhsa_dx10_clamp 1
		.amdhsa_ieee_mode 1
		.amdhsa_fp16_overflow 0
		.amdhsa_exception_fp_ieee_invalid_op 0
		.amdhsa_exception_fp_denorm_src 0
		.amdhsa_exception_fp_ieee_div_zero 0
		.amdhsa_exception_fp_ieee_overflow 0
		.amdhsa_exception_fp_ieee_underflow 0
		.amdhsa_exception_fp_ieee_inexact 0
		.amdhsa_exception_int_div_zero 0
	.end_amdhsa_kernel
	.section	.text._Z18lower_bound_kernelIiEvmPT_Pl,"axG",@progbits,_Z18lower_bound_kernelIiEvmPT_Pl,comdat
.Lfunc_end122:
	.size	_Z18lower_bound_kernelIiEvmPT_Pl, .Lfunc_end122-_Z18lower_bound_kernelIiEvmPT_Pl
                                        ; -- End function
	.set _Z18lower_bound_kernelIiEvmPT_Pl.num_vgpr, 3
	.set _Z18lower_bound_kernelIiEvmPT_Pl.num_agpr, 0
	.set _Z18lower_bound_kernelIiEvmPT_Pl.numbered_sgpr, 17
	.set _Z18lower_bound_kernelIiEvmPT_Pl.num_named_barrier, 0
	.set _Z18lower_bound_kernelIiEvmPT_Pl.private_seg_size, 0
	.set _Z18lower_bound_kernelIiEvmPT_Pl.uses_vcc, 1
	.set _Z18lower_bound_kernelIiEvmPT_Pl.uses_flat_scratch, 0
	.set _Z18lower_bound_kernelIiEvmPT_Pl.has_dyn_sized_stack, 0
	.set _Z18lower_bound_kernelIiEvmPT_Pl.has_recursion, 0
	.set _Z18lower_bound_kernelIiEvmPT_Pl.has_indirect_call, 0
	.section	.AMDGPU.csdata,"",@progbits
; Kernel info:
; codeLenInByte = 1640
; TotalNumSgprs: 21
; NumVgprs: 3
; ScratchSize: 0
; MemoryBound: 0
; FloatMode: 240
; IeeeMode: 1
; LDSByteSize: 0 bytes/workgroup (compile time only)
; SGPRBlocks: 2
; VGPRBlocks: 0
; NumSGPRsForWavesPerEU: 21
; NumVGPRsForWavesPerEU: 3
; Occupancy: 10
; WaveLimiterHint : 0
; COMPUTE_PGM_RSRC2:SCRATCH_EN: 0
; COMPUTE_PGM_RSRC2:USER_SGPR: 6
; COMPUTE_PGM_RSRC2:TRAP_HANDLER: 0
; COMPUTE_PGM_RSRC2:TGID_X_EN: 1
; COMPUTE_PGM_RSRC2:TGID_Y_EN: 0
; COMPUTE_PGM_RSRC2:TGID_Z_EN: 0
; COMPUTE_PGM_RSRC2:TIDIG_COMP_CNT: 0
	.section	.text._ZN7rocprim17ROCPRIM_400000_NS6detail17trampoline_kernelINS0_14default_configENS1_27lower_bound_config_selectorIilEEZNS1_14transform_implILb0ES3_S5_N6thrust23THRUST_200600_302600_NS6detail15normal_iteratorINS8_7pointerIiNS8_11hip_rocprim5par_tENS8_11use_defaultESE_EEEENSA_INSB_IlSD_SE_SE_EEEEZNS1_13binary_searchIS3_S5_PiSG_SI_NS1_21lower_bound_search_opENS9_16wrapped_functionI11custom_lessbEEEE10hipError_tPvRmT1_T2_T3_mmT4_T5_P12ihipStream_tbEUlRKiE_EESP_ST_SU_mSV_SY_bEUlT_E_NS1_11comp_targetILNS1_3genE0ELNS1_11target_archE4294967295ELNS1_3gpuE0ELNS1_3repE0EEENS1_30default_config_static_selectorELNS0_4arch9wavefront6targetE1EEEvSS_,"axG",@progbits,_ZN7rocprim17ROCPRIM_400000_NS6detail17trampoline_kernelINS0_14default_configENS1_27lower_bound_config_selectorIilEEZNS1_14transform_implILb0ES3_S5_N6thrust23THRUST_200600_302600_NS6detail15normal_iteratorINS8_7pointerIiNS8_11hip_rocprim5par_tENS8_11use_defaultESE_EEEENSA_INSB_IlSD_SE_SE_EEEEZNS1_13binary_searchIS3_S5_PiSG_SI_NS1_21lower_bound_search_opENS9_16wrapped_functionI11custom_lessbEEEE10hipError_tPvRmT1_T2_T3_mmT4_T5_P12ihipStream_tbEUlRKiE_EESP_ST_SU_mSV_SY_bEUlT_E_NS1_11comp_targetILNS1_3genE0ELNS1_11target_archE4294967295ELNS1_3gpuE0ELNS1_3repE0EEENS1_30default_config_static_selectorELNS0_4arch9wavefront6targetE1EEEvSS_,comdat
	.protected	_ZN7rocprim17ROCPRIM_400000_NS6detail17trampoline_kernelINS0_14default_configENS1_27lower_bound_config_selectorIilEEZNS1_14transform_implILb0ES3_S5_N6thrust23THRUST_200600_302600_NS6detail15normal_iteratorINS8_7pointerIiNS8_11hip_rocprim5par_tENS8_11use_defaultESE_EEEENSA_INSB_IlSD_SE_SE_EEEEZNS1_13binary_searchIS3_S5_PiSG_SI_NS1_21lower_bound_search_opENS9_16wrapped_functionI11custom_lessbEEEE10hipError_tPvRmT1_T2_T3_mmT4_T5_P12ihipStream_tbEUlRKiE_EESP_ST_SU_mSV_SY_bEUlT_E_NS1_11comp_targetILNS1_3genE0ELNS1_11target_archE4294967295ELNS1_3gpuE0ELNS1_3repE0EEENS1_30default_config_static_selectorELNS0_4arch9wavefront6targetE1EEEvSS_ ; -- Begin function _ZN7rocprim17ROCPRIM_400000_NS6detail17trampoline_kernelINS0_14default_configENS1_27lower_bound_config_selectorIilEEZNS1_14transform_implILb0ES3_S5_N6thrust23THRUST_200600_302600_NS6detail15normal_iteratorINS8_7pointerIiNS8_11hip_rocprim5par_tENS8_11use_defaultESE_EEEENSA_INSB_IlSD_SE_SE_EEEEZNS1_13binary_searchIS3_S5_PiSG_SI_NS1_21lower_bound_search_opENS9_16wrapped_functionI11custom_lessbEEEE10hipError_tPvRmT1_T2_T3_mmT4_T5_P12ihipStream_tbEUlRKiE_EESP_ST_SU_mSV_SY_bEUlT_E_NS1_11comp_targetILNS1_3genE0ELNS1_11target_archE4294967295ELNS1_3gpuE0ELNS1_3repE0EEENS1_30default_config_static_selectorELNS0_4arch9wavefront6targetE1EEEvSS_
	.globl	_ZN7rocprim17ROCPRIM_400000_NS6detail17trampoline_kernelINS0_14default_configENS1_27lower_bound_config_selectorIilEEZNS1_14transform_implILb0ES3_S5_N6thrust23THRUST_200600_302600_NS6detail15normal_iteratorINS8_7pointerIiNS8_11hip_rocprim5par_tENS8_11use_defaultESE_EEEENSA_INSB_IlSD_SE_SE_EEEEZNS1_13binary_searchIS3_S5_PiSG_SI_NS1_21lower_bound_search_opENS9_16wrapped_functionI11custom_lessbEEEE10hipError_tPvRmT1_T2_T3_mmT4_T5_P12ihipStream_tbEUlRKiE_EESP_ST_SU_mSV_SY_bEUlT_E_NS1_11comp_targetILNS1_3genE0ELNS1_11target_archE4294967295ELNS1_3gpuE0ELNS1_3repE0EEENS1_30default_config_static_selectorELNS0_4arch9wavefront6targetE1EEEvSS_
	.p2align	8
	.type	_ZN7rocprim17ROCPRIM_400000_NS6detail17trampoline_kernelINS0_14default_configENS1_27lower_bound_config_selectorIilEEZNS1_14transform_implILb0ES3_S5_N6thrust23THRUST_200600_302600_NS6detail15normal_iteratorINS8_7pointerIiNS8_11hip_rocprim5par_tENS8_11use_defaultESE_EEEENSA_INSB_IlSD_SE_SE_EEEEZNS1_13binary_searchIS3_S5_PiSG_SI_NS1_21lower_bound_search_opENS9_16wrapped_functionI11custom_lessbEEEE10hipError_tPvRmT1_T2_T3_mmT4_T5_P12ihipStream_tbEUlRKiE_EESP_ST_SU_mSV_SY_bEUlT_E_NS1_11comp_targetILNS1_3genE0ELNS1_11target_archE4294967295ELNS1_3gpuE0ELNS1_3repE0EEENS1_30default_config_static_selectorELNS0_4arch9wavefront6targetE1EEEvSS_,@function
_ZN7rocprim17ROCPRIM_400000_NS6detail17trampoline_kernelINS0_14default_configENS1_27lower_bound_config_selectorIilEEZNS1_14transform_implILb0ES3_S5_N6thrust23THRUST_200600_302600_NS6detail15normal_iteratorINS8_7pointerIiNS8_11hip_rocprim5par_tENS8_11use_defaultESE_EEEENSA_INSB_IlSD_SE_SE_EEEEZNS1_13binary_searchIS3_S5_PiSG_SI_NS1_21lower_bound_search_opENS9_16wrapped_functionI11custom_lessbEEEE10hipError_tPvRmT1_T2_T3_mmT4_T5_P12ihipStream_tbEUlRKiE_EESP_ST_SU_mSV_SY_bEUlT_E_NS1_11comp_targetILNS1_3genE0ELNS1_11target_archE4294967295ELNS1_3gpuE0ELNS1_3repE0EEENS1_30default_config_static_selectorELNS0_4arch9wavefront6targetE1EEEvSS_: ; @_ZN7rocprim17ROCPRIM_400000_NS6detail17trampoline_kernelINS0_14default_configENS1_27lower_bound_config_selectorIilEEZNS1_14transform_implILb0ES3_S5_N6thrust23THRUST_200600_302600_NS6detail15normal_iteratorINS8_7pointerIiNS8_11hip_rocprim5par_tENS8_11use_defaultESE_EEEENSA_INSB_IlSD_SE_SE_EEEEZNS1_13binary_searchIS3_S5_PiSG_SI_NS1_21lower_bound_search_opENS9_16wrapped_functionI11custom_lessbEEEE10hipError_tPvRmT1_T2_T3_mmT4_T5_P12ihipStream_tbEUlRKiE_EESP_ST_SU_mSV_SY_bEUlT_E_NS1_11comp_targetILNS1_3genE0ELNS1_11target_archE4294967295ELNS1_3gpuE0ELNS1_3repE0EEENS1_30default_config_static_selectorELNS0_4arch9wavefront6targetE1EEEvSS_
; %bb.0:
	.section	.rodata,"a",@progbits
	.p2align	6, 0x0
	.amdhsa_kernel _ZN7rocprim17ROCPRIM_400000_NS6detail17trampoline_kernelINS0_14default_configENS1_27lower_bound_config_selectorIilEEZNS1_14transform_implILb0ES3_S5_N6thrust23THRUST_200600_302600_NS6detail15normal_iteratorINS8_7pointerIiNS8_11hip_rocprim5par_tENS8_11use_defaultESE_EEEENSA_INSB_IlSD_SE_SE_EEEEZNS1_13binary_searchIS3_S5_PiSG_SI_NS1_21lower_bound_search_opENS9_16wrapped_functionI11custom_lessbEEEE10hipError_tPvRmT1_T2_T3_mmT4_T5_P12ihipStream_tbEUlRKiE_EESP_ST_SU_mSV_SY_bEUlT_E_NS1_11comp_targetILNS1_3genE0ELNS1_11target_archE4294967295ELNS1_3gpuE0ELNS1_3repE0EEENS1_30default_config_static_selectorELNS0_4arch9wavefront6targetE1EEEvSS_
		.amdhsa_group_segment_fixed_size 0
		.amdhsa_private_segment_fixed_size 0
		.amdhsa_kernarg_size 56
		.amdhsa_user_sgpr_count 6
		.amdhsa_user_sgpr_private_segment_buffer 1
		.amdhsa_user_sgpr_dispatch_ptr 0
		.amdhsa_user_sgpr_queue_ptr 0
		.amdhsa_user_sgpr_kernarg_segment_ptr 1
		.amdhsa_user_sgpr_dispatch_id 0
		.amdhsa_user_sgpr_flat_scratch_init 0
		.amdhsa_user_sgpr_private_segment_size 0
		.amdhsa_uses_dynamic_stack 0
		.amdhsa_system_sgpr_private_segment_wavefront_offset 0
		.amdhsa_system_sgpr_workgroup_id_x 1
		.amdhsa_system_sgpr_workgroup_id_y 0
		.amdhsa_system_sgpr_workgroup_id_z 0
		.amdhsa_system_sgpr_workgroup_info 0
		.amdhsa_system_vgpr_workitem_id 0
		.amdhsa_next_free_vgpr 1
		.amdhsa_next_free_sgpr 0
		.amdhsa_reserve_vcc 0
		.amdhsa_reserve_flat_scratch 0
		.amdhsa_float_round_mode_32 0
		.amdhsa_float_round_mode_16_64 0
		.amdhsa_float_denorm_mode_32 3
		.amdhsa_float_denorm_mode_16_64 3
		.amdhsa_dx10_clamp 1
		.amdhsa_ieee_mode 1
		.amdhsa_fp16_overflow 0
		.amdhsa_exception_fp_ieee_invalid_op 0
		.amdhsa_exception_fp_denorm_src 0
		.amdhsa_exception_fp_ieee_div_zero 0
		.amdhsa_exception_fp_ieee_overflow 0
		.amdhsa_exception_fp_ieee_underflow 0
		.amdhsa_exception_fp_ieee_inexact 0
		.amdhsa_exception_int_div_zero 0
	.end_amdhsa_kernel
	.section	.text._ZN7rocprim17ROCPRIM_400000_NS6detail17trampoline_kernelINS0_14default_configENS1_27lower_bound_config_selectorIilEEZNS1_14transform_implILb0ES3_S5_N6thrust23THRUST_200600_302600_NS6detail15normal_iteratorINS8_7pointerIiNS8_11hip_rocprim5par_tENS8_11use_defaultESE_EEEENSA_INSB_IlSD_SE_SE_EEEEZNS1_13binary_searchIS3_S5_PiSG_SI_NS1_21lower_bound_search_opENS9_16wrapped_functionI11custom_lessbEEEE10hipError_tPvRmT1_T2_T3_mmT4_T5_P12ihipStream_tbEUlRKiE_EESP_ST_SU_mSV_SY_bEUlT_E_NS1_11comp_targetILNS1_3genE0ELNS1_11target_archE4294967295ELNS1_3gpuE0ELNS1_3repE0EEENS1_30default_config_static_selectorELNS0_4arch9wavefront6targetE1EEEvSS_,"axG",@progbits,_ZN7rocprim17ROCPRIM_400000_NS6detail17trampoline_kernelINS0_14default_configENS1_27lower_bound_config_selectorIilEEZNS1_14transform_implILb0ES3_S5_N6thrust23THRUST_200600_302600_NS6detail15normal_iteratorINS8_7pointerIiNS8_11hip_rocprim5par_tENS8_11use_defaultESE_EEEENSA_INSB_IlSD_SE_SE_EEEEZNS1_13binary_searchIS3_S5_PiSG_SI_NS1_21lower_bound_search_opENS9_16wrapped_functionI11custom_lessbEEEE10hipError_tPvRmT1_T2_T3_mmT4_T5_P12ihipStream_tbEUlRKiE_EESP_ST_SU_mSV_SY_bEUlT_E_NS1_11comp_targetILNS1_3genE0ELNS1_11target_archE4294967295ELNS1_3gpuE0ELNS1_3repE0EEENS1_30default_config_static_selectorELNS0_4arch9wavefront6targetE1EEEvSS_,comdat
.Lfunc_end123:
	.size	_ZN7rocprim17ROCPRIM_400000_NS6detail17trampoline_kernelINS0_14default_configENS1_27lower_bound_config_selectorIilEEZNS1_14transform_implILb0ES3_S5_N6thrust23THRUST_200600_302600_NS6detail15normal_iteratorINS8_7pointerIiNS8_11hip_rocprim5par_tENS8_11use_defaultESE_EEEENSA_INSB_IlSD_SE_SE_EEEEZNS1_13binary_searchIS3_S5_PiSG_SI_NS1_21lower_bound_search_opENS9_16wrapped_functionI11custom_lessbEEEE10hipError_tPvRmT1_T2_T3_mmT4_T5_P12ihipStream_tbEUlRKiE_EESP_ST_SU_mSV_SY_bEUlT_E_NS1_11comp_targetILNS1_3genE0ELNS1_11target_archE4294967295ELNS1_3gpuE0ELNS1_3repE0EEENS1_30default_config_static_selectorELNS0_4arch9wavefront6targetE1EEEvSS_, .Lfunc_end123-_ZN7rocprim17ROCPRIM_400000_NS6detail17trampoline_kernelINS0_14default_configENS1_27lower_bound_config_selectorIilEEZNS1_14transform_implILb0ES3_S5_N6thrust23THRUST_200600_302600_NS6detail15normal_iteratorINS8_7pointerIiNS8_11hip_rocprim5par_tENS8_11use_defaultESE_EEEENSA_INSB_IlSD_SE_SE_EEEEZNS1_13binary_searchIS3_S5_PiSG_SI_NS1_21lower_bound_search_opENS9_16wrapped_functionI11custom_lessbEEEE10hipError_tPvRmT1_T2_T3_mmT4_T5_P12ihipStream_tbEUlRKiE_EESP_ST_SU_mSV_SY_bEUlT_E_NS1_11comp_targetILNS1_3genE0ELNS1_11target_archE4294967295ELNS1_3gpuE0ELNS1_3repE0EEENS1_30default_config_static_selectorELNS0_4arch9wavefront6targetE1EEEvSS_
                                        ; -- End function
	.set _ZN7rocprim17ROCPRIM_400000_NS6detail17trampoline_kernelINS0_14default_configENS1_27lower_bound_config_selectorIilEEZNS1_14transform_implILb0ES3_S5_N6thrust23THRUST_200600_302600_NS6detail15normal_iteratorINS8_7pointerIiNS8_11hip_rocprim5par_tENS8_11use_defaultESE_EEEENSA_INSB_IlSD_SE_SE_EEEEZNS1_13binary_searchIS3_S5_PiSG_SI_NS1_21lower_bound_search_opENS9_16wrapped_functionI11custom_lessbEEEE10hipError_tPvRmT1_T2_T3_mmT4_T5_P12ihipStream_tbEUlRKiE_EESP_ST_SU_mSV_SY_bEUlT_E_NS1_11comp_targetILNS1_3genE0ELNS1_11target_archE4294967295ELNS1_3gpuE0ELNS1_3repE0EEENS1_30default_config_static_selectorELNS0_4arch9wavefront6targetE1EEEvSS_.num_vgpr, 0
	.set _ZN7rocprim17ROCPRIM_400000_NS6detail17trampoline_kernelINS0_14default_configENS1_27lower_bound_config_selectorIilEEZNS1_14transform_implILb0ES3_S5_N6thrust23THRUST_200600_302600_NS6detail15normal_iteratorINS8_7pointerIiNS8_11hip_rocprim5par_tENS8_11use_defaultESE_EEEENSA_INSB_IlSD_SE_SE_EEEEZNS1_13binary_searchIS3_S5_PiSG_SI_NS1_21lower_bound_search_opENS9_16wrapped_functionI11custom_lessbEEEE10hipError_tPvRmT1_T2_T3_mmT4_T5_P12ihipStream_tbEUlRKiE_EESP_ST_SU_mSV_SY_bEUlT_E_NS1_11comp_targetILNS1_3genE0ELNS1_11target_archE4294967295ELNS1_3gpuE0ELNS1_3repE0EEENS1_30default_config_static_selectorELNS0_4arch9wavefront6targetE1EEEvSS_.num_agpr, 0
	.set _ZN7rocprim17ROCPRIM_400000_NS6detail17trampoline_kernelINS0_14default_configENS1_27lower_bound_config_selectorIilEEZNS1_14transform_implILb0ES3_S5_N6thrust23THRUST_200600_302600_NS6detail15normal_iteratorINS8_7pointerIiNS8_11hip_rocprim5par_tENS8_11use_defaultESE_EEEENSA_INSB_IlSD_SE_SE_EEEEZNS1_13binary_searchIS3_S5_PiSG_SI_NS1_21lower_bound_search_opENS9_16wrapped_functionI11custom_lessbEEEE10hipError_tPvRmT1_T2_T3_mmT4_T5_P12ihipStream_tbEUlRKiE_EESP_ST_SU_mSV_SY_bEUlT_E_NS1_11comp_targetILNS1_3genE0ELNS1_11target_archE4294967295ELNS1_3gpuE0ELNS1_3repE0EEENS1_30default_config_static_selectorELNS0_4arch9wavefront6targetE1EEEvSS_.numbered_sgpr, 0
	.set _ZN7rocprim17ROCPRIM_400000_NS6detail17trampoline_kernelINS0_14default_configENS1_27lower_bound_config_selectorIilEEZNS1_14transform_implILb0ES3_S5_N6thrust23THRUST_200600_302600_NS6detail15normal_iteratorINS8_7pointerIiNS8_11hip_rocprim5par_tENS8_11use_defaultESE_EEEENSA_INSB_IlSD_SE_SE_EEEEZNS1_13binary_searchIS3_S5_PiSG_SI_NS1_21lower_bound_search_opENS9_16wrapped_functionI11custom_lessbEEEE10hipError_tPvRmT1_T2_T3_mmT4_T5_P12ihipStream_tbEUlRKiE_EESP_ST_SU_mSV_SY_bEUlT_E_NS1_11comp_targetILNS1_3genE0ELNS1_11target_archE4294967295ELNS1_3gpuE0ELNS1_3repE0EEENS1_30default_config_static_selectorELNS0_4arch9wavefront6targetE1EEEvSS_.num_named_barrier, 0
	.set _ZN7rocprim17ROCPRIM_400000_NS6detail17trampoline_kernelINS0_14default_configENS1_27lower_bound_config_selectorIilEEZNS1_14transform_implILb0ES3_S5_N6thrust23THRUST_200600_302600_NS6detail15normal_iteratorINS8_7pointerIiNS8_11hip_rocprim5par_tENS8_11use_defaultESE_EEEENSA_INSB_IlSD_SE_SE_EEEEZNS1_13binary_searchIS3_S5_PiSG_SI_NS1_21lower_bound_search_opENS9_16wrapped_functionI11custom_lessbEEEE10hipError_tPvRmT1_T2_T3_mmT4_T5_P12ihipStream_tbEUlRKiE_EESP_ST_SU_mSV_SY_bEUlT_E_NS1_11comp_targetILNS1_3genE0ELNS1_11target_archE4294967295ELNS1_3gpuE0ELNS1_3repE0EEENS1_30default_config_static_selectorELNS0_4arch9wavefront6targetE1EEEvSS_.private_seg_size, 0
	.set _ZN7rocprim17ROCPRIM_400000_NS6detail17trampoline_kernelINS0_14default_configENS1_27lower_bound_config_selectorIilEEZNS1_14transform_implILb0ES3_S5_N6thrust23THRUST_200600_302600_NS6detail15normal_iteratorINS8_7pointerIiNS8_11hip_rocprim5par_tENS8_11use_defaultESE_EEEENSA_INSB_IlSD_SE_SE_EEEEZNS1_13binary_searchIS3_S5_PiSG_SI_NS1_21lower_bound_search_opENS9_16wrapped_functionI11custom_lessbEEEE10hipError_tPvRmT1_T2_T3_mmT4_T5_P12ihipStream_tbEUlRKiE_EESP_ST_SU_mSV_SY_bEUlT_E_NS1_11comp_targetILNS1_3genE0ELNS1_11target_archE4294967295ELNS1_3gpuE0ELNS1_3repE0EEENS1_30default_config_static_selectorELNS0_4arch9wavefront6targetE1EEEvSS_.uses_vcc, 0
	.set _ZN7rocprim17ROCPRIM_400000_NS6detail17trampoline_kernelINS0_14default_configENS1_27lower_bound_config_selectorIilEEZNS1_14transform_implILb0ES3_S5_N6thrust23THRUST_200600_302600_NS6detail15normal_iteratorINS8_7pointerIiNS8_11hip_rocprim5par_tENS8_11use_defaultESE_EEEENSA_INSB_IlSD_SE_SE_EEEEZNS1_13binary_searchIS3_S5_PiSG_SI_NS1_21lower_bound_search_opENS9_16wrapped_functionI11custom_lessbEEEE10hipError_tPvRmT1_T2_T3_mmT4_T5_P12ihipStream_tbEUlRKiE_EESP_ST_SU_mSV_SY_bEUlT_E_NS1_11comp_targetILNS1_3genE0ELNS1_11target_archE4294967295ELNS1_3gpuE0ELNS1_3repE0EEENS1_30default_config_static_selectorELNS0_4arch9wavefront6targetE1EEEvSS_.uses_flat_scratch, 0
	.set _ZN7rocprim17ROCPRIM_400000_NS6detail17trampoline_kernelINS0_14default_configENS1_27lower_bound_config_selectorIilEEZNS1_14transform_implILb0ES3_S5_N6thrust23THRUST_200600_302600_NS6detail15normal_iteratorINS8_7pointerIiNS8_11hip_rocprim5par_tENS8_11use_defaultESE_EEEENSA_INSB_IlSD_SE_SE_EEEEZNS1_13binary_searchIS3_S5_PiSG_SI_NS1_21lower_bound_search_opENS9_16wrapped_functionI11custom_lessbEEEE10hipError_tPvRmT1_T2_T3_mmT4_T5_P12ihipStream_tbEUlRKiE_EESP_ST_SU_mSV_SY_bEUlT_E_NS1_11comp_targetILNS1_3genE0ELNS1_11target_archE4294967295ELNS1_3gpuE0ELNS1_3repE0EEENS1_30default_config_static_selectorELNS0_4arch9wavefront6targetE1EEEvSS_.has_dyn_sized_stack, 0
	.set _ZN7rocprim17ROCPRIM_400000_NS6detail17trampoline_kernelINS0_14default_configENS1_27lower_bound_config_selectorIilEEZNS1_14transform_implILb0ES3_S5_N6thrust23THRUST_200600_302600_NS6detail15normal_iteratorINS8_7pointerIiNS8_11hip_rocprim5par_tENS8_11use_defaultESE_EEEENSA_INSB_IlSD_SE_SE_EEEEZNS1_13binary_searchIS3_S5_PiSG_SI_NS1_21lower_bound_search_opENS9_16wrapped_functionI11custom_lessbEEEE10hipError_tPvRmT1_T2_T3_mmT4_T5_P12ihipStream_tbEUlRKiE_EESP_ST_SU_mSV_SY_bEUlT_E_NS1_11comp_targetILNS1_3genE0ELNS1_11target_archE4294967295ELNS1_3gpuE0ELNS1_3repE0EEENS1_30default_config_static_selectorELNS0_4arch9wavefront6targetE1EEEvSS_.has_recursion, 0
	.set _ZN7rocprim17ROCPRIM_400000_NS6detail17trampoline_kernelINS0_14default_configENS1_27lower_bound_config_selectorIilEEZNS1_14transform_implILb0ES3_S5_N6thrust23THRUST_200600_302600_NS6detail15normal_iteratorINS8_7pointerIiNS8_11hip_rocprim5par_tENS8_11use_defaultESE_EEEENSA_INSB_IlSD_SE_SE_EEEEZNS1_13binary_searchIS3_S5_PiSG_SI_NS1_21lower_bound_search_opENS9_16wrapped_functionI11custom_lessbEEEE10hipError_tPvRmT1_T2_T3_mmT4_T5_P12ihipStream_tbEUlRKiE_EESP_ST_SU_mSV_SY_bEUlT_E_NS1_11comp_targetILNS1_3genE0ELNS1_11target_archE4294967295ELNS1_3gpuE0ELNS1_3repE0EEENS1_30default_config_static_selectorELNS0_4arch9wavefront6targetE1EEEvSS_.has_indirect_call, 0
	.section	.AMDGPU.csdata,"",@progbits
; Kernel info:
; codeLenInByte = 0
; TotalNumSgprs: 4
; NumVgprs: 0
; ScratchSize: 0
; MemoryBound: 0
; FloatMode: 240
; IeeeMode: 1
; LDSByteSize: 0 bytes/workgroup (compile time only)
; SGPRBlocks: 0
; VGPRBlocks: 0
; NumSGPRsForWavesPerEU: 4
; NumVGPRsForWavesPerEU: 1
; Occupancy: 10
; WaveLimiterHint : 0
; COMPUTE_PGM_RSRC2:SCRATCH_EN: 0
; COMPUTE_PGM_RSRC2:USER_SGPR: 6
; COMPUTE_PGM_RSRC2:TRAP_HANDLER: 0
; COMPUTE_PGM_RSRC2:TGID_X_EN: 1
; COMPUTE_PGM_RSRC2:TGID_Y_EN: 0
; COMPUTE_PGM_RSRC2:TGID_Z_EN: 0
; COMPUTE_PGM_RSRC2:TIDIG_COMP_CNT: 0
	.section	.text._ZN7rocprim17ROCPRIM_400000_NS6detail17trampoline_kernelINS0_14default_configENS1_27lower_bound_config_selectorIilEEZNS1_14transform_implILb0ES3_S5_N6thrust23THRUST_200600_302600_NS6detail15normal_iteratorINS8_7pointerIiNS8_11hip_rocprim5par_tENS8_11use_defaultESE_EEEENSA_INSB_IlSD_SE_SE_EEEEZNS1_13binary_searchIS3_S5_PiSG_SI_NS1_21lower_bound_search_opENS9_16wrapped_functionI11custom_lessbEEEE10hipError_tPvRmT1_T2_T3_mmT4_T5_P12ihipStream_tbEUlRKiE_EESP_ST_SU_mSV_SY_bEUlT_E_NS1_11comp_targetILNS1_3genE5ELNS1_11target_archE942ELNS1_3gpuE9ELNS1_3repE0EEENS1_30default_config_static_selectorELNS0_4arch9wavefront6targetE1EEEvSS_,"axG",@progbits,_ZN7rocprim17ROCPRIM_400000_NS6detail17trampoline_kernelINS0_14default_configENS1_27lower_bound_config_selectorIilEEZNS1_14transform_implILb0ES3_S5_N6thrust23THRUST_200600_302600_NS6detail15normal_iteratorINS8_7pointerIiNS8_11hip_rocprim5par_tENS8_11use_defaultESE_EEEENSA_INSB_IlSD_SE_SE_EEEEZNS1_13binary_searchIS3_S5_PiSG_SI_NS1_21lower_bound_search_opENS9_16wrapped_functionI11custom_lessbEEEE10hipError_tPvRmT1_T2_T3_mmT4_T5_P12ihipStream_tbEUlRKiE_EESP_ST_SU_mSV_SY_bEUlT_E_NS1_11comp_targetILNS1_3genE5ELNS1_11target_archE942ELNS1_3gpuE9ELNS1_3repE0EEENS1_30default_config_static_selectorELNS0_4arch9wavefront6targetE1EEEvSS_,comdat
	.protected	_ZN7rocprim17ROCPRIM_400000_NS6detail17trampoline_kernelINS0_14default_configENS1_27lower_bound_config_selectorIilEEZNS1_14transform_implILb0ES3_S5_N6thrust23THRUST_200600_302600_NS6detail15normal_iteratorINS8_7pointerIiNS8_11hip_rocprim5par_tENS8_11use_defaultESE_EEEENSA_INSB_IlSD_SE_SE_EEEEZNS1_13binary_searchIS3_S5_PiSG_SI_NS1_21lower_bound_search_opENS9_16wrapped_functionI11custom_lessbEEEE10hipError_tPvRmT1_T2_T3_mmT4_T5_P12ihipStream_tbEUlRKiE_EESP_ST_SU_mSV_SY_bEUlT_E_NS1_11comp_targetILNS1_3genE5ELNS1_11target_archE942ELNS1_3gpuE9ELNS1_3repE0EEENS1_30default_config_static_selectorELNS0_4arch9wavefront6targetE1EEEvSS_ ; -- Begin function _ZN7rocprim17ROCPRIM_400000_NS6detail17trampoline_kernelINS0_14default_configENS1_27lower_bound_config_selectorIilEEZNS1_14transform_implILb0ES3_S5_N6thrust23THRUST_200600_302600_NS6detail15normal_iteratorINS8_7pointerIiNS8_11hip_rocprim5par_tENS8_11use_defaultESE_EEEENSA_INSB_IlSD_SE_SE_EEEEZNS1_13binary_searchIS3_S5_PiSG_SI_NS1_21lower_bound_search_opENS9_16wrapped_functionI11custom_lessbEEEE10hipError_tPvRmT1_T2_T3_mmT4_T5_P12ihipStream_tbEUlRKiE_EESP_ST_SU_mSV_SY_bEUlT_E_NS1_11comp_targetILNS1_3genE5ELNS1_11target_archE942ELNS1_3gpuE9ELNS1_3repE0EEENS1_30default_config_static_selectorELNS0_4arch9wavefront6targetE1EEEvSS_
	.globl	_ZN7rocprim17ROCPRIM_400000_NS6detail17trampoline_kernelINS0_14default_configENS1_27lower_bound_config_selectorIilEEZNS1_14transform_implILb0ES3_S5_N6thrust23THRUST_200600_302600_NS6detail15normal_iteratorINS8_7pointerIiNS8_11hip_rocprim5par_tENS8_11use_defaultESE_EEEENSA_INSB_IlSD_SE_SE_EEEEZNS1_13binary_searchIS3_S5_PiSG_SI_NS1_21lower_bound_search_opENS9_16wrapped_functionI11custom_lessbEEEE10hipError_tPvRmT1_T2_T3_mmT4_T5_P12ihipStream_tbEUlRKiE_EESP_ST_SU_mSV_SY_bEUlT_E_NS1_11comp_targetILNS1_3genE5ELNS1_11target_archE942ELNS1_3gpuE9ELNS1_3repE0EEENS1_30default_config_static_selectorELNS0_4arch9wavefront6targetE1EEEvSS_
	.p2align	8
	.type	_ZN7rocprim17ROCPRIM_400000_NS6detail17trampoline_kernelINS0_14default_configENS1_27lower_bound_config_selectorIilEEZNS1_14transform_implILb0ES3_S5_N6thrust23THRUST_200600_302600_NS6detail15normal_iteratorINS8_7pointerIiNS8_11hip_rocprim5par_tENS8_11use_defaultESE_EEEENSA_INSB_IlSD_SE_SE_EEEEZNS1_13binary_searchIS3_S5_PiSG_SI_NS1_21lower_bound_search_opENS9_16wrapped_functionI11custom_lessbEEEE10hipError_tPvRmT1_T2_T3_mmT4_T5_P12ihipStream_tbEUlRKiE_EESP_ST_SU_mSV_SY_bEUlT_E_NS1_11comp_targetILNS1_3genE5ELNS1_11target_archE942ELNS1_3gpuE9ELNS1_3repE0EEENS1_30default_config_static_selectorELNS0_4arch9wavefront6targetE1EEEvSS_,@function
_ZN7rocprim17ROCPRIM_400000_NS6detail17trampoline_kernelINS0_14default_configENS1_27lower_bound_config_selectorIilEEZNS1_14transform_implILb0ES3_S5_N6thrust23THRUST_200600_302600_NS6detail15normal_iteratorINS8_7pointerIiNS8_11hip_rocprim5par_tENS8_11use_defaultESE_EEEENSA_INSB_IlSD_SE_SE_EEEEZNS1_13binary_searchIS3_S5_PiSG_SI_NS1_21lower_bound_search_opENS9_16wrapped_functionI11custom_lessbEEEE10hipError_tPvRmT1_T2_T3_mmT4_T5_P12ihipStream_tbEUlRKiE_EESP_ST_SU_mSV_SY_bEUlT_E_NS1_11comp_targetILNS1_3genE5ELNS1_11target_archE942ELNS1_3gpuE9ELNS1_3repE0EEENS1_30default_config_static_selectorELNS0_4arch9wavefront6targetE1EEEvSS_: ; @_ZN7rocprim17ROCPRIM_400000_NS6detail17trampoline_kernelINS0_14default_configENS1_27lower_bound_config_selectorIilEEZNS1_14transform_implILb0ES3_S5_N6thrust23THRUST_200600_302600_NS6detail15normal_iteratorINS8_7pointerIiNS8_11hip_rocprim5par_tENS8_11use_defaultESE_EEEENSA_INSB_IlSD_SE_SE_EEEEZNS1_13binary_searchIS3_S5_PiSG_SI_NS1_21lower_bound_search_opENS9_16wrapped_functionI11custom_lessbEEEE10hipError_tPvRmT1_T2_T3_mmT4_T5_P12ihipStream_tbEUlRKiE_EESP_ST_SU_mSV_SY_bEUlT_E_NS1_11comp_targetILNS1_3genE5ELNS1_11target_archE942ELNS1_3gpuE9ELNS1_3repE0EEENS1_30default_config_static_selectorELNS0_4arch9wavefront6targetE1EEEvSS_
; %bb.0:
	.section	.rodata,"a",@progbits
	.p2align	6, 0x0
	.amdhsa_kernel _ZN7rocprim17ROCPRIM_400000_NS6detail17trampoline_kernelINS0_14default_configENS1_27lower_bound_config_selectorIilEEZNS1_14transform_implILb0ES3_S5_N6thrust23THRUST_200600_302600_NS6detail15normal_iteratorINS8_7pointerIiNS8_11hip_rocprim5par_tENS8_11use_defaultESE_EEEENSA_INSB_IlSD_SE_SE_EEEEZNS1_13binary_searchIS3_S5_PiSG_SI_NS1_21lower_bound_search_opENS9_16wrapped_functionI11custom_lessbEEEE10hipError_tPvRmT1_T2_T3_mmT4_T5_P12ihipStream_tbEUlRKiE_EESP_ST_SU_mSV_SY_bEUlT_E_NS1_11comp_targetILNS1_3genE5ELNS1_11target_archE942ELNS1_3gpuE9ELNS1_3repE0EEENS1_30default_config_static_selectorELNS0_4arch9wavefront6targetE1EEEvSS_
		.amdhsa_group_segment_fixed_size 0
		.amdhsa_private_segment_fixed_size 0
		.amdhsa_kernarg_size 56
		.amdhsa_user_sgpr_count 6
		.amdhsa_user_sgpr_private_segment_buffer 1
		.amdhsa_user_sgpr_dispatch_ptr 0
		.amdhsa_user_sgpr_queue_ptr 0
		.amdhsa_user_sgpr_kernarg_segment_ptr 1
		.amdhsa_user_sgpr_dispatch_id 0
		.amdhsa_user_sgpr_flat_scratch_init 0
		.amdhsa_user_sgpr_private_segment_size 0
		.amdhsa_uses_dynamic_stack 0
		.amdhsa_system_sgpr_private_segment_wavefront_offset 0
		.amdhsa_system_sgpr_workgroup_id_x 1
		.amdhsa_system_sgpr_workgroup_id_y 0
		.amdhsa_system_sgpr_workgroup_id_z 0
		.amdhsa_system_sgpr_workgroup_info 0
		.amdhsa_system_vgpr_workitem_id 0
		.amdhsa_next_free_vgpr 1
		.amdhsa_next_free_sgpr 0
		.amdhsa_reserve_vcc 0
		.amdhsa_reserve_flat_scratch 0
		.amdhsa_float_round_mode_32 0
		.amdhsa_float_round_mode_16_64 0
		.amdhsa_float_denorm_mode_32 3
		.amdhsa_float_denorm_mode_16_64 3
		.amdhsa_dx10_clamp 1
		.amdhsa_ieee_mode 1
		.amdhsa_fp16_overflow 0
		.amdhsa_exception_fp_ieee_invalid_op 0
		.amdhsa_exception_fp_denorm_src 0
		.amdhsa_exception_fp_ieee_div_zero 0
		.amdhsa_exception_fp_ieee_overflow 0
		.amdhsa_exception_fp_ieee_underflow 0
		.amdhsa_exception_fp_ieee_inexact 0
		.amdhsa_exception_int_div_zero 0
	.end_amdhsa_kernel
	.section	.text._ZN7rocprim17ROCPRIM_400000_NS6detail17trampoline_kernelINS0_14default_configENS1_27lower_bound_config_selectorIilEEZNS1_14transform_implILb0ES3_S5_N6thrust23THRUST_200600_302600_NS6detail15normal_iteratorINS8_7pointerIiNS8_11hip_rocprim5par_tENS8_11use_defaultESE_EEEENSA_INSB_IlSD_SE_SE_EEEEZNS1_13binary_searchIS3_S5_PiSG_SI_NS1_21lower_bound_search_opENS9_16wrapped_functionI11custom_lessbEEEE10hipError_tPvRmT1_T2_T3_mmT4_T5_P12ihipStream_tbEUlRKiE_EESP_ST_SU_mSV_SY_bEUlT_E_NS1_11comp_targetILNS1_3genE5ELNS1_11target_archE942ELNS1_3gpuE9ELNS1_3repE0EEENS1_30default_config_static_selectorELNS0_4arch9wavefront6targetE1EEEvSS_,"axG",@progbits,_ZN7rocprim17ROCPRIM_400000_NS6detail17trampoline_kernelINS0_14default_configENS1_27lower_bound_config_selectorIilEEZNS1_14transform_implILb0ES3_S5_N6thrust23THRUST_200600_302600_NS6detail15normal_iteratorINS8_7pointerIiNS8_11hip_rocprim5par_tENS8_11use_defaultESE_EEEENSA_INSB_IlSD_SE_SE_EEEEZNS1_13binary_searchIS3_S5_PiSG_SI_NS1_21lower_bound_search_opENS9_16wrapped_functionI11custom_lessbEEEE10hipError_tPvRmT1_T2_T3_mmT4_T5_P12ihipStream_tbEUlRKiE_EESP_ST_SU_mSV_SY_bEUlT_E_NS1_11comp_targetILNS1_3genE5ELNS1_11target_archE942ELNS1_3gpuE9ELNS1_3repE0EEENS1_30default_config_static_selectorELNS0_4arch9wavefront6targetE1EEEvSS_,comdat
.Lfunc_end124:
	.size	_ZN7rocprim17ROCPRIM_400000_NS6detail17trampoline_kernelINS0_14default_configENS1_27lower_bound_config_selectorIilEEZNS1_14transform_implILb0ES3_S5_N6thrust23THRUST_200600_302600_NS6detail15normal_iteratorINS8_7pointerIiNS8_11hip_rocprim5par_tENS8_11use_defaultESE_EEEENSA_INSB_IlSD_SE_SE_EEEEZNS1_13binary_searchIS3_S5_PiSG_SI_NS1_21lower_bound_search_opENS9_16wrapped_functionI11custom_lessbEEEE10hipError_tPvRmT1_T2_T3_mmT4_T5_P12ihipStream_tbEUlRKiE_EESP_ST_SU_mSV_SY_bEUlT_E_NS1_11comp_targetILNS1_3genE5ELNS1_11target_archE942ELNS1_3gpuE9ELNS1_3repE0EEENS1_30default_config_static_selectorELNS0_4arch9wavefront6targetE1EEEvSS_, .Lfunc_end124-_ZN7rocprim17ROCPRIM_400000_NS6detail17trampoline_kernelINS0_14default_configENS1_27lower_bound_config_selectorIilEEZNS1_14transform_implILb0ES3_S5_N6thrust23THRUST_200600_302600_NS6detail15normal_iteratorINS8_7pointerIiNS8_11hip_rocprim5par_tENS8_11use_defaultESE_EEEENSA_INSB_IlSD_SE_SE_EEEEZNS1_13binary_searchIS3_S5_PiSG_SI_NS1_21lower_bound_search_opENS9_16wrapped_functionI11custom_lessbEEEE10hipError_tPvRmT1_T2_T3_mmT4_T5_P12ihipStream_tbEUlRKiE_EESP_ST_SU_mSV_SY_bEUlT_E_NS1_11comp_targetILNS1_3genE5ELNS1_11target_archE942ELNS1_3gpuE9ELNS1_3repE0EEENS1_30default_config_static_selectorELNS0_4arch9wavefront6targetE1EEEvSS_
                                        ; -- End function
	.set _ZN7rocprim17ROCPRIM_400000_NS6detail17trampoline_kernelINS0_14default_configENS1_27lower_bound_config_selectorIilEEZNS1_14transform_implILb0ES3_S5_N6thrust23THRUST_200600_302600_NS6detail15normal_iteratorINS8_7pointerIiNS8_11hip_rocprim5par_tENS8_11use_defaultESE_EEEENSA_INSB_IlSD_SE_SE_EEEEZNS1_13binary_searchIS3_S5_PiSG_SI_NS1_21lower_bound_search_opENS9_16wrapped_functionI11custom_lessbEEEE10hipError_tPvRmT1_T2_T3_mmT4_T5_P12ihipStream_tbEUlRKiE_EESP_ST_SU_mSV_SY_bEUlT_E_NS1_11comp_targetILNS1_3genE5ELNS1_11target_archE942ELNS1_3gpuE9ELNS1_3repE0EEENS1_30default_config_static_selectorELNS0_4arch9wavefront6targetE1EEEvSS_.num_vgpr, 0
	.set _ZN7rocprim17ROCPRIM_400000_NS6detail17trampoline_kernelINS0_14default_configENS1_27lower_bound_config_selectorIilEEZNS1_14transform_implILb0ES3_S5_N6thrust23THRUST_200600_302600_NS6detail15normal_iteratorINS8_7pointerIiNS8_11hip_rocprim5par_tENS8_11use_defaultESE_EEEENSA_INSB_IlSD_SE_SE_EEEEZNS1_13binary_searchIS3_S5_PiSG_SI_NS1_21lower_bound_search_opENS9_16wrapped_functionI11custom_lessbEEEE10hipError_tPvRmT1_T2_T3_mmT4_T5_P12ihipStream_tbEUlRKiE_EESP_ST_SU_mSV_SY_bEUlT_E_NS1_11comp_targetILNS1_3genE5ELNS1_11target_archE942ELNS1_3gpuE9ELNS1_3repE0EEENS1_30default_config_static_selectorELNS0_4arch9wavefront6targetE1EEEvSS_.num_agpr, 0
	.set _ZN7rocprim17ROCPRIM_400000_NS6detail17trampoline_kernelINS0_14default_configENS1_27lower_bound_config_selectorIilEEZNS1_14transform_implILb0ES3_S5_N6thrust23THRUST_200600_302600_NS6detail15normal_iteratorINS8_7pointerIiNS8_11hip_rocprim5par_tENS8_11use_defaultESE_EEEENSA_INSB_IlSD_SE_SE_EEEEZNS1_13binary_searchIS3_S5_PiSG_SI_NS1_21lower_bound_search_opENS9_16wrapped_functionI11custom_lessbEEEE10hipError_tPvRmT1_T2_T3_mmT4_T5_P12ihipStream_tbEUlRKiE_EESP_ST_SU_mSV_SY_bEUlT_E_NS1_11comp_targetILNS1_3genE5ELNS1_11target_archE942ELNS1_3gpuE9ELNS1_3repE0EEENS1_30default_config_static_selectorELNS0_4arch9wavefront6targetE1EEEvSS_.numbered_sgpr, 0
	.set _ZN7rocprim17ROCPRIM_400000_NS6detail17trampoline_kernelINS0_14default_configENS1_27lower_bound_config_selectorIilEEZNS1_14transform_implILb0ES3_S5_N6thrust23THRUST_200600_302600_NS6detail15normal_iteratorINS8_7pointerIiNS8_11hip_rocprim5par_tENS8_11use_defaultESE_EEEENSA_INSB_IlSD_SE_SE_EEEEZNS1_13binary_searchIS3_S5_PiSG_SI_NS1_21lower_bound_search_opENS9_16wrapped_functionI11custom_lessbEEEE10hipError_tPvRmT1_T2_T3_mmT4_T5_P12ihipStream_tbEUlRKiE_EESP_ST_SU_mSV_SY_bEUlT_E_NS1_11comp_targetILNS1_3genE5ELNS1_11target_archE942ELNS1_3gpuE9ELNS1_3repE0EEENS1_30default_config_static_selectorELNS0_4arch9wavefront6targetE1EEEvSS_.num_named_barrier, 0
	.set _ZN7rocprim17ROCPRIM_400000_NS6detail17trampoline_kernelINS0_14default_configENS1_27lower_bound_config_selectorIilEEZNS1_14transform_implILb0ES3_S5_N6thrust23THRUST_200600_302600_NS6detail15normal_iteratorINS8_7pointerIiNS8_11hip_rocprim5par_tENS8_11use_defaultESE_EEEENSA_INSB_IlSD_SE_SE_EEEEZNS1_13binary_searchIS3_S5_PiSG_SI_NS1_21lower_bound_search_opENS9_16wrapped_functionI11custom_lessbEEEE10hipError_tPvRmT1_T2_T3_mmT4_T5_P12ihipStream_tbEUlRKiE_EESP_ST_SU_mSV_SY_bEUlT_E_NS1_11comp_targetILNS1_3genE5ELNS1_11target_archE942ELNS1_3gpuE9ELNS1_3repE0EEENS1_30default_config_static_selectorELNS0_4arch9wavefront6targetE1EEEvSS_.private_seg_size, 0
	.set _ZN7rocprim17ROCPRIM_400000_NS6detail17trampoline_kernelINS0_14default_configENS1_27lower_bound_config_selectorIilEEZNS1_14transform_implILb0ES3_S5_N6thrust23THRUST_200600_302600_NS6detail15normal_iteratorINS8_7pointerIiNS8_11hip_rocprim5par_tENS8_11use_defaultESE_EEEENSA_INSB_IlSD_SE_SE_EEEEZNS1_13binary_searchIS3_S5_PiSG_SI_NS1_21lower_bound_search_opENS9_16wrapped_functionI11custom_lessbEEEE10hipError_tPvRmT1_T2_T3_mmT4_T5_P12ihipStream_tbEUlRKiE_EESP_ST_SU_mSV_SY_bEUlT_E_NS1_11comp_targetILNS1_3genE5ELNS1_11target_archE942ELNS1_3gpuE9ELNS1_3repE0EEENS1_30default_config_static_selectorELNS0_4arch9wavefront6targetE1EEEvSS_.uses_vcc, 0
	.set _ZN7rocprim17ROCPRIM_400000_NS6detail17trampoline_kernelINS0_14default_configENS1_27lower_bound_config_selectorIilEEZNS1_14transform_implILb0ES3_S5_N6thrust23THRUST_200600_302600_NS6detail15normal_iteratorINS8_7pointerIiNS8_11hip_rocprim5par_tENS8_11use_defaultESE_EEEENSA_INSB_IlSD_SE_SE_EEEEZNS1_13binary_searchIS3_S5_PiSG_SI_NS1_21lower_bound_search_opENS9_16wrapped_functionI11custom_lessbEEEE10hipError_tPvRmT1_T2_T3_mmT4_T5_P12ihipStream_tbEUlRKiE_EESP_ST_SU_mSV_SY_bEUlT_E_NS1_11comp_targetILNS1_3genE5ELNS1_11target_archE942ELNS1_3gpuE9ELNS1_3repE0EEENS1_30default_config_static_selectorELNS0_4arch9wavefront6targetE1EEEvSS_.uses_flat_scratch, 0
	.set _ZN7rocprim17ROCPRIM_400000_NS6detail17trampoline_kernelINS0_14default_configENS1_27lower_bound_config_selectorIilEEZNS1_14transform_implILb0ES3_S5_N6thrust23THRUST_200600_302600_NS6detail15normal_iteratorINS8_7pointerIiNS8_11hip_rocprim5par_tENS8_11use_defaultESE_EEEENSA_INSB_IlSD_SE_SE_EEEEZNS1_13binary_searchIS3_S5_PiSG_SI_NS1_21lower_bound_search_opENS9_16wrapped_functionI11custom_lessbEEEE10hipError_tPvRmT1_T2_T3_mmT4_T5_P12ihipStream_tbEUlRKiE_EESP_ST_SU_mSV_SY_bEUlT_E_NS1_11comp_targetILNS1_3genE5ELNS1_11target_archE942ELNS1_3gpuE9ELNS1_3repE0EEENS1_30default_config_static_selectorELNS0_4arch9wavefront6targetE1EEEvSS_.has_dyn_sized_stack, 0
	.set _ZN7rocprim17ROCPRIM_400000_NS6detail17trampoline_kernelINS0_14default_configENS1_27lower_bound_config_selectorIilEEZNS1_14transform_implILb0ES3_S5_N6thrust23THRUST_200600_302600_NS6detail15normal_iteratorINS8_7pointerIiNS8_11hip_rocprim5par_tENS8_11use_defaultESE_EEEENSA_INSB_IlSD_SE_SE_EEEEZNS1_13binary_searchIS3_S5_PiSG_SI_NS1_21lower_bound_search_opENS9_16wrapped_functionI11custom_lessbEEEE10hipError_tPvRmT1_T2_T3_mmT4_T5_P12ihipStream_tbEUlRKiE_EESP_ST_SU_mSV_SY_bEUlT_E_NS1_11comp_targetILNS1_3genE5ELNS1_11target_archE942ELNS1_3gpuE9ELNS1_3repE0EEENS1_30default_config_static_selectorELNS0_4arch9wavefront6targetE1EEEvSS_.has_recursion, 0
	.set _ZN7rocprim17ROCPRIM_400000_NS6detail17trampoline_kernelINS0_14default_configENS1_27lower_bound_config_selectorIilEEZNS1_14transform_implILb0ES3_S5_N6thrust23THRUST_200600_302600_NS6detail15normal_iteratorINS8_7pointerIiNS8_11hip_rocprim5par_tENS8_11use_defaultESE_EEEENSA_INSB_IlSD_SE_SE_EEEEZNS1_13binary_searchIS3_S5_PiSG_SI_NS1_21lower_bound_search_opENS9_16wrapped_functionI11custom_lessbEEEE10hipError_tPvRmT1_T2_T3_mmT4_T5_P12ihipStream_tbEUlRKiE_EESP_ST_SU_mSV_SY_bEUlT_E_NS1_11comp_targetILNS1_3genE5ELNS1_11target_archE942ELNS1_3gpuE9ELNS1_3repE0EEENS1_30default_config_static_selectorELNS0_4arch9wavefront6targetE1EEEvSS_.has_indirect_call, 0
	.section	.AMDGPU.csdata,"",@progbits
; Kernel info:
; codeLenInByte = 0
; TotalNumSgprs: 4
; NumVgprs: 0
; ScratchSize: 0
; MemoryBound: 0
; FloatMode: 240
; IeeeMode: 1
; LDSByteSize: 0 bytes/workgroup (compile time only)
; SGPRBlocks: 0
; VGPRBlocks: 0
; NumSGPRsForWavesPerEU: 4
; NumVGPRsForWavesPerEU: 1
; Occupancy: 10
; WaveLimiterHint : 0
; COMPUTE_PGM_RSRC2:SCRATCH_EN: 0
; COMPUTE_PGM_RSRC2:USER_SGPR: 6
; COMPUTE_PGM_RSRC2:TRAP_HANDLER: 0
; COMPUTE_PGM_RSRC2:TGID_X_EN: 1
; COMPUTE_PGM_RSRC2:TGID_Y_EN: 0
; COMPUTE_PGM_RSRC2:TGID_Z_EN: 0
; COMPUTE_PGM_RSRC2:TIDIG_COMP_CNT: 0
	.section	.text._ZN7rocprim17ROCPRIM_400000_NS6detail17trampoline_kernelINS0_14default_configENS1_27lower_bound_config_selectorIilEEZNS1_14transform_implILb0ES3_S5_N6thrust23THRUST_200600_302600_NS6detail15normal_iteratorINS8_7pointerIiNS8_11hip_rocprim5par_tENS8_11use_defaultESE_EEEENSA_INSB_IlSD_SE_SE_EEEEZNS1_13binary_searchIS3_S5_PiSG_SI_NS1_21lower_bound_search_opENS9_16wrapped_functionI11custom_lessbEEEE10hipError_tPvRmT1_T2_T3_mmT4_T5_P12ihipStream_tbEUlRKiE_EESP_ST_SU_mSV_SY_bEUlT_E_NS1_11comp_targetILNS1_3genE4ELNS1_11target_archE910ELNS1_3gpuE8ELNS1_3repE0EEENS1_30default_config_static_selectorELNS0_4arch9wavefront6targetE1EEEvSS_,"axG",@progbits,_ZN7rocprim17ROCPRIM_400000_NS6detail17trampoline_kernelINS0_14default_configENS1_27lower_bound_config_selectorIilEEZNS1_14transform_implILb0ES3_S5_N6thrust23THRUST_200600_302600_NS6detail15normal_iteratorINS8_7pointerIiNS8_11hip_rocprim5par_tENS8_11use_defaultESE_EEEENSA_INSB_IlSD_SE_SE_EEEEZNS1_13binary_searchIS3_S5_PiSG_SI_NS1_21lower_bound_search_opENS9_16wrapped_functionI11custom_lessbEEEE10hipError_tPvRmT1_T2_T3_mmT4_T5_P12ihipStream_tbEUlRKiE_EESP_ST_SU_mSV_SY_bEUlT_E_NS1_11comp_targetILNS1_3genE4ELNS1_11target_archE910ELNS1_3gpuE8ELNS1_3repE0EEENS1_30default_config_static_selectorELNS0_4arch9wavefront6targetE1EEEvSS_,comdat
	.protected	_ZN7rocprim17ROCPRIM_400000_NS6detail17trampoline_kernelINS0_14default_configENS1_27lower_bound_config_selectorIilEEZNS1_14transform_implILb0ES3_S5_N6thrust23THRUST_200600_302600_NS6detail15normal_iteratorINS8_7pointerIiNS8_11hip_rocprim5par_tENS8_11use_defaultESE_EEEENSA_INSB_IlSD_SE_SE_EEEEZNS1_13binary_searchIS3_S5_PiSG_SI_NS1_21lower_bound_search_opENS9_16wrapped_functionI11custom_lessbEEEE10hipError_tPvRmT1_T2_T3_mmT4_T5_P12ihipStream_tbEUlRKiE_EESP_ST_SU_mSV_SY_bEUlT_E_NS1_11comp_targetILNS1_3genE4ELNS1_11target_archE910ELNS1_3gpuE8ELNS1_3repE0EEENS1_30default_config_static_selectorELNS0_4arch9wavefront6targetE1EEEvSS_ ; -- Begin function _ZN7rocprim17ROCPRIM_400000_NS6detail17trampoline_kernelINS0_14default_configENS1_27lower_bound_config_selectorIilEEZNS1_14transform_implILb0ES3_S5_N6thrust23THRUST_200600_302600_NS6detail15normal_iteratorINS8_7pointerIiNS8_11hip_rocprim5par_tENS8_11use_defaultESE_EEEENSA_INSB_IlSD_SE_SE_EEEEZNS1_13binary_searchIS3_S5_PiSG_SI_NS1_21lower_bound_search_opENS9_16wrapped_functionI11custom_lessbEEEE10hipError_tPvRmT1_T2_T3_mmT4_T5_P12ihipStream_tbEUlRKiE_EESP_ST_SU_mSV_SY_bEUlT_E_NS1_11comp_targetILNS1_3genE4ELNS1_11target_archE910ELNS1_3gpuE8ELNS1_3repE0EEENS1_30default_config_static_selectorELNS0_4arch9wavefront6targetE1EEEvSS_
	.globl	_ZN7rocprim17ROCPRIM_400000_NS6detail17trampoline_kernelINS0_14default_configENS1_27lower_bound_config_selectorIilEEZNS1_14transform_implILb0ES3_S5_N6thrust23THRUST_200600_302600_NS6detail15normal_iteratorINS8_7pointerIiNS8_11hip_rocprim5par_tENS8_11use_defaultESE_EEEENSA_INSB_IlSD_SE_SE_EEEEZNS1_13binary_searchIS3_S5_PiSG_SI_NS1_21lower_bound_search_opENS9_16wrapped_functionI11custom_lessbEEEE10hipError_tPvRmT1_T2_T3_mmT4_T5_P12ihipStream_tbEUlRKiE_EESP_ST_SU_mSV_SY_bEUlT_E_NS1_11comp_targetILNS1_3genE4ELNS1_11target_archE910ELNS1_3gpuE8ELNS1_3repE0EEENS1_30default_config_static_selectorELNS0_4arch9wavefront6targetE1EEEvSS_
	.p2align	8
	.type	_ZN7rocprim17ROCPRIM_400000_NS6detail17trampoline_kernelINS0_14default_configENS1_27lower_bound_config_selectorIilEEZNS1_14transform_implILb0ES3_S5_N6thrust23THRUST_200600_302600_NS6detail15normal_iteratorINS8_7pointerIiNS8_11hip_rocprim5par_tENS8_11use_defaultESE_EEEENSA_INSB_IlSD_SE_SE_EEEEZNS1_13binary_searchIS3_S5_PiSG_SI_NS1_21lower_bound_search_opENS9_16wrapped_functionI11custom_lessbEEEE10hipError_tPvRmT1_T2_T3_mmT4_T5_P12ihipStream_tbEUlRKiE_EESP_ST_SU_mSV_SY_bEUlT_E_NS1_11comp_targetILNS1_3genE4ELNS1_11target_archE910ELNS1_3gpuE8ELNS1_3repE0EEENS1_30default_config_static_selectorELNS0_4arch9wavefront6targetE1EEEvSS_,@function
_ZN7rocprim17ROCPRIM_400000_NS6detail17trampoline_kernelINS0_14default_configENS1_27lower_bound_config_selectorIilEEZNS1_14transform_implILb0ES3_S5_N6thrust23THRUST_200600_302600_NS6detail15normal_iteratorINS8_7pointerIiNS8_11hip_rocprim5par_tENS8_11use_defaultESE_EEEENSA_INSB_IlSD_SE_SE_EEEEZNS1_13binary_searchIS3_S5_PiSG_SI_NS1_21lower_bound_search_opENS9_16wrapped_functionI11custom_lessbEEEE10hipError_tPvRmT1_T2_T3_mmT4_T5_P12ihipStream_tbEUlRKiE_EESP_ST_SU_mSV_SY_bEUlT_E_NS1_11comp_targetILNS1_3genE4ELNS1_11target_archE910ELNS1_3gpuE8ELNS1_3repE0EEENS1_30default_config_static_selectorELNS0_4arch9wavefront6targetE1EEEvSS_: ; @_ZN7rocprim17ROCPRIM_400000_NS6detail17trampoline_kernelINS0_14default_configENS1_27lower_bound_config_selectorIilEEZNS1_14transform_implILb0ES3_S5_N6thrust23THRUST_200600_302600_NS6detail15normal_iteratorINS8_7pointerIiNS8_11hip_rocprim5par_tENS8_11use_defaultESE_EEEENSA_INSB_IlSD_SE_SE_EEEEZNS1_13binary_searchIS3_S5_PiSG_SI_NS1_21lower_bound_search_opENS9_16wrapped_functionI11custom_lessbEEEE10hipError_tPvRmT1_T2_T3_mmT4_T5_P12ihipStream_tbEUlRKiE_EESP_ST_SU_mSV_SY_bEUlT_E_NS1_11comp_targetILNS1_3genE4ELNS1_11target_archE910ELNS1_3gpuE8ELNS1_3repE0EEENS1_30default_config_static_selectorELNS0_4arch9wavefront6targetE1EEEvSS_
; %bb.0:
	.section	.rodata,"a",@progbits
	.p2align	6, 0x0
	.amdhsa_kernel _ZN7rocprim17ROCPRIM_400000_NS6detail17trampoline_kernelINS0_14default_configENS1_27lower_bound_config_selectorIilEEZNS1_14transform_implILb0ES3_S5_N6thrust23THRUST_200600_302600_NS6detail15normal_iteratorINS8_7pointerIiNS8_11hip_rocprim5par_tENS8_11use_defaultESE_EEEENSA_INSB_IlSD_SE_SE_EEEEZNS1_13binary_searchIS3_S5_PiSG_SI_NS1_21lower_bound_search_opENS9_16wrapped_functionI11custom_lessbEEEE10hipError_tPvRmT1_T2_T3_mmT4_T5_P12ihipStream_tbEUlRKiE_EESP_ST_SU_mSV_SY_bEUlT_E_NS1_11comp_targetILNS1_3genE4ELNS1_11target_archE910ELNS1_3gpuE8ELNS1_3repE0EEENS1_30default_config_static_selectorELNS0_4arch9wavefront6targetE1EEEvSS_
		.amdhsa_group_segment_fixed_size 0
		.amdhsa_private_segment_fixed_size 0
		.amdhsa_kernarg_size 56
		.amdhsa_user_sgpr_count 6
		.amdhsa_user_sgpr_private_segment_buffer 1
		.amdhsa_user_sgpr_dispatch_ptr 0
		.amdhsa_user_sgpr_queue_ptr 0
		.amdhsa_user_sgpr_kernarg_segment_ptr 1
		.amdhsa_user_sgpr_dispatch_id 0
		.amdhsa_user_sgpr_flat_scratch_init 0
		.amdhsa_user_sgpr_private_segment_size 0
		.amdhsa_uses_dynamic_stack 0
		.amdhsa_system_sgpr_private_segment_wavefront_offset 0
		.amdhsa_system_sgpr_workgroup_id_x 1
		.amdhsa_system_sgpr_workgroup_id_y 0
		.amdhsa_system_sgpr_workgroup_id_z 0
		.amdhsa_system_sgpr_workgroup_info 0
		.amdhsa_system_vgpr_workitem_id 0
		.amdhsa_next_free_vgpr 1
		.amdhsa_next_free_sgpr 0
		.amdhsa_reserve_vcc 0
		.amdhsa_reserve_flat_scratch 0
		.amdhsa_float_round_mode_32 0
		.amdhsa_float_round_mode_16_64 0
		.amdhsa_float_denorm_mode_32 3
		.amdhsa_float_denorm_mode_16_64 3
		.amdhsa_dx10_clamp 1
		.amdhsa_ieee_mode 1
		.amdhsa_fp16_overflow 0
		.amdhsa_exception_fp_ieee_invalid_op 0
		.amdhsa_exception_fp_denorm_src 0
		.amdhsa_exception_fp_ieee_div_zero 0
		.amdhsa_exception_fp_ieee_overflow 0
		.amdhsa_exception_fp_ieee_underflow 0
		.amdhsa_exception_fp_ieee_inexact 0
		.amdhsa_exception_int_div_zero 0
	.end_amdhsa_kernel
	.section	.text._ZN7rocprim17ROCPRIM_400000_NS6detail17trampoline_kernelINS0_14default_configENS1_27lower_bound_config_selectorIilEEZNS1_14transform_implILb0ES3_S5_N6thrust23THRUST_200600_302600_NS6detail15normal_iteratorINS8_7pointerIiNS8_11hip_rocprim5par_tENS8_11use_defaultESE_EEEENSA_INSB_IlSD_SE_SE_EEEEZNS1_13binary_searchIS3_S5_PiSG_SI_NS1_21lower_bound_search_opENS9_16wrapped_functionI11custom_lessbEEEE10hipError_tPvRmT1_T2_T3_mmT4_T5_P12ihipStream_tbEUlRKiE_EESP_ST_SU_mSV_SY_bEUlT_E_NS1_11comp_targetILNS1_3genE4ELNS1_11target_archE910ELNS1_3gpuE8ELNS1_3repE0EEENS1_30default_config_static_selectorELNS0_4arch9wavefront6targetE1EEEvSS_,"axG",@progbits,_ZN7rocprim17ROCPRIM_400000_NS6detail17trampoline_kernelINS0_14default_configENS1_27lower_bound_config_selectorIilEEZNS1_14transform_implILb0ES3_S5_N6thrust23THRUST_200600_302600_NS6detail15normal_iteratorINS8_7pointerIiNS8_11hip_rocprim5par_tENS8_11use_defaultESE_EEEENSA_INSB_IlSD_SE_SE_EEEEZNS1_13binary_searchIS3_S5_PiSG_SI_NS1_21lower_bound_search_opENS9_16wrapped_functionI11custom_lessbEEEE10hipError_tPvRmT1_T2_T3_mmT4_T5_P12ihipStream_tbEUlRKiE_EESP_ST_SU_mSV_SY_bEUlT_E_NS1_11comp_targetILNS1_3genE4ELNS1_11target_archE910ELNS1_3gpuE8ELNS1_3repE0EEENS1_30default_config_static_selectorELNS0_4arch9wavefront6targetE1EEEvSS_,comdat
.Lfunc_end125:
	.size	_ZN7rocprim17ROCPRIM_400000_NS6detail17trampoline_kernelINS0_14default_configENS1_27lower_bound_config_selectorIilEEZNS1_14transform_implILb0ES3_S5_N6thrust23THRUST_200600_302600_NS6detail15normal_iteratorINS8_7pointerIiNS8_11hip_rocprim5par_tENS8_11use_defaultESE_EEEENSA_INSB_IlSD_SE_SE_EEEEZNS1_13binary_searchIS3_S5_PiSG_SI_NS1_21lower_bound_search_opENS9_16wrapped_functionI11custom_lessbEEEE10hipError_tPvRmT1_T2_T3_mmT4_T5_P12ihipStream_tbEUlRKiE_EESP_ST_SU_mSV_SY_bEUlT_E_NS1_11comp_targetILNS1_3genE4ELNS1_11target_archE910ELNS1_3gpuE8ELNS1_3repE0EEENS1_30default_config_static_selectorELNS0_4arch9wavefront6targetE1EEEvSS_, .Lfunc_end125-_ZN7rocprim17ROCPRIM_400000_NS6detail17trampoline_kernelINS0_14default_configENS1_27lower_bound_config_selectorIilEEZNS1_14transform_implILb0ES3_S5_N6thrust23THRUST_200600_302600_NS6detail15normal_iteratorINS8_7pointerIiNS8_11hip_rocprim5par_tENS8_11use_defaultESE_EEEENSA_INSB_IlSD_SE_SE_EEEEZNS1_13binary_searchIS3_S5_PiSG_SI_NS1_21lower_bound_search_opENS9_16wrapped_functionI11custom_lessbEEEE10hipError_tPvRmT1_T2_T3_mmT4_T5_P12ihipStream_tbEUlRKiE_EESP_ST_SU_mSV_SY_bEUlT_E_NS1_11comp_targetILNS1_3genE4ELNS1_11target_archE910ELNS1_3gpuE8ELNS1_3repE0EEENS1_30default_config_static_selectorELNS0_4arch9wavefront6targetE1EEEvSS_
                                        ; -- End function
	.set _ZN7rocprim17ROCPRIM_400000_NS6detail17trampoline_kernelINS0_14default_configENS1_27lower_bound_config_selectorIilEEZNS1_14transform_implILb0ES3_S5_N6thrust23THRUST_200600_302600_NS6detail15normal_iteratorINS8_7pointerIiNS8_11hip_rocprim5par_tENS8_11use_defaultESE_EEEENSA_INSB_IlSD_SE_SE_EEEEZNS1_13binary_searchIS3_S5_PiSG_SI_NS1_21lower_bound_search_opENS9_16wrapped_functionI11custom_lessbEEEE10hipError_tPvRmT1_T2_T3_mmT4_T5_P12ihipStream_tbEUlRKiE_EESP_ST_SU_mSV_SY_bEUlT_E_NS1_11comp_targetILNS1_3genE4ELNS1_11target_archE910ELNS1_3gpuE8ELNS1_3repE0EEENS1_30default_config_static_selectorELNS0_4arch9wavefront6targetE1EEEvSS_.num_vgpr, 0
	.set _ZN7rocprim17ROCPRIM_400000_NS6detail17trampoline_kernelINS0_14default_configENS1_27lower_bound_config_selectorIilEEZNS1_14transform_implILb0ES3_S5_N6thrust23THRUST_200600_302600_NS6detail15normal_iteratorINS8_7pointerIiNS8_11hip_rocprim5par_tENS8_11use_defaultESE_EEEENSA_INSB_IlSD_SE_SE_EEEEZNS1_13binary_searchIS3_S5_PiSG_SI_NS1_21lower_bound_search_opENS9_16wrapped_functionI11custom_lessbEEEE10hipError_tPvRmT1_T2_T3_mmT4_T5_P12ihipStream_tbEUlRKiE_EESP_ST_SU_mSV_SY_bEUlT_E_NS1_11comp_targetILNS1_3genE4ELNS1_11target_archE910ELNS1_3gpuE8ELNS1_3repE0EEENS1_30default_config_static_selectorELNS0_4arch9wavefront6targetE1EEEvSS_.num_agpr, 0
	.set _ZN7rocprim17ROCPRIM_400000_NS6detail17trampoline_kernelINS0_14default_configENS1_27lower_bound_config_selectorIilEEZNS1_14transform_implILb0ES3_S5_N6thrust23THRUST_200600_302600_NS6detail15normal_iteratorINS8_7pointerIiNS8_11hip_rocprim5par_tENS8_11use_defaultESE_EEEENSA_INSB_IlSD_SE_SE_EEEEZNS1_13binary_searchIS3_S5_PiSG_SI_NS1_21lower_bound_search_opENS9_16wrapped_functionI11custom_lessbEEEE10hipError_tPvRmT1_T2_T3_mmT4_T5_P12ihipStream_tbEUlRKiE_EESP_ST_SU_mSV_SY_bEUlT_E_NS1_11comp_targetILNS1_3genE4ELNS1_11target_archE910ELNS1_3gpuE8ELNS1_3repE0EEENS1_30default_config_static_selectorELNS0_4arch9wavefront6targetE1EEEvSS_.numbered_sgpr, 0
	.set _ZN7rocprim17ROCPRIM_400000_NS6detail17trampoline_kernelINS0_14default_configENS1_27lower_bound_config_selectorIilEEZNS1_14transform_implILb0ES3_S5_N6thrust23THRUST_200600_302600_NS6detail15normal_iteratorINS8_7pointerIiNS8_11hip_rocprim5par_tENS8_11use_defaultESE_EEEENSA_INSB_IlSD_SE_SE_EEEEZNS1_13binary_searchIS3_S5_PiSG_SI_NS1_21lower_bound_search_opENS9_16wrapped_functionI11custom_lessbEEEE10hipError_tPvRmT1_T2_T3_mmT4_T5_P12ihipStream_tbEUlRKiE_EESP_ST_SU_mSV_SY_bEUlT_E_NS1_11comp_targetILNS1_3genE4ELNS1_11target_archE910ELNS1_3gpuE8ELNS1_3repE0EEENS1_30default_config_static_selectorELNS0_4arch9wavefront6targetE1EEEvSS_.num_named_barrier, 0
	.set _ZN7rocprim17ROCPRIM_400000_NS6detail17trampoline_kernelINS0_14default_configENS1_27lower_bound_config_selectorIilEEZNS1_14transform_implILb0ES3_S5_N6thrust23THRUST_200600_302600_NS6detail15normal_iteratorINS8_7pointerIiNS8_11hip_rocprim5par_tENS8_11use_defaultESE_EEEENSA_INSB_IlSD_SE_SE_EEEEZNS1_13binary_searchIS3_S5_PiSG_SI_NS1_21lower_bound_search_opENS9_16wrapped_functionI11custom_lessbEEEE10hipError_tPvRmT1_T2_T3_mmT4_T5_P12ihipStream_tbEUlRKiE_EESP_ST_SU_mSV_SY_bEUlT_E_NS1_11comp_targetILNS1_3genE4ELNS1_11target_archE910ELNS1_3gpuE8ELNS1_3repE0EEENS1_30default_config_static_selectorELNS0_4arch9wavefront6targetE1EEEvSS_.private_seg_size, 0
	.set _ZN7rocprim17ROCPRIM_400000_NS6detail17trampoline_kernelINS0_14default_configENS1_27lower_bound_config_selectorIilEEZNS1_14transform_implILb0ES3_S5_N6thrust23THRUST_200600_302600_NS6detail15normal_iteratorINS8_7pointerIiNS8_11hip_rocprim5par_tENS8_11use_defaultESE_EEEENSA_INSB_IlSD_SE_SE_EEEEZNS1_13binary_searchIS3_S5_PiSG_SI_NS1_21lower_bound_search_opENS9_16wrapped_functionI11custom_lessbEEEE10hipError_tPvRmT1_T2_T3_mmT4_T5_P12ihipStream_tbEUlRKiE_EESP_ST_SU_mSV_SY_bEUlT_E_NS1_11comp_targetILNS1_3genE4ELNS1_11target_archE910ELNS1_3gpuE8ELNS1_3repE0EEENS1_30default_config_static_selectorELNS0_4arch9wavefront6targetE1EEEvSS_.uses_vcc, 0
	.set _ZN7rocprim17ROCPRIM_400000_NS6detail17trampoline_kernelINS0_14default_configENS1_27lower_bound_config_selectorIilEEZNS1_14transform_implILb0ES3_S5_N6thrust23THRUST_200600_302600_NS6detail15normal_iteratorINS8_7pointerIiNS8_11hip_rocprim5par_tENS8_11use_defaultESE_EEEENSA_INSB_IlSD_SE_SE_EEEEZNS1_13binary_searchIS3_S5_PiSG_SI_NS1_21lower_bound_search_opENS9_16wrapped_functionI11custom_lessbEEEE10hipError_tPvRmT1_T2_T3_mmT4_T5_P12ihipStream_tbEUlRKiE_EESP_ST_SU_mSV_SY_bEUlT_E_NS1_11comp_targetILNS1_3genE4ELNS1_11target_archE910ELNS1_3gpuE8ELNS1_3repE0EEENS1_30default_config_static_selectorELNS0_4arch9wavefront6targetE1EEEvSS_.uses_flat_scratch, 0
	.set _ZN7rocprim17ROCPRIM_400000_NS6detail17trampoline_kernelINS0_14default_configENS1_27lower_bound_config_selectorIilEEZNS1_14transform_implILb0ES3_S5_N6thrust23THRUST_200600_302600_NS6detail15normal_iteratorINS8_7pointerIiNS8_11hip_rocprim5par_tENS8_11use_defaultESE_EEEENSA_INSB_IlSD_SE_SE_EEEEZNS1_13binary_searchIS3_S5_PiSG_SI_NS1_21lower_bound_search_opENS9_16wrapped_functionI11custom_lessbEEEE10hipError_tPvRmT1_T2_T3_mmT4_T5_P12ihipStream_tbEUlRKiE_EESP_ST_SU_mSV_SY_bEUlT_E_NS1_11comp_targetILNS1_3genE4ELNS1_11target_archE910ELNS1_3gpuE8ELNS1_3repE0EEENS1_30default_config_static_selectorELNS0_4arch9wavefront6targetE1EEEvSS_.has_dyn_sized_stack, 0
	.set _ZN7rocprim17ROCPRIM_400000_NS6detail17trampoline_kernelINS0_14default_configENS1_27lower_bound_config_selectorIilEEZNS1_14transform_implILb0ES3_S5_N6thrust23THRUST_200600_302600_NS6detail15normal_iteratorINS8_7pointerIiNS8_11hip_rocprim5par_tENS8_11use_defaultESE_EEEENSA_INSB_IlSD_SE_SE_EEEEZNS1_13binary_searchIS3_S5_PiSG_SI_NS1_21lower_bound_search_opENS9_16wrapped_functionI11custom_lessbEEEE10hipError_tPvRmT1_T2_T3_mmT4_T5_P12ihipStream_tbEUlRKiE_EESP_ST_SU_mSV_SY_bEUlT_E_NS1_11comp_targetILNS1_3genE4ELNS1_11target_archE910ELNS1_3gpuE8ELNS1_3repE0EEENS1_30default_config_static_selectorELNS0_4arch9wavefront6targetE1EEEvSS_.has_recursion, 0
	.set _ZN7rocprim17ROCPRIM_400000_NS6detail17trampoline_kernelINS0_14default_configENS1_27lower_bound_config_selectorIilEEZNS1_14transform_implILb0ES3_S5_N6thrust23THRUST_200600_302600_NS6detail15normal_iteratorINS8_7pointerIiNS8_11hip_rocprim5par_tENS8_11use_defaultESE_EEEENSA_INSB_IlSD_SE_SE_EEEEZNS1_13binary_searchIS3_S5_PiSG_SI_NS1_21lower_bound_search_opENS9_16wrapped_functionI11custom_lessbEEEE10hipError_tPvRmT1_T2_T3_mmT4_T5_P12ihipStream_tbEUlRKiE_EESP_ST_SU_mSV_SY_bEUlT_E_NS1_11comp_targetILNS1_3genE4ELNS1_11target_archE910ELNS1_3gpuE8ELNS1_3repE0EEENS1_30default_config_static_selectorELNS0_4arch9wavefront6targetE1EEEvSS_.has_indirect_call, 0
	.section	.AMDGPU.csdata,"",@progbits
; Kernel info:
; codeLenInByte = 0
; TotalNumSgprs: 4
; NumVgprs: 0
; ScratchSize: 0
; MemoryBound: 0
; FloatMode: 240
; IeeeMode: 1
; LDSByteSize: 0 bytes/workgroup (compile time only)
; SGPRBlocks: 0
; VGPRBlocks: 0
; NumSGPRsForWavesPerEU: 4
; NumVGPRsForWavesPerEU: 1
; Occupancy: 10
; WaveLimiterHint : 0
; COMPUTE_PGM_RSRC2:SCRATCH_EN: 0
; COMPUTE_PGM_RSRC2:USER_SGPR: 6
; COMPUTE_PGM_RSRC2:TRAP_HANDLER: 0
; COMPUTE_PGM_RSRC2:TGID_X_EN: 1
; COMPUTE_PGM_RSRC2:TGID_Y_EN: 0
; COMPUTE_PGM_RSRC2:TGID_Z_EN: 0
; COMPUTE_PGM_RSRC2:TIDIG_COMP_CNT: 0
	.section	.text._ZN7rocprim17ROCPRIM_400000_NS6detail17trampoline_kernelINS0_14default_configENS1_27lower_bound_config_selectorIilEEZNS1_14transform_implILb0ES3_S5_N6thrust23THRUST_200600_302600_NS6detail15normal_iteratorINS8_7pointerIiNS8_11hip_rocprim5par_tENS8_11use_defaultESE_EEEENSA_INSB_IlSD_SE_SE_EEEEZNS1_13binary_searchIS3_S5_PiSG_SI_NS1_21lower_bound_search_opENS9_16wrapped_functionI11custom_lessbEEEE10hipError_tPvRmT1_T2_T3_mmT4_T5_P12ihipStream_tbEUlRKiE_EESP_ST_SU_mSV_SY_bEUlT_E_NS1_11comp_targetILNS1_3genE3ELNS1_11target_archE908ELNS1_3gpuE7ELNS1_3repE0EEENS1_30default_config_static_selectorELNS0_4arch9wavefront6targetE1EEEvSS_,"axG",@progbits,_ZN7rocprim17ROCPRIM_400000_NS6detail17trampoline_kernelINS0_14default_configENS1_27lower_bound_config_selectorIilEEZNS1_14transform_implILb0ES3_S5_N6thrust23THRUST_200600_302600_NS6detail15normal_iteratorINS8_7pointerIiNS8_11hip_rocprim5par_tENS8_11use_defaultESE_EEEENSA_INSB_IlSD_SE_SE_EEEEZNS1_13binary_searchIS3_S5_PiSG_SI_NS1_21lower_bound_search_opENS9_16wrapped_functionI11custom_lessbEEEE10hipError_tPvRmT1_T2_T3_mmT4_T5_P12ihipStream_tbEUlRKiE_EESP_ST_SU_mSV_SY_bEUlT_E_NS1_11comp_targetILNS1_3genE3ELNS1_11target_archE908ELNS1_3gpuE7ELNS1_3repE0EEENS1_30default_config_static_selectorELNS0_4arch9wavefront6targetE1EEEvSS_,comdat
	.protected	_ZN7rocprim17ROCPRIM_400000_NS6detail17trampoline_kernelINS0_14default_configENS1_27lower_bound_config_selectorIilEEZNS1_14transform_implILb0ES3_S5_N6thrust23THRUST_200600_302600_NS6detail15normal_iteratorINS8_7pointerIiNS8_11hip_rocprim5par_tENS8_11use_defaultESE_EEEENSA_INSB_IlSD_SE_SE_EEEEZNS1_13binary_searchIS3_S5_PiSG_SI_NS1_21lower_bound_search_opENS9_16wrapped_functionI11custom_lessbEEEE10hipError_tPvRmT1_T2_T3_mmT4_T5_P12ihipStream_tbEUlRKiE_EESP_ST_SU_mSV_SY_bEUlT_E_NS1_11comp_targetILNS1_3genE3ELNS1_11target_archE908ELNS1_3gpuE7ELNS1_3repE0EEENS1_30default_config_static_selectorELNS0_4arch9wavefront6targetE1EEEvSS_ ; -- Begin function _ZN7rocprim17ROCPRIM_400000_NS6detail17trampoline_kernelINS0_14default_configENS1_27lower_bound_config_selectorIilEEZNS1_14transform_implILb0ES3_S5_N6thrust23THRUST_200600_302600_NS6detail15normal_iteratorINS8_7pointerIiNS8_11hip_rocprim5par_tENS8_11use_defaultESE_EEEENSA_INSB_IlSD_SE_SE_EEEEZNS1_13binary_searchIS3_S5_PiSG_SI_NS1_21lower_bound_search_opENS9_16wrapped_functionI11custom_lessbEEEE10hipError_tPvRmT1_T2_T3_mmT4_T5_P12ihipStream_tbEUlRKiE_EESP_ST_SU_mSV_SY_bEUlT_E_NS1_11comp_targetILNS1_3genE3ELNS1_11target_archE908ELNS1_3gpuE7ELNS1_3repE0EEENS1_30default_config_static_selectorELNS0_4arch9wavefront6targetE1EEEvSS_
	.globl	_ZN7rocprim17ROCPRIM_400000_NS6detail17trampoline_kernelINS0_14default_configENS1_27lower_bound_config_selectorIilEEZNS1_14transform_implILb0ES3_S5_N6thrust23THRUST_200600_302600_NS6detail15normal_iteratorINS8_7pointerIiNS8_11hip_rocprim5par_tENS8_11use_defaultESE_EEEENSA_INSB_IlSD_SE_SE_EEEEZNS1_13binary_searchIS3_S5_PiSG_SI_NS1_21lower_bound_search_opENS9_16wrapped_functionI11custom_lessbEEEE10hipError_tPvRmT1_T2_T3_mmT4_T5_P12ihipStream_tbEUlRKiE_EESP_ST_SU_mSV_SY_bEUlT_E_NS1_11comp_targetILNS1_3genE3ELNS1_11target_archE908ELNS1_3gpuE7ELNS1_3repE0EEENS1_30default_config_static_selectorELNS0_4arch9wavefront6targetE1EEEvSS_
	.p2align	8
	.type	_ZN7rocprim17ROCPRIM_400000_NS6detail17trampoline_kernelINS0_14default_configENS1_27lower_bound_config_selectorIilEEZNS1_14transform_implILb0ES3_S5_N6thrust23THRUST_200600_302600_NS6detail15normal_iteratorINS8_7pointerIiNS8_11hip_rocprim5par_tENS8_11use_defaultESE_EEEENSA_INSB_IlSD_SE_SE_EEEEZNS1_13binary_searchIS3_S5_PiSG_SI_NS1_21lower_bound_search_opENS9_16wrapped_functionI11custom_lessbEEEE10hipError_tPvRmT1_T2_T3_mmT4_T5_P12ihipStream_tbEUlRKiE_EESP_ST_SU_mSV_SY_bEUlT_E_NS1_11comp_targetILNS1_3genE3ELNS1_11target_archE908ELNS1_3gpuE7ELNS1_3repE0EEENS1_30default_config_static_selectorELNS0_4arch9wavefront6targetE1EEEvSS_,@function
_ZN7rocprim17ROCPRIM_400000_NS6detail17trampoline_kernelINS0_14default_configENS1_27lower_bound_config_selectorIilEEZNS1_14transform_implILb0ES3_S5_N6thrust23THRUST_200600_302600_NS6detail15normal_iteratorINS8_7pointerIiNS8_11hip_rocprim5par_tENS8_11use_defaultESE_EEEENSA_INSB_IlSD_SE_SE_EEEEZNS1_13binary_searchIS3_S5_PiSG_SI_NS1_21lower_bound_search_opENS9_16wrapped_functionI11custom_lessbEEEE10hipError_tPvRmT1_T2_T3_mmT4_T5_P12ihipStream_tbEUlRKiE_EESP_ST_SU_mSV_SY_bEUlT_E_NS1_11comp_targetILNS1_3genE3ELNS1_11target_archE908ELNS1_3gpuE7ELNS1_3repE0EEENS1_30default_config_static_selectorELNS0_4arch9wavefront6targetE1EEEvSS_: ; @_ZN7rocprim17ROCPRIM_400000_NS6detail17trampoline_kernelINS0_14default_configENS1_27lower_bound_config_selectorIilEEZNS1_14transform_implILb0ES3_S5_N6thrust23THRUST_200600_302600_NS6detail15normal_iteratorINS8_7pointerIiNS8_11hip_rocprim5par_tENS8_11use_defaultESE_EEEENSA_INSB_IlSD_SE_SE_EEEEZNS1_13binary_searchIS3_S5_PiSG_SI_NS1_21lower_bound_search_opENS9_16wrapped_functionI11custom_lessbEEEE10hipError_tPvRmT1_T2_T3_mmT4_T5_P12ihipStream_tbEUlRKiE_EESP_ST_SU_mSV_SY_bEUlT_E_NS1_11comp_targetILNS1_3genE3ELNS1_11target_archE908ELNS1_3gpuE7ELNS1_3repE0EEENS1_30default_config_static_selectorELNS0_4arch9wavefront6targetE1EEEvSS_
; %bb.0:
	.section	.rodata,"a",@progbits
	.p2align	6, 0x0
	.amdhsa_kernel _ZN7rocprim17ROCPRIM_400000_NS6detail17trampoline_kernelINS0_14default_configENS1_27lower_bound_config_selectorIilEEZNS1_14transform_implILb0ES3_S5_N6thrust23THRUST_200600_302600_NS6detail15normal_iteratorINS8_7pointerIiNS8_11hip_rocprim5par_tENS8_11use_defaultESE_EEEENSA_INSB_IlSD_SE_SE_EEEEZNS1_13binary_searchIS3_S5_PiSG_SI_NS1_21lower_bound_search_opENS9_16wrapped_functionI11custom_lessbEEEE10hipError_tPvRmT1_T2_T3_mmT4_T5_P12ihipStream_tbEUlRKiE_EESP_ST_SU_mSV_SY_bEUlT_E_NS1_11comp_targetILNS1_3genE3ELNS1_11target_archE908ELNS1_3gpuE7ELNS1_3repE0EEENS1_30default_config_static_selectorELNS0_4arch9wavefront6targetE1EEEvSS_
		.amdhsa_group_segment_fixed_size 0
		.amdhsa_private_segment_fixed_size 0
		.amdhsa_kernarg_size 56
		.amdhsa_user_sgpr_count 6
		.amdhsa_user_sgpr_private_segment_buffer 1
		.amdhsa_user_sgpr_dispatch_ptr 0
		.amdhsa_user_sgpr_queue_ptr 0
		.amdhsa_user_sgpr_kernarg_segment_ptr 1
		.amdhsa_user_sgpr_dispatch_id 0
		.amdhsa_user_sgpr_flat_scratch_init 0
		.amdhsa_user_sgpr_private_segment_size 0
		.amdhsa_uses_dynamic_stack 0
		.amdhsa_system_sgpr_private_segment_wavefront_offset 0
		.amdhsa_system_sgpr_workgroup_id_x 1
		.amdhsa_system_sgpr_workgroup_id_y 0
		.amdhsa_system_sgpr_workgroup_id_z 0
		.amdhsa_system_sgpr_workgroup_info 0
		.amdhsa_system_vgpr_workitem_id 0
		.amdhsa_next_free_vgpr 1
		.amdhsa_next_free_sgpr 0
		.amdhsa_reserve_vcc 0
		.amdhsa_reserve_flat_scratch 0
		.amdhsa_float_round_mode_32 0
		.amdhsa_float_round_mode_16_64 0
		.amdhsa_float_denorm_mode_32 3
		.amdhsa_float_denorm_mode_16_64 3
		.amdhsa_dx10_clamp 1
		.amdhsa_ieee_mode 1
		.amdhsa_fp16_overflow 0
		.amdhsa_exception_fp_ieee_invalid_op 0
		.amdhsa_exception_fp_denorm_src 0
		.amdhsa_exception_fp_ieee_div_zero 0
		.amdhsa_exception_fp_ieee_overflow 0
		.amdhsa_exception_fp_ieee_underflow 0
		.amdhsa_exception_fp_ieee_inexact 0
		.amdhsa_exception_int_div_zero 0
	.end_amdhsa_kernel
	.section	.text._ZN7rocprim17ROCPRIM_400000_NS6detail17trampoline_kernelINS0_14default_configENS1_27lower_bound_config_selectorIilEEZNS1_14transform_implILb0ES3_S5_N6thrust23THRUST_200600_302600_NS6detail15normal_iteratorINS8_7pointerIiNS8_11hip_rocprim5par_tENS8_11use_defaultESE_EEEENSA_INSB_IlSD_SE_SE_EEEEZNS1_13binary_searchIS3_S5_PiSG_SI_NS1_21lower_bound_search_opENS9_16wrapped_functionI11custom_lessbEEEE10hipError_tPvRmT1_T2_T3_mmT4_T5_P12ihipStream_tbEUlRKiE_EESP_ST_SU_mSV_SY_bEUlT_E_NS1_11comp_targetILNS1_3genE3ELNS1_11target_archE908ELNS1_3gpuE7ELNS1_3repE0EEENS1_30default_config_static_selectorELNS0_4arch9wavefront6targetE1EEEvSS_,"axG",@progbits,_ZN7rocprim17ROCPRIM_400000_NS6detail17trampoline_kernelINS0_14default_configENS1_27lower_bound_config_selectorIilEEZNS1_14transform_implILb0ES3_S5_N6thrust23THRUST_200600_302600_NS6detail15normal_iteratorINS8_7pointerIiNS8_11hip_rocprim5par_tENS8_11use_defaultESE_EEEENSA_INSB_IlSD_SE_SE_EEEEZNS1_13binary_searchIS3_S5_PiSG_SI_NS1_21lower_bound_search_opENS9_16wrapped_functionI11custom_lessbEEEE10hipError_tPvRmT1_T2_T3_mmT4_T5_P12ihipStream_tbEUlRKiE_EESP_ST_SU_mSV_SY_bEUlT_E_NS1_11comp_targetILNS1_3genE3ELNS1_11target_archE908ELNS1_3gpuE7ELNS1_3repE0EEENS1_30default_config_static_selectorELNS0_4arch9wavefront6targetE1EEEvSS_,comdat
.Lfunc_end126:
	.size	_ZN7rocprim17ROCPRIM_400000_NS6detail17trampoline_kernelINS0_14default_configENS1_27lower_bound_config_selectorIilEEZNS1_14transform_implILb0ES3_S5_N6thrust23THRUST_200600_302600_NS6detail15normal_iteratorINS8_7pointerIiNS8_11hip_rocprim5par_tENS8_11use_defaultESE_EEEENSA_INSB_IlSD_SE_SE_EEEEZNS1_13binary_searchIS3_S5_PiSG_SI_NS1_21lower_bound_search_opENS9_16wrapped_functionI11custom_lessbEEEE10hipError_tPvRmT1_T2_T3_mmT4_T5_P12ihipStream_tbEUlRKiE_EESP_ST_SU_mSV_SY_bEUlT_E_NS1_11comp_targetILNS1_3genE3ELNS1_11target_archE908ELNS1_3gpuE7ELNS1_3repE0EEENS1_30default_config_static_selectorELNS0_4arch9wavefront6targetE1EEEvSS_, .Lfunc_end126-_ZN7rocprim17ROCPRIM_400000_NS6detail17trampoline_kernelINS0_14default_configENS1_27lower_bound_config_selectorIilEEZNS1_14transform_implILb0ES3_S5_N6thrust23THRUST_200600_302600_NS6detail15normal_iteratorINS8_7pointerIiNS8_11hip_rocprim5par_tENS8_11use_defaultESE_EEEENSA_INSB_IlSD_SE_SE_EEEEZNS1_13binary_searchIS3_S5_PiSG_SI_NS1_21lower_bound_search_opENS9_16wrapped_functionI11custom_lessbEEEE10hipError_tPvRmT1_T2_T3_mmT4_T5_P12ihipStream_tbEUlRKiE_EESP_ST_SU_mSV_SY_bEUlT_E_NS1_11comp_targetILNS1_3genE3ELNS1_11target_archE908ELNS1_3gpuE7ELNS1_3repE0EEENS1_30default_config_static_selectorELNS0_4arch9wavefront6targetE1EEEvSS_
                                        ; -- End function
	.set _ZN7rocprim17ROCPRIM_400000_NS6detail17trampoline_kernelINS0_14default_configENS1_27lower_bound_config_selectorIilEEZNS1_14transform_implILb0ES3_S5_N6thrust23THRUST_200600_302600_NS6detail15normal_iteratorINS8_7pointerIiNS8_11hip_rocprim5par_tENS8_11use_defaultESE_EEEENSA_INSB_IlSD_SE_SE_EEEEZNS1_13binary_searchIS3_S5_PiSG_SI_NS1_21lower_bound_search_opENS9_16wrapped_functionI11custom_lessbEEEE10hipError_tPvRmT1_T2_T3_mmT4_T5_P12ihipStream_tbEUlRKiE_EESP_ST_SU_mSV_SY_bEUlT_E_NS1_11comp_targetILNS1_3genE3ELNS1_11target_archE908ELNS1_3gpuE7ELNS1_3repE0EEENS1_30default_config_static_selectorELNS0_4arch9wavefront6targetE1EEEvSS_.num_vgpr, 0
	.set _ZN7rocprim17ROCPRIM_400000_NS6detail17trampoline_kernelINS0_14default_configENS1_27lower_bound_config_selectorIilEEZNS1_14transform_implILb0ES3_S5_N6thrust23THRUST_200600_302600_NS6detail15normal_iteratorINS8_7pointerIiNS8_11hip_rocprim5par_tENS8_11use_defaultESE_EEEENSA_INSB_IlSD_SE_SE_EEEEZNS1_13binary_searchIS3_S5_PiSG_SI_NS1_21lower_bound_search_opENS9_16wrapped_functionI11custom_lessbEEEE10hipError_tPvRmT1_T2_T3_mmT4_T5_P12ihipStream_tbEUlRKiE_EESP_ST_SU_mSV_SY_bEUlT_E_NS1_11comp_targetILNS1_3genE3ELNS1_11target_archE908ELNS1_3gpuE7ELNS1_3repE0EEENS1_30default_config_static_selectorELNS0_4arch9wavefront6targetE1EEEvSS_.num_agpr, 0
	.set _ZN7rocprim17ROCPRIM_400000_NS6detail17trampoline_kernelINS0_14default_configENS1_27lower_bound_config_selectorIilEEZNS1_14transform_implILb0ES3_S5_N6thrust23THRUST_200600_302600_NS6detail15normal_iteratorINS8_7pointerIiNS8_11hip_rocprim5par_tENS8_11use_defaultESE_EEEENSA_INSB_IlSD_SE_SE_EEEEZNS1_13binary_searchIS3_S5_PiSG_SI_NS1_21lower_bound_search_opENS9_16wrapped_functionI11custom_lessbEEEE10hipError_tPvRmT1_T2_T3_mmT4_T5_P12ihipStream_tbEUlRKiE_EESP_ST_SU_mSV_SY_bEUlT_E_NS1_11comp_targetILNS1_3genE3ELNS1_11target_archE908ELNS1_3gpuE7ELNS1_3repE0EEENS1_30default_config_static_selectorELNS0_4arch9wavefront6targetE1EEEvSS_.numbered_sgpr, 0
	.set _ZN7rocprim17ROCPRIM_400000_NS6detail17trampoline_kernelINS0_14default_configENS1_27lower_bound_config_selectorIilEEZNS1_14transform_implILb0ES3_S5_N6thrust23THRUST_200600_302600_NS6detail15normal_iteratorINS8_7pointerIiNS8_11hip_rocprim5par_tENS8_11use_defaultESE_EEEENSA_INSB_IlSD_SE_SE_EEEEZNS1_13binary_searchIS3_S5_PiSG_SI_NS1_21lower_bound_search_opENS9_16wrapped_functionI11custom_lessbEEEE10hipError_tPvRmT1_T2_T3_mmT4_T5_P12ihipStream_tbEUlRKiE_EESP_ST_SU_mSV_SY_bEUlT_E_NS1_11comp_targetILNS1_3genE3ELNS1_11target_archE908ELNS1_3gpuE7ELNS1_3repE0EEENS1_30default_config_static_selectorELNS0_4arch9wavefront6targetE1EEEvSS_.num_named_barrier, 0
	.set _ZN7rocprim17ROCPRIM_400000_NS6detail17trampoline_kernelINS0_14default_configENS1_27lower_bound_config_selectorIilEEZNS1_14transform_implILb0ES3_S5_N6thrust23THRUST_200600_302600_NS6detail15normal_iteratorINS8_7pointerIiNS8_11hip_rocprim5par_tENS8_11use_defaultESE_EEEENSA_INSB_IlSD_SE_SE_EEEEZNS1_13binary_searchIS3_S5_PiSG_SI_NS1_21lower_bound_search_opENS9_16wrapped_functionI11custom_lessbEEEE10hipError_tPvRmT1_T2_T3_mmT4_T5_P12ihipStream_tbEUlRKiE_EESP_ST_SU_mSV_SY_bEUlT_E_NS1_11comp_targetILNS1_3genE3ELNS1_11target_archE908ELNS1_3gpuE7ELNS1_3repE0EEENS1_30default_config_static_selectorELNS0_4arch9wavefront6targetE1EEEvSS_.private_seg_size, 0
	.set _ZN7rocprim17ROCPRIM_400000_NS6detail17trampoline_kernelINS0_14default_configENS1_27lower_bound_config_selectorIilEEZNS1_14transform_implILb0ES3_S5_N6thrust23THRUST_200600_302600_NS6detail15normal_iteratorINS8_7pointerIiNS8_11hip_rocprim5par_tENS8_11use_defaultESE_EEEENSA_INSB_IlSD_SE_SE_EEEEZNS1_13binary_searchIS3_S5_PiSG_SI_NS1_21lower_bound_search_opENS9_16wrapped_functionI11custom_lessbEEEE10hipError_tPvRmT1_T2_T3_mmT4_T5_P12ihipStream_tbEUlRKiE_EESP_ST_SU_mSV_SY_bEUlT_E_NS1_11comp_targetILNS1_3genE3ELNS1_11target_archE908ELNS1_3gpuE7ELNS1_3repE0EEENS1_30default_config_static_selectorELNS0_4arch9wavefront6targetE1EEEvSS_.uses_vcc, 0
	.set _ZN7rocprim17ROCPRIM_400000_NS6detail17trampoline_kernelINS0_14default_configENS1_27lower_bound_config_selectorIilEEZNS1_14transform_implILb0ES3_S5_N6thrust23THRUST_200600_302600_NS6detail15normal_iteratorINS8_7pointerIiNS8_11hip_rocprim5par_tENS8_11use_defaultESE_EEEENSA_INSB_IlSD_SE_SE_EEEEZNS1_13binary_searchIS3_S5_PiSG_SI_NS1_21lower_bound_search_opENS9_16wrapped_functionI11custom_lessbEEEE10hipError_tPvRmT1_T2_T3_mmT4_T5_P12ihipStream_tbEUlRKiE_EESP_ST_SU_mSV_SY_bEUlT_E_NS1_11comp_targetILNS1_3genE3ELNS1_11target_archE908ELNS1_3gpuE7ELNS1_3repE0EEENS1_30default_config_static_selectorELNS0_4arch9wavefront6targetE1EEEvSS_.uses_flat_scratch, 0
	.set _ZN7rocprim17ROCPRIM_400000_NS6detail17trampoline_kernelINS0_14default_configENS1_27lower_bound_config_selectorIilEEZNS1_14transform_implILb0ES3_S5_N6thrust23THRUST_200600_302600_NS6detail15normal_iteratorINS8_7pointerIiNS8_11hip_rocprim5par_tENS8_11use_defaultESE_EEEENSA_INSB_IlSD_SE_SE_EEEEZNS1_13binary_searchIS3_S5_PiSG_SI_NS1_21lower_bound_search_opENS9_16wrapped_functionI11custom_lessbEEEE10hipError_tPvRmT1_T2_T3_mmT4_T5_P12ihipStream_tbEUlRKiE_EESP_ST_SU_mSV_SY_bEUlT_E_NS1_11comp_targetILNS1_3genE3ELNS1_11target_archE908ELNS1_3gpuE7ELNS1_3repE0EEENS1_30default_config_static_selectorELNS0_4arch9wavefront6targetE1EEEvSS_.has_dyn_sized_stack, 0
	.set _ZN7rocprim17ROCPRIM_400000_NS6detail17trampoline_kernelINS0_14default_configENS1_27lower_bound_config_selectorIilEEZNS1_14transform_implILb0ES3_S5_N6thrust23THRUST_200600_302600_NS6detail15normal_iteratorINS8_7pointerIiNS8_11hip_rocprim5par_tENS8_11use_defaultESE_EEEENSA_INSB_IlSD_SE_SE_EEEEZNS1_13binary_searchIS3_S5_PiSG_SI_NS1_21lower_bound_search_opENS9_16wrapped_functionI11custom_lessbEEEE10hipError_tPvRmT1_T2_T3_mmT4_T5_P12ihipStream_tbEUlRKiE_EESP_ST_SU_mSV_SY_bEUlT_E_NS1_11comp_targetILNS1_3genE3ELNS1_11target_archE908ELNS1_3gpuE7ELNS1_3repE0EEENS1_30default_config_static_selectorELNS0_4arch9wavefront6targetE1EEEvSS_.has_recursion, 0
	.set _ZN7rocprim17ROCPRIM_400000_NS6detail17trampoline_kernelINS0_14default_configENS1_27lower_bound_config_selectorIilEEZNS1_14transform_implILb0ES3_S5_N6thrust23THRUST_200600_302600_NS6detail15normal_iteratorINS8_7pointerIiNS8_11hip_rocprim5par_tENS8_11use_defaultESE_EEEENSA_INSB_IlSD_SE_SE_EEEEZNS1_13binary_searchIS3_S5_PiSG_SI_NS1_21lower_bound_search_opENS9_16wrapped_functionI11custom_lessbEEEE10hipError_tPvRmT1_T2_T3_mmT4_T5_P12ihipStream_tbEUlRKiE_EESP_ST_SU_mSV_SY_bEUlT_E_NS1_11comp_targetILNS1_3genE3ELNS1_11target_archE908ELNS1_3gpuE7ELNS1_3repE0EEENS1_30default_config_static_selectorELNS0_4arch9wavefront6targetE1EEEvSS_.has_indirect_call, 0
	.section	.AMDGPU.csdata,"",@progbits
; Kernel info:
; codeLenInByte = 0
; TotalNumSgprs: 4
; NumVgprs: 0
; ScratchSize: 0
; MemoryBound: 0
; FloatMode: 240
; IeeeMode: 1
; LDSByteSize: 0 bytes/workgroup (compile time only)
; SGPRBlocks: 0
; VGPRBlocks: 0
; NumSGPRsForWavesPerEU: 4
; NumVGPRsForWavesPerEU: 1
; Occupancy: 10
; WaveLimiterHint : 0
; COMPUTE_PGM_RSRC2:SCRATCH_EN: 0
; COMPUTE_PGM_RSRC2:USER_SGPR: 6
; COMPUTE_PGM_RSRC2:TRAP_HANDLER: 0
; COMPUTE_PGM_RSRC2:TGID_X_EN: 1
; COMPUTE_PGM_RSRC2:TGID_Y_EN: 0
; COMPUTE_PGM_RSRC2:TGID_Z_EN: 0
; COMPUTE_PGM_RSRC2:TIDIG_COMP_CNT: 0
	.section	.text._ZN7rocprim17ROCPRIM_400000_NS6detail17trampoline_kernelINS0_14default_configENS1_27lower_bound_config_selectorIilEEZNS1_14transform_implILb0ES3_S5_N6thrust23THRUST_200600_302600_NS6detail15normal_iteratorINS8_7pointerIiNS8_11hip_rocprim5par_tENS8_11use_defaultESE_EEEENSA_INSB_IlSD_SE_SE_EEEEZNS1_13binary_searchIS3_S5_PiSG_SI_NS1_21lower_bound_search_opENS9_16wrapped_functionI11custom_lessbEEEE10hipError_tPvRmT1_T2_T3_mmT4_T5_P12ihipStream_tbEUlRKiE_EESP_ST_SU_mSV_SY_bEUlT_E_NS1_11comp_targetILNS1_3genE2ELNS1_11target_archE906ELNS1_3gpuE6ELNS1_3repE0EEENS1_30default_config_static_selectorELNS0_4arch9wavefront6targetE1EEEvSS_,"axG",@progbits,_ZN7rocprim17ROCPRIM_400000_NS6detail17trampoline_kernelINS0_14default_configENS1_27lower_bound_config_selectorIilEEZNS1_14transform_implILb0ES3_S5_N6thrust23THRUST_200600_302600_NS6detail15normal_iteratorINS8_7pointerIiNS8_11hip_rocprim5par_tENS8_11use_defaultESE_EEEENSA_INSB_IlSD_SE_SE_EEEEZNS1_13binary_searchIS3_S5_PiSG_SI_NS1_21lower_bound_search_opENS9_16wrapped_functionI11custom_lessbEEEE10hipError_tPvRmT1_T2_T3_mmT4_T5_P12ihipStream_tbEUlRKiE_EESP_ST_SU_mSV_SY_bEUlT_E_NS1_11comp_targetILNS1_3genE2ELNS1_11target_archE906ELNS1_3gpuE6ELNS1_3repE0EEENS1_30default_config_static_selectorELNS0_4arch9wavefront6targetE1EEEvSS_,comdat
	.protected	_ZN7rocprim17ROCPRIM_400000_NS6detail17trampoline_kernelINS0_14default_configENS1_27lower_bound_config_selectorIilEEZNS1_14transform_implILb0ES3_S5_N6thrust23THRUST_200600_302600_NS6detail15normal_iteratorINS8_7pointerIiNS8_11hip_rocprim5par_tENS8_11use_defaultESE_EEEENSA_INSB_IlSD_SE_SE_EEEEZNS1_13binary_searchIS3_S5_PiSG_SI_NS1_21lower_bound_search_opENS9_16wrapped_functionI11custom_lessbEEEE10hipError_tPvRmT1_T2_T3_mmT4_T5_P12ihipStream_tbEUlRKiE_EESP_ST_SU_mSV_SY_bEUlT_E_NS1_11comp_targetILNS1_3genE2ELNS1_11target_archE906ELNS1_3gpuE6ELNS1_3repE0EEENS1_30default_config_static_selectorELNS0_4arch9wavefront6targetE1EEEvSS_ ; -- Begin function _ZN7rocprim17ROCPRIM_400000_NS6detail17trampoline_kernelINS0_14default_configENS1_27lower_bound_config_selectorIilEEZNS1_14transform_implILb0ES3_S5_N6thrust23THRUST_200600_302600_NS6detail15normal_iteratorINS8_7pointerIiNS8_11hip_rocprim5par_tENS8_11use_defaultESE_EEEENSA_INSB_IlSD_SE_SE_EEEEZNS1_13binary_searchIS3_S5_PiSG_SI_NS1_21lower_bound_search_opENS9_16wrapped_functionI11custom_lessbEEEE10hipError_tPvRmT1_T2_T3_mmT4_T5_P12ihipStream_tbEUlRKiE_EESP_ST_SU_mSV_SY_bEUlT_E_NS1_11comp_targetILNS1_3genE2ELNS1_11target_archE906ELNS1_3gpuE6ELNS1_3repE0EEENS1_30default_config_static_selectorELNS0_4arch9wavefront6targetE1EEEvSS_
	.globl	_ZN7rocprim17ROCPRIM_400000_NS6detail17trampoline_kernelINS0_14default_configENS1_27lower_bound_config_selectorIilEEZNS1_14transform_implILb0ES3_S5_N6thrust23THRUST_200600_302600_NS6detail15normal_iteratorINS8_7pointerIiNS8_11hip_rocprim5par_tENS8_11use_defaultESE_EEEENSA_INSB_IlSD_SE_SE_EEEEZNS1_13binary_searchIS3_S5_PiSG_SI_NS1_21lower_bound_search_opENS9_16wrapped_functionI11custom_lessbEEEE10hipError_tPvRmT1_T2_T3_mmT4_T5_P12ihipStream_tbEUlRKiE_EESP_ST_SU_mSV_SY_bEUlT_E_NS1_11comp_targetILNS1_3genE2ELNS1_11target_archE906ELNS1_3gpuE6ELNS1_3repE0EEENS1_30default_config_static_selectorELNS0_4arch9wavefront6targetE1EEEvSS_
	.p2align	8
	.type	_ZN7rocprim17ROCPRIM_400000_NS6detail17trampoline_kernelINS0_14default_configENS1_27lower_bound_config_selectorIilEEZNS1_14transform_implILb0ES3_S5_N6thrust23THRUST_200600_302600_NS6detail15normal_iteratorINS8_7pointerIiNS8_11hip_rocprim5par_tENS8_11use_defaultESE_EEEENSA_INSB_IlSD_SE_SE_EEEEZNS1_13binary_searchIS3_S5_PiSG_SI_NS1_21lower_bound_search_opENS9_16wrapped_functionI11custom_lessbEEEE10hipError_tPvRmT1_T2_T3_mmT4_T5_P12ihipStream_tbEUlRKiE_EESP_ST_SU_mSV_SY_bEUlT_E_NS1_11comp_targetILNS1_3genE2ELNS1_11target_archE906ELNS1_3gpuE6ELNS1_3repE0EEENS1_30default_config_static_selectorELNS0_4arch9wavefront6targetE1EEEvSS_,@function
_ZN7rocprim17ROCPRIM_400000_NS6detail17trampoline_kernelINS0_14default_configENS1_27lower_bound_config_selectorIilEEZNS1_14transform_implILb0ES3_S5_N6thrust23THRUST_200600_302600_NS6detail15normal_iteratorINS8_7pointerIiNS8_11hip_rocprim5par_tENS8_11use_defaultESE_EEEENSA_INSB_IlSD_SE_SE_EEEEZNS1_13binary_searchIS3_S5_PiSG_SI_NS1_21lower_bound_search_opENS9_16wrapped_functionI11custom_lessbEEEE10hipError_tPvRmT1_T2_T3_mmT4_T5_P12ihipStream_tbEUlRKiE_EESP_ST_SU_mSV_SY_bEUlT_E_NS1_11comp_targetILNS1_3genE2ELNS1_11target_archE906ELNS1_3gpuE6ELNS1_3repE0EEENS1_30default_config_static_selectorELNS0_4arch9wavefront6targetE1EEEvSS_: ; @_ZN7rocprim17ROCPRIM_400000_NS6detail17trampoline_kernelINS0_14default_configENS1_27lower_bound_config_selectorIilEEZNS1_14transform_implILb0ES3_S5_N6thrust23THRUST_200600_302600_NS6detail15normal_iteratorINS8_7pointerIiNS8_11hip_rocprim5par_tENS8_11use_defaultESE_EEEENSA_INSB_IlSD_SE_SE_EEEEZNS1_13binary_searchIS3_S5_PiSG_SI_NS1_21lower_bound_search_opENS9_16wrapped_functionI11custom_lessbEEEE10hipError_tPvRmT1_T2_T3_mmT4_T5_P12ihipStream_tbEUlRKiE_EESP_ST_SU_mSV_SY_bEUlT_E_NS1_11comp_targetILNS1_3genE2ELNS1_11target_archE906ELNS1_3gpuE6ELNS1_3repE0EEENS1_30default_config_static_selectorELNS0_4arch9wavefront6targetE1EEEvSS_
; %bb.0:
	s_load_dwordx4 s[16:19], s[4:5], 0x0
	s_load_dwordx4 s[8:11], s[4:5], 0x18
	s_load_dwordx2 s[12:13], s[4:5], 0x28
	s_load_dword s15, s[4:5], 0x38
	s_waitcnt lgkmcnt(0)
	s_lshl_b64 s[0:1], s[18:19], 2
	s_add_u32 s2, s16, s0
	s_addc_u32 s3, s17, s1
	s_lshl_b64 s[0:1], s[18:19], 3
	s_add_u32 s7, s8, s0
	s_addc_u32 s14, s9, s1
	s_lshl_b32 s8, s6, 8
	s_add_i32 s15, s15, -1
	s_mov_b32 s9, 0
	s_cmp_lg_u32 s6, s15
	s_mov_b64 s[0:1], -1
	s_cbranch_scc0 .LBB127_7
; %bb.1:
	s_cmp_eq_u64 s[12:13], 0
	s_mov_b64 s[0:1], 0
	s_cbranch_scc1 .LBB127_5
; %bb.2:
	s_lshl_b64 s[16:17], s[8:9], 2
	s_add_u32 s6, s2, s16
	s_addc_u32 s15, s3, s17
	v_lshlrev_b32_e32 v1, 2, v0
	v_mov_b32_e32 v2, s15
	v_add_co_u32_e32 v1, vcc, s6, v1
	v_addc_co_u32_e32 v2, vcc, 0, v2, vcc
	flat_load_dword v5, v[1:2]
	v_mov_b32_e32 v1, 0
	v_mov_b32_e32 v3, s12
	;; [unrolled: 1-line block ×5, first 2 shown]
.LBB127_3:                              ; =>This Inner Loop Header: Depth=1
	v_sub_co_u32_e32 v7, vcc, v3, v1
	v_subb_co_u32_e32 v8, vcc, v4, v2, vcc
	v_lshrrev_b64 v[9:10], 1, v[7:8]
	v_lshrrev_b64 v[7:8], 6, v[7:8]
	v_add_co_u32_e32 v9, vcc, v9, v1
	v_addc_co_u32_e32 v10, vcc, v10, v2, vcc
	v_add_co_u32_e32 v7, vcc, v9, v7
	v_addc_co_u32_e32 v8, vcc, v10, v8, vcc
	v_lshlrev_b64 v[9:10], 2, v[7:8]
	v_add_co_u32_e32 v9, vcc, s10, v9
	v_addc_co_u32_e32 v10, vcc, v6, v10, vcc
	global_load_dword v9, v[9:10], off
	v_add_co_u32_e32 v10, vcc, 1, v7
	v_addc_co_u32_e32 v11, vcc, 0, v8, vcc
	s_waitcnt vmcnt(0) lgkmcnt(0)
	v_cmp_lt_i32_e32 vcc, v9, v5
	v_cndmask_b32_e32 v4, v8, v4, vcc
	v_cndmask_b32_e32 v3, v7, v3, vcc
	;; [unrolled: 1-line block ×4, first 2 shown]
	v_cmp_ge_u64_e32 vcc, v[1:2], v[3:4]
	s_or_b64 s[0:1], vcc, s[0:1]
	s_andn2_b64 exec, exec, s[0:1]
	s_cbranch_execnz .LBB127_3
; %bb.4:
	s_or_b64 exec, exec, s[0:1]
	s_branch .LBB127_6
.LBB127_5:
	v_mov_b32_e32 v1, 0
	v_mov_b32_e32 v2, 0
.LBB127_6:
	s_lshl_b64 s[0:1], s[8:9], 3
	s_add_u32 s0, s7, s0
	s_addc_u32 s1, s14, s1
	v_lshlrev_b32_e32 v3, 3, v0
	v_mov_b32_e32 v4, s1
	v_add_co_u32_e32 v3, vcc, s0, v3
	v_addc_co_u32_e32 v4, vcc, 0, v4, vcc
	s_mov_b64 s[0:1], 0
	flat_store_dwordx2 v[3:4], v[1:2]
.LBB127_7:
	s_and_b64 vcc, exec, s[0:1]
	s_cbranch_vccz .LBB127_16
; %bb.8:
	s_load_dword s0, s[4:5], 0x10
                                        ; implicit-def: $vgpr5
	s_waitcnt lgkmcnt(0)
	s_sub_i32 s4, s0, s8
	v_cmp_le_u32_e64 s[0:1], s4, v0
	v_cmp_gt_u32_e32 vcc, s4, v0
	s_and_saveexec_b64 s[4:5], vcc
	s_cbranch_execz .LBB127_10
; %bb.9:
	s_lshl_b64 s[16:17], s[8:9], 2
	s_add_u32 s2, s2, s16
	s_addc_u32 s3, s3, s17
	v_lshlrev_b32_e32 v1, 2, v0
	v_mov_b32_e32 v2, s3
	v_add_co_u32_e64 v1, s[2:3], s2, v1
	v_addc_co_u32_e64 v2, s[2:3], 0, v2, s[2:3]
	flat_load_dword v5, v[1:2]
.LBB127_10:
	s_or_b64 exec, exec, s[4:5]
	s_cmp_lg_u64 s[12:13], 0
	s_cselect_b64 s[4:5], -1, 0
	s_xor_b64 s[0:1], s[0:1], -1
	v_mov_b32_e32 v1, 0
	s_mov_b64 s[2:3], 0
	v_mov_b32_e32 v2, 0
	s_and_b64 s[0:1], s[0:1], s[4:5]
	s_and_saveexec_b64 s[4:5], s[0:1]
	s_cbranch_execz .LBB127_14
; %bb.11:
	v_mov_b32_e32 v1, 0
	v_mov_b32_e32 v3, s12
	;; [unrolled: 1-line block ×5, first 2 shown]
.LBB127_12:                             ; =>This Inner Loop Header: Depth=1
	v_sub_co_u32_e64 v7, s[0:1], v3, v1
	v_subb_co_u32_e64 v8, s[0:1], v4, v2, s[0:1]
	v_lshrrev_b64 v[9:10], 1, v[7:8]
	v_lshrrev_b64 v[7:8], 6, v[7:8]
	v_add_co_u32_e64 v9, s[0:1], v9, v1
	v_addc_co_u32_e64 v10, s[0:1], v10, v2, s[0:1]
	v_add_co_u32_e64 v7, s[0:1], v9, v7
	v_addc_co_u32_e64 v8, s[0:1], v10, v8, s[0:1]
	v_lshlrev_b64 v[9:10], 2, v[7:8]
	v_add_co_u32_e64 v9, s[0:1], s10, v9
	v_addc_co_u32_e64 v10, s[0:1], v6, v10, s[0:1]
	global_load_dword v9, v[9:10], off
	v_add_co_u32_e64 v10, s[0:1], 1, v7
	v_addc_co_u32_e64 v11, s[0:1], 0, v8, s[0:1]
	s_waitcnt vmcnt(0) lgkmcnt(0)
	v_cmp_lt_i32_e64 s[0:1], v9, v5
	v_cndmask_b32_e64 v4, v8, v4, s[0:1]
	v_cndmask_b32_e64 v3, v7, v3, s[0:1]
	;; [unrolled: 1-line block ×4, first 2 shown]
	v_cmp_ge_u64_e64 s[0:1], v[1:2], v[3:4]
	s_or_b64 s[2:3], s[0:1], s[2:3]
	s_andn2_b64 exec, exec, s[2:3]
	s_cbranch_execnz .LBB127_12
; %bb.13:
	s_or_b64 exec, exec, s[2:3]
.LBB127_14:
	s_or_b64 exec, exec, s[4:5]
	s_and_saveexec_b64 s[0:1], vcc
	s_cbranch_execz .LBB127_16
; %bb.15:
	s_lshl_b64 s[0:1], s[8:9], 3
	s_add_u32 s0, s7, s0
	s_addc_u32 s1, s14, s1
	v_lshlrev_b32_e32 v0, 3, v0
	v_mov_b32_e32 v4, s1
	v_add_co_u32_e32 v3, vcc, s0, v0
	v_addc_co_u32_e32 v4, vcc, 0, v4, vcc
	flat_store_dwordx2 v[3:4], v[1:2]
.LBB127_16:
	s_endpgm
	.section	.rodata,"a",@progbits
	.p2align	6, 0x0
	.amdhsa_kernel _ZN7rocprim17ROCPRIM_400000_NS6detail17trampoline_kernelINS0_14default_configENS1_27lower_bound_config_selectorIilEEZNS1_14transform_implILb0ES3_S5_N6thrust23THRUST_200600_302600_NS6detail15normal_iteratorINS8_7pointerIiNS8_11hip_rocprim5par_tENS8_11use_defaultESE_EEEENSA_INSB_IlSD_SE_SE_EEEEZNS1_13binary_searchIS3_S5_PiSG_SI_NS1_21lower_bound_search_opENS9_16wrapped_functionI11custom_lessbEEEE10hipError_tPvRmT1_T2_T3_mmT4_T5_P12ihipStream_tbEUlRKiE_EESP_ST_SU_mSV_SY_bEUlT_E_NS1_11comp_targetILNS1_3genE2ELNS1_11target_archE906ELNS1_3gpuE6ELNS1_3repE0EEENS1_30default_config_static_selectorELNS0_4arch9wavefront6targetE1EEEvSS_
		.amdhsa_group_segment_fixed_size 0
		.amdhsa_private_segment_fixed_size 0
		.amdhsa_kernarg_size 312
		.amdhsa_user_sgpr_count 6
		.amdhsa_user_sgpr_private_segment_buffer 1
		.amdhsa_user_sgpr_dispatch_ptr 0
		.amdhsa_user_sgpr_queue_ptr 0
		.amdhsa_user_sgpr_kernarg_segment_ptr 1
		.amdhsa_user_sgpr_dispatch_id 0
		.amdhsa_user_sgpr_flat_scratch_init 0
		.amdhsa_user_sgpr_private_segment_size 0
		.amdhsa_uses_dynamic_stack 0
		.amdhsa_system_sgpr_private_segment_wavefront_offset 0
		.amdhsa_system_sgpr_workgroup_id_x 1
		.amdhsa_system_sgpr_workgroup_id_y 0
		.amdhsa_system_sgpr_workgroup_id_z 0
		.amdhsa_system_sgpr_workgroup_info 0
		.amdhsa_system_vgpr_workitem_id 0
		.amdhsa_next_free_vgpr 12
		.amdhsa_next_free_sgpr 20
		.amdhsa_reserve_vcc 1
		.amdhsa_reserve_flat_scratch 0
		.amdhsa_float_round_mode_32 0
		.amdhsa_float_round_mode_16_64 0
		.amdhsa_float_denorm_mode_32 3
		.amdhsa_float_denorm_mode_16_64 3
		.amdhsa_dx10_clamp 1
		.amdhsa_ieee_mode 1
		.amdhsa_fp16_overflow 0
		.amdhsa_exception_fp_ieee_invalid_op 0
		.amdhsa_exception_fp_denorm_src 0
		.amdhsa_exception_fp_ieee_div_zero 0
		.amdhsa_exception_fp_ieee_overflow 0
		.amdhsa_exception_fp_ieee_underflow 0
		.amdhsa_exception_fp_ieee_inexact 0
		.amdhsa_exception_int_div_zero 0
	.end_amdhsa_kernel
	.section	.text._ZN7rocprim17ROCPRIM_400000_NS6detail17trampoline_kernelINS0_14default_configENS1_27lower_bound_config_selectorIilEEZNS1_14transform_implILb0ES3_S5_N6thrust23THRUST_200600_302600_NS6detail15normal_iteratorINS8_7pointerIiNS8_11hip_rocprim5par_tENS8_11use_defaultESE_EEEENSA_INSB_IlSD_SE_SE_EEEEZNS1_13binary_searchIS3_S5_PiSG_SI_NS1_21lower_bound_search_opENS9_16wrapped_functionI11custom_lessbEEEE10hipError_tPvRmT1_T2_T3_mmT4_T5_P12ihipStream_tbEUlRKiE_EESP_ST_SU_mSV_SY_bEUlT_E_NS1_11comp_targetILNS1_3genE2ELNS1_11target_archE906ELNS1_3gpuE6ELNS1_3repE0EEENS1_30default_config_static_selectorELNS0_4arch9wavefront6targetE1EEEvSS_,"axG",@progbits,_ZN7rocprim17ROCPRIM_400000_NS6detail17trampoline_kernelINS0_14default_configENS1_27lower_bound_config_selectorIilEEZNS1_14transform_implILb0ES3_S5_N6thrust23THRUST_200600_302600_NS6detail15normal_iteratorINS8_7pointerIiNS8_11hip_rocprim5par_tENS8_11use_defaultESE_EEEENSA_INSB_IlSD_SE_SE_EEEEZNS1_13binary_searchIS3_S5_PiSG_SI_NS1_21lower_bound_search_opENS9_16wrapped_functionI11custom_lessbEEEE10hipError_tPvRmT1_T2_T3_mmT4_T5_P12ihipStream_tbEUlRKiE_EESP_ST_SU_mSV_SY_bEUlT_E_NS1_11comp_targetILNS1_3genE2ELNS1_11target_archE906ELNS1_3gpuE6ELNS1_3repE0EEENS1_30default_config_static_selectorELNS0_4arch9wavefront6targetE1EEEvSS_,comdat
.Lfunc_end127:
	.size	_ZN7rocprim17ROCPRIM_400000_NS6detail17trampoline_kernelINS0_14default_configENS1_27lower_bound_config_selectorIilEEZNS1_14transform_implILb0ES3_S5_N6thrust23THRUST_200600_302600_NS6detail15normal_iteratorINS8_7pointerIiNS8_11hip_rocprim5par_tENS8_11use_defaultESE_EEEENSA_INSB_IlSD_SE_SE_EEEEZNS1_13binary_searchIS3_S5_PiSG_SI_NS1_21lower_bound_search_opENS9_16wrapped_functionI11custom_lessbEEEE10hipError_tPvRmT1_T2_T3_mmT4_T5_P12ihipStream_tbEUlRKiE_EESP_ST_SU_mSV_SY_bEUlT_E_NS1_11comp_targetILNS1_3genE2ELNS1_11target_archE906ELNS1_3gpuE6ELNS1_3repE0EEENS1_30default_config_static_selectorELNS0_4arch9wavefront6targetE1EEEvSS_, .Lfunc_end127-_ZN7rocprim17ROCPRIM_400000_NS6detail17trampoline_kernelINS0_14default_configENS1_27lower_bound_config_selectorIilEEZNS1_14transform_implILb0ES3_S5_N6thrust23THRUST_200600_302600_NS6detail15normal_iteratorINS8_7pointerIiNS8_11hip_rocprim5par_tENS8_11use_defaultESE_EEEENSA_INSB_IlSD_SE_SE_EEEEZNS1_13binary_searchIS3_S5_PiSG_SI_NS1_21lower_bound_search_opENS9_16wrapped_functionI11custom_lessbEEEE10hipError_tPvRmT1_T2_T3_mmT4_T5_P12ihipStream_tbEUlRKiE_EESP_ST_SU_mSV_SY_bEUlT_E_NS1_11comp_targetILNS1_3genE2ELNS1_11target_archE906ELNS1_3gpuE6ELNS1_3repE0EEENS1_30default_config_static_selectorELNS0_4arch9wavefront6targetE1EEEvSS_
                                        ; -- End function
	.set _ZN7rocprim17ROCPRIM_400000_NS6detail17trampoline_kernelINS0_14default_configENS1_27lower_bound_config_selectorIilEEZNS1_14transform_implILb0ES3_S5_N6thrust23THRUST_200600_302600_NS6detail15normal_iteratorINS8_7pointerIiNS8_11hip_rocprim5par_tENS8_11use_defaultESE_EEEENSA_INSB_IlSD_SE_SE_EEEEZNS1_13binary_searchIS3_S5_PiSG_SI_NS1_21lower_bound_search_opENS9_16wrapped_functionI11custom_lessbEEEE10hipError_tPvRmT1_T2_T3_mmT4_T5_P12ihipStream_tbEUlRKiE_EESP_ST_SU_mSV_SY_bEUlT_E_NS1_11comp_targetILNS1_3genE2ELNS1_11target_archE906ELNS1_3gpuE6ELNS1_3repE0EEENS1_30default_config_static_selectorELNS0_4arch9wavefront6targetE1EEEvSS_.num_vgpr, 12
	.set _ZN7rocprim17ROCPRIM_400000_NS6detail17trampoline_kernelINS0_14default_configENS1_27lower_bound_config_selectorIilEEZNS1_14transform_implILb0ES3_S5_N6thrust23THRUST_200600_302600_NS6detail15normal_iteratorINS8_7pointerIiNS8_11hip_rocprim5par_tENS8_11use_defaultESE_EEEENSA_INSB_IlSD_SE_SE_EEEEZNS1_13binary_searchIS3_S5_PiSG_SI_NS1_21lower_bound_search_opENS9_16wrapped_functionI11custom_lessbEEEE10hipError_tPvRmT1_T2_T3_mmT4_T5_P12ihipStream_tbEUlRKiE_EESP_ST_SU_mSV_SY_bEUlT_E_NS1_11comp_targetILNS1_3genE2ELNS1_11target_archE906ELNS1_3gpuE6ELNS1_3repE0EEENS1_30default_config_static_selectorELNS0_4arch9wavefront6targetE1EEEvSS_.num_agpr, 0
	.set _ZN7rocprim17ROCPRIM_400000_NS6detail17trampoline_kernelINS0_14default_configENS1_27lower_bound_config_selectorIilEEZNS1_14transform_implILb0ES3_S5_N6thrust23THRUST_200600_302600_NS6detail15normal_iteratorINS8_7pointerIiNS8_11hip_rocprim5par_tENS8_11use_defaultESE_EEEENSA_INSB_IlSD_SE_SE_EEEEZNS1_13binary_searchIS3_S5_PiSG_SI_NS1_21lower_bound_search_opENS9_16wrapped_functionI11custom_lessbEEEE10hipError_tPvRmT1_T2_T3_mmT4_T5_P12ihipStream_tbEUlRKiE_EESP_ST_SU_mSV_SY_bEUlT_E_NS1_11comp_targetILNS1_3genE2ELNS1_11target_archE906ELNS1_3gpuE6ELNS1_3repE0EEENS1_30default_config_static_selectorELNS0_4arch9wavefront6targetE1EEEvSS_.numbered_sgpr, 20
	.set _ZN7rocprim17ROCPRIM_400000_NS6detail17trampoline_kernelINS0_14default_configENS1_27lower_bound_config_selectorIilEEZNS1_14transform_implILb0ES3_S5_N6thrust23THRUST_200600_302600_NS6detail15normal_iteratorINS8_7pointerIiNS8_11hip_rocprim5par_tENS8_11use_defaultESE_EEEENSA_INSB_IlSD_SE_SE_EEEEZNS1_13binary_searchIS3_S5_PiSG_SI_NS1_21lower_bound_search_opENS9_16wrapped_functionI11custom_lessbEEEE10hipError_tPvRmT1_T2_T3_mmT4_T5_P12ihipStream_tbEUlRKiE_EESP_ST_SU_mSV_SY_bEUlT_E_NS1_11comp_targetILNS1_3genE2ELNS1_11target_archE906ELNS1_3gpuE6ELNS1_3repE0EEENS1_30default_config_static_selectorELNS0_4arch9wavefront6targetE1EEEvSS_.num_named_barrier, 0
	.set _ZN7rocprim17ROCPRIM_400000_NS6detail17trampoline_kernelINS0_14default_configENS1_27lower_bound_config_selectorIilEEZNS1_14transform_implILb0ES3_S5_N6thrust23THRUST_200600_302600_NS6detail15normal_iteratorINS8_7pointerIiNS8_11hip_rocprim5par_tENS8_11use_defaultESE_EEEENSA_INSB_IlSD_SE_SE_EEEEZNS1_13binary_searchIS3_S5_PiSG_SI_NS1_21lower_bound_search_opENS9_16wrapped_functionI11custom_lessbEEEE10hipError_tPvRmT1_T2_T3_mmT4_T5_P12ihipStream_tbEUlRKiE_EESP_ST_SU_mSV_SY_bEUlT_E_NS1_11comp_targetILNS1_3genE2ELNS1_11target_archE906ELNS1_3gpuE6ELNS1_3repE0EEENS1_30default_config_static_selectorELNS0_4arch9wavefront6targetE1EEEvSS_.private_seg_size, 0
	.set _ZN7rocprim17ROCPRIM_400000_NS6detail17trampoline_kernelINS0_14default_configENS1_27lower_bound_config_selectorIilEEZNS1_14transform_implILb0ES3_S5_N6thrust23THRUST_200600_302600_NS6detail15normal_iteratorINS8_7pointerIiNS8_11hip_rocprim5par_tENS8_11use_defaultESE_EEEENSA_INSB_IlSD_SE_SE_EEEEZNS1_13binary_searchIS3_S5_PiSG_SI_NS1_21lower_bound_search_opENS9_16wrapped_functionI11custom_lessbEEEE10hipError_tPvRmT1_T2_T3_mmT4_T5_P12ihipStream_tbEUlRKiE_EESP_ST_SU_mSV_SY_bEUlT_E_NS1_11comp_targetILNS1_3genE2ELNS1_11target_archE906ELNS1_3gpuE6ELNS1_3repE0EEENS1_30default_config_static_selectorELNS0_4arch9wavefront6targetE1EEEvSS_.uses_vcc, 1
	.set _ZN7rocprim17ROCPRIM_400000_NS6detail17trampoline_kernelINS0_14default_configENS1_27lower_bound_config_selectorIilEEZNS1_14transform_implILb0ES3_S5_N6thrust23THRUST_200600_302600_NS6detail15normal_iteratorINS8_7pointerIiNS8_11hip_rocprim5par_tENS8_11use_defaultESE_EEEENSA_INSB_IlSD_SE_SE_EEEEZNS1_13binary_searchIS3_S5_PiSG_SI_NS1_21lower_bound_search_opENS9_16wrapped_functionI11custom_lessbEEEE10hipError_tPvRmT1_T2_T3_mmT4_T5_P12ihipStream_tbEUlRKiE_EESP_ST_SU_mSV_SY_bEUlT_E_NS1_11comp_targetILNS1_3genE2ELNS1_11target_archE906ELNS1_3gpuE6ELNS1_3repE0EEENS1_30default_config_static_selectorELNS0_4arch9wavefront6targetE1EEEvSS_.uses_flat_scratch, 0
	.set _ZN7rocprim17ROCPRIM_400000_NS6detail17trampoline_kernelINS0_14default_configENS1_27lower_bound_config_selectorIilEEZNS1_14transform_implILb0ES3_S5_N6thrust23THRUST_200600_302600_NS6detail15normal_iteratorINS8_7pointerIiNS8_11hip_rocprim5par_tENS8_11use_defaultESE_EEEENSA_INSB_IlSD_SE_SE_EEEEZNS1_13binary_searchIS3_S5_PiSG_SI_NS1_21lower_bound_search_opENS9_16wrapped_functionI11custom_lessbEEEE10hipError_tPvRmT1_T2_T3_mmT4_T5_P12ihipStream_tbEUlRKiE_EESP_ST_SU_mSV_SY_bEUlT_E_NS1_11comp_targetILNS1_3genE2ELNS1_11target_archE906ELNS1_3gpuE6ELNS1_3repE0EEENS1_30default_config_static_selectorELNS0_4arch9wavefront6targetE1EEEvSS_.has_dyn_sized_stack, 0
	.set _ZN7rocprim17ROCPRIM_400000_NS6detail17trampoline_kernelINS0_14default_configENS1_27lower_bound_config_selectorIilEEZNS1_14transform_implILb0ES3_S5_N6thrust23THRUST_200600_302600_NS6detail15normal_iteratorINS8_7pointerIiNS8_11hip_rocprim5par_tENS8_11use_defaultESE_EEEENSA_INSB_IlSD_SE_SE_EEEEZNS1_13binary_searchIS3_S5_PiSG_SI_NS1_21lower_bound_search_opENS9_16wrapped_functionI11custom_lessbEEEE10hipError_tPvRmT1_T2_T3_mmT4_T5_P12ihipStream_tbEUlRKiE_EESP_ST_SU_mSV_SY_bEUlT_E_NS1_11comp_targetILNS1_3genE2ELNS1_11target_archE906ELNS1_3gpuE6ELNS1_3repE0EEENS1_30default_config_static_selectorELNS0_4arch9wavefront6targetE1EEEvSS_.has_recursion, 0
	.set _ZN7rocprim17ROCPRIM_400000_NS6detail17trampoline_kernelINS0_14default_configENS1_27lower_bound_config_selectorIilEEZNS1_14transform_implILb0ES3_S5_N6thrust23THRUST_200600_302600_NS6detail15normal_iteratorINS8_7pointerIiNS8_11hip_rocprim5par_tENS8_11use_defaultESE_EEEENSA_INSB_IlSD_SE_SE_EEEEZNS1_13binary_searchIS3_S5_PiSG_SI_NS1_21lower_bound_search_opENS9_16wrapped_functionI11custom_lessbEEEE10hipError_tPvRmT1_T2_T3_mmT4_T5_P12ihipStream_tbEUlRKiE_EESP_ST_SU_mSV_SY_bEUlT_E_NS1_11comp_targetILNS1_3genE2ELNS1_11target_archE906ELNS1_3gpuE6ELNS1_3repE0EEENS1_30default_config_static_selectorELNS0_4arch9wavefront6targetE1EEEvSS_.has_indirect_call, 0
	.section	.AMDGPU.csdata,"",@progbits
; Kernel info:
; codeLenInByte = 700
; TotalNumSgprs: 24
; NumVgprs: 12
; ScratchSize: 0
; MemoryBound: 0
; FloatMode: 240
; IeeeMode: 1
; LDSByteSize: 0 bytes/workgroup (compile time only)
; SGPRBlocks: 2
; VGPRBlocks: 2
; NumSGPRsForWavesPerEU: 24
; NumVGPRsForWavesPerEU: 12
; Occupancy: 10
; WaveLimiterHint : 0
; COMPUTE_PGM_RSRC2:SCRATCH_EN: 0
; COMPUTE_PGM_RSRC2:USER_SGPR: 6
; COMPUTE_PGM_RSRC2:TRAP_HANDLER: 0
; COMPUTE_PGM_RSRC2:TGID_X_EN: 1
; COMPUTE_PGM_RSRC2:TGID_Y_EN: 0
; COMPUTE_PGM_RSRC2:TGID_Z_EN: 0
; COMPUTE_PGM_RSRC2:TIDIG_COMP_CNT: 0
	.section	.text._ZN7rocprim17ROCPRIM_400000_NS6detail17trampoline_kernelINS0_14default_configENS1_27lower_bound_config_selectorIilEEZNS1_14transform_implILb0ES3_S5_N6thrust23THRUST_200600_302600_NS6detail15normal_iteratorINS8_7pointerIiNS8_11hip_rocprim5par_tENS8_11use_defaultESE_EEEENSA_INSB_IlSD_SE_SE_EEEEZNS1_13binary_searchIS3_S5_PiSG_SI_NS1_21lower_bound_search_opENS9_16wrapped_functionI11custom_lessbEEEE10hipError_tPvRmT1_T2_T3_mmT4_T5_P12ihipStream_tbEUlRKiE_EESP_ST_SU_mSV_SY_bEUlT_E_NS1_11comp_targetILNS1_3genE10ELNS1_11target_archE1201ELNS1_3gpuE5ELNS1_3repE0EEENS1_30default_config_static_selectorELNS0_4arch9wavefront6targetE1EEEvSS_,"axG",@progbits,_ZN7rocprim17ROCPRIM_400000_NS6detail17trampoline_kernelINS0_14default_configENS1_27lower_bound_config_selectorIilEEZNS1_14transform_implILb0ES3_S5_N6thrust23THRUST_200600_302600_NS6detail15normal_iteratorINS8_7pointerIiNS8_11hip_rocprim5par_tENS8_11use_defaultESE_EEEENSA_INSB_IlSD_SE_SE_EEEEZNS1_13binary_searchIS3_S5_PiSG_SI_NS1_21lower_bound_search_opENS9_16wrapped_functionI11custom_lessbEEEE10hipError_tPvRmT1_T2_T3_mmT4_T5_P12ihipStream_tbEUlRKiE_EESP_ST_SU_mSV_SY_bEUlT_E_NS1_11comp_targetILNS1_3genE10ELNS1_11target_archE1201ELNS1_3gpuE5ELNS1_3repE0EEENS1_30default_config_static_selectorELNS0_4arch9wavefront6targetE1EEEvSS_,comdat
	.protected	_ZN7rocprim17ROCPRIM_400000_NS6detail17trampoline_kernelINS0_14default_configENS1_27lower_bound_config_selectorIilEEZNS1_14transform_implILb0ES3_S5_N6thrust23THRUST_200600_302600_NS6detail15normal_iteratorINS8_7pointerIiNS8_11hip_rocprim5par_tENS8_11use_defaultESE_EEEENSA_INSB_IlSD_SE_SE_EEEEZNS1_13binary_searchIS3_S5_PiSG_SI_NS1_21lower_bound_search_opENS9_16wrapped_functionI11custom_lessbEEEE10hipError_tPvRmT1_T2_T3_mmT4_T5_P12ihipStream_tbEUlRKiE_EESP_ST_SU_mSV_SY_bEUlT_E_NS1_11comp_targetILNS1_3genE10ELNS1_11target_archE1201ELNS1_3gpuE5ELNS1_3repE0EEENS1_30default_config_static_selectorELNS0_4arch9wavefront6targetE1EEEvSS_ ; -- Begin function _ZN7rocprim17ROCPRIM_400000_NS6detail17trampoline_kernelINS0_14default_configENS1_27lower_bound_config_selectorIilEEZNS1_14transform_implILb0ES3_S5_N6thrust23THRUST_200600_302600_NS6detail15normal_iteratorINS8_7pointerIiNS8_11hip_rocprim5par_tENS8_11use_defaultESE_EEEENSA_INSB_IlSD_SE_SE_EEEEZNS1_13binary_searchIS3_S5_PiSG_SI_NS1_21lower_bound_search_opENS9_16wrapped_functionI11custom_lessbEEEE10hipError_tPvRmT1_T2_T3_mmT4_T5_P12ihipStream_tbEUlRKiE_EESP_ST_SU_mSV_SY_bEUlT_E_NS1_11comp_targetILNS1_3genE10ELNS1_11target_archE1201ELNS1_3gpuE5ELNS1_3repE0EEENS1_30default_config_static_selectorELNS0_4arch9wavefront6targetE1EEEvSS_
	.globl	_ZN7rocprim17ROCPRIM_400000_NS6detail17trampoline_kernelINS0_14default_configENS1_27lower_bound_config_selectorIilEEZNS1_14transform_implILb0ES3_S5_N6thrust23THRUST_200600_302600_NS6detail15normal_iteratorINS8_7pointerIiNS8_11hip_rocprim5par_tENS8_11use_defaultESE_EEEENSA_INSB_IlSD_SE_SE_EEEEZNS1_13binary_searchIS3_S5_PiSG_SI_NS1_21lower_bound_search_opENS9_16wrapped_functionI11custom_lessbEEEE10hipError_tPvRmT1_T2_T3_mmT4_T5_P12ihipStream_tbEUlRKiE_EESP_ST_SU_mSV_SY_bEUlT_E_NS1_11comp_targetILNS1_3genE10ELNS1_11target_archE1201ELNS1_3gpuE5ELNS1_3repE0EEENS1_30default_config_static_selectorELNS0_4arch9wavefront6targetE1EEEvSS_
	.p2align	8
	.type	_ZN7rocprim17ROCPRIM_400000_NS6detail17trampoline_kernelINS0_14default_configENS1_27lower_bound_config_selectorIilEEZNS1_14transform_implILb0ES3_S5_N6thrust23THRUST_200600_302600_NS6detail15normal_iteratorINS8_7pointerIiNS8_11hip_rocprim5par_tENS8_11use_defaultESE_EEEENSA_INSB_IlSD_SE_SE_EEEEZNS1_13binary_searchIS3_S5_PiSG_SI_NS1_21lower_bound_search_opENS9_16wrapped_functionI11custom_lessbEEEE10hipError_tPvRmT1_T2_T3_mmT4_T5_P12ihipStream_tbEUlRKiE_EESP_ST_SU_mSV_SY_bEUlT_E_NS1_11comp_targetILNS1_3genE10ELNS1_11target_archE1201ELNS1_3gpuE5ELNS1_3repE0EEENS1_30default_config_static_selectorELNS0_4arch9wavefront6targetE1EEEvSS_,@function
_ZN7rocprim17ROCPRIM_400000_NS6detail17trampoline_kernelINS0_14default_configENS1_27lower_bound_config_selectorIilEEZNS1_14transform_implILb0ES3_S5_N6thrust23THRUST_200600_302600_NS6detail15normal_iteratorINS8_7pointerIiNS8_11hip_rocprim5par_tENS8_11use_defaultESE_EEEENSA_INSB_IlSD_SE_SE_EEEEZNS1_13binary_searchIS3_S5_PiSG_SI_NS1_21lower_bound_search_opENS9_16wrapped_functionI11custom_lessbEEEE10hipError_tPvRmT1_T2_T3_mmT4_T5_P12ihipStream_tbEUlRKiE_EESP_ST_SU_mSV_SY_bEUlT_E_NS1_11comp_targetILNS1_3genE10ELNS1_11target_archE1201ELNS1_3gpuE5ELNS1_3repE0EEENS1_30default_config_static_selectorELNS0_4arch9wavefront6targetE1EEEvSS_: ; @_ZN7rocprim17ROCPRIM_400000_NS6detail17trampoline_kernelINS0_14default_configENS1_27lower_bound_config_selectorIilEEZNS1_14transform_implILb0ES3_S5_N6thrust23THRUST_200600_302600_NS6detail15normal_iteratorINS8_7pointerIiNS8_11hip_rocprim5par_tENS8_11use_defaultESE_EEEENSA_INSB_IlSD_SE_SE_EEEEZNS1_13binary_searchIS3_S5_PiSG_SI_NS1_21lower_bound_search_opENS9_16wrapped_functionI11custom_lessbEEEE10hipError_tPvRmT1_T2_T3_mmT4_T5_P12ihipStream_tbEUlRKiE_EESP_ST_SU_mSV_SY_bEUlT_E_NS1_11comp_targetILNS1_3genE10ELNS1_11target_archE1201ELNS1_3gpuE5ELNS1_3repE0EEENS1_30default_config_static_selectorELNS0_4arch9wavefront6targetE1EEEvSS_
; %bb.0:
	.section	.rodata,"a",@progbits
	.p2align	6, 0x0
	.amdhsa_kernel _ZN7rocprim17ROCPRIM_400000_NS6detail17trampoline_kernelINS0_14default_configENS1_27lower_bound_config_selectorIilEEZNS1_14transform_implILb0ES3_S5_N6thrust23THRUST_200600_302600_NS6detail15normal_iteratorINS8_7pointerIiNS8_11hip_rocprim5par_tENS8_11use_defaultESE_EEEENSA_INSB_IlSD_SE_SE_EEEEZNS1_13binary_searchIS3_S5_PiSG_SI_NS1_21lower_bound_search_opENS9_16wrapped_functionI11custom_lessbEEEE10hipError_tPvRmT1_T2_T3_mmT4_T5_P12ihipStream_tbEUlRKiE_EESP_ST_SU_mSV_SY_bEUlT_E_NS1_11comp_targetILNS1_3genE10ELNS1_11target_archE1201ELNS1_3gpuE5ELNS1_3repE0EEENS1_30default_config_static_selectorELNS0_4arch9wavefront6targetE1EEEvSS_
		.amdhsa_group_segment_fixed_size 0
		.amdhsa_private_segment_fixed_size 0
		.amdhsa_kernarg_size 56
		.amdhsa_user_sgpr_count 6
		.amdhsa_user_sgpr_private_segment_buffer 1
		.amdhsa_user_sgpr_dispatch_ptr 0
		.amdhsa_user_sgpr_queue_ptr 0
		.amdhsa_user_sgpr_kernarg_segment_ptr 1
		.amdhsa_user_sgpr_dispatch_id 0
		.amdhsa_user_sgpr_flat_scratch_init 0
		.amdhsa_user_sgpr_private_segment_size 0
		.amdhsa_uses_dynamic_stack 0
		.amdhsa_system_sgpr_private_segment_wavefront_offset 0
		.amdhsa_system_sgpr_workgroup_id_x 1
		.amdhsa_system_sgpr_workgroup_id_y 0
		.amdhsa_system_sgpr_workgroup_id_z 0
		.amdhsa_system_sgpr_workgroup_info 0
		.amdhsa_system_vgpr_workitem_id 0
		.amdhsa_next_free_vgpr 1
		.amdhsa_next_free_sgpr 0
		.amdhsa_reserve_vcc 0
		.amdhsa_reserve_flat_scratch 0
		.amdhsa_float_round_mode_32 0
		.amdhsa_float_round_mode_16_64 0
		.amdhsa_float_denorm_mode_32 3
		.amdhsa_float_denorm_mode_16_64 3
		.amdhsa_dx10_clamp 1
		.amdhsa_ieee_mode 1
		.amdhsa_fp16_overflow 0
		.amdhsa_exception_fp_ieee_invalid_op 0
		.amdhsa_exception_fp_denorm_src 0
		.amdhsa_exception_fp_ieee_div_zero 0
		.amdhsa_exception_fp_ieee_overflow 0
		.amdhsa_exception_fp_ieee_underflow 0
		.amdhsa_exception_fp_ieee_inexact 0
		.amdhsa_exception_int_div_zero 0
	.end_amdhsa_kernel
	.section	.text._ZN7rocprim17ROCPRIM_400000_NS6detail17trampoline_kernelINS0_14default_configENS1_27lower_bound_config_selectorIilEEZNS1_14transform_implILb0ES3_S5_N6thrust23THRUST_200600_302600_NS6detail15normal_iteratorINS8_7pointerIiNS8_11hip_rocprim5par_tENS8_11use_defaultESE_EEEENSA_INSB_IlSD_SE_SE_EEEEZNS1_13binary_searchIS3_S5_PiSG_SI_NS1_21lower_bound_search_opENS9_16wrapped_functionI11custom_lessbEEEE10hipError_tPvRmT1_T2_T3_mmT4_T5_P12ihipStream_tbEUlRKiE_EESP_ST_SU_mSV_SY_bEUlT_E_NS1_11comp_targetILNS1_3genE10ELNS1_11target_archE1201ELNS1_3gpuE5ELNS1_3repE0EEENS1_30default_config_static_selectorELNS0_4arch9wavefront6targetE1EEEvSS_,"axG",@progbits,_ZN7rocprim17ROCPRIM_400000_NS6detail17trampoline_kernelINS0_14default_configENS1_27lower_bound_config_selectorIilEEZNS1_14transform_implILb0ES3_S5_N6thrust23THRUST_200600_302600_NS6detail15normal_iteratorINS8_7pointerIiNS8_11hip_rocprim5par_tENS8_11use_defaultESE_EEEENSA_INSB_IlSD_SE_SE_EEEEZNS1_13binary_searchIS3_S5_PiSG_SI_NS1_21lower_bound_search_opENS9_16wrapped_functionI11custom_lessbEEEE10hipError_tPvRmT1_T2_T3_mmT4_T5_P12ihipStream_tbEUlRKiE_EESP_ST_SU_mSV_SY_bEUlT_E_NS1_11comp_targetILNS1_3genE10ELNS1_11target_archE1201ELNS1_3gpuE5ELNS1_3repE0EEENS1_30default_config_static_selectorELNS0_4arch9wavefront6targetE1EEEvSS_,comdat
.Lfunc_end128:
	.size	_ZN7rocprim17ROCPRIM_400000_NS6detail17trampoline_kernelINS0_14default_configENS1_27lower_bound_config_selectorIilEEZNS1_14transform_implILb0ES3_S5_N6thrust23THRUST_200600_302600_NS6detail15normal_iteratorINS8_7pointerIiNS8_11hip_rocprim5par_tENS8_11use_defaultESE_EEEENSA_INSB_IlSD_SE_SE_EEEEZNS1_13binary_searchIS3_S5_PiSG_SI_NS1_21lower_bound_search_opENS9_16wrapped_functionI11custom_lessbEEEE10hipError_tPvRmT1_T2_T3_mmT4_T5_P12ihipStream_tbEUlRKiE_EESP_ST_SU_mSV_SY_bEUlT_E_NS1_11comp_targetILNS1_3genE10ELNS1_11target_archE1201ELNS1_3gpuE5ELNS1_3repE0EEENS1_30default_config_static_selectorELNS0_4arch9wavefront6targetE1EEEvSS_, .Lfunc_end128-_ZN7rocprim17ROCPRIM_400000_NS6detail17trampoline_kernelINS0_14default_configENS1_27lower_bound_config_selectorIilEEZNS1_14transform_implILb0ES3_S5_N6thrust23THRUST_200600_302600_NS6detail15normal_iteratorINS8_7pointerIiNS8_11hip_rocprim5par_tENS8_11use_defaultESE_EEEENSA_INSB_IlSD_SE_SE_EEEEZNS1_13binary_searchIS3_S5_PiSG_SI_NS1_21lower_bound_search_opENS9_16wrapped_functionI11custom_lessbEEEE10hipError_tPvRmT1_T2_T3_mmT4_T5_P12ihipStream_tbEUlRKiE_EESP_ST_SU_mSV_SY_bEUlT_E_NS1_11comp_targetILNS1_3genE10ELNS1_11target_archE1201ELNS1_3gpuE5ELNS1_3repE0EEENS1_30default_config_static_selectorELNS0_4arch9wavefront6targetE1EEEvSS_
                                        ; -- End function
	.set _ZN7rocprim17ROCPRIM_400000_NS6detail17trampoline_kernelINS0_14default_configENS1_27lower_bound_config_selectorIilEEZNS1_14transform_implILb0ES3_S5_N6thrust23THRUST_200600_302600_NS6detail15normal_iteratorINS8_7pointerIiNS8_11hip_rocprim5par_tENS8_11use_defaultESE_EEEENSA_INSB_IlSD_SE_SE_EEEEZNS1_13binary_searchIS3_S5_PiSG_SI_NS1_21lower_bound_search_opENS9_16wrapped_functionI11custom_lessbEEEE10hipError_tPvRmT1_T2_T3_mmT4_T5_P12ihipStream_tbEUlRKiE_EESP_ST_SU_mSV_SY_bEUlT_E_NS1_11comp_targetILNS1_3genE10ELNS1_11target_archE1201ELNS1_3gpuE5ELNS1_3repE0EEENS1_30default_config_static_selectorELNS0_4arch9wavefront6targetE1EEEvSS_.num_vgpr, 0
	.set _ZN7rocprim17ROCPRIM_400000_NS6detail17trampoline_kernelINS0_14default_configENS1_27lower_bound_config_selectorIilEEZNS1_14transform_implILb0ES3_S5_N6thrust23THRUST_200600_302600_NS6detail15normal_iteratorINS8_7pointerIiNS8_11hip_rocprim5par_tENS8_11use_defaultESE_EEEENSA_INSB_IlSD_SE_SE_EEEEZNS1_13binary_searchIS3_S5_PiSG_SI_NS1_21lower_bound_search_opENS9_16wrapped_functionI11custom_lessbEEEE10hipError_tPvRmT1_T2_T3_mmT4_T5_P12ihipStream_tbEUlRKiE_EESP_ST_SU_mSV_SY_bEUlT_E_NS1_11comp_targetILNS1_3genE10ELNS1_11target_archE1201ELNS1_3gpuE5ELNS1_3repE0EEENS1_30default_config_static_selectorELNS0_4arch9wavefront6targetE1EEEvSS_.num_agpr, 0
	.set _ZN7rocprim17ROCPRIM_400000_NS6detail17trampoline_kernelINS0_14default_configENS1_27lower_bound_config_selectorIilEEZNS1_14transform_implILb0ES3_S5_N6thrust23THRUST_200600_302600_NS6detail15normal_iteratorINS8_7pointerIiNS8_11hip_rocprim5par_tENS8_11use_defaultESE_EEEENSA_INSB_IlSD_SE_SE_EEEEZNS1_13binary_searchIS3_S5_PiSG_SI_NS1_21lower_bound_search_opENS9_16wrapped_functionI11custom_lessbEEEE10hipError_tPvRmT1_T2_T3_mmT4_T5_P12ihipStream_tbEUlRKiE_EESP_ST_SU_mSV_SY_bEUlT_E_NS1_11comp_targetILNS1_3genE10ELNS1_11target_archE1201ELNS1_3gpuE5ELNS1_3repE0EEENS1_30default_config_static_selectorELNS0_4arch9wavefront6targetE1EEEvSS_.numbered_sgpr, 0
	.set _ZN7rocprim17ROCPRIM_400000_NS6detail17trampoline_kernelINS0_14default_configENS1_27lower_bound_config_selectorIilEEZNS1_14transform_implILb0ES3_S5_N6thrust23THRUST_200600_302600_NS6detail15normal_iteratorINS8_7pointerIiNS8_11hip_rocprim5par_tENS8_11use_defaultESE_EEEENSA_INSB_IlSD_SE_SE_EEEEZNS1_13binary_searchIS3_S5_PiSG_SI_NS1_21lower_bound_search_opENS9_16wrapped_functionI11custom_lessbEEEE10hipError_tPvRmT1_T2_T3_mmT4_T5_P12ihipStream_tbEUlRKiE_EESP_ST_SU_mSV_SY_bEUlT_E_NS1_11comp_targetILNS1_3genE10ELNS1_11target_archE1201ELNS1_3gpuE5ELNS1_3repE0EEENS1_30default_config_static_selectorELNS0_4arch9wavefront6targetE1EEEvSS_.num_named_barrier, 0
	.set _ZN7rocprim17ROCPRIM_400000_NS6detail17trampoline_kernelINS0_14default_configENS1_27lower_bound_config_selectorIilEEZNS1_14transform_implILb0ES3_S5_N6thrust23THRUST_200600_302600_NS6detail15normal_iteratorINS8_7pointerIiNS8_11hip_rocprim5par_tENS8_11use_defaultESE_EEEENSA_INSB_IlSD_SE_SE_EEEEZNS1_13binary_searchIS3_S5_PiSG_SI_NS1_21lower_bound_search_opENS9_16wrapped_functionI11custom_lessbEEEE10hipError_tPvRmT1_T2_T3_mmT4_T5_P12ihipStream_tbEUlRKiE_EESP_ST_SU_mSV_SY_bEUlT_E_NS1_11comp_targetILNS1_3genE10ELNS1_11target_archE1201ELNS1_3gpuE5ELNS1_3repE0EEENS1_30default_config_static_selectorELNS0_4arch9wavefront6targetE1EEEvSS_.private_seg_size, 0
	.set _ZN7rocprim17ROCPRIM_400000_NS6detail17trampoline_kernelINS0_14default_configENS1_27lower_bound_config_selectorIilEEZNS1_14transform_implILb0ES3_S5_N6thrust23THRUST_200600_302600_NS6detail15normal_iteratorINS8_7pointerIiNS8_11hip_rocprim5par_tENS8_11use_defaultESE_EEEENSA_INSB_IlSD_SE_SE_EEEEZNS1_13binary_searchIS3_S5_PiSG_SI_NS1_21lower_bound_search_opENS9_16wrapped_functionI11custom_lessbEEEE10hipError_tPvRmT1_T2_T3_mmT4_T5_P12ihipStream_tbEUlRKiE_EESP_ST_SU_mSV_SY_bEUlT_E_NS1_11comp_targetILNS1_3genE10ELNS1_11target_archE1201ELNS1_3gpuE5ELNS1_3repE0EEENS1_30default_config_static_selectorELNS0_4arch9wavefront6targetE1EEEvSS_.uses_vcc, 0
	.set _ZN7rocprim17ROCPRIM_400000_NS6detail17trampoline_kernelINS0_14default_configENS1_27lower_bound_config_selectorIilEEZNS1_14transform_implILb0ES3_S5_N6thrust23THRUST_200600_302600_NS6detail15normal_iteratorINS8_7pointerIiNS8_11hip_rocprim5par_tENS8_11use_defaultESE_EEEENSA_INSB_IlSD_SE_SE_EEEEZNS1_13binary_searchIS3_S5_PiSG_SI_NS1_21lower_bound_search_opENS9_16wrapped_functionI11custom_lessbEEEE10hipError_tPvRmT1_T2_T3_mmT4_T5_P12ihipStream_tbEUlRKiE_EESP_ST_SU_mSV_SY_bEUlT_E_NS1_11comp_targetILNS1_3genE10ELNS1_11target_archE1201ELNS1_3gpuE5ELNS1_3repE0EEENS1_30default_config_static_selectorELNS0_4arch9wavefront6targetE1EEEvSS_.uses_flat_scratch, 0
	.set _ZN7rocprim17ROCPRIM_400000_NS6detail17trampoline_kernelINS0_14default_configENS1_27lower_bound_config_selectorIilEEZNS1_14transform_implILb0ES3_S5_N6thrust23THRUST_200600_302600_NS6detail15normal_iteratorINS8_7pointerIiNS8_11hip_rocprim5par_tENS8_11use_defaultESE_EEEENSA_INSB_IlSD_SE_SE_EEEEZNS1_13binary_searchIS3_S5_PiSG_SI_NS1_21lower_bound_search_opENS9_16wrapped_functionI11custom_lessbEEEE10hipError_tPvRmT1_T2_T3_mmT4_T5_P12ihipStream_tbEUlRKiE_EESP_ST_SU_mSV_SY_bEUlT_E_NS1_11comp_targetILNS1_3genE10ELNS1_11target_archE1201ELNS1_3gpuE5ELNS1_3repE0EEENS1_30default_config_static_selectorELNS0_4arch9wavefront6targetE1EEEvSS_.has_dyn_sized_stack, 0
	.set _ZN7rocprim17ROCPRIM_400000_NS6detail17trampoline_kernelINS0_14default_configENS1_27lower_bound_config_selectorIilEEZNS1_14transform_implILb0ES3_S5_N6thrust23THRUST_200600_302600_NS6detail15normal_iteratorINS8_7pointerIiNS8_11hip_rocprim5par_tENS8_11use_defaultESE_EEEENSA_INSB_IlSD_SE_SE_EEEEZNS1_13binary_searchIS3_S5_PiSG_SI_NS1_21lower_bound_search_opENS9_16wrapped_functionI11custom_lessbEEEE10hipError_tPvRmT1_T2_T3_mmT4_T5_P12ihipStream_tbEUlRKiE_EESP_ST_SU_mSV_SY_bEUlT_E_NS1_11comp_targetILNS1_3genE10ELNS1_11target_archE1201ELNS1_3gpuE5ELNS1_3repE0EEENS1_30default_config_static_selectorELNS0_4arch9wavefront6targetE1EEEvSS_.has_recursion, 0
	.set _ZN7rocprim17ROCPRIM_400000_NS6detail17trampoline_kernelINS0_14default_configENS1_27lower_bound_config_selectorIilEEZNS1_14transform_implILb0ES3_S5_N6thrust23THRUST_200600_302600_NS6detail15normal_iteratorINS8_7pointerIiNS8_11hip_rocprim5par_tENS8_11use_defaultESE_EEEENSA_INSB_IlSD_SE_SE_EEEEZNS1_13binary_searchIS3_S5_PiSG_SI_NS1_21lower_bound_search_opENS9_16wrapped_functionI11custom_lessbEEEE10hipError_tPvRmT1_T2_T3_mmT4_T5_P12ihipStream_tbEUlRKiE_EESP_ST_SU_mSV_SY_bEUlT_E_NS1_11comp_targetILNS1_3genE10ELNS1_11target_archE1201ELNS1_3gpuE5ELNS1_3repE0EEENS1_30default_config_static_selectorELNS0_4arch9wavefront6targetE1EEEvSS_.has_indirect_call, 0
	.section	.AMDGPU.csdata,"",@progbits
; Kernel info:
; codeLenInByte = 0
; TotalNumSgprs: 4
; NumVgprs: 0
; ScratchSize: 0
; MemoryBound: 0
; FloatMode: 240
; IeeeMode: 1
; LDSByteSize: 0 bytes/workgroup (compile time only)
; SGPRBlocks: 0
; VGPRBlocks: 0
; NumSGPRsForWavesPerEU: 4
; NumVGPRsForWavesPerEU: 1
; Occupancy: 10
; WaveLimiterHint : 0
; COMPUTE_PGM_RSRC2:SCRATCH_EN: 0
; COMPUTE_PGM_RSRC2:USER_SGPR: 6
; COMPUTE_PGM_RSRC2:TRAP_HANDLER: 0
; COMPUTE_PGM_RSRC2:TGID_X_EN: 1
; COMPUTE_PGM_RSRC2:TGID_Y_EN: 0
; COMPUTE_PGM_RSRC2:TGID_Z_EN: 0
; COMPUTE_PGM_RSRC2:TIDIG_COMP_CNT: 0
	.section	.text._ZN7rocprim17ROCPRIM_400000_NS6detail17trampoline_kernelINS0_14default_configENS1_27lower_bound_config_selectorIilEEZNS1_14transform_implILb0ES3_S5_N6thrust23THRUST_200600_302600_NS6detail15normal_iteratorINS8_7pointerIiNS8_11hip_rocprim5par_tENS8_11use_defaultESE_EEEENSA_INSB_IlSD_SE_SE_EEEEZNS1_13binary_searchIS3_S5_PiSG_SI_NS1_21lower_bound_search_opENS9_16wrapped_functionI11custom_lessbEEEE10hipError_tPvRmT1_T2_T3_mmT4_T5_P12ihipStream_tbEUlRKiE_EESP_ST_SU_mSV_SY_bEUlT_E_NS1_11comp_targetILNS1_3genE10ELNS1_11target_archE1200ELNS1_3gpuE4ELNS1_3repE0EEENS1_30default_config_static_selectorELNS0_4arch9wavefront6targetE1EEEvSS_,"axG",@progbits,_ZN7rocprim17ROCPRIM_400000_NS6detail17trampoline_kernelINS0_14default_configENS1_27lower_bound_config_selectorIilEEZNS1_14transform_implILb0ES3_S5_N6thrust23THRUST_200600_302600_NS6detail15normal_iteratorINS8_7pointerIiNS8_11hip_rocprim5par_tENS8_11use_defaultESE_EEEENSA_INSB_IlSD_SE_SE_EEEEZNS1_13binary_searchIS3_S5_PiSG_SI_NS1_21lower_bound_search_opENS9_16wrapped_functionI11custom_lessbEEEE10hipError_tPvRmT1_T2_T3_mmT4_T5_P12ihipStream_tbEUlRKiE_EESP_ST_SU_mSV_SY_bEUlT_E_NS1_11comp_targetILNS1_3genE10ELNS1_11target_archE1200ELNS1_3gpuE4ELNS1_3repE0EEENS1_30default_config_static_selectorELNS0_4arch9wavefront6targetE1EEEvSS_,comdat
	.protected	_ZN7rocprim17ROCPRIM_400000_NS6detail17trampoline_kernelINS0_14default_configENS1_27lower_bound_config_selectorIilEEZNS1_14transform_implILb0ES3_S5_N6thrust23THRUST_200600_302600_NS6detail15normal_iteratorINS8_7pointerIiNS8_11hip_rocprim5par_tENS8_11use_defaultESE_EEEENSA_INSB_IlSD_SE_SE_EEEEZNS1_13binary_searchIS3_S5_PiSG_SI_NS1_21lower_bound_search_opENS9_16wrapped_functionI11custom_lessbEEEE10hipError_tPvRmT1_T2_T3_mmT4_T5_P12ihipStream_tbEUlRKiE_EESP_ST_SU_mSV_SY_bEUlT_E_NS1_11comp_targetILNS1_3genE10ELNS1_11target_archE1200ELNS1_3gpuE4ELNS1_3repE0EEENS1_30default_config_static_selectorELNS0_4arch9wavefront6targetE1EEEvSS_ ; -- Begin function _ZN7rocprim17ROCPRIM_400000_NS6detail17trampoline_kernelINS0_14default_configENS1_27lower_bound_config_selectorIilEEZNS1_14transform_implILb0ES3_S5_N6thrust23THRUST_200600_302600_NS6detail15normal_iteratorINS8_7pointerIiNS8_11hip_rocprim5par_tENS8_11use_defaultESE_EEEENSA_INSB_IlSD_SE_SE_EEEEZNS1_13binary_searchIS3_S5_PiSG_SI_NS1_21lower_bound_search_opENS9_16wrapped_functionI11custom_lessbEEEE10hipError_tPvRmT1_T2_T3_mmT4_T5_P12ihipStream_tbEUlRKiE_EESP_ST_SU_mSV_SY_bEUlT_E_NS1_11comp_targetILNS1_3genE10ELNS1_11target_archE1200ELNS1_3gpuE4ELNS1_3repE0EEENS1_30default_config_static_selectorELNS0_4arch9wavefront6targetE1EEEvSS_
	.globl	_ZN7rocprim17ROCPRIM_400000_NS6detail17trampoline_kernelINS0_14default_configENS1_27lower_bound_config_selectorIilEEZNS1_14transform_implILb0ES3_S5_N6thrust23THRUST_200600_302600_NS6detail15normal_iteratorINS8_7pointerIiNS8_11hip_rocprim5par_tENS8_11use_defaultESE_EEEENSA_INSB_IlSD_SE_SE_EEEEZNS1_13binary_searchIS3_S5_PiSG_SI_NS1_21lower_bound_search_opENS9_16wrapped_functionI11custom_lessbEEEE10hipError_tPvRmT1_T2_T3_mmT4_T5_P12ihipStream_tbEUlRKiE_EESP_ST_SU_mSV_SY_bEUlT_E_NS1_11comp_targetILNS1_3genE10ELNS1_11target_archE1200ELNS1_3gpuE4ELNS1_3repE0EEENS1_30default_config_static_selectorELNS0_4arch9wavefront6targetE1EEEvSS_
	.p2align	8
	.type	_ZN7rocprim17ROCPRIM_400000_NS6detail17trampoline_kernelINS0_14default_configENS1_27lower_bound_config_selectorIilEEZNS1_14transform_implILb0ES3_S5_N6thrust23THRUST_200600_302600_NS6detail15normal_iteratorINS8_7pointerIiNS8_11hip_rocprim5par_tENS8_11use_defaultESE_EEEENSA_INSB_IlSD_SE_SE_EEEEZNS1_13binary_searchIS3_S5_PiSG_SI_NS1_21lower_bound_search_opENS9_16wrapped_functionI11custom_lessbEEEE10hipError_tPvRmT1_T2_T3_mmT4_T5_P12ihipStream_tbEUlRKiE_EESP_ST_SU_mSV_SY_bEUlT_E_NS1_11comp_targetILNS1_3genE10ELNS1_11target_archE1200ELNS1_3gpuE4ELNS1_3repE0EEENS1_30default_config_static_selectorELNS0_4arch9wavefront6targetE1EEEvSS_,@function
_ZN7rocprim17ROCPRIM_400000_NS6detail17trampoline_kernelINS0_14default_configENS1_27lower_bound_config_selectorIilEEZNS1_14transform_implILb0ES3_S5_N6thrust23THRUST_200600_302600_NS6detail15normal_iteratorINS8_7pointerIiNS8_11hip_rocprim5par_tENS8_11use_defaultESE_EEEENSA_INSB_IlSD_SE_SE_EEEEZNS1_13binary_searchIS3_S5_PiSG_SI_NS1_21lower_bound_search_opENS9_16wrapped_functionI11custom_lessbEEEE10hipError_tPvRmT1_T2_T3_mmT4_T5_P12ihipStream_tbEUlRKiE_EESP_ST_SU_mSV_SY_bEUlT_E_NS1_11comp_targetILNS1_3genE10ELNS1_11target_archE1200ELNS1_3gpuE4ELNS1_3repE0EEENS1_30default_config_static_selectorELNS0_4arch9wavefront6targetE1EEEvSS_: ; @_ZN7rocprim17ROCPRIM_400000_NS6detail17trampoline_kernelINS0_14default_configENS1_27lower_bound_config_selectorIilEEZNS1_14transform_implILb0ES3_S5_N6thrust23THRUST_200600_302600_NS6detail15normal_iteratorINS8_7pointerIiNS8_11hip_rocprim5par_tENS8_11use_defaultESE_EEEENSA_INSB_IlSD_SE_SE_EEEEZNS1_13binary_searchIS3_S5_PiSG_SI_NS1_21lower_bound_search_opENS9_16wrapped_functionI11custom_lessbEEEE10hipError_tPvRmT1_T2_T3_mmT4_T5_P12ihipStream_tbEUlRKiE_EESP_ST_SU_mSV_SY_bEUlT_E_NS1_11comp_targetILNS1_3genE10ELNS1_11target_archE1200ELNS1_3gpuE4ELNS1_3repE0EEENS1_30default_config_static_selectorELNS0_4arch9wavefront6targetE1EEEvSS_
; %bb.0:
	.section	.rodata,"a",@progbits
	.p2align	6, 0x0
	.amdhsa_kernel _ZN7rocprim17ROCPRIM_400000_NS6detail17trampoline_kernelINS0_14default_configENS1_27lower_bound_config_selectorIilEEZNS1_14transform_implILb0ES3_S5_N6thrust23THRUST_200600_302600_NS6detail15normal_iteratorINS8_7pointerIiNS8_11hip_rocprim5par_tENS8_11use_defaultESE_EEEENSA_INSB_IlSD_SE_SE_EEEEZNS1_13binary_searchIS3_S5_PiSG_SI_NS1_21lower_bound_search_opENS9_16wrapped_functionI11custom_lessbEEEE10hipError_tPvRmT1_T2_T3_mmT4_T5_P12ihipStream_tbEUlRKiE_EESP_ST_SU_mSV_SY_bEUlT_E_NS1_11comp_targetILNS1_3genE10ELNS1_11target_archE1200ELNS1_3gpuE4ELNS1_3repE0EEENS1_30default_config_static_selectorELNS0_4arch9wavefront6targetE1EEEvSS_
		.amdhsa_group_segment_fixed_size 0
		.amdhsa_private_segment_fixed_size 0
		.amdhsa_kernarg_size 56
		.amdhsa_user_sgpr_count 6
		.amdhsa_user_sgpr_private_segment_buffer 1
		.amdhsa_user_sgpr_dispatch_ptr 0
		.amdhsa_user_sgpr_queue_ptr 0
		.amdhsa_user_sgpr_kernarg_segment_ptr 1
		.amdhsa_user_sgpr_dispatch_id 0
		.amdhsa_user_sgpr_flat_scratch_init 0
		.amdhsa_user_sgpr_private_segment_size 0
		.amdhsa_uses_dynamic_stack 0
		.amdhsa_system_sgpr_private_segment_wavefront_offset 0
		.amdhsa_system_sgpr_workgroup_id_x 1
		.amdhsa_system_sgpr_workgroup_id_y 0
		.amdhsa_system_sgpr_workgroup_id_z 0
		.amdhsa_system_sgpr_workgroup_info 0
		.amdhsa_system_vgpr_workitem_id 0
		.amdhsa_next_free_vgpr 1
		.amdhsa_next_free_sgpr 0
		.amdhsa_reserve_vcc 0
		.amdhsa_reserve_flat_scratch 0
		.amdhsa_float_round_mode_32 0
		.amdhsa_float_round_mode_16_64 0
		.amdhsa_float_denorm_mode_32 3
		.amdhsa_float_denorm_mode_16_64 3
		.amdhsa_dx10_clamp 1
		.amdhsa_ieee_mode 1
		.amdhsa_fp16_overflow 0
		.amdhsa_exception_fp_ieee_invalid_op 0
		.amdhsa_exception_fp_denorm_src 0
		.amdhsa_exception_fp_ieee_div_zero 0
		.amdhsa_exception_fp_ieee_overflow 0
		.amdhsa_exception_fp_ieee_underflow 0
		.amdhsa_exception_fp_ieee_inexact 0
		.amdhsa_exception_int_div_zero 0
	.end_amdhsa_kernel
	.section	.text._ZN7rocprim17ROCPRIM_400000_NS6detail17trampoline_kernelINS0_14default_configENS1_27lower_bound_config_selectorIilEEZNS1_14transform_implILb0ES3_S5_N6thrust23THRUST_200600_302600_NS6detail15normal_iteratorINS8_7pointerIiNS8_11hip_rocprim5par_tENS8_11use_defaultESE_EEEENSA_INSB_IlSD_SE_SE_EEEEZNS1_13binary_searchIS3_S5_PiSG_SI_NS1_21lower_bound_search_opENS9_16wrapped_functionI11custom_lessbEEEE10hipError_tPvRmT1_T2_T3_mmT4_T5_P12ihipStream_tbEUlRKiE_EESP_ST_SU_mSV_SY_bEUlT_E_NS1_11comp_targetILNS1_3genE10ELNS1_11target_archE1200ELNS1_3gpuE4ELNS1_3repE0EEENS1_30default_config_static_selectorELNS0_4arch9wavefront6targetE1EEEvSS_,"axG",@progbits,_ZN7rocprim17ROCPRIM_400000_NS6detail17trampoline_kernelINS0_14default_configENS1_27lower_bound_config_selectorIilEEZNS1_14transform_implILb0ES3_S5_N6thrust23THRUST_200600_302600_NS6detail15normal_iteratorINS8_7pointerIiNS8_11hip_rocprim5par_tENS8_11use_defaultESE_EEEENSA_INSB_IlSD_SE_SE_EEEEZNS1_13binary_searchIS3_S5_PiSG_SI_NS1_21lower_bound_search_opENS9_16wrapped_functionI11custom_lessbEEEE10hipError_tPvRmT1_T2_T3_mmT4_T5_P12ihipStream_tbEUlRKiE_EESP_ST_SU_mSV_SY_bEUlT_E_NS1_11comp_targetILNS1_3genE10ELNS1_11target_archE1200ELNS1_3gpuE4ELNS1_3repE0EEENS1_30default_config_static_selectorELNS0_4arch9wavefront6targetE1EEEvSS_,comdat
.Lfunc_end129:
	.size	_ZN7rocprim17ROCPRIM_400000_NS6detail17trampoline_kernelINS0_14default_configENS1_27lower_bound_config_selectorIilEEZNS1_14transform_implILb0ES3_S5_N6thrust23THRUST_200600_302600_NS6detail15normal_iteratorINS8_7pointerIiNS8_11hip_rocprim5par_tENS8_11use_defaultESE_EEEENSA_INSB_IlSD_SE_SE_EEEEZNS1_13binary_searchIS3_S5_PiSG_SI_NS1_21lower_bound_search_opENS9_16wrapped_functionI11custom_lessbEEEE10hipError_tPvRmT1_T2_T3_mmT4_T5_P12ihipStream_tbEUlRKiE_EESP_ST_SU_mSV_SY_bEUlT_E_NS1_11comp_targetILNS1_3genE10ELNS1_11target_archE1200ELNS1_3gpuE4ELNS1_3repE0EEENS1_30default_config_static_selectorELNS0_4arch9wavefront6targetE1EEEvSS_, .Lfunc_end129-_ZN7rocprim17ROCPRIM_400000_NS6detail17trampoline_kernelINS0_14default_configENS1_27lower_bound_config_selectorIilEEZNS1_14transform_implILb0ES3_S5_N6thrust23THRUST_200600_302600_NS6detail15normal_iteratorINS8_7pointerIiNS8_11hip_rocprim5par_tENS8_11use_defaultESE_EEEENSA_INSB_IlSD_SE_SE_EEEEZNS1_13binary_searchIS3_S5_PiSG_SI_NS1_21lower_bound_search_opENS9_16wrapped_functionI11custom_lessbEEEE10hipError_tPvRmT1_T2_T3_mmT4_T5_P12ihipStream_tbEUlRKiE_EESP_ST_SU_mSV_SY_bEUlT_E_NS1_11comp_targetILNS1_3genE10ELNS1_11target_archE1200ELNS1_3gpuE4ELNS1_3repE0EEENS1_30default_config_static_selectorELNS0_4arch9wavefront6targetE1EEEvSS_
                                        ; -- End function
	.set _ZN7rocprim17ROCPRIM_400000_NS6detail17trampoline_kernelINS0_14default_configENS1_27lower_bound_config_selectorIilEEZNS1_14transform_implILb0ES3_S5_N6thrust23THRUST_200600_302600_NS6detail15normal_iteratorINS8_7pointerIiNS8_11hip_rocprim5par_tENS8_11use_defaultESE_EEEENSA_INSB_IlSD_SE_SE_EEEEZNS1_13binary_searchIS3_S5_PiSG_SI_NS1_21lower_bound_search_opENS9_16wrapped_functionI11custom_lessbEEEE10hipError_tPvRmT1_T2_T3_mmT4_T5_P12ihipStream_tbEUlRKiE_EESP_ST_SU_mSV_SY_bEUlT_E_NS1_11comp_targetILNS1_3genE10ELNS1_11target_archE1200ELNS1_3gpuE4ELNS1_3repE0EEENS1_30default_config_static_selectorELNS0_4arch9wavefront6targetE1EEEvSS_.num_vgpr, 0
	.set _ZN7rocprim17ROCPRIM_400000_NS6detail17trampoline_kernelINS0_14default_configENS1_27lower_bound_config_selectorIilEEZNS1_14transform_implILb0ES3_S5_N6thrust23THRUST_200600_302600_NS6detail15normal_iteratorINS8_7pointerIiNS8_11hip_rocprim5par_tENS8_11use_defaultESE_EEEENSA_INSB_IlSD_SE_SE_EEEEZNS1_13binary_searchIS3_S5_PiSG_SI_NS1_21lower_bound_search_opENS9_16wrapped_functionI11custom_lessbEEEE10hipError_tPvRmT1_T2_T3_mmT4_T5_P12ihipStream_tbEUlRKiE_EESP_ST_SU_mSV_SY_bEUlT_E_NS1_11comp_targetILNS1_3genE10ELNS1_11target_archE1200ELNS1_3gpuE4ELNS1_3repE0EEENS1_30default_config_static_selectorELNS0_4arch9wavefront6targetE1EEEvSS_.num_agpr, 0
	.set _ZN7rocprim17ROCPRIM_400000_NS6detail17trampoline_kernelINS0_14default_configENS1_27lower_bound_config_selectorIilEEZNS1_14transform_implILb0ES3_S5_N6thrust23THRUST_200600_302600_NS6detail15normal_iteratorINS8_7pointerIiNS8_11hip_rocprim5par_tENS8_11use_defaultESE_EEEENSA_INSB_IlSD_SE_SE_EEEEZNS1_13binary_searchIS3_S5_PiSG_SI_NS1_21lower_bound_search_opENS9_16wrapped_functionI11custom_lessbEEEE10hipError_tPvRmT1_T2_T3_mmT4_T5_P12ihipStream_tbEUlRKiE_EESP_ST_SU_mSV_SY_bEUlT_E_NS1_11comp_targetILNS1_3genE10ELNS1_11target_archE1200ELNS1_3gpuE4ELNS1_3repE0EEENS1_30default_config_static_selectorELNS0_4arch9wavefront6targetE1EEEvSS_.numbered_sgpr, 0
	.set _ZN7rocprim17ROCPRIM_400000_NS6detail17trampoline_kernelINS0_14default_configENS1_27lower_bound_config_selectorIilEEZNS1_14transform_implILb0ES3_S5_N6thrust23THRUST_200600_302600_NS6detail15normal_iteratorINS8_7pointerIiNS8_11hip_rocprim5par_tENS8_11use_defaultESE_EEEENSA_INSB_IlSD_SE_SE_EEEEZNS1_13binary_searchIS3_S5_PiSG_SI_NS1_21lower_bound_search_opENS9_16wrapped_functionI11custom_lessbEEEE10hipError_tPvRmT1_T2_T3_mmT4_T5_P12ihipStream_tbEUlRKiE_EESP_ST_SU_mSV_SY_bEUlT_E_NS1_11comp_targetILNS1_3genE10ELNS1_11target_archE1200ELNS1_3gpuE4ELNS1_3repE0EEENS1_30default_config_static_selectorELNS0_4arch9wavefront6targetE1EEEvSS_.num_named_barrier, 0
	.set _ZN7rocprim17ROCPRIM_400000_NS6detail17trampoline_kernelINS0_14default_configENS1_27lower_bound_config_selectorIilEEZNS1_14transform_implILb0ES3_S5_N6thrust23THRUST_200600_302600_NS6detail15normal_iteratorINS8_7pointerIiNS8_11hip_rocprim5par_tENS8_11use_defaultESE_EEEENSA_INSB_IlSD_SE_SE_EEEEZNS1_13binary_searchIS3_S5_PiSG_SI_NS1_21lower_bound_search_opENS9_16wrapped_functionI11custom_lessbEEEE10hipError_tPvRmT1_T2_T3_mmT4_T5_P12ihipStream_tbEUlRKiE_EESP_ST_SU_mSV_SY_bEUlT_E_NS1_11comp_targetILNS1_3genE10ELNS1_11target_archE1200ELNS1_3gpuE4ELNS1_3repE0EEENS1_30default_config_static_selectorELNS0_4arch9wavefront6targetE1EEEvSS_.private_seg_size, 0
	.set _ZN7rocprim17ROCPRIM_400000_NS6detail17trampoline_kernelINS0_14default_configENS1_27lower_bound_config_selectorIilEEZNS1_14transform_implILb0ES3_S5_N6thrust23THRUST_200600_302600_NS6detail15normal_iteratorINS8_7pointerIiNS8_11hip_rocprim5par_tENS8_11use_defaultESE_EEEENSA_INSB_IlSD_SE_SE_EEEEZNS1_13binary_searchIS3_S5_PiSG_SI_NS1_21lower_bound_search_opENS9_16wrapped_functionI11custom_lessbEEEE10hipError_tPvRmT1_T2_T3_mmT4_T5_P12ihipStream_tbEUlRKiE_EESP_ST_SU_mSV_SY_bEUlT_E_NS1_11comp_targetILNS1_3genE10ELNS1_11target_archE1200ELNS1_3gpuE4ELNS1_3repE0EEENS1_30default_config_static_selectorELNS0_4arch9wavefront6targetE1EEEvSS_.uses_vcc, 0
	.set _ZN7rocprim17ROCPRIM_400000_NS6detail17trampoline_kernelINS0_14default_configENS1_27lower_bound_config_selectorIilEEZNS1_14transform_implILb0ES3_S5_N6thrust23THRUST_200600_302600_NS6detail15normal_iteratorINS8_7pointerIiNS8_11hip_rocprim5par_tENS8_11use_defaultESE_EEEENSA_INSB_IlSD_SE_SE_EEEEZNS1_13binary_searchIS3_S5_PiSG_SI_NS1_21lower_bound_search_opENS9_16wrapped_functionI11custom_lessbEEEE10hipError_tPvRmT1_T2_T3_mmT4_T5_P12ihipStream_tbEUlRKiE_EESP_ST_SU_mSV_SY_bEUlT_E_NS1_11comp_targetILNS1_3genE10ELNS1_11target_archE1200ELNS1_3gpuE4ELNS1_3repE0EEENS1_30default_config_static_selectorELNS0_4arch9wavefront6targetE1EEEvSS_.uses_flat_scratch, 0
	.set _ZN7rocprim17ROCPRIM_400000_NS6detail17trampoline_kernelINS0_14default_configENS1_27lower_bound_config_selectorIilEEZNS1_14transform_implILb0ES3_S5_N6thrust23THRUST_200600_302600_NS6detail15normal_iteratorINS8_7pointerIiNS8_11hip_rocprim5par_tENS8_11use_defaultESE_EEEENSA_INSB_IlSD_SE_SE_EEEEZNS1_13binary_searchIS3_S5_PiSG_SI_NS1_21lower_bound_search_opENS9_16wrapped_functionI11custom_lessbEEEE10hipError_tPvRmT1_T2_T3_mmT4_T5_P12ihipStream_tbEUlRKiE_EESP_ST_SU_mSV_SY_bEUlT_E_NS1_11comp_targetILNS1_3genE10ELNS1_11target_archE1200ELNS1_3gpuE4ELNS1_3repE0EEENS1_30default_config_static_selectorELNS0_4arch9wavefront6targetE1EEEvSS_.has_dyn_sized_stack, 0
	.set _ZN7rocprim17ROCPRIM_400000_NS6detail17trampoline_kernelINS0_14default_configENS1_27lower_bound_config_selectorIilEEZNS1_14transform_implILb0ES3_S5_N6thrust23THRUST_200600_302600_NS6detail15normal_iteratorINS8_7pointerIiNS8_11hip_rocprim5par_tENS8_11use_defaultESE_EEEENSA_INSB_IlSD_SE_SE_EEEEZNS1_13binary_searchIS3_S5_PiSG_SI_NS1_21lower_bound_search_opENS9_16wrapped_functionI11custom_lessbEEEE10hipError_tPvRmT1_T2_T3_mmT4_T5_P12ihipStream_tbEUlRKiE_EESP_ST_SU_mSV_SY_bEUlT_E_NS1_11comp_targetILNS1_3genE10ELNS1_11target_archE1200ELNS1_3gpuE4ELNS1_3repE0EEENS1_30default_config_static_selectorELNS0_4arch9wavefront6targetE1EEEvSS_.has_recursion, 0
	.set _ZN7rocprim17ROCPRIM_400000_NS6detail17trampoline_kernelINS0_14default_configENS1_27lower_bound_config_selectorIilEEZNS1_14transform_implILb0ES3_S5_N6thrust23THRUST_200600_302600_NS6detail15normal_iteratorINS8_7pointerIiNS8_11hip_rocprim5par_tENS8_11use_defaultESE_EEEENSA_INSB_IlSD_SE_SE_EEEEZNS1_13binary_searchIS3_S5_PiSG_SI_NS1_21lower_bound_search_opENS9_16wrapped_functionI11custom_lessbEEEE10hipError_tPvRmT1_T2_T3_mmT4_T5_P12ihipStream_tbEUlRKiE_EESP_ST_SU_mSV_SY_bEUlT_E_NS1_11comp_targetILNS1_3genE10ELNS1_11target_archE1200ELNS1_3gpuE4ELNS1_3repE0EEENS1_30default_config_static_selectorELNS0_4arch9wavefront6targetE1EEEvSS_.has_indirect_call, 0
	.section	.AMDGPU.csdata,"",@progbits
; Kernel info:
; codeLenInByte = 0
; TotalNumSgprs: 4
; NumVgprs: 0
; ScratchSize: 0
; MemoryBound: 0
; FloatMode: 240
; IeeeMode: 1
; LDSByteSize: 0 bytes/workgroup (compile time only)
; SGPRBlocks: 0
; VGPRBlocks: 0
; NumSGPRsForWavesPerEU: 4
; NumVGPRsForWavesPerEU: 1
; Occupancy: 10
; WaveLimiterHint : 0
; COMPUTE_PGM_RSRC2:SCRATCH_EN: 0
; COMPUTE_PGM_RSRC2:USER_SGPR: 6
; COMPUTE_PGM_RSRC2:TRAP_HANDLER: 0
; COMPUTE_PGM_RSRC2:TGID_X_EN: 1
; COMPUTE_PGM_RSRC2:TGID_Y_EN: 0
; COMPUTE_PGM_RSRC2:TGID_Z_EN: 0
; COMPUTE_PGM_RSRC2:TIDIG_COMP_CNT: 0
	.section	.text._ZN7rocprim17ROCPRIM_400000_NS6detail17trampoline_kernelINS0_14default_configENS1_27lower_bound_config_selectorIilEEZNS1_14transform_implILb0ES3_S5_N6thrust23THRUST_200600_302600_NS6detail15normal_iteratorINS8_7pointerIiNS8_11hip_rocprim5par_tENS8_11use_defaultESE_EEEENSA_INSB_IlSD_SE_SE_EEEEZNS1_13binary_searchIS3_S5_PiSG_SI_NS1_21lower_bound_search_opENS9_16wrapped_functionI11custom_lessbEEEE10hipError_tPvRmT1_T2_T3_mmT4_T5_P12ihipStream_tbEUlRKiE_EESP_ST_SU_mSV_SY_bEUlT_E_NS1_11comp_targetILNS1_3genE9ELNS1_11target_archE1100ELNS1_3gpuE3ELNS1_3repE0EEENS1_30default_config_static_selectorELNS0_4arch9wavefront6targetE1EEEvSS_,"axG",@progbits,_ZN7rocprim17ROCPRIM_400000_NS6detail17trampoline_kernelINS0_14default_configENS1_27lower_bound_config_selectorIilEEZNS1_14transform_implILb0ES3_S5_N6thrust23THRUST_200600_302600_NS6detail15normal_iteratorINS8_7pointerIiNS8_11hip_rocprim5par_tENS8_11use_defaultESE_EEEENSA_INSB_IlSD_SE_SE_EEEEZNS1_13binary_searchIS3_S5_PiSG_SI_NS1_21lower_bound_search_opENS9_16wrapped_functionI11custom_lessbEEEE10hipError_tPvRmT1_T2_T3_mmT4_T5_P12ihipStream_tbEUlRKiE_EESP_ST_SU_mSV_SY_bEUlT_E_NS1_11comp_targetILNS1_3genE9ELNS1_11target_archE1100ELNS1_3gpuE3ELNS1_3repE0EEENS1_30default_config_static_selectorELNS0_4arch9wavefront6targetE1EEEvSS_,comdat
	.protected	_ZN7rocprim17ROCPRIM_400000_NS6detail17trampoline_kernelINS0_14default_configENS1_27lower_bound_config_selectorIilEEZNS1_14transform_implILb0ES3_S5_N6thrust23THRUST_200600_302600_NS6detail15normal_iteratorINS8_7pointerIiNS8_11hip_rocprim5par_tENS8_11use_defaultESE_EEEENSA_INSB_IlSD_SE_SE_EEEEZNS1_13binary_searchIS3_S5_PiSG_SI_NS1_21lower_bound_search_opENS9_16wrapped_functionI11custom_lessbEEEE10hipError_tPvRmT1_T2_T3_mmT4_T5_P12ihipStream_tbEUlRKiE_EESP_ST_SU_mSV_SY_bEUlT_E_NS1_11comp_targetILNS1_3genE9ELNS1_11target_archE1100ELNS1_3gpuE3ELNS1_3repE0EEENS1_30default_config_static_selectorELNS0_4arch9wavefront6targetE1EEEvSS_ ; -- Begin function _ZN7rocprim17ROCPRIM_400000_NS6detail17trampoline_kernelINS0_14default_configENS1_27lower_bound_config_selectorIilEEZNS1_14transform_implILb0ES3_S5_N6thrust23THRUST_200600_302600_NS6detail15normal_iteratorINS8_7pointerIiNS8_11hip_rocprim5par_tENS8_11use_defaultESE_EEEENSA_INSB_IlSD_SE_SE_EEEEZNS1_13binary_searchIS3_S5_PiSG_SI_NS1_21lower_bound_search_opENS9_16wrapped_functionI11custom_lessbEEEE10hipError_tPvRmT1_T2_T3_mmT4_T5_P12ihipStream_tbEUlRKiE_EESP_ST_SU_mSV_SY_bEUlT_E_NS1_11comp_targetILNS1_3genE9ELNS1_11target_archE1100ELNS1_3gpuE3ELNS1_3repE0EEENS1_30default_config_static_selectorELNS0_4arch9wavefront6targetE1EEEvSS_
	.globl	_ZN7rocprim17ROCPRIM_400000_NS6detail17trampoline_kernelINS0_14default_configENS1_27lower_bound_config_selectorIilEEZNS1_14transform_implILb0ES3_S5_N6thrust23THRUST_200600_302600_NS6detail15normal_iteratorINS8_7pointerIiNS8_11hip_rocprim5par_tENS8_11use_defaultESE_EEEENSA_INSB_IlSD_SE_SE_EEEEZNS1_13binary_searchIS3_S5_PiSG_SI_NS1_21lower_bound_search_opENS9_16wrapped_functionI11custom_lessbEEEE10hipError_tPvRmT1_T2_T3_mmT4_T5_P12ihipStream_tbEUlRKiE_EESP_ST_SU_mSV_SY_bEUlT_E_NS1_11comp_targetILNS1_3genE9ELNS1_11target_archE1100ELNS1_3gpuE3ELNS1_3repE0EEENS1_30default_config_static_selectorELNS0_4arch9wavefront6targetE1EEEvSS_
	.p2align	8
	.type	_ZN7rocprim17ROCPRIM_400000_NS6detail17trampoline_kernelINS0_14default_configENS1_27lower_bound_config_selectorIilEEZNS1_14transform_implILb0ES3_S5_N6thrust23THRUST_200600_302600_NS6detail15normal_iteratorINS8_7pointerIiNS8_11hip_rocprim5par_tENS8_11use_defaultESE_EEEENSA_INSB_IlSD_SE_SE_EEEEZNS1_13binary_searchIS3_S5_PiSG_SI_NS1_21lower_bound_search_opENS9_16wrapped_functionI11custom_lessbEEEE10hipError_tPvRmT1_T2_T3_mmT4_T5_P12ihipStream_tbEUlRKiE_EESP_ST_SU_mSV_SY_bEUlT_E_NS1_11comp_targetILNS1_3genE9ELNS1_11target_archE1100ELNS1_3gpuE3ELNS1_3repE0EEENS1_30default_config_static_selectorELNS0_4arch9wavefront6targetE1EEEvSS_,@function
_ZN7rocprim17ROCPRIM_400000_NS6detail17trampoline_kernelINS0_14default_configENS1_27lower_bound_config_selectorIilEEZNS1_14transform_implILb0ES3_S5_N6thrust23THRUST_200600_302600_NS6detail15normal_iteratorINS8_7pointerIiNS8_11hip_rocprim5par_tENS8_11use_defaultESE_EEEENSA_INSB_IlSD_SE_SE_EEEEZNS1_13binary_searchIS3_S5_PiSG_SI_NS1_21lower_bound_search_opENS9_16wrapped_functionI11custom_lessbEEEE10hipError_tPvRmT1_T2_T3_mmT4_T5_P12ihipStream_tbEUlRKiE_EESP_ST_SU_mSV_SY_bEUlT_E_NS1_11comp_targetILNS1_3genE9ELNS1_11target_archE1100ELNS1_3gpuE3ELNS1_3repE0EEENS1_30default_config_static_selectorELNS0_4arch9wavefront6targetE1EEEvSS_: ; @_ZN7rocprim17ROCPRIM_400000_NS6detail17trampoline_kernelINS0_14default_configENS1_27lower_bound_config_selectorIilEEZNS1_14transform_implILb0ES3_S5_N6thrust23THRUST_200600_302600_NS6detail15normal_iteratorINS8_7pointerIiNS8_11hip_rocprim5par_tENS8_11use_defaultESE_EEEENSA_INSB_IlSD_SE_SE_EEEEZNS1_13binary_searchIS3_S5_PiSG_SI_NS1_21lower_bound_search_opENS9_16wrapped_functionI11custom_lessbEEEE10hipError_tPvRmT1_T2_T3_mmT4_T5_P12ihipStream_tbEUlRKiE_EESP_ST_SU_mSV_SY_bEUlT_E_NS1_11comp_targetILNS1_3genE9ELNS1_11target_archE1100ELNS1_3gpuE3ELNS1_3repE0EEENS1_30default_config_static_selectorELNS0_4arch9wavefront6targetE1EEEvSS_
; %bb.0:
	.section	.rodata,"a",@progbits
	.p2align	6, 0x0
	.amdhsa_kernel _ZN7rocprim17ROCPRIM_400000_NS6detail17trampoline_kernelINS0_14default_configENS1_27lower_bound_config_selectorIilEEZNS1_14transform_implILb0ES3_S5_N6thrust23THRUST_200600_302600_NS6detail15normal_iteratorINS8_7pointerIiNS8_11hip_rocprim5par_tENS8_11use_defaultESE_EEEENSA_INSB_IlSD_SE_SE_EEEEZNS1_13binary_searchIS3_S5_PiSG_SI_NS1_21lower_bound_search_opENS9_16wrapped_functionI11custom_lessbEEEE10hipError_tPvRmT1_T2_T3_mmT4_T5_P12ihipStream_tbEUlRKiE_EESP_ST_SU_mSV_SY_bEUlT_E_NS1_11comp_targetILNS1_3genE9ELNS1_11target_archE1100ELNS1_3gpuE3ELNS1_3repE0EEENS1_30default_config_static_selectorELNS0_4arch9wavefront6targetE1EEEvSS_
		.amdhsa_group_segment_fixed_size 0
		.amdhsa_private_segment_fixed_size 0
		.amdhsa_kernarg_size 56
		.amdhsa_user_sgpr_count 6
		.amdhsa_user_sgpr_private_segment_buffer 1
		.amdhsa_user_sgpr_dispatch_ptr 0
		.amdhsa_user_sgpr_queue_ptr 0
		.amdhsa_user_sgpr_kernarg_segment_ptr 1
		.amdhsa_user_sgpr_dispatch_id 0
		.amdhsa_user_sgpr_flat_scratch_init 0
		.amdhsa_user_sgpr_private_segment_size 0
		.amdhsa_uses_dynamic_stack 0
		.amdhsa_system_sgpr_private_segment_wavefront_offset 0
		.amdhsa_system_sgpr_workgroup_id_x 1
		.amdhsa_system_sgpr_workgroup_id_y 0
		.amdhsa_system_sgpr_workgroup_id_z 0
		.amdhsa_system_sgpr_workgroup_info 0
		.amdhsa_system_vgpr_workitem_id 0
		.amdhsa_next_free_vgpr 1
		.amdhsa_next_free_sgpr 0
		.amdhsa_reserve_vcc 0
		.amdhsa_reserve_flat_scratch 0
		.amdhsa_float_round_mode_32 0
		.amdhsa_float_round_mode_16_64 0
		.amdhsa_float_denorm_mode_32 3
		.amdhsa_float_denorm_mode_16_64 3
		.amdhsa_dx10_clamp 1
		.amdhsa_ieee_mode 1
		.amdhsa_fp16_overflow 0
		.amdhsa_exception_fp_ieee_invalid_op 0
		.amdhsa_exception_fp_denorm_src 0
		.amdhsa_exception_fp_ieee_div_zero 0
		.amdhsa_exception_fp_ieee_overflow 0
		.amdhsa_exception_fp_ieee_underflow 0
		.amdhsa_exception_fp_ieee_inexact 0
		.amdhsa_exception_int_div_zero 0
	.end_amdhsa_kernel
	.section	.text._ZN7rocprim17ROCPRIM_400000_NS6detail17trampoline_kernelINS0_14default_configENS1_27lower_bound_config_selectorIilEEZNS1_14transform_implILb0ES3_S5_N6thrust23THRUST_200600_302600_NS6detail15normal_iteratorINS8_7pointerIiNS8_11hip_rocprim5par_tENS8_11use_defaultESE_EEEENSA_INSB_IlSD_SE_SE_EEEEZNS1_13binary_searchIS3_S5_PiSG_SI_NS1_21lower_bound_search_opENS9_16wrapped_functionI11custom_lessbEEEE10hipError_tPvRmT1_T2_T3_mmT4_T5_P12ihipStream_tbEUlRKiE_EESP_ST_SU_mSV_SY_bEUlT_E_NS1_11comp_targetILNS1_3genE9ELNS1_11target_archE1100ELNS1_3gpuE3ELNS1_3repE0EEENS1_30default_config_static_selectorELNS0_4arch9wavefront6targetE1EEEvSS_,"axG",@progbits,_ZN7rocprim17ROCPRIM_400000_NS6detail17trampoline_kernelINS0_14default_configENS1_27lower_bound_config_selectorIilEEZNS1_14transform_implILb0ES3_S5_N6thrust23THRUST_200600_302600_NS6detail15normal_iteratorINS8_7pointerIiNS8_11hip_rocprim5par_tENS8_11use_defaultESE_EEEENSA_INSB_IlSD_SE_SE_EEEEZNS1_13binary_searchIS3_S5_PiSG_SI_NS1_21lower_bound_search_opENS9_16wrapped_functionI11custom_lessbEEEE10hipError_tPvRmT1_T2_T3_mmT4_T5_P12ihipStream_tbEUlRKiE_EESP_ST_SU_mSV_SY_bEUlT_E_NS1_11comp_targetILNS1_3genE9ELNS1_11target_archE1100ELNS1_3gpuE3ELNS1_3repE0EEENS1_30default_config_static_selectorELNS0_4arch9wavefront6targetE1EEEvSS_,comdat
.Lfunc_end130:
	.size	_ZN7rocprim17ROCPRIM_400000_NS6detail17trampoline_kernelINS0_14default_configENS1_27lower_bound_config_selectorIilEEZNS1_14transform_implILb0ES3_S5_N6thrust23THRUST_200600_302600_NS6detail15normal_iteratorINS8_7pointerIiNS8_11hip_rocprim5par_tENS8_11use_defaultESE_EEEENSA_INSB_IlSD_SE_SE_EEEEZNS1_13binary_searchIS3_S5_PiSG_SI_NS1_21lower_bound_search_opENS9_16wrapped_functionI11custom_lessbEEEE10hipError_tPvRmT1_T2_T3_mmT4_T5_P12ihipStream_tbEUlRKiE_EESP_ST_SU_mSV_SY_bEUlT_E_NS1_11comp_targetILNS1_3genE9ELNS1_11target_archE1100ELNS1_3gpuE3ELNS1_3repE0EEENS1_30default_config_static_selectorELNS0_4arch9wavefront6targetE1EEEvSS_, .Lfunc_end130-_ZN7rocprim17ROCPRIM_400000_NS6detail17trampoline_kernelINS0_14default_configENS1_27lower_bound_config_selectorIilEEZNS1_14transform_implILb0ES3_S5_N6thrust23THRUST_200600_302600_NS6detail15normal_iteratorINS8_7pointerIiNS8_11hip_rocprim5par_tENS8_11use_defaultESE_EEEENSA_INSB_IlSD_SE_SE_EEEEZNS1_13binary_searchIS3_S5_PiSG_SI_NS1_21lower_bound_search_opENS9_16wrapped_functionI11custom_lessbEEEE10hipError_tPvRmT1_T2_T3_mmT4_T5_P12ihipStream_tbEUlRKiE_EESP_ST_SU_mSV_SY_bEUlT_E_NS1_11comp_targetILNS1_3genE9ELNS1_11target_archE1100ELNS1_3gpuE3ELNS1_3repE0EEENS1_30default_config_static_selectorELNS0_4arch9wavefront6targetE1EEEvSS_
                                        ; -- End function
	.set _ZN7rocprim17ROCPRIM_400000_NS6detail17trampoline_kernelINS0_14default_configENS1_27lower_bound_config_selectorIilEEZNS1_14transform_implILb0ES3_S5_N6thrust23THRUST_200600_302600_NS6detail15normal_iteratorINS8_7pointerIiNS8_11hip_rocprim5par_tENS8_11use_defaultESE_EEEENSA_INSB_IlSD_SE_SE_EEEEZNS1_13binary_searchIS3_S5_PiSG_SI_NS1_21lower_bound_search_opENS9_16wrapped_functionI11custom_lessbEEEE10hipError_tPvRmT1_T2_T3_mmT4_T5_P12ihipStream_tbEUlRKiE_EESP_ST_SU_mSV_SY_bEUlT_E_NS1_11comp_targetILNS1_3genE9ELNS1_11target_archE1100ELNS1_3gpuE3ELNS1_3repE0EEENS1_30default_config_static_selectorELNS0_4arch9wavefront6targetE1EEEvSS_.num_vgpr, 0
	.set _ZN7rocprim17ROCPRIM_400000_NS6detail17trampoline_kernelINS0_14default_configENS1_27lower_bound_config_selectorIilEEZNS1_14transform_implILb0ES3_S5_N6thrust23THRUST_200600_302600_NS6detail15normal_iteratorINS8_7pointerIiNS8_11hip_rocprim5par_tENS8_11use_defaultESE_EEEENSA_INSB_IlSD_SE_SE_EEEEZNS1_13binary_searchIS3_S5_PiSG_SI_NS1_21lower_bound_search_opENS9_16wrapped_functionI11custom_lessbEEEE10hipError_tPvRmT1_T2_T3_mmT4_T5_P12ihipStream_tbEUlRKiE_EESP_ST_SU_mSV_SY_bEUlT_E_NS1_11comp_targetILNS1_3genE9ELNS1_11target_archE1100ELNS1_3gpuE3ELNS1_3repE0EEENS1_30default_config_static_selectorELNS0_4arch9wavefront6targetE1EEEvSS_.num_agpr, 0
	.set _ZN7rocprim17ROCPRIM_400000_NS6detail17trampoline_kernelINS0_14default_configENS1_27lower_bound_config_selectorIilEEZNS1_14transform_implILb0ES3_S5_N6thrust23THRUST_200600_302600_NS6detail15normal_iteratorINS8_7pointerIiNS8_11hip_rocprim5par_tENS8_11use_defaultESE_EEEENSA_INSB_IlSD_SE_SE_EEEEZNS1_13binary_searchIS3_S5_PiSG_SI_NS1_21lower_bound_search_opENS9_16wrapped_functionI11custom_lessbEEEE10hipError_tPvRmT1_T2_T3_mmT4_T5_P12ihipStream_tbEUlRKiE_EESP_ST_SU_mSV_SY_bEUlT_E_NS1_11comp_targetILNS1_3genE9ELNS1_11target_archE1100ELNS1_3gpuE3ELNS1_3repE0EEENS1_30default_config_static_selectorELNS0_4arch9wavefront6targetE1EEEvSS_.numbered_sgpr, 0
	.set _ZN7rocprim17ROCPRIM_400000_NS6detail17trampoline_kernelINS0_14default_configENS1_27lower_bound_config_selectorIilEEZNS1_14transform_implILb0ES3_S5_N6thrust23THRUST_200600_302600_NS6detail15normal_iteratorINS8_7pointerIiNS8_11hip_rocprim5par_tENS8_11use_defaultESE_EEEENSA_INSB_IlSD_SE_SE_EEEEZNS1_13binary_searchIS3_S5_PiSG_SI_NS1_21lower_bound_search_opENS9_16wrapped_functionI11custom_lessbEEEE10hipError_tPvRmT1_T2_T3_mmT4_T5_P12ihipStream_tbEUlRKiE_EESP_ST_SU_mSV_SY_bEUlT_E_NS1_11comp_targetILNS1_3genE9ELNS1_11target_archE1100ELNS1_3gpuE3ELNS1_3repE0EEENS1_30default_config_static_selectorELNS0_4arch9wavefront6targetE1EEEvSS_.num_named_barrier, 0
	.set _ZN7rocprim17ROCPRIM_400000_NS6detail17trampoline_kernelINS0_14default_configENS1_27lower_bound_config_selectorIilEEZNS1_14transform_implILb0ES3_S5_N6thrust23THRUST_200600_302600_NS6detail15normal_iteratorINS8_7pointerIiNS8_11hip_rocprim5par_tENS8_11use_defaultESE_EEEENSA_INSB_IlSD_SE_SE_EEEEZNS1_13binary_searchIS3_S5_PiSG_SI_NS1_21lower_bound_search_opENS9_16wrapped_functionI11custom_lessbEEEE10hipError_tPvRmT1_T2_T3_mmT4_T5_P12ihipStream_tbEUlRKiE_EESP_ST_SU_mSV_SY_bEUlT_E_NS1_11comp_targetILNS1_3genE9ELNS1_11target_archE1100ELNS1_3gpuE3ELNS1_3repE0EEENS1_30default_config_static_selectorELNS0_4arch9wavefront6targetE1EEEvSS_.private_seg_size, 0
	.set _ZN7rocprim17ROCPRIM_400000_NS6detail17trampoline_kernelINS0_14default_configENS1_27lower_bound_config_selectorIilEEZNS1_14transform_implILb0ES3_S5_N6thrust23THRUST_200600_302600_NS6detail15normal_iteratorINS8_7pointerIiNS8_11hip_rocprim5par_tENS8_11use_defaultESE_EEEENSA_INSB_IlSD_SE_SE_EEEEZNS1_13binary_searchIS3_S5_PiSG_SI_NS1_21lower_bound_search_opENS9_16wrapped_functionI11custom_lessbEEEE10hipError_tPvRmT1_T2_T3_mmT4_T5_P12ihipStream_tbEUlRKiE_EESP_ST_SU_mSV_SY_bEUlT_E_NS1_11comp_targetILNS1_3genE9ELNS1_11target_archE1100ELNS1_3gpuE3ELNS1_3repE0EEENS1_30default_config_static_selectorELNS0_4arch9wavefront6targetE1EEEvSS_.uses_vcc, 0
	.set _ZN7rocprim17ROCPRIM_400000_NS6detail17trampoline_kernelINS0_14default_configENS1_27lower_bound_config_selectorIilEEZNS1_14transform_implILb0ES3_S5_N6thrust23THRUST_200600_302600_NS6detail15normal_iteratorINS8_7pointerIiNS8_11hip_rocprim5par_tENS8_11use_defaultESE_EEEENSA_INSB_IlSD_SE_SE_EEEEZNS1_13binary_searchIS3_S5_PiSG_SI_NS1_21lower_bound_search_opENS9_16wrapped_functionI11custom_lessbEEEE10hipError_tPvRmT1_T2_T3_mmT4_T5_P12ihipStream_tbEUlRKiE_EESP_ST_SU_mSV_SY_bEUlT_E_NS1_11comp_targetILNS1_3genE9ELNS1_11target_archE1100ELNS1_3gpuE3ELNS1_3repE0EEENS1_30default_config_static_selectorELNS0_4arch9wavefront6targetE1EEEvSS_.uses_flat_scratch, 0
	.set _ZN7rocprim17ROCPRIM_400000_NS6detail17trampoline_kernelINS0_14default_configENS1_27lower_bound_config_selectorIilEEZNS1_14transform_implILb0ES3_S5_N6thrust23THRUST_200600_302600_NS6detail15normal_iteratorINS8_7pointerIiNS8_11hip_rocprim5par_tENS8_11use_defaultESE_EEEENSA_INSB_IlSD_SE_SE_EEEEZNS1_13binary_searchIS3_S5_PiSG_SI_NS1_21lower_bound_search_opENS9_16wrapped_functionI11custom_lessbEEEE10hipError_tPvRmT1_T2_T3_mmT4_T5_P12ihipStream_tbEUlRKiE_EESP_ST_SU_mSV_SY_bEUlT_E_NS1_11comp_targetILNS1_3genE9ELNS1_11target_archE1100ELNS1_3gpuE3ELNS1_3repE0EEENS1_30default_config_static_selectorELNS0_4arch9wavefront6targetE1EEEvSS_.has_dyn_sized_stack, 0
	.set _ZN7rocprim17ROCPRIM_400000_NS6detail17trampoline_kernelINS0_14default_configENS1_27lower_bound_config_selectorIilEEZNS1_14transform_implILb0ES3_S5_N6thrust23THRUST_200600_302600_NS6detail15normal_iteratorINS8_7pointerIiNS8_11hip_rocprim5par_tENS8_11use_defaultESE_EEEENSA_INSB_IlSD_SE_SE_EEEEZNS1_13binary_searchIS3_S5_PiSG_SI_NS1_21lower_bound_search_opENS9_16wrapped_functionI11custom_lessbEEEE10hipError_tPvRmT1_T2_T3_mmT4_T5_P12ihipStream_tbEUlRKiE_EESP_ST_SU_mSV_SY_bEUlT_E_NS1_11comp_targetILNS1_3genE9ELNS1_11target_archE1100ELNS1_3gpuE3ELNS1_3repE0EEENS1_30default_config_static_selectorELNS0_4arch9wavefront6targetE1EEEvSS_.has_recursion, 0
	.set _ZN7rocprim17ROCPRIM_400000_NS6detail17trampoline_kernelINS0_14default_configENS1_27lower_bound_config_selectorIilEEZNS1_14transform_implILb0ES3_S5_N6thrust23THRUST_200600_302600_NS6detail15normal_iteratorINS8_7pointerIiNS8_11hip_rocprim5par_tENS8_11use_defaultESE_EEEENSA_INSB_IlSD_SE_SE_EEEEZNS1_13binary_searchIS3_S5_PiSG_SI_NS1_21lower_bound_search_opENS9_16wrapped_functionI11custom_lessbEEEE10hipError_tPvRmT1_T2_T3_mmT4_T5_P12ihipStream_tbEUlRKiE_EESP_ST_SU_mSV_SY_bEUlT_E_NS1_11comp_targetILNS1_3genE9ELNS1_11target_archE1100ELNS1_3gpuE3ELNS1_3repE0EEENS1_30default_config_static_selectorELNS0_4arch9wavefront6targetE1EEEvSS_.has_indirect_call, 0
	.section	.AMDGPU.csdata,"",@progbits
; Kernel info:
; codeLenInByte = 0
; TotalNumSgprs: 4
; NumVgprs: 0
; ScratchSize: 0
; MemoryBound: 0
; FloatMode: 240
; IeeeMode: 1
; LDSByteSize: 0 bytes/workgroup (compile time only)
; SGPRBlocks: 0
; VGPRBlocks: 0
; NumSGPRsForWavesPerEU: 4
; NumVGPRsForWavesPerEU: 1
; Occupancy: 10
; WaveLimiterHint : 0
; COMPUTE_PGM_RSRC2:SCRATCH_EN: 0
; COMPUTE_PGM_RSRC2:USER_SGPR: 6
; COMPUTE_PGM_RSRC2:TRAP_HANDLER: 0
; COMPUTE_PGM_RSRC2:TGID_X_EN: 1
; COMPUTE_PGM_RSRC2:TGID_Y_EN: 0
; COMPUTE_PGM_RSRC2:TGID_Z_EN: 0
; COMPUTE_PGM_RSRC2:TIDIG_COMP_CNT: 0
	.section	.text._ZN7rocprim17ROCPRIM_400000_NS6detail17trampoline_kernelINS0_14default_configENS1_27lower_bound_config_selectorIilEEZNS1_14transform_implILb0ES3_S5_N6thrust23THRUST_200600_302600_NS6detail15normal_iteratorINS8_7pointerIiNS8_11hip_rocprim5par_tENS8_11use_defaultESE_EEEENSA_INSB_IlSD_SE_SE_EEEEZNS1_13binary_searchIS3_S5_PiSG_SI_NS1_21lower_bound_search_opENS9_16wrapped_functionI11custom_lessbEEEE10hipError_tPvRmT1_T2_T3_mmT4_T5_P12ihipStream_tbEUlRKiE_EESP_ST_SU_mSV_SY_bEUlT_E_NS1_11comp_targetILNS1_3genE8ELNS1_11target_archE1030ELNS1_3gpuE2ELNS1_3repE0EEENS1_30default_config_static_selectorELNS0_4arch9wavefront6targetE1EEEvSS_,"axG",@progbits,_ZN7rocprim17ROCPRIM_400000_NS6detail17trampoline_kernelINS0_14default_configENS1_27lower_bound_config_selectorIilEEZNS1_14transform_implILb0ES3_S5_N6thrust23THRUST_200600_302600_NS6detail15normal_iteratorINS8_7pointerIiNS8_11hip_rocprim5par_tENS8_11use_defaultESE_EEEENSA_INSB_IlSD_SE_SE_EEEEZNS1_13binary_searchIS3_S5_PiSG_SI_NS1_21lower_bound_search_opENS9_16wrapped_functionI11custom_lessbEEEE10hipError_tPvRmT1_T2_T3_mmT4_T5_P12ihipStream_tbEUlRKiE_EESP_ST_SU_mSV_SY_bEUlT_E_NS1_11comp_targetILNS1_3genE8ELNS1_11target_archE1030ELNS1_3gpuE2ELNS1_3repE0EEENS1_30default_config_static_selectorELNS0_4arch9wavefront6targetE1EEEvSS_,comdat
	.protected	_ZN7rocprim17ROCPRIM_400000_NS6detail17trampoline_kernelINS0_14default_configENS1_27lower_bound_config_selectorIilEEZNS1_14transform_implILb0ES3_S5_N6thrust23THRUST_200600_302600_NS6detail15normal_iteratorINS8_7pointerIiNS8_11hip_rocprim5par_tENS8_11use_defaultESE_EEEENSA_INSB_IlSD_SE_SE_EEEEZNS1_13binary_searchIS3_S5_PiSG_SI_NS1_21lower_bound_search_opENS9_16wrapped_functionI11custom_lessbEEEE10hipError_tPvRmT1_T2_T3_mmT4_T5_P12ihipStream_tbEUlRKiE_EESP_ST_SU_mSV_SY_bEUlT_E_NS1_11comp_targetILNS1_3genE8ELNS1_11target_archE1030ELNS1_3gpuE2ELNS1_3repE0EEENS1_30default_config_static_selectorELNS0_4arch9wavefront6targetE1EEEvSS_ ; -- Begin function _ZN7rocprim17ROCPRIM_400000_NS6detail17trampoline_kernelINS0_14default_configENS1_27lower_bound_config_selectorIilEEZNS1_14transform_implILb0ES3_S5_N6thrust23THRUST_200600_302600_NS6detail15normal_iteratorINS8_7pointerIiNS8_11hip_rocprim5par_tENS8_11use_defaultESE_EEEENSA_INSB_IlSD_SE_SE_EEEEZNS1_13binary_searchIS3_S5_PiSG_SI_NS1_21lower_bound_search_opENS9_16wrapped_functionI11custom_lessbEEEE10hipError_tPvRmT1_T2_T3_mmT4_T5_P12ihipStream_tbEUlRKiE_EESP_ST_SU_mSV_SY_bEUlT_E_NS1_11comp_targetILNS1_3genE8ELNS1_11target_archE1030ELNS1_3gpuE2ELNS1_3repE0EEENS1_30default_config_static_selectorELNS0_4arch9wavefront6targetE1EEEvSS_
	.globl	_ZN7rocprim17ROCPRIM_400000_NS6detail17trampoline_kernelINS0_14default_configENS1_27lower_bound_config_selectorIilEEZNS1_14transform_implILb0ES3_S5_N6thrust23THRUST_200600_302600_NS6detail15normal_iteratorINS8_7pointerIiNS8_11hip_rocprim5par_tENS8_11use_defaultESE_EEEENSA_INSB_IlSD_SE_SE_EEEEZNS1_13binary_searchIS3_S5_PiSG_SI_NS1_21lower_bound_search_opENS9_16wrapped_functionI11custom_lessbEEEE10hipError_tPvRmT1_T2_T3_mmT4_T5_P12ihipStream_tbEUlRKiE_EESP_ST_SU_mSV_SY_bEUlT_E_NS1_11comp_targetILNS1_3genE8ELNS1_11target_archE1030ELNS1_3gpuE2ELNS1_3repE0EEENS1_30default_config_static_selectorELNS0_4arch9wavefront6targetE1EEEvSS_
	.p2align	8
	.type	_ZN7rocprim17ROCPRIM_400000_NS6detail17trampoline_kernelINS0_14default_configENS1_27lower_bound_config_selectorIilEEZNS1_14transform_implILb0ES3_S5_N6thrust23THRUST_200600_302600_NS6detail15normal_iteratorINS8_7pointerIiNS8_11hip_rocprim5par_tENS8_11use_defaultESE_EEEENSA_INSB_IlSD_SE_SE_EEEEZNS1_13binary_searchIS3_S5_PiSG_SI_NS1_21lower_bound_search_opENS9_16wrapped_functionI11custom_lessbEEEE10hipError_tPvRmT1_T2_T3_mmT4_T5_P12ihipStream_tbEUlRKiE_EESP_ST_SU_mSV_SY_bEUlT_E_NS1_11comp_targetILNS1_3genE8ELNS1_11target_archE1030ELNS1_3gpuE2ELNS1_3repE0EEENS1_30default_config_static_selectorELNS0_4arch9wavefront6targetE1EEEvSS_,@function
_ZN7rocprim17ROCPRIM_400000_NS6detail17trampoline_kernelINS0_14default_configENS1_27lower_bound_config_selectorIilEEZNS1_14transform_implILb0ES3_S5_N6thrust23THRUST_200600_302600_NS6detail15normal_iteratorINS8_7pointerIiNS8_11hip_rocprim5par_tENS8_11use_defaultESE_EEEENSA_INSB_IlSD_SE_SE_EEEEZNS1_13binary_searchIS3_S5_PiSG_SI_NS1_21lower_bound_search_opENS9_16wrapped_functionI11custom_lessbEEEE10hipError_tPvRmT1_T2_T3_mmT4_T5_P12ihipStream_tbEUlRKiE_EESP_ST_SU_mSV_SY_bEUlT_E_NS1_11comp_targetILNS1_3genE8ELNS1_11target_archE1030ELNS1_3gpuE2ELNS1_3repE0EEENS1_30default_config_static_selectorELNS0_4arch9wavefront6targetE1EEEvSS_: ; @_ZN7rocprim17ROCPRIM_400000_NS6detail17trampoline_kernelINS0_14default_configENS1_27lower_bound_config_selectorIilEEZNS1_14transform_implILb0ES3_S5_N6thrust23THRUST_200600_302600_NS6detail15normal_iteratorINS8_7pointerIiNS8_11hip_rocprim5par_tENS8_11use_defaultESE_EEEENSA_INSB_IlSD_SE_SE_EEEEZNS1_13binary_searchIS3_S5_PiSG_SI_NS1_21lower_bound_search_opENS9_16wrapped_functionI11custom_lessbEEEE10hipError_tPvRmT1_T2_T3_mmT4_T5_P12ihipStream_tbEUlRKiE_EESP_ST_SU_mSV_SY_bEUlT_E_NS1_11comp_targetILNS1_3genE8ELNS1_11target_archE1030ELNS1_3gpuE2ELNS1_3repE0EEENS1_30default_config_static_selectorELNS0_4arch9wavefront6targetE1EEEvSS_
; %bb.0:
	.section	.rodata,"a",@progbits
	.p2align	6, 0x0
	.amdhsa_kernel _ZN7rocprim17ROCPRIM_400000_NS6detail17trampoline_kernelINS0_14default_configENS1_27lower_bound_config_selectorIilEEZNS1_14transform_implILb0ES3_S5_N6thrust23THRUST_200600_302600_NS6detail15normal_iteratorINS8_7pointerIiNS8_11hip_rocprim5par_tENS8_11use_defaultESE_EEEENSA_INSB_IlSD_SE_SE_EEEEZNS1_13binary_searchIS3_S5_PiSG_SI_NS1_21lower_bound_search_opENS9_16wrapped_functionI11custom_lessbEEEE10hipError_tPvRmT1_T2_T3_mmT4_T5_P12ihipStream_tbEUlRKiE_EESP_ST_SU_mSV_SY_bEUlT_E_NS1_11comp_targetILNS1_3genE8ELNS1_11target_archE1030ELNS1_3gpuE2ELNS1_3repE0EEENS1_30default_config_static_selectorELNS0_4arch9wavefront6targetE1EEEvSS_
		.amdhsa_group_segment_fixed_size 0
		.amdhsa_private_segment_fixed_size 0
		.amdhsa_kernarg_size 56
		.amdhsa_user_sgpr_count 6
		.amdhsa_user_sgpr_private_segment_buffer 1
		.amdhsa_user_sgpr_dispatch_ptr 0
		.amdhsa_user_sgpr_queue_ptr 0
		.amdhsa_user_sgpr_kernarg_segment_ptr 1
		.amdhsa_user_sgpr_dispatch_id 0
		.amdhsa_user_sgpr_flat_scratch_init 0
		.amdhsa_user_sgpr_private_segment_size 0
		.amdhsa_uses_dynamic_stack 0
		.amdhsa_system_sgpr_private_segment_wavefront_offset 0
		.amdhsa_system_sgpr_workgroup_id_x 1
		.amdhsa_system_sgpr_workgroup_id_y 0
		.amdhsa_system_sgpr_workgroup_id_z 0
		.amdhsa_system_sgpr_workgroup_info 0
		.amdhsa_system_vgpr_workitem_id 0
		.amdhsa_next_free_vgpr 1
		.amdhsa_next_free_sgpr 0
		.amdhsa_reserve_vcc 0
		.amdhsa_reserve_flat_scratch 0
		.amdhsa_float_round_mode_32 0
		.amdhsa_float_round_mode_16_64 0
		.amdhsa_float_denorm_mode_32 3
		.amdhsa_float_denorm_mode_16_64 3
		.amdhsa_dx10_clamp 1
		.amdhsa_ieee_mode 1
		.amdhsa_fp16_overflow 0
		.amdhsa_exception_fp_ieee_invalid_op 0
		.amdhsa_exception_fp_denorm_src 0
		.amdhsa_exception_fp_ieee_div_zero 0
		.amdhsa_exception_fp_ieee_overflow 0
		.amdhsa_exception_fp_ieee_underflow 0
		.amdhsa_exception_fp_ieee_inexact 0
		.amdhsa_exception_int_div_zero 0
	.end_amdhsa_kernel
	.section	.text._ZN7rocprim17ROCPRIM_400000_NS6detail17trampoline_kernelINS0_14default_configENS1_27lower_bound_config_selectorIilEEZNS1_14transform_implILb0ES3_S5_N6thrust23THRUST_200600_302600_NS6detail15normal_iteratorINS8_7pointerIiNS8_11hip_rocprim5par_tENS8_11use_defaultESE_EEEENSA_INSB_IlSD_SE_SE_EEEEZNS1_13binary_searchIS3_S5_PiSG_SI_NS1_21lower_bound_search_opENS9_16wrapped_functionI11custom_lessbEEEE10hipError_tPvRmT1_T2_T3_mmT4_T5_P12ihipStream_tbEUlRKiE_EESP_ST_SU_mSV_SY_bEUlT_E_NS1_11comp_targetILNS1_3genE8ELNS1_11target_archE1030ELNS1_3gpuE2ELNS1_3repE0EEENS1_30default_config_static_selectorELNS0_4arch9wavefront6targetE1EEEvSS_,"axG",@progbits,_ZN7rocprim17ROCPRIM_400000_NS6detail17trampoline_kernelINS0_14default_configENS1_27lower_bound_config_selectorIilEEZNS1_14transform_implILb0ES3_S5_N6thrust23THRUST_200600_302600_NS6detail15normal_iteratorINS8_7pointerIiNS8_11hip_rocprim5par_tENS8_11use_defaultESE_EEEENSA_INSB_IlSD_SE_SE_EEEEZNS1_13binary_searchIS3_S5_PiSG_SI_NS1_21lower_bound_search_opENS9_16wrapped_functionI11custom_lessbEEEE10hipError_tPvRmT1_T2_T3_mmT4_T5_P12ihipStream_tbEUlRKiE_EESP_ST_SU_mSV_SY_bEUlT_E_NS1_11comp_targetILNS1_3genE8ELNS1_11target_archE1030ELNS1_3gpuE2ELNS1_3repE0EEENS1_30default_config_static_selectorELNS0_4arch9wavefront6targetE1EEEvSS_,comdat
.Lfunc_end131:
	.size	_ZN7rocprim17ROCPRIM_400000_NS6detail17trampoline_kernelINS0_14default_configENS1_27lower_bound_config_selectorIilEEZNS1_14transform_implILb0ES3_S5_N6thrust23THRUST_200600_302600_NS6detail15normal_iteratorINS8_7pointerIiNS8_11hip_rocprim5par_tENS8_11use_defaultESE_EEEENSA_INSB_IlSD_SE_SE_EEEEZNS1_13binary_searchIS3_S5_PiSG_SI_NS1_21lower_bound_search_opENS9_16wrapped_functionI11custom_lessbEEEE10hipError_tPvRmT1_T2_T3_mmT4_T5_P12ihipStream_tbEUlRKiE_EESP_ST_SU_mSV_SY_bEUlT_E_NS1_11comp_targetILNS1_3genE8ELNS1_11target_archE1030ELNS1_3gpuE2ELNS1_3repE0EEENS1_30default_config_static_selectorELNS0_4arch9wavefront6targetE1EEEvSS_, .Lfunc_end131-_ZN7rocprim17ROCPRIM_400000_NS6detail17trampoline_kernelINS0_14default_configENS1_27lower_bound_config_selectorIilEEZNS1_14transform_implILb0ES3_S5_N6thrust23THRUST_200600_302600_NS6detail15normal_iteratorINS8_7pointerIiNS8_11hip_rocprim5par_tENS8_11use_defaultESE_EEEENSA_INSB_IlSD_SE_SE_EEEEZNS1_13binary_searchIS3_S5_PiSG_SI_NS1_21lower_bound_search_opENS9_16wrapped_functionI11custom_lessbEEEE10hipError_tPvRmT1_T2_T3_mmT4_T5_P12ihipStream_tbEUlRKiE_EESP_ST_SU_mSV_SY_bEUlT_E_NS1_11comp_targetILNS1_3genE8ELNS1_11target_archE1030ELNS1_3gpuE2ELNS1_3repE0EEENS1_30default_config_static_selectorELNS0_4arch9wavefront6targetE1EEEvSS_
                                        ; -- End function
	.set _ZN7rocprim17ROCPRIM_400000_NS6detail17trampoline_kernelINS0_14default_configENS1_27lower_bound_config_selectorIilEEZNS1_14transform_implILb0ES3_S5_N6thrust23THRUST_200600_302600_NS6detail15normal_iteratorINS8_7pointerIiNS8_11hip_rocprim5par_tENS8_11use_defaultESE_EEEENSA_INSB_IlSD_SE_SE_EEEEZNS1_13binary_searchIS3_S5_PiSG_SI_NS1_21lower_bound_search_opENS9_16wrapped_functionI11custom_lessbEEEE10hipError_tPvRmT1_T2_T3_mmT4_T5_P12ihipStream_tbEUlRKiE_EESP_ST_SU_mSV_SY_bEUlT_E_NS1_11comp_targetILNS1_3genE8ELNS1_11target_archE1030ELNS1_3gpuE2ELNS1_3repE0EEENS1_30default_config_static_selectorELNS0_4arch9wavefront6targetE1EEEvSS_.num_vgpr, 0
	.set _ZN7rocprim17ROCPRIM_400000_NS6detail17trampoline_kernelINS0_14default_configENS1_27lower_bound_config_selectorIilEEZNS1_14transform_implILb0ES3_S5_N6thrust23THRUST_200600_302600_NS6detail15normal_iteratorINS8_7pointerIiNS8_11hip_rocprim5par_tENS8_11use_defaultESE_EEEENSA_INSB_IlSD_SE_SE_EEEEZNS1_13binary_searchIS3_S5_PiSG_SI_NS1_21lower_bound_search_opENS9_16wrapped_functionI11custom_lessbEEEE10hipError_tPvRmT1_T2_T3_mmT4_T5_P12ihipStream_tbEUlRKiE_EESP_ST_SU_mSV_SY_bEUlT_E_NS1_11comp_targetILNS1_3genE8ELNS1_11target_archE1030ELNS1_3gpuE2ELNS1_3repE0EEENS1_30default_config_static_selectorELNS0_4arch9wavefront6targetE1EEEvSS_.num_agpr, 0
	.set _ZN7rocprim17ROCPRIM_400000_NS6detail17trampoline_kernelINS0_14default_configENS1_27lower_bound_config_selectorIilEEZNS1_14transform_implILb0ES3_S5_N6thrust23THRUST_200600_302600_NS6detail15normal_iteratorINS8_7pointerIiNS8_11hip_rocprim5par_tENS8_11use_defaultESE_EEEENSA_INSB_IlSD_SE_SE_EEEEZNS1_13binary_searchIS3_S5_PiSG_SI_NS1_21lower_bound_search_opENS9_16wrapped_functionI11custom_lessbEEEE10hipError_tPvRmT1_T2_T3_mmT4_T5_P12ihipStream_tbEUlRKiE_EESP_ST_SU_mSV_SY_bEUlT_E_NS1_11comp_targetILNS1_3genE8ELNS1_11target_archE1030ELNS1_3gpuE2ELNS1_3repE0EEENS1_30default_config_static_selectorELNS0_4arch9wavefront6targetE1EEEvSS_.numbered_sgpr, 0
	.set _ZN7rocprim17ROCPRIM_400000_NS6detail17trampoline_kernelINS0_14default_configENS1_27lower_bound_config_selectorIilEEZNS1_14transform_implILb0ES3_S5_N6thrust23THRUST_200600_302600_NS6detail15normal_iteratorINS8_7pointerIiNS8_11hip_rocprim5par_tENS8_11use_defaultESE_EEEENSA_INSB_IlSD_SE_SE_EEEEZNS1_13binary_searchIS3_S5_PiSG_SI_NS1_21lower_bound_search_opENS9_16wrapped_functionI11custom_lessbEEEE10hipError_tPvRmT1_T2_T3_mmT4_T5_P12ihipStream_tbEUlRKiE_EESP_ST_SU_mSV_SY_bEUlT_E_NS1_11comp_targetILNS1_3genE8ELNS1_11target_archE1030ELNS1_3gpuE2ELNS1_3repE0EEENS1_30default_config_static_selectorELNS0_4arch9wavefront6targetE1EEEvSS_.num_named_barrier, 0
	.set _ZN7rocprim17ROCPRIM_400000_NS6detail17trampoline_kernelINS0_14default_configENS1_27lower_bound_config_selectorIilEEZNS1_14transform_implILb0ES3_S5_N6thrust23THRUST_200600_302600_NS6detail15normal_iteratorINS8_7pointerIiNS8_11hip_rocprim5par_tENS8_11use_defaultESE_EEEENSA_INSB_IlSD_SE_SE_EEEEZNS1_13binary_searchIS3_S5_PiSG_SI_NS1_21lower_bound_search_opENS9_16wrapped_functionI11custom_lessbEEEE10hipError_tPvRmT1_T2_T3_mmT4_T5_P12ihipStream_tbEUlRKiE_EESP_ST_SU_mSV_SY_bEUlT_E_NS1_11comp_targetILNS1_3genE8ELNS1_11target_archE1030ELNS1_3gpuE2ELNS1_3repE0EEENS1_30default_config_static_selectorELNS0_4arch9wavefront6targetE1EEEvSS_.private_seg_size, 0
	.set _ZN7rocprim17ROCPRIM_400000_NS6detail17trampoline_kernelINS0_14default_configENS1_27lower_bound_config_selectorIilEEZNS1_14transform_implILb0ES3_S5_N6thrust23THRUST_200600_302600_NS6detail15normal_iteratorINS8_7pointerIiNS8_11hip_rocprim5par_tENS8_11use_defaultESE_EEEENSA_INSB_IlSD_SE_SE_EEEEZNS1_13binary_searchIS3_S5_PiSG_SI_NS1_21lower_bound_search_opENS9_16wrapped_functionI11custom_lessbEEEE10hipError_tPvRmT1_T2_T3_mmT4_T5_P12ihipStream_tbEUlRKiE_EESP_ST_SU_mSV_SY_bEUlT_E_NS1_11comp_targetILNS1_3genE8ELNS1_11target_archE1030ELNS1_3gpuE2ELNS1_3repE0EEENS1_30default_config_static_selectorELNS0_4arch9wavefront6targetE1EEEvSS_.uses_vcc, 0
	.set _ZN7rocprim17ROCPRIM_400000_NS6detail17trampoline_kernelINS0_14default_configENS1_27lower_bound_config_selectorIilEEZNS1_14transform_implILb0ES3_S5_N6thrust23THRUST_200600_302600_NS6detail15normal_iteratorINS8_7pointerIiNS8_11hip_rocprim5par_tENS8_11use_defaultESE_EEEENSA_INSB_IlSD_SE_SE_EEEEZNS1_13binary_searchIS3_S5_PiSG_SI_NS1_21lower_bound_search_opENS9_16wrapped_functionI11custom_lessbEEEE10hipError_tPvRmT1_T2_T3_mmT4_T5_P12ihipStream_tbEUlRKiE_EESP_ST_SU_mSV_SY_bEUlT_E_NS1_11comp_targetILNS1_3genE8ELNS1_11target_archE1030ELNS1_3gpuE2ELNS1_3repE0EEENS1_30default_config_static_selectorELNS0_4arch9wavefront6targetE1EEEvSS_.uses_flat_scratch, 0
	.set _ZN7rocprim17ROCPRIM_400000_NS6detail17trampoline_kernelINS0_14default_configENS1_27lower_bound_config_selectorIilEEZNS1_14transform_implILb0ES3_S5_N6thrust23THRUST_200600_302600_NS6detail15normal_iteratorINS8_7pointerIiNS8_11hip_rocprim5par_tENS8_11use_defaultESE_EEEENSA_INSB_IlSD_SE_SE_EEEEZNS1_13binary_searchIS3_S5_PiSG_SI_NS1_21lower_bound_search_opENS9_16wrapped_functionI11custom_lessbEEEE10hipError_tPvRmT1_T2_T3_mmT4_T5_P12ihipStream_tbEUlRKiE_EESP_ST_SU_mSV_SY_bEUlT_E_NS1_11comp_targetILNS1_3genE8ELNS1_11target_archE1030ELNS1_3gpuE2ELNS1_3repE0EEENS1_30default_config_static_selectorELNS0_4arch9wavefront6targetE1EEEvSS_.has_dyn_sized_stack, 0
	.set _ZN7rocprim17ROCPRIM_400000_NS6detail17trampoline_kernelINS0_14default_configENS1_27lower_bound_config_selectorIilEEZNS1_14transform_implILb0ES3_S5_N6thrust23THRUST_200600_302600_NS6detail15normal_iteratorINS8_7pointerIiNS8_11hip_rocprim5par_tENS8_11use_defaultESE_EEEENSA_INSB_IlSD_SE_SE_EEEEZNS1_13binary_searchIS3_S5_PiSG_SI_NS1_21lower_bound_search_opENS9_16wrapped_functionI11custom_lessbEEEE10hipError_tPvRmT1_T2_T3_mmT4_T5_P12ihipStream_tbEUlRKiE_EESP_ST_SU_mSV_SY_bEUlT_E_NS1_11comp_targetILNS1_3genE8ELNS1_11target_archE1030ELNS1_3gpuE2ELNS1_3repE0EEENS1_30default_config_static_selectorELNS0_4arch9wavefront6targetE1EEEvSS_.has_recursion, 0
	.set _ZN7rocprim17ROCPRIM_400000_NS6detail17trampoline_kernelINS0_14default_configENS1_27lower_bound_config_selectorIilEEZNS1_14transform_implILb0ES3_S5_N6thrust23THRUST_200600_302600_NS6detail15normal_iteratorINS8_7pointerIiNS8_11hip_rocprim5par_tENS8_11use_defaultESE_EEEENSA_INSB_IlSD_SE_SE_EEEEZNS1_13binary_searchIS3_S5_PiSG_SI_NS1_21lower_bound_search_opENS9_16wrapped_functionI11custom_lessbEEEE10hipError_tPvRmT1_T2_T3_mmT4_T5_P12ihipStream_tbEUlRKiE_EESP_ST_SU_mSV_SY_bEUlT_E_NS1_11comp_targetILNS1_3genE8ELNS1_11target_archE1030ELNS1_3gpuE2ELNS1_3repE0EEENS1_30default_config_static_selectorELNS0_4arch9wavefront6targetE1EEEvSS_.has_indirect_call, 0
	.section	.AMDGPU.csdata,"",@progbits
; Kernel info:
; codeLenInByte = 0
; TotalNumSgprs: 4
; NumVgprs: 0
; ScratchSize: 0
; MemoryBound: 0
; FloatMode: 240
; IeeeMode: 1
; LDSByteSize: 0 bytes/workgroup (compile time only)
; SGPRBlocks: 0
; VGPRBlocks: 0
; NumSGPRsForWavesPerEU: 4
; NumVGPRsForWavesPerEU: 1
; Occupancy: 10
; WaveLimiterHint : 0
; COMPUTE_PGM_RSRC2:SCRATCH_EN: 0
; COMPUTE_PGM_RSRC2:USER_SGPR: 6
; COMPUTE_PGM_RSRC2:TRAP_HANDLER: 0
; COMPUTE_PGM_RSRC2:TGID_X_EN: 1
; COMPUTE_PGM_RSRC2:TGID_Y_EN: 0
; COMPUTE_PGM_RSRC2:TGID_Z_EN: 0
; COMPUTE_PGM_RSRC2:TIDIG_COMP_CNT: 0
	.section	.text._ZN7rocprim17ROCPRIM_400000_NS6detail17trampoline_kernelINS0_14default_configENS1_27lower_bound_config_selectorIilEEZNS1_14transform_implILb0ES3_S5_N6thrust23THRUST_200600_302600_NS6detail15normal_iteratorINS8_7pointerIiNS8_11hip_rocprim5par_tENS8_11use_defaultESE_EEEENSA_INSB_IlSD_SE_SE_EEEEZNS1_13binary_searchIS3_S5_PiSG_SI_NS1_21lower_bound_search_opENS9_16wrapped_functionINS8_6system6detail7generic6detail18binary_search_lessEbEEEE10hipError_tPvRmT1_T2_T3_mmT4_T5_P12ihipStream_tbEUlRKiE_EEST_SX_SY_mSZ_S12_bEUlT_E_NS1_11comp_targetILNS1_3genE0ELNS1_11target_archE4294967295ELNS1_3gpuE0ELNS1_3repE0EEENS1_30default_config_static_selectorELNS0_4arch9wavefront6targetE1EEEvSW_,"axG",@progbits,_ZN7rocprim17ROCPRIM_400000_NS6detail17trampoline_kernelINS0_14default_configENS1_27lower_bound_config_selectorIilEEZNS1_14transform_implILb0ES3_S5_N6thrust23THRUST_200600_302600_NS6detail15normal_iteratorINS8_7pointerIiNS8_11hip_rocprim5par_tENS8_11use_defaultESE_EEEENSA_INSB_IlSD_SE_SE_EEEEZNS1_13binary_searchIS3_S5_PiSG_SI_NS1_21lower_bound_search_opENS9_16wrapped_functionINS8_6system6detail7generic6detail18binary_search_lessEbEEEE10hipError_tPvRmT1_T2_T3_mmT4_T5_P12ihipStream_tbEUlRKiE_EEST_SX_SY_mSZ_S12_bEUlT_E_NS1_11comp_targetILNS1_3genE0ELNS1_11target_archE4294967295ELNS1_3gpuE0ELNS1_3repE0EEENS1_30default_config_static_selectorELNS0_4arch9wavefront6targetE1EEEvSW_,comdat
	.protected	_ZN7rocprim17ROCPRIM_400000_NS6detail17trampoline_kernelINS0_14default_configENS1_27lower_bound_config_selectorIilEEZNS1_14transform_implILb0ES3_S5_N6thrust23THRUST_200600_302600_NS6detail15normal_iteratorINS8_7pointerIiNS8_11hip_rocprim5par_tENS8_11use_defaultESE_EEEENSA_INSB_IlSD_SE_SE_EEEEZNS1_13binary_searchIS3_S5_PiSG_SI_NS1_21lower_bound_search_opENS9_16wrapped_functionINS8_6system6detail7generic6detail18binary_search_lessEbEEEE10hipError_tPvRmT1_T2_T3_mmT4_T5_P12ihipStream_tbEUlRKiE_EEST_SX_SY_mSZ_S12_bEUlT_E_NS1_11comp_targetILNS1_3genE0ELNS1_11target_archE4294967295ELNS1_3gpuE0ELNS1_3repE0EEENS1_30default_config_static_selectorELNS0_4arch9wavefront6targetE1EEEvSW_ ; -- Begin function _ZN7rocprim17ROCPRIM_400000_NS6detail17trampoline_kernelINS0_14default_configENS1_27lower_bound_config_selectorIilEEZNS1_14transform_implILb0ES3_S5_N6thrust23THRUST_200600_302600_NS6detail15normal_iteratorINS8_7pointerIiNS8_11hip_rocprim5par_tENS8_11use_defaultESE_EEEENSA_INSB_IlSD_SE_SE_EEEEZNS1_13binary_searchIS3_S5_PiSG_SI_NS1_21lower_bound_search_opENS9_16wrapped_functionINS8_6system6detail7generic6detail18binary_search_lessEbEEEE10hipError_tPvRmT1_T2_T3_mmT4_T5_P12ihipStream_tbEUlRKiE_EEST_SX_SY_mSZ_S12_bEUlT_E_NS1_11comp_targetILNS1_3genE0ELNS1_11target_archE4294967295ELNS1_3gpuE0ELNS1_3repE0EEENS1_30default_config_static_selectorELNS0_4arch9wavefront6targetE1EEEvSW_
	.globl	_ZN7rocprim17ROCPRIM_400000_NS6detail17trampoline_kernelINS0_14default_configENS1_27lower_bound_config_selectorIilEEZNS1_14transform_implILb0ES3_S5_N6thrust23THRUST_200600_302600_NS6detail15normal_iteratorINS8_7pointerIiNS8_11hip_rocprim5par_tENS8_11use_defaultESE_EEEENSA_INSB_IlSD_SE_SE_EEEEZNS1_13binary_searchIS3_S5_PiSG_SI_NS1_21lower_bound_search_opENS9_16wrapped_functionINS8_6system6detail7generic6detail18binary_search_lessEbEEEE10hipError_tPvRmT1_T2_T3_mmT4_T5_P12ihipStream_tbEUlRKiE_EEST_SX_SY_mSZ_S12_bEUlT_E_NS1_11comp_targetILNS1_3genE0ELNS1_11target_archE4294967295ELNS1_3gpuE0ELNS1_3repE0EEENS1_30default_config_static_selectorELNS0_4arch9wavefront6targetE1EEEvSW_
	.p2align	8
	.type	_ZN7rocprim17ROCPRIM_400000_NS6detail17trampoline_kernelINS0_14default_configENS1_27lower_bound_config_selectorIilEEZNS1_14transform_implILb0ES3_S5_N6thrust23THRUST_200600_302600_NS6detail15normal_iteratorINS8_7pointerIiNS8_11hip_rocprim5par_tENS8_11use_defaultESE_EEEENSA_INSB_IlSD_SE_SE_EEEEZNS1_13binary_searchIS3_S5_PiSG_SI_NS1_21lower_bound_search_opENS9_16wrapped_functionINS8_6system6detail7generic6detail18binary_search_lessEbEEEE10hipError_tPvRmT1_T2_T3_mmT4_T5_P12ihipStream_tbEUlRKiE_EEST_SX_SY_mSZ_S12_bEUlT_E_NS1_11comp_targetILNS1_3genE0ELNS1_11target_archE4294967295ELNS1_3gpuE0ELNS1_3repE0EEENS1_30default_config_static_selectorELNS0_4arch9wavefront6targetE1EEEvSW_,@function
_ZN7rocprim17ROCPRIM_400000_NS6detail17trampoline_kernelINS0_14default_configENS1_27lower_bound_config_selectorIilEEZNS1_14transform_implILb0ES3_S5_N6thrust23THRUST_200600_302600_NS6detail15normal_iteratorINS8_7pointerIiNS8_11hip_rocprim5par_tENS8_11use_defaultESE_EEEENSA_INSB_IlSD_SE_SE_EEEEZNS1_13binary_searchIS3_S5_PiSG_SI_NS1_21lower_bound_search_opENS9_16wrapped_functionINS8_6system6detail7generic6detail18binary_search_lessEbEEEE10hipError_tPvRmT1_T2_T3_mmT4_T5_P12ihipStream_tbEUlRKiE_EEST_SX_SY_mSZ_S12_bEUlT_E_NS1_11comp_targetILNS1_3genE0ELNS1_11target_archE4294967295ELNS1_3gpuE0ELNS1_3repE0EEENS1_30default_config_static_selectorELNS0_4arch9wavefront6targetE1EEEvSW_: ; @_ZN7rocprim17ROCPRIM_400000_NS6detail17trampoline_kernelINS0_14default_configENS1_27lower_bound_config_selectorIilEEZNS1_14transform_implILb0ES3_S5_N6thrust23THRUST_200600_302600_NS6detail15normal_iteratorINS8_7pointerIiNS8_11hip_rocprim5par_tENS8_11use_defaultESE_EEEENSA_INSB_IlSD_SE_SE_EEEEZNS1_13binary_searchIS3_S5_PiSG_SI_NS1_21lower_bound_search_opENS9_16wrapped_functionINS8_6system6detail7generic6detail18binary_search_lessEbEEEE10hipError_tPvRmT1_T2_T3_mmT4_T5_P12ihipStream_tbEUlRKiE_EEST_SX_SY_mSZ_S12_bEUlT_E_NS1_11comp_targetILNS1_3genE0ELNS1_11target_archE4294967295ELNS1_3gpuE0ELNS1_3repE0EEENS1_30default_config_static_selectorELNS0_4arch9wavefront6targetE1EEEvSW_
; %bb.0:
	.section	.rodata,"a",@progbits
	.p2align	6, 0x0
	.amdhsa_kernel _ZN7rocprim17ROCPRIM_400000_NS6detail17trampoline_kernelINS0_14default_configENS1_27lower_bound_config_selectorIilEEZNS1_14transform_implILb0ES3_S5_N6thrust23THRUST_200600_302600_NS6detail15normal_iteratorINS8_7pointerIiNS8_11hip_rocprim5par_tENS8_11use_defaultESE_EEEENSA_INSB_IlSD_SE_SE_EEEEZNS1_13binary_searchIS3_S5_PiSG_SI_NS1_21lower_bound_search_opENS9_16wrapped_functionINS8_6system6detail7generic6detail18binary_search_lessEbEEEE10hipError_tPvRmT1_T2_T3_mmT4_T5_P12ihipStream_tbEUlRKiE_EEST_SX_SY_mSZ_S12_bEUlT_E_NS1_11comp_targetILNS1_3genE0ELNS1_11target_archE4294967295ELNS1_3gpuE0ELNS1_3repE0EEENS1_30default_config_static_selectorELNS0_4arch9wavefront6targetE1EEEvSW_
		.amdhsa_group_segment_fixed_size 0
		.amdhsa_private_segment_fixed_size 0
		.amdhsa_kernarg_size 56
		.amdhsa_user_sgpr_count 6
		.amdhsa_user_sgpr_private_segment_buffer 1
		.amdhsa_user_sgpr_dispatch_ptr 0
		.amdhsa_user_sgpr_queue_ptr 0
		.amdhsa_user_sgpr_kernarg_segment_ptr 1
		.amdhsa_user_sgpr_dispatch_id 0
		.amdhsa_user_sgpr_flat_scratch_init 0
		.amdhsa_user_sgpr_private_segment_size 0
		.amdhsa_uses_dynamic_stack 0
		.amdhsa_system_sgpr_private_segment_wavefront_offset 0
		.amdhsa_system_sgpr_workgroup_id_x 1
		.amdhsa_system_sgpr_workgroup_id_y 0
		.amdhsa_system_sgpr_workgroup_id_z 0
		.amdhsa_system_sgpr_workgroup_info 0
		.amdhsa_system_vgpr_workitem_id 0
		.amdhsa_next_free_vgpr 1
		.amdhsa_next_free_sgpr 0
		.amdhsa_reserve_vcc 0
		.amdhsa_reserve_flat_scratch 0
		.amdhsa_float_round_mode_32 0
		.amdhsa_float_round_mode_16_64 0
		.amdhsa_float_denorm_mode_32 3
		.amdhsa_float_denorm_mode_16_64 3
		.amdhsa_dx10_clamp 1
		.amdhsa_ieee_mode 1
		.amdhsa_fp16_overflow 0
		.amdhsa_exception_fp_ieee_invalid_op 0
		.amdhsa_exception_fp_denorm_src 0
		.amdhsa_exception_fp_ieee_div_zero 0
		.amdhsa_exception_fp_ieee_overflow 0
		.amdhsa_exception_fp_ieee_underflow 0
		.amdhsa_exception_fp_ieee_inexact 0
		.amdhsa_exception_int_div_zero 0
	.end_amdhsa_kernel
	.section	.text._ZN7rocprim17ROCPRIM_400000_NS6detail17trampoline_kernelINS0_14default_configENS1_27lower_bound_config_selectorIilEEZNS1_14transform_implILb0ES3_S5_N6thrust23THRUST_200600_302600_NS6detail15normal_iteratorINS8_7pointerIiNS8_11hip_rocprim5par_tENS8_11use_defaultESE_EEEENSA_INSB_IlSD_SE_SE_EEEEZNS1_13binary_searchIS3_S5_PiSG_SI_NS1_21lower_bound_search_opENS9_16wrapped_functionINS8_6system6detail7generic6detail18binary_search_lessEbEEEE10hipError_tPvRmT1_T2_T3_mmT4_T5_P12ihipStream_tbEUlRKiE_EEST_SX_SY_mSZ_S12_bEUlT_E_NS1_11comp_targetILNS1_3genE0ELNS1_11target_archE4294967295ELNS1_3gpuE0ELNS1_3repE0EEENS1_30default_config_static_selectorELNS0_4arch9wavefront6targetE1EEEvSW_,"axG",@progbits,_ZN7rocprim17ROCPRIM_400000_NS6detail17trampoline_kernelINS0_14default_configENS1_27lower_bound_config_selectorIilEEZNS1_14transform_implILb0ES3_S5_N6thrust23THRUST_200600_302600_NS6detail15normal_iteratorINS8_7pointerIiNS8_11hip_rocprim5par_tENS8_11use_defaultESE_EEEENSA_INSB_IlSD_SE_SE_EEEEZNS1_13binary_searchIS3_S5_PiSG_SI_NS1_21lower_bound_search_opENS9_16wrapped_functionINS8_6system6detail7generic6detail18binary_search_lessEbEEEE10hipError_tPvRmT1_T2_T3_mmT4_T5_P12ihipStream_tbEUlRKiE_EEST_SX_SY_mSZ_S12_bEUlT_E_NS1_11comp_targetILNS1_3genE0ELNS1_11target_archE4294967295ELNS1_3gpuE0ELNS1_3repE0EEENS1_30default_config_static_selectorELNS0_4arch9wavefront6targetE1EEEvSW_,comdat
.Lfunc_end132:
	.size	_ZN7rocprim17ROCPRIM_400000_NS6detail17trampoline_kernelINS0_14default_configENS1_27lower_bound_config_selectorIilEEZNS1_14transform_implILb0ES3_S5_N6thrust23THRUST_200600_302600_NS6detail15normal_iteratorINS8_7pointerIiNS8_11hip_rocprim5par_tENS8_11use_defaultESE_EEEENSA_INSB_IlSD_SE_SE_EEEEZNS1_13binary_searchIS3_S5_PiSG_SI_NS1_21lower_bound_search_opENS9_16wrapped_functionINS8_6system6detail7generic6detail18binary_search_lessEbEEEE10hipError_tPvRmT1_T2_T3_mmT4_T5_P12ihipStream_tbEUlRKiE_EEST_SX_SY_mSZ_S12_bEUlT_E_NS1_11comp_targetILNS1_3genE0ELNS1_11target_archE4294967295ELNS1_3gpuE0ELNS1_3repE0EEENS1_30default_config_static_selectorELNS0_4arch9wavefront6targetE1EEEvSW_, .Lfunc_end132-_ZN7rocprim17ROCPRIM_400000_NS6detail17trampoline_kernelINS0_14default_configENS1_27lower_bound_config_selectorIilEEZNS1_14transform_implILb0ES3_S5_N6thrust23THRUST_200600_302600_NS6detail15normal_iteratorINS8_7pointerIiNS8_11hip_rocprim5par_tENS8_11use_defaultESE_EEEENSA_INSB_IlSD_SE_SE_EEEEZNS1_13binary_searchIS3_S5_PiSG_SI_NS1_21lower_bound_search_opENS9_16wrapped_functionINS8_6system6detail7generic6detail18binary_search_lessEbEEEE10hipError_tPvRmT1_T2_T3_mmT4_T5_P12ihipStream_tbEUlRKiE_EEST_SX_SY_mSZ_S12_bEUlT_E_NS1_11comp_targetILNS1_3genE0ELNS1_11target_archE4294967295ELNS1_3gpuE0ELNS1_3repE0EEENS1_30default_config_static_selectorELNS0_4arch9wavefront6targetE1EEEvSW_
                                        ; -- End function
	.set _ZN7rocprim17ROCPRIM_400000_NS6detail17trampoline_kernelINS0_14default_configENS1_27lower_bound_config_selectorIilEEZNS1_14transform_implILb0ES3_S5_N6thrust23THRUST_200600_302600_NS6detail15normal_iteratorINS8_7pointerIiNS8_11hip_rocprim5par_tENS8_11use_defaultESE_EEEENSA_INSB_IlSD_SE_SE_EEEEZNS1_13binary_searchIS3_S5_PiSG_SI_NS1_21lower_bound_search_opENS9_16wrapped_functionINS8_6system6detail7generic6detail18binary_search_lessEbEEEE10hipError_tPvRmT1_T2_T3_mmT4_T5_P12ihipStream_tbEUlRKiE_EEST_SX_SY_mSZ_S12_bEUlT_E_NS1_11comp_targetILNS1_3genE0ELNS1_11target_archE4294967295ELNS1_3gpuE0ELNS1_3repE0EEENS1_30default_config_static_selectorELNS0_4arch9wavefront6targetE1EEEvSW_.num_vgpr, 0
	.set _ZN7rocprim17ROCPRIM_400000_NS6detail17trampoline_kernelINS0_14default_configENS1_27lower_bound_config_selectorIilEEZNS1_14transform_implILb0ES3_S5_N6thrust23THRUST_200600_302600_NS6detail15normal_iteratorINS8_7pointerIiNS8_11hip_rocprim5par_tENS8_11use_defaultESE_EEEENSA_INSB_IlSD_SE_SE_EEEEZNS1_13binary_searchIS3_S5_PiSG_SI_NS1_21lower_bound_search_opENS9_16wrapped_functionINS8_6system6detail7generic6detail18binary_search_lessEbEEEE10hipError_tPvRmT1_T2_T3_mmT4_T5_P12ihipStream_tbEUlRKiE_EEST_SX_SY_mSZ_S12_bEUlT_E_NS1_11comp_targetILNS1_3genE0ELNS1_11target_archE4294967295ELNS1_3gpuE0ELNS1_3repE0EEENS1_30default_config_static_selectorELNS0_4arch9wavefront6targetE1EEEvSW_.num_agpr, 0
	.set _ZN7rocprim17ROCPRIM_400000_NS6detail17trampoline_kernelINS0_14default_configENS1_27lower_bound_config_selectorIilEEZNS1_14transform_implILb0ES3_S5_N6thrust23THRUST_200600_302600_NS6detail15normal_iteratorINS8_7pointerIiNS8_11hip_rocprim5par_tENS8_11use_defaultESE_EEEENSA_INSB_IlSD_SE_SE_EEEEZNS1_13binary_searchIS3_S5_PiSG_SI_NS1_21lower_bound_search_opENS9_16wrapped_functionINS8_6system6detail7generic6detail18binary_search_lessEbEEEE10hipError_tPvRmT1_T2_T3_mmT4_T5_P12ihipStream_tbEUlRKiE_EEST_SX_SY_mSZ_S12_bEUlT_E_NS1_11comp_targetILNS1_3genE0ELNS1_11target_archE4294967295ELNS1_3gpuE0ELNS1_3repE0EEENS1_30default_config_static_selectorELNS0_4arch9wavefront6targetE1EEEvSW_.numbered_sgpr, 0
	.set _ZN7rocprim17ROCPRIM_400000_NS6detail17trampoline_kernelINS0_14default_configENS1_27lower_bound_config_selectorIilEEZNS1_14transform_implILb0ES3_S5_N6thrust23THRUST_200600_302600_NS6detail15normal_iteratorINS8_7pointerIiNS8_11hip_rocprim5par_tENS8_11use_defaultESE_EEEENSA_INSB_IlSD_SE_SE_EEEEZNS1_13binary_searchIS3_S5_PiSG_SI_NS1_21lower_bound_search_opENS9_16wrapped_functionINS8_6system6detail7generic6detail18binary_search_lessEbEEEE10hipError_tPvRmT1_T2_T3_mmT4_T5_P12ihipStream_tbEUlRKiE_EEST_SX_SY_mSZ_S12_bEUlT_E_NS1_11comp_targetILNS1_3genE0ELNS1_11target_archE4294967295ELNS1_3gpuE0ELNS1_3repE0EEENS1_30default_config_static_selectorELNS0_4arch9wavefront6targetE1EEEvSW_.num_named_barrier, 0
	.set _ZN7rocprim17ROCPRIM_400000_NS6detail17trampoline_kernelINS0_14default_configENS1_27lower_bound_config_selectorIilEEZNS1_14transform_implILb0ES3_S5_N6thrust23THRUST_200600_302600_NS6detail15normal_iteratorINS8_7pointerIiNS8_11hip_rocprim5par_tENS8_11use_defaultESE_EEEENSA_INSB_IlSD_SE_SE_EEEEZNS1_13binary_searchIS3_S5_PiSG_SI_NS1_21lower_bound_search_opENS9_16wrapped_functionINS8_6system6detail7generic6detail18binary_search_lessEbEEEE10hipError_tPvRmT1_T2_T3_mmT4_T5_P12ihipStream_tbEUlRKiE_EEST_SX_SY_mSZ_S12_bEUlT_E_NS1_11comp_targetILNS1_3genE0ELNS1_11target_archE4294967295ELNS1_3gpuE0ELNS1_3repE0EEENS1_30default_config_static_selectorELNS0_4arch9wavefront6targetE1EEEvSW_.private_seg_size, 0
	.set _ZN7rocprim17ROCPRIM_400000_NS6detail17trampoline_kernelINS0_14default_configENS1_27lower_bound_config_selectorIilEEZNS1_14transform_implILb0ES3_S5_N6thrust23THRUST_200600_302600_NS6detail15normal_iteratorINS8_7pointerIiNS8_11hip_rocprim5par_tENS8_11use_defaultESE_EEEENSA_INSB_IlSD_SE_SE_EEEEZNS1_13binary_searchIS3_S5_PiSG_SI_NS1_21lower_bound_search_opENS9_16wrapped_functionINS8_6system6detail7generic6detail18binary_search_lessEbEEEE10hipError_tPvRmT1_T2_T3_mmT4_T5_P12ihipStream_tbEUlRKiE_EEST_SX_SY_mSZ_S12_bEUlT_E_NS1_11comp_targetILNS1_3genE0ELNS1_11target_archE4294967295ELNS1_3gpuE0ELNS1_3repE0EEENS1_30default_config_static_selectorELNS0_4arch9wavefront6targetE1EEEvSW_.uses_vcc, 0
	.set _ZN7rocprim17ROCPRIM_400000_NS6detail17trampoline_kernelINS0_14default_configENS1_27lower_bound_config_selectorIilEEZNS1_14transform_implILb0ES3_S5_N6thrust23THRUST_200600_302600_NS6detail15normal_iteratorINS8_7pointerIiNS8_11hip_rocprim5par_tENS8_11use_defaultESE_EEEENSA_INSB_IlSD_SE_SE_EEEEZNS1_13binary_searchIS3_S5_PiSG_SI_NS1_21lower_bound_search_opENS9_16wrapped_functionINS8_6system6detail7generic6detail18binary_search_lessEbEEEE10hipError_tPvRmT1_T2_T3_mmT4_T5_P12ihipStream_tbEUlRKiE_EEST_SX_SY_mSZ_S12_bEUlT_E_NS1_11comp_targetILNS1_3genE0ELNS1_11target_archE4294967295ELNS1_3gpuE0ELNS1_3repE0EEENS1_30default_config_static_selectorELNS0_4arch9wavefront6targetE1EEEvSW_.uses_flat_scratch, 0
	.set _ZN7rocprim17ROCPRIM_400000_NS6detail17trampoline_kernelINS0_14default_configENS1_27lower_bound_config_selectorIilEEZNS1_14transform_implILb0ES3_S5_N6thrust23THRUST_200600_302600_NS6detail15normal_iteratorINS8_7pointerIiNS8_11hip_rocprim5par_tENS8_11use_defaultESE_EEEENSA_INSB_IlSD_SE_SE_EEEEZNS1_13binary_searchIS3_S5_PiSG_SI_NS1_21lower_bound_search_opENS9_16wrapped_functionINS8_6system6detail7generic6detail18binary_search_lessEbEEEE10hipError_tPvRmT1_T2_T3_mmT4_T5_P12ihipStream_tbEUlRKiE_EEST_SX_SY_mSZ_S12_bEUlT_E_NS1_11comp_targetILNS1_3genE0ELNS1_11target_archE4294967295ELNS1_3gpuE0ELNS1_3repE0EEENS1_30default_config_static_selectorELNS0_4arch9wavefront6targetE1EEEvSW_.has_dyn_sized_stack, 0
	.set _ZN7rocprim17ROCPRIM_400000_NS6detail17trampoline_kernelINS0_14default_configENS1_27lower_bound_config_selectorIilEEZNS1_14transform_implILb0ES3_S5_N6thrust23THRUST_200600_302600_NS6detail15normal_iteratorINS8_7pointerIiNS8_11hip_rocprim5par_tENS8_11use_defaultESE_EEEENSA_INSB_IlSD_SE_SE_EEEEZNS1_13binary_searchIS3_S5_PiSG_SI_NS1_21lower_bound_search_opENS9_16wrapped_functionINS8_6system6detail7generic6detail18binary_search_lessEbEEEE10hipError_tPvRmT1_T2_T3_mmT4_T5_P12ihipStream_tbEUlRKiE_EEST_SX_SY_mSZ_S12_bEUlT_E_NS1_11comp_targetILNS1_3genE0ELNS1_11target_archE4294967295ELNS1_3gpuE0ELNS1_3repE0EEENS1_30default_config_static_selectorELNS0_4arch9wavefront6targetE1EEEvSW_.has_recursion, 0
	.set _ZN7rocprim17ROCPRIM_400000_NS6detail17trampoline_kernelINS0_14default_configENS1_27lower_bound_config_selectorIilEEZNS1_14transform_implILb0ES3_S5_N6thrust23THRUST_200600_302600_NS6detail15normal_iteratorINS8_7pointerIiNS8_11hip_rocprim5par_tENS8_11use_defaultESE_EEEENSA_INSB_IlSD_SE_SE_EEEEZNS1_13binary_searchIS3_S5_PiSG_SI_NS1_21lower_bound_search_opENS9_16wrapped_functionINS8_6system6detail7generic6detail18binary_search_lessEbEEEE10hipError_tPvRmT1_T2_T3_mmT4_T5_P12ihipStream_tbEUlRKiE_EEST_SX_SY_mSZ_S12_bEUlT_E_NS1_11comp_targetILNS1_3genE0ELNS1_11target_archE4294967295ELNS1_3gpuE0ELNS1_3repE0EEENS1_30default_config_static_selectorELNS0_4arch9wavefront6targetE1EEEvSW_.has_indirect_call, 0
	.section	.AMDGPU.csdata,"",@progbits
; Kernel info:
; codeLenInByte = 0
; TotalNumSgprs: 4
; NumVgprs: 0
; ScratchSize: 0
; MemoryBound: 0
; FloatMode: 240
; IeeeMode: 1
; LDSByteSize: 0 bytes/workgroup (compile time only)
; SGPRBlocks: 0
; VGPRBlocks: 0
; NumSGPRsForWavesPerEU: 4
; NumVGPRsForWavesPerEU: 1
; Occupancy: 10
; WaveLimiterHint : 0
; COMPUTE_PGM_RSRC2:SCRATCH_EN: 0
; COMPUTE_PGM_RSRC2:USER_SGPR: 6
; COMPUTE_PGM_RSRC2:TRAP_HANDLER: 0
; COMPUTE_PGM_RSRC2:TGID_X_EN: 1
; COMPUTE_PGM_RSRC2:TGID_Y_EN: 0
; COMPUTE_PGM_RSRC2:TGID_Z_EN: 0
; COMPUTE_PGM_RSRC2:TIDIG_COMP_CNT: 0
	.section	.text._ZN7rocprim17ROCPRIM_400000_NS6detail17trampoline_kernelINS0_14default_configENS1_27lower_bound_config_selectorIilEEZNS1_14transform_implILb0ES3_S5_N6thrust23THRUST_200600_302600_NS6detail15normal_iteratorINS8_7pointerIiNS8_11hip_rocprim5par_tENS8_11use_defaultESE_EEEENSA_INSB_IlSD_SE_SE_EEEEZNS1_13binary_searchIS3_S5_PiSG_SI_NS1_21lower_bound_search_opENS9_16wrapped_functionINS8_6system6detail7generic6detail18binary_search_lessEbEEEE10hipError_tPvRmT1_T2_T3_mmT4_T5_P12ihipStream_tbEUlRKiE_EEST_SX_SY_mSZ_S12_bEUlT_E_NS1_11comp_targetILNS1_3genE5ELNS1_11target_archE942ELNS1_3gpuE9ELNS1_3repE0EEENS1_30default_config_static_selectorELNS0_4arch9wavefront6targetE1EEEvSW_,"axG",@progbits,_ZN7rocprim17ROCPRIM_400000_NS6detail17trampoline_kernelINS0_14default_configENS1_27lower_bound_config_selectorIilEEZNS1_14transform_implILb0ES3_S5_N6thrust23THRUST_200600_302600_NS6detail15normal_iteratorINS8_7pointerIiNS8_11hip_rocprim5par_tENS8_11use_defaultESE_EEEENSA_INSB_IlSD_SE_SE_EEEEZNS1_13binary_searchIS3_S5_PiSG_SI_NS1_21lower_bound_search_opENS9_16wrapped_functionINS8_6system6detail7generic6detail18binary_search_lessEbEEEE10hipError_tPvRmT1_T2_T3_mmT4_T5_P12ihipStream_tbEUlRKiE_EEST_SX_SY_mSZ_S12_bEUlT_E_NS1_11comp_targetILNS1_3genE5ELNS1_11target_archE942ELNS1_3gpuE9ELNS1_3repE0EEENS1_30default_config_static_selectorELNS0_4arch9wavefront6targetE1EEEvSW_,comdat
	.protected	_ZN7rocprim17ROCPRIM_400000_NS6detail17trampoline_kernelINS0_14default_configENS1_27lower_bound_config_selectorIilEEZNS1_14transform_implILb0ES3_S5_N6thrust23THRUST_200600_302600_NS6detail15normal_iteratorINS8_7pointerIiNS8_11hip_rocprim5par_tENS8_11use_defaultESE_EEEENSA_INSB_IlSD_SE_SE_EEEEZNS1_13binary_searchIS3_S5_PiSG_SI_NS1_21lower_bound_search_opENS9_16wrapped_functionINS8_6system6detail7generic6detail18binary_search_lessEbEEEE10hipError_tPvRmT1_T2_T3_mmT4_T5_P12ihipStream_tbEUlRKiE_EEST_SX_SY_mSZ_S12_bEUlT_E_NS1_11comp_targetILNS1_3genE5ELNS1_11target_archE942ELNS1_3gpuE9ELNS1_3repE0EEENS1_30default_config_static_selectorELNS0_4arch9wavefront6targetE1EEEvSW_ ; -- Begin function _ZN7rocprim17ROCPRIM_400000_NS6detail17trampoline_kernelINS0_14default_configENS1_27lower_bound_config_selectorIilEEZNS1_14transform_implILb0ES3_S5_N6thrust23THRUST_200600_302600_NS6detail15normal_iteratorINS8_7pointerIiNS8_11hip_rocprim5par_tENS8_11use_defaultESE_EEEENSA_INSB_IlSD_SE_SE_EEEEZNS1_13binary_searchIS3_S5_PiSG_SI_NS1_21lower_bound_search_opENS9_16wrapped_functionINS8_6system6detail7generic6detail18binary_search_lessEbEEEE10hipError_tPvRmT1_T2_T3_mmT4_T5_P12ihipStream_tbEUlRKiE_EEST_SX_SY_mSZ_S12_bEUlT_E_NS1_11comp_targetILNS1_3genE5ELNS1_11target_archE942ELNS1_3gpuE9ELNS1_3repE0EEENS1_30default_config_static_selectorELNS0_4arch9wavefront6targetE1EEEvSW_
	.globl	_ZN7rocprim17ROCPRIM_400000_NS6detail17trampoline_kernelINS0_14default_configENS1_27lower_bound_config_selectorIilEEZNS1_14transform_implILb0ES3_S5_N6thrust23THRUST_200600_302600_NS6detail15normal_iteratorINS8_7pointerIiNS8_11hip_rocprim5par_tENS8_11use_defaultESE_EEEENSA_INSB_IlSD_SE_SE_EEEEZNS1_13binary_searchIS3_S5_PiSG_SI_NS1_21lower_bound_search_opENS9_16wrapped_functionINS8_6system6detail7generic6detail18binary_search_lessEbEEEE10hipError_tPvRmT1_T2_T3_mmT4_T5_P12ihipStream_tbEUlRKiE_EEST_SX_SY_mSZ_S12_bEUlT_E_NS1_11comp_targetILNS1_3genE5ELNS1_11target_archE942ELNS1_3gpuE9ELNS1_3repE0EEENS1_30default_config_static_selectorELNS0_4arch9wavefront6targetE1EEEvSW_
	.p2align	8
	.type	_ZN7rocprim17ROCPRIM_400000_NS6detail17trampoline_kernelINS0_14default_configENS1_27lower_bound_config_selectorIilEEZNS1_14transform_implILb0ES3_S5_N6thrust23THRUST_200600_302600_NS6detail15normal_iteratorINS8_7pointerIiNS8_11hip_rocprim5par_tENS8_11use_defaultESE_EEEENSA_INSB_IlSD_SE_SE_EEEEZNS1_13binary_searchIS3_S5_PiSG_SI_NS1_21lower_bound_search_opENS9_16wrapped_functionINS8_6system6detail7generic6detail18binary_search_lessEbEEEE10hipError_tPvRmT1_T2_T3_mmT4_T5_P12ihipStream_tbEUlRKiE_EEST_SX_SY_mSZ_S12_bEUlT_E_NS1_11comp_targetILNS1_3genE5ELNS1_11target_archE942ELNS1_3gpuE9ELNS1_3repE0EEENS1_30default_config_static_selectorELNS0_4arch9wavefront6targetE1EEEvSW_,@function
_ZN7rocprim17ROCPRIM_400000_NS6detail17trampoline_kernelINS0_14default_configENS1_27lower_bound_config_selectorIilEEZNS1_14transform_implILb0ES3_S5_N6thrust23THRUST_200600_302600_NS6detail15normal_iteratorINS8_7pointerIiNS8_11hip_rocprim5par_tENS8_11use_defaultESE_EEEENSA_INSB_IlSD_SE_SE_EEEEZNS1_13binary_searchIS3_S5_PiSG_SI_NS1_21lower_bound_search_opENS9_16wrapped_functionINS8_6system6detail7generic6detail18binary_search_lessEbEEEE10hipError_tPvRmT1_T2_T3_mmT4_T5_P12ihipStream_tbEUlRKiE_EEST_SX_SY_mSZ_S12_bEUlT_E_NS1_11comp_targetILNS1_3genE5ELNS1_11target_archE942ELNS1_3gpuE9ELNS1_3repE0EEENS1_30default_config_static_selectorELNS0_4arch9wavefront6targetE1EEEvSW_: ; @_ZN7rocprim17ROCPRIM_400000_NS6detail17trampoline_kernelINS0_14default_configENS1_27lower_bound_config_selectorIilEEZNS1_14transform_implILb0ES3_S5_N6thrust23THRUST_200600_302600_NS6detail15normal_iteratorINS8_7pointerIiNS8_11hip_rocprim5par_tENS8_11use_defaultESE_EEEENSA_INSB_IlSD_SE_SE_EEEEZNS1_13binary_searchIS3_S5_PiSG_SI_NS1_21lower_bound_search_opENS9_16wrapped_functionINS8_6system6detail7generic6detail18binary_search_lessEbEEEE10hipError_tPvRmT1_T2_T3_mmT4_T5_P12ihipStream_tbEUlRKiE_EEST_SX_SY_mSZ_S12_bEUlT_E_NS1_11comp_targetILNS1_3genE5ELNS1_11target_archE942ELNS1_3gpuE9ELNS1_3repE0EEENS1_30default_config_static_selectorELNS0_4arch9wavefront6targetE1EEEvSW_
; %bb.0:
	.section	.rodata,"a",@progbits
	.p2align	6, 0x0
	.amdhsa_kernel _ZN7rocprim17ROCPRIM_400000_NS6detail17trampoline_kernelINS0_14default_configENS1_27lower_bound_config_selectorIilEEZNS1_14transform_implILb0ES3_S5_N6thrust23THRUST_200600_302600_NS6detail15normal_iteratorINS8_7pointerIiNS8_11hip_rocprim5par_tENS8_11use_defaultESE_EEEENSA_INSB_IlSD_SE_SE_EEEEZNS1_13binary_searchIS3_S5_PiSG_SI_NS1_21lower_bound_search_opENS9_16wrapped_functionINS8_6system6detail7generic6detail18binary_search_lessEbEEEE10hipError_tPvRmT1_T2_T3_mmT4_T5_P12ihipStream_tbEUlRKiE_EEST_SX_SY_mSZ_S12_bEUlT_E_NS1_11comp_targetILNS1_3genE5ELNS1_11target_archE942ELNS1_3gpuE9ELNS1_3repE0EEENS1_30default_config_static_selectorELNS0_4arch9wavefront6targetE1EEEvSW_
		.amdhsa_group_segment_fixed_size 0
		.amdhsa_private_segment_fixed_size 0
		.amdhsa_kernarg_size 56
		.amdhsa_user_sgpr_count 6
		.amdhsa_user_sgpr_private_segment_buffer 1
		.amdhsa_user_sgpr_dispatch_ptr 0
		.amdhsa_user_sgpr_queue_ptr 0
		.amdhsa_user_sgpr_kernarg_segment_ptr 1
		.amdhsa_user_sgpr_dispatch_id 0
		.amdhsa_user_sgpr_flat_scratch_init 0
		.amdhsa_user_sgpr_private_segment_size 0
		.amdhsa_uses_dynamic_stack 0
		.amdhsa_system_sgpr_private_segment_wavefront_offset 0
		.amdhsa_system_sgpr_workgroup_id_x 1
		.amdhsa_system_sgpr_workgroup_id_y 0
		.amdhsa_system_sgpr_workgroup_id_z 0
		.amdhsa_system_sgpr_workgroup_info 0
		.amdhsa_system_vgpr_workitem_id 0
		.amdhsa_next_free_vgpr 1
		.amdhsa_next_free_sgpr 0
		.amdhsa_reserve_vcc 0
		.amdhsa_reserve_flat_scratch 0
		.amdhsa_float_round_mode_32 0
		.amdhsa_float_round_mode_16_64 0
		.amdhsa_float_denorm_mode_32 3
		.amdhsa_float_denorm_mode_16_64 3
		.amdhsa_dx10_clamp 1
		.amdhsa_ieee_mode 1
		.amdhsa_fp16_overflow 0
		.amdhsa_exception_fp_ieee_invalid_op 0
		.amdhsa_exception_fp_denorm_src 0
		.amdhsa_exception_fp_ieee_div_zero 0
		.amdhsa_exception_fp_ieee_overflow 0
		.amdhsa_exception_fp_ieee_underflow 0
		.amdhsa_exception_fp_ieee_inexact 0
		.amdhsa_exception_int_div_zero 0
	.end_amdhsa_kernel
	.section	.text._ZN7rocprim17ROCPRIM_400000_NS6detail17trampoline_kernelINS0_14default_configENS1_27lower_bound_config_selectorIilEEZNS1_14transform_implILb0ES3_S5_N6thrust23THRUST_200600_302600_NS6detail15normal_iteratorINS8_7pointerIiNS8_11hip_rocprim5par_tENS8_11use_defaultESE_EEEENSA_INSB_IlSD_SE_SE_EEEEZNS1_13binary_searchIS3_S5_PiSG_SI_NS1_21lower_bound_search_opENS9_16wrapped_functionINS8_6system6detail7generic6detail18binary_search_lessEbEEEE10hipError_tPvRmT1_T2_T3_mmT4_T5_P12ihipStream_tbEUlRKiE_EEST_SX_SY_mSZ_S12_bEUlT_E_NS1_11comp_targetILNS1_3genE5ELNS1_11target_archE942ELNS1_3gpuE9ELNS1_3repE0EEENS1_30default_config_static_selectorELNS0_4arch9wavefront6targetE1EEEvSW_,"axG",@progbits,_ZN7rocprim17ROCPRIM_400000_NS6detail17trampoline_kernelINS0_14default_configENS1_27lower_bound_config_selectorIilEEZNS1_14transform_implILb0ES3_S5_N6thrust23THRUST_200600_302600_NS6detail15normal_iteratorINS8_7pointerIiNS8_11hip_rocprim5par_tENS8_11use_defaultESE_EEEENSA_INSB_IlSD_SE_SE_EEEEZNS1_13binary_searchIS3_S5_PiSG_SI_NS1_21lower_bound_search_opENS9_16wrapped_functionINS8_6system6detail7generic6detail18binary_search_lessEbEEEE10hipError_tPvRmT1_T2_T3_mmT4_T5_P12ihipStream_tbEUlRKiE_EEST_SX_SY_mSZ_S12_bEUlT_E_NS1_11comp_targetILNS1_3genE5ELNS1_11target_archE942ELNS1_3gpuE9ELNS1_3repE0EEENS1_30default_config_static_selectorELNS0_4arch9wavefront6targetE1EEEvSW_,comdat
.Lfunc_end133:
	.size	_ZN7rocprim17ROCPRIM_400000_NS6detail17trampoline_kernelINS0_14default_configENS1_27lower_bound_config_selectorIilEEZNS1_14transform_implILb0ES3_S5_N6thrust23THRUST_200600_302600_NS6detail15normal_iteratorINS8_7pointerIiNS8_11hip_rocprim5par_tENS8_11use_defaultESE_EEEENSA_INSB_IlSD_SE_SE_EEEEZNS1_13binary_searchIS3_S5_PiSG_SI_NS1_21lower_bound_search_opENS9_16wrapped_functionINS8_6system6detail7generic6detail18binary_search_lessEbEEEE10hipError_tPvRmT1_T2_T3_mmT4_T5_P12ihipStream_tbEUlRKiE_EEST_SX_SY_mSZ_S12_bEUlT_E_NS1_11comp_targetILNS1_3genE5ELNS1_11target_archE942ELNS1_3gpuE9ELNS1_3repE0EEENS1_30default_config_static_selectorELNS0_4arch9wavefront6targetE1EEEvSW_, .Lfunc_end133-_ZN7rocprim17ROCPRIM_400000_NS6detail17trampoline_kernelINS0_14default_configENS1_27lower_bound_config_selectorIilEEZNS1_14transform_implILb0ES3_S5_N6thrust23THRUST_200600_302600_NS6detail15normal_iteratorINS8_7pointerIiNS8_11hip_rocprim5par_tENS8_11use_defaultESE_EEEENSA_INSB_IlSD_SE_SE_EEEEZNS1_13binary_searchIS3_S5_PiSG_SI_NS1_21lower_bound_search_opENS9_16wrapped_functionINS8_6system6detail7generic6detail18binary_search_lessEbEEEE10hipError_tPvRmT1_T2_T3_mmT4_T5_P12ihipStream_tbEUlRKiE_EEST_SX_SY_mSZ_S12_bEUlT_E_NS1_11comp_targetILNS1_3genE5ELNS1_11target_archE942ELNS1_3gpuE9ELNS1_3repE0EEENS1_30default_config_static_selectorELNS0_4arch9wavefront6targetE1EEEvSW_
                                        ; -- End function
	.set _ZN7rocprim17ROCPRIM_400000_NS6detail17trampoline_kernelINS0_14default_configENS1_27lower_bound_config_selectorIilEEZNS1_14transform_implILb0ES3_S5_N6thrust23THRUST_200600_302600_NS6detail15normal_iteratorINS8_7pointerIiNS8_11hip_rocprim5par_tENS8_11use_defaultESE_EEEENSA_INSB_IlSD_SE_SE_EEEEZNS1_13binary_searchIS3_S5_PiSG_SI_NS1_21lower_bound_search_opENS9_16wrapped_functionINS8_6system6detail7generic6detail18binary_search_lessEbEEEE10hipError_tPvRmT1_T2_T3_mmT4_T5_P12ihipStream_tbEUlRKiE_EEST_SX_SY_mSZ_S12_bEUlT_E_NS1_11comp_targetILNS1_3genE5ELNS1_11target_archE942ELNS1_3gpuE9ELNS1_3repE0EEENS1_30default_config_static_selectorELNS0_4arch9wavefront6targetE1EEEvSW_.num_vgpr, 0
	.set _ZN7rocprim17ROCPRIM_400000_NS6detail17trampoline_kernelINS0_14default_configENS1_27lower_bound_config_selectorIilEEZNS1_14transform_implILb0ES3_S5_N6thrust23THRUST_200600_302600_NS6detail15normal_iteratorINS8_7pointerIiNS8_11hip_rocprim5par_tENS8_11use_defaultESE_EEEENSA_INSB_IlSD_SE_SE_EEEEZNS1_13binary_searchIS3_S5_PiSG_SI_NS1_21lower_bound_search_opENS9_16wrapped_functionINS8_6system6detail7generic6detail18binary_search_lessEbEEEE10hipError_tPvRmT1_T2_T3_mmT4_T5_P12ihipStream_tbEUlRKiE_EEST_SX_SY_mSZ_S12_bEUlT_E_NS1_11comp_targetILNS1_3genE5ELNS1_11target_archE942ELNS1_3gpuE9ELNS1_3repE0EEENS1_30default_config_static_selectorELNS0_4arch9wavefront6targetE1EEEvSW_.num_agpr, 0
	.set _ZN7rocprim17ROCPRIM_400000_NS6detail17trampoline_kernelINS0_14default_configENS1_27lower_bound_config_selectorIilEEZNS1_14transform_implILb0ES3_S5_N6thrust23THRUST_200600_302600_NS6detail15normal_iteratorINS8_7pointerIiNS8_11hip_rocprim5par_tENS8_11use_defaultESE_EEEENSA_INSB_IlSD_SE_SE_EEEEZNS1_13binary_searchIS3_S5_PiSG_SI_NS1_21lower_bound_search_opENS9_16wrapped_functionINS8_6system6detail7generic6detail18binary_search_lessEbEEEE10hipError_tPvRmT1_T2_T3_mmT4_T5_P12ihipStream_tbEUlRKiE_EEST_SX_SY_mSZ_S12_bEUlT_E_NS1_11comp_targetILNS1_3genE5ELNS1_11target_archE942ELNS1_3gpuE9ELNS1_3repE0EEENS1_30default_config_static_selectorELNS0_4arch9wavefront6targetE1EEEvSW_.numbered_sgpr, 0
	.set _ZN7rocprim17ROCPRIM_400000_NS6detail17trampoline_kernelINS0_14default_configENS1_27lower_bound_config_selectorIilEEZNS1_14transform_implILb0ES3_S5_N6thrust23THRUST_200600_302600_NS6detail15normal_iteratorINS8_7pointerIiNS8_11hip_rocprim5par_tENS8_11use_defaultESE_EEEENSA_INSB_IlSD_SE_SE_EEEEZNS1_13binary_searchIS3_S5_PiSG_SI_NS1_21lower_bound_search_opENS9_16wrapped_functionINS8_6system6detail7generic6detail18binary_search_lessEbEEEE10hipError_tPvRmT1_T2_T3_mmT4_T5_P12ihipStream_tbEUlRKiE_EEST_SX_SY_mSZ_S12_bEUlT_E_NS1_11comp_targetILNS1_3genE5ELNS1_11target_archE942ELNS1_3gpuE9ELNS1_3repE0EEENS1_30default_config_static_selectorELNS0_4arch9wavefront6targetE1EEEvSW_.num_named_barrier, 0
	.set _ZN7rocprim17ROCPRIM_400000_NS6detail17trampoline_kernelINS0_14default_configENS1_27lower_bound_config_selectorIilEEZNS1_14transform_implILb0ES3_S5_N6thrust23THRUST_200600_302600_NS6detail15normal_iteratorINS8_7pointerIiNS8_11hip_rocprim5par_tENS8_11use_defaultESE_EEEENSA_INSB_IlSD_SE_SE_EEEEZNS1_13binary_searchIS3_S5_PiSG_SI_NS1_21lower_bound_search_opENS9_16wrapped_functionINS8_6system6detail7generic6detail18binary_search_lessEbEEEE10hipError_tPvRmT1_T2_T3_mmT4_T5_P12ihipStream_tbEUlRKiE_EEST_SX_SY_mSZ_S12_bEUlT_E_NS1_11comp_targetILNS1_3genE5ELNS1_11target_archE942ELNS1_3gpuE9ELNS1_3repE0EEENS1_30default_config_static_selectorELNS0_4arch9wavefront6targetE1EEEvSW_.private_seg_size, 0
	.set _ZN7rocprim17ROCPRIM_400000_NS6detail17trampoline_kernelINS0_14default_configENS1_27lower_bound_config_selectorIilEEZNS1_14transform_implILb0ES3_S5_N6thrust23THRUST_200600_302600_NS6detail15normal_iteratorINS8_7pointerIiNS8_11hip_rocprim5par_tENS8_11use_defaultESE_EEEENSA_INSB_IlSD_SE_SE_EEEEZNS1_13binary_searchIS3_S5_PiSG_SI_NS1_21lower_bound_search_opENS9_16wrapped_functionINS8_6system6detail7generic6detail18binary_search_lessEbEEEE10hipError_tPvRmT1_T2_T3_mmT4_T5_P12ihipStream_tbEUlRKiE_EEST_SX_SY_mSZ_S12_bEUlT_E_NS1_11comp_targetILNS1_3genE5ELNS1_11target_archE942ELNS1_3gpuE9ELNS1_3repE0EEENS1_30default_config_static_selectorELNS0_4arch9wavefront6targetE1EEEvSW_.uses_vcc, 0
	.set _ZN7rocprim17ROCPRIM_400000_NS6detail17trampoline_kernelINS0_14default_configENS1_27lower_bound_config_selectorIilEEZNS1_14transform_implILb0ES3_S5_N6thrust23THRUST_200600_302600_NS6detail15normal_iteratorINS8_7pointerIiNS8_11hip_rocprim5par_tENS8_11use_defaultESE_EEEENSA_INSB_IlSD_SE_SE_EEEEZNS1_13binary_searchIS3_S5_PiSG_SI_NS1_21lower_bound_search_opENS9_16wrapped_functionINS8_6system6detail7generic6detail18binary_search_lessEbEEEE10hipError_tPvRmT1_T2_T3_mmT4_T5_P12ihipStream_tbEUlRKiE_EEST_SX_SY_mSZ_S12_bEUlT_E_NS1_11comp_targetILNS1_3genE5ELNS1_11target_archE942ELNS1_3gpuE9ELNS1_3repE0EEENS1_30default_config_static_selectorELNS0_4arch9wavefront6targetE1EEEvSW_.uses_flat_scratch, 0
	.set _ZN7rocprim17ROCPRIM_400000_NS6detail17trampoline_kernelINS0_14default_configENS1_27lower_bound_config_selectorIilEEZNS1_14transform_implILb0ES3_S5_N6thrust23THRUST_200600_302600_NS6detail15normal_iteratorINS8_7pointerIiNS8_11hip_rocprim5par_tENS8_11use_defaultESE_EEEENSA_INSB_IlSD_SE_SE_EEEEZNS1_13binary_searchIS3_S5_PiSG_SI_NS1_21lower_bound_search_opENS9_16wrapped_functionINS8_6system6detail7generic6detail18binary_search_lessEbEEEE10hipError_tPvRmT1_T2_T3_mmT4_T5_P12ihipStream_tbEUlRKiE_EEST_SX_SY_mSZ_S12_bEUlT_E_NS1_11comp_targetILNS1_3genE5ELNS1_11target_archE942ELNS1_3gpuE9ELNS1_3repE0EEENS1_30default_config_static_selectorELNS0_4arch9wavefront6targetE1EEEvSW_.has_dyn_sized_stack, 0
	.set _ZN7rocprim17ROCPRIM_400000_NS6detail17trampoline_kernelINS0_14default_configENS1_27lower_bound_config_selectorIilEEZNS1_14transform_implILb0ES3_S5_N6thrust23THRUST_200600_302600_NS6detail15normal_iteratorINS8_7pointerIiNS8_11hip_rocprim5par_tENS8_11use_defaultESE_EEEENSA_INSB_IlSD_SE_SE_EEEEZNS1_13binary_searchIS3_S5_PiSG_SI_NS1_21lower_bound_search_opENS9_16wrapped_functionINS8_6system6detail7generic6detail18binary_search_lessEbEEEE10hipError_tPvRmT1_T2_T3_mmT4_T5_P12ihipStream_tbEUlRKiE_EEST_SX_SY_mSZ_S12_bEUlT_E_NS1_11comp_targetILNS1_3genE5ELNS1_11target_archE942ELNS1_3gpuE9ELNS1_3repE0EEENS1_30default_config_static_selectorELNS0_4arch9wavefront6targetE1EEEvSW_.has_recursion, 0
	.set _ZN7rocprim17ROCPRIM_400000_NS6detail17trampoline_kernelINS0_14default_configENS1_27lower_bound_config_selectorIilEEZNS1_14transform_implILb0ES3_S5_N6thrust23THRUST_200600_302600_NS6detail15normal_iteratorINS8_7pointerIiNS8_11hip_rocprim5par_tENS8_11use_defaultESE_EEEENSA_INSB_IlSD_SE_SE_EEEEZNS1_13binary_searchIS3_S5_PiSG_SI_NS1_21lower_bound_search_opENS9_16wrapped_functionINS8_6system6detail7generic6detail18binary_search_lessEbEEEE10hipError_tPvRmT1_T2_T3_mmT4_T5_P12ihipStream_tbEUlRKiE_EEST_SX_SY_mSZ_S12_bEUlT_E_NS1_11comp_targetILNS1_3genE5ELNS1_11target_archE942ELNS1_3gpuE9ELNS1_3repE0EEENS1_30default_config_static_selectorELNS0_4arch9wavefront6targetE1EEEvSW_.has_indirect_call, 0
	.section	.AMDGPU.csdata,"",@progbits
; Kernel info:
; codeLenInByte = 0
; TotalNumSgprs: 4
; NumVgprs: 0
; ScratchSize: 0
; MemoryBound: 0
; FloatMode: 240
; IeeeMode: 1
; LDSByteSize: 0 bytes/workgroup (compile time only)
; SGPRBlocks: 0
; VGPRBlocks: 0
; NumSGPRsForWavesPerEU: 4
; NumVGPRsForWavesPerEU: 1
; Occupancy: 10
; WaveLimiterHint : 0
; COMPUTE_PGM_RSRC2:SCRATCH_EN: 0
; COMPUTE_PGM_RSRC2:USER_SGPR: 6
; COMPUTE_PGM_RSRC2:TRAP_HANDLER: 0
; COMPUTE_PGM_RSRC2:TGID_X_EN: 1
; COMPUTE_PGM_RSRC2:TGID_Y_EN: 0
; COMPUTE_PGM_RSRC2:TGID_Z_EN: 0
; COMPUTE_PGM_RSRC2:TIDIG_COMP_CNT: 0
	.section	.text._ZN7rocprim17ROCPRIM_400000_NS6detail17trampoline_kernelINS0_14default_configENS1_27lower_bound_config_selectorIilEEZNS1_14transform_implILb0ES3_S5_N6thrust23THRUST_200600_302600_NS6detail15normal_iteratorINS8_7pointerIiNS8_11hip_rocprim5par_tENS8_11use_defaultESE_EEEENSA_INSB_IlSD_SE_SE_EEEEZNS1_13binary_searchIS3_S5_PiSG_SI_NS1_21lower_bound_search_opENS9_16wrapped_functionINS8_6system6detail7generic6detail18binary_search_lessEbEEEE10hipError_tPvRmT1_T2_T3_mmT4_T5_P12ihipStream_tbEUlRKiE_EEST_SX_SY_mSZ_S12_bEUlT_E_NS1_11comp_targetILNS1_3genE4ELNS1_11target_archE910ELNS1_3gpuE8ELNS1_3repE0EEENS1_30default_config_static_selectorELNS0_4arch9wavefront6targetE1EEEvSW_,"axG",@progbits,_ZN7rocprim17ROCPRIM_400000_NS6detail17trampoline_kernelINS0_14default_configENS1_27lower_bound_config_selectorIilEEZNS1_14transform_implILb0ES3_S5_N6thrust23THRUST_200600_302600_NS6detail15normal_iteratorINS8_7pointerIiNS8_11hip_rocprim5par_tENS8_11use_defaultESE_EEEENSA_INSB_IlSD_SE_SE_EEEEZNS1_13binary_searchIS3_S5_PiSG_SI_NS1_21lower_bound_search_opENS9_16wrapped_functionINS8_6system6detail7generic6detail18binary_search_lessEbEEEE10hipError_tPvRmT1_T2_T3_mmT4_T5_P12ihipStream_tbEUlRKiE_EEST_SX_SY_mSZ_S12_bEUlT_E_NS1_11comp_targetILNS1_3genE4ELNS1_11target_archE910ELNS1_3gpuE8ELNS1_3repE0EEENS1_30default_config_static_selectorELNS0_4arch9wavefront6targetE1EEEvSW_,comdat
	.protected	_ZN7rocprim17ROCPRIM_400000_NS6detail17trampoline_kernelINS0_14default_configENS1_27lower_bound_config_selectorIilEEZNS1_14transform_implILb0ES3_S5_N6thrust23THRUST_200600_302600_NS6detail15normal_iteratorINS8_7pointerIiNS8_11hip_rocprim5par_tENS8_11use_defaultESE_EEEENSA_INSB_IlSD_SE_SE_EEEEZNS1_13binary_searchIS3_S5_PiSG_SI_NS1_21lower_bound_search_opENS9_16wrapped_functionINS8_6system6detail7generic6detail18binary_search_lessEbEEEE10hipError_tPvRmT1_T2_T3_mmT4_T5_P12ihipStream_tbEUlRKiE_EEST_SX_SY_mSZ_S12_bEUlT_E_NS1_11comp_targetILNS1_3genE4ELNS1_11target_archE910ELNS1_3gpuE8ELNS1_3repE0EEENS1_30default_config_static_selectorELNS0_4arch9wavefront6targetE1EEEvSW_ ; -- Begin function _ZN7rocprim17ROCPRIM_400000_NS6detail17trampoline_kernelINS0_14default_configENS1_27lower_bound_config_selectorIilEEZNS1_14transform_implILb0ES3_S5_N6thrust23THRUST_200600_302600_NS6detail15normal_iteratorINS8_7pointerIiNS8_11hip_rocprim5par_tENS8_11use_defaultESE_EEEENSA_INSB_IlSD_SE_SE_EEEEZNS1_13binary_searchIS3_S5_PiSG_SI_NS1_21lower_bound_search_opENS9_16wrapped_functionINS8_6system6detail7generic6detail18binary_search_lessEbEEEE10hipError_tPvRmT1_T2_T3_mmT4_T5_P12ihipStream_tbEUlRKiE_EEST_SX_SY_mSZ_S12_bEUlT_E_NS1_11comp_targetILNS1_3genE4ELNS1_11target_archE910ELNS1_3gpuE8ELNS1_3repE0EEENS1_30default_config_static_selectorELNS0_4arch9wavefront6targetE1EEEvSW_
	.globl	_ZN7rocprim17ROCPRIM_400000_NS6detail17trampoline_kernelINS0_14default_configENS1_27lower_bound_config_selectorIilEEZNS1_14transform_implILb0ES3_S5_N6thrust23THRUST_200600_302600_NS6detail15normal_iteratorINS8_7pointerIiNS8_11hip_rocprim5par_tENS8_11use_defaultESE_EEEENSA_INSB_IlSD_SE_SE_EEEEZNS1_13binary_searchIS3_S5_PiSG_SI_NS1_21lower_bound_search_opENS9_16wrapped_functionINS8_6system6detail7generic6detail18binary_search_lessEbEEEE10hipError_tPvRmT1_T2_T3_mmT4_T5_P12ihipStream_tbEUlRKiE_EEST_SX_SY_mSZ_S12_bEUlT_E_NS1_11comp_targetILNS1_3genE4ELNS1_11target_archE910ELNS1_3gpuE8ELNS1_3repE0EEENS1_30default_config_static_selectorELNS0_4arch9wavefront6targetE1EEEvSW_
	.p2align	8
	.type	_ZN7rocprim17ROCPRIM_400000_NS6detail17trampoline_kernelINS0_14default_configENS1_27lower_bound_config_selectorIilEEZNS1_14transform_implILb0ES3_S5_N6thrust23THRUST_200600_302600_NS6detail15normal_iteratorINS8_7pointerIiNS8_11hip_rocprim5par_tENS8_11use_defaultESE_EEEENSA_INSB_IlSD_SE_SE_EEEEZNS1_13binary_searchIS3_S5_PiSG_SI_NS1_21lower_bound_search_opENS9_16wrapped_functionINS8_6system6detail7generic6detail18binary_search_lessEbEEEE10hipError_tPvRmT1_T2_T3_mmT4_T5_P12ihipStream_tbEUlRKiE_EEST_SX_SY_mSZ_S12_bEUlT_E_NS1_11comp_targetILNS1_3genE4ELNS1_11target_archE910ELNS1_3gpuE8ELNS1_3repE0EEENS1_30default_config_static_selectorELNS0_4arch9wavefront6targetE1EEEvSW_,@function
_ZN7rocprim17ROCPRIM_400000_NS6detail17trampoline_kernelINS0_14default_configENS1_27lower_bound_config_selectorIilEEZNS1_14transform_implILb0ES3_S5_N6thrust23THRUST_200600_302600_NS6detail15normal_iteratorINS8_7pointerIiNS8_11hip_rocprim5par_tENS8_11use_defaultESE_EEEENSA_INSB_IlSD_SE_SE_EEEEZNS1_13binary_searchIS3_S5_PiSG_SI_NS1_21lower_bound_search_opENS9_16wrapped_functionINS8_6system6detail7generic6detail18binary_search_lessEbEEEE10hipError_tPvRmT1_T2_T3_mmT4_T5_P12ihipStream_tbEUlRKiE_EEST_SX_SY_mSZ_S12_bEUlT_E_NS1_11comp_targetILNS1_3genE4ELNS1_11target_archE910ELNS1_3gpuE8ELNS1_3repE0EEENS1_30default_config_static_selectorELNS0_4arch9wavefront6targetE1EEEvSW_: ; @_ZN7rocprim17ROCPRIM_400000_NS6detail17trampoline_kernelINS0_14default_configENS1_27lower_bound_config_selectorIilEEZNS1_14transform_implILb0ES3_S5_N6thrust23THRUST_200600_302600_NS6detail15normal_iteratorINS8_7pointerIiNS8_11hip_rocprim5par_tENS8_11use_defaultESE_EEEENSA_INSB_IlSD_SE_SE_EEEEZNS1_13binary_searchIS3_S5_PiSG_SI_NS1_21lower_bound_search_opENS9_16wrapped_functionINS8_6system6detail7generic6detail18binary_search_lessEbEEEE10hipError_tPvRmT1_T2_T3_mmT4_T5_P12ihipStream_tbEUlRKiE_EEST_SX_SY_mSZ_S12_bEUlT_E_NS1_11comp_targetILNS1_3genE4ELNS1_11target_archE910ELNS1_3gpuE8ELNS1_3repE0EEENS1_30default_config_static_selectorELNS0_4arch9wavefront6targetE1EEEvSW_
; %bb.0:
	.section	.rodata,"a",@progbits
	.p2align	6, 0x0
	.amdhsa_kernel _ZN7rocprim17ROCPRIM_400000_NS6detail17trampoline_kernelINS0_14default_configENS1_27lower_bound_config_selectorIilEEZNS1_14transform_implILb0ES3_S5_N6thrust23THRUST_200600_302600_NS6detail15normal_iteratorINS8_7pointerIiNS8_11hip_rocprim5par_tENS8_11use_defaultESE_EEEENSA_INSB_IlSD_SE_SE_EEEEZNS1_13binary_searchIS3_S5_PiSG_SI_NS1_21lower_bound_search_opENS9_16wrapped_functionINS8_6system6detail7generic6detail18binary_search_lessEbEEEE10hipError_tPvRmT1_T2_T3_mmT4_T5_P12ihipStream_tbEUlRKiE_EEST_SX_SY_mSZ_S12_bEUlT_E_NS1_11comp_targetILNS1_3genE4ELNS1_11target_archE910ELNS1_3gpuE8ELNS1_3repE0EEENS1_30default_config_static_selectorELNS0_4arch9wavefront6targetE1EEEvSW_
		.amdhsa_group_segment_fixed_size 0
		.amdhsa_private_segment_fixed_size 0
		.amdhsa_kernarg_size 56
		.amdhsa_user_sgpr_count 6
		.amdhsa_user_sgpr_private_segment_buffer 1
		.amdhsa_user_sgpr_dispatch_ptr 0
		.amdhsa_user_sgpr_queue_ptr 0
		.amdhsa_user_sgpr_kernarg_segment_ptr 1
		.amdhsa_user_sgpr_dispatch_id 0
		.amdhsa_user_sgpr_flat_scratch_init 0
		.amdhsa_user_sgpr_private_segment_size 0
		.amdhsa_uses_dynamic_stack 0
		.amdhsa_system_sgpr_private_segment_wavefront_offset 0
		.amdhsa_system_sgpr_workgroup_id_x 1
		.amdhsa_system_sgpr_workgroup_id_y 0
		.amdhsa_system_sgpr_workgroup_id_z 0
		.amdhsa_system_sgpr_workgroup_info 0
		.amdhsa_system_vgpr_workitem_id 0
		.amdhsa_next_free_vgpr 1
		.amdhsa_next_free_sgpr 0
		.amdhsa_reserve_vcc 0
		.amdhsa_reserve_flat_scratch 0
		.amdhsa_float_round_mode_32 0
		.amdhsa_float_round_mode_16_64 0
		.amdhsa_float_denorm_mode_32 3
		.amdhsa_float_denorm_mode_16_64 3
		.amdhsa_dx10_clamp 1
		.amdhsa_ieee_mode 1
		.amdhsa_fp16_overflow 0
		.amdhsa_exception_fp_ieee_invalid_op 0
		.amdhsa_exception_fp_denorm_src 0
		.amdhsa_exception_fp_ieee_div_zero 0
		.amdhsa_exception_fp_ieee_overflow 0
		.amdhsa_exception_fp_ieee_underflow 0
		.amdhsa_exception_fp_ieee_inexact 0
		.amdhsa_exception_int_div_zero 0
	.end_amdhsa_kernel
	.section	.text._ZN7rocprim17ROCPRIM_400000_NS6detail17trampoline_kernelINS0_14default_configENS1_27lower_bound_config_selectorIilEEZNS1_14transform_implILb0ES3_S5_N6thrust23THRUST_200600_302600_NS6detail15normal_iteratorINS8_7pointerIiNS8_11hip_rocprim5par_tENS8_11use_defaultESE_EEEENSA_INSB_IlSD_SE_SE_EEEEZNS1_13binary_searchIS3_S5_PiSG_SI_NS1_21lower_bound_search_opENS9_16wrapped_functionINS8_6system6detail7generic6detail18binary_search_lessEbEEEE10hipError_tPvRmT1_T2_T3_mmT4_T5_P12ihipStream_tbEUlRKiE_EEST_SX_SY_mSZ_S12_bEUlT_E_NS1_11comp_targetILNS1_3genE4ELNS1_11target_archE910ELNS1_3gpuE8ELNS1_3repE0EEENS1_30default_config_static_selectorELNS0_4arch9wavefront6targetE1EEEvSW_,"axG",@progbits,_ZN7rocprim17ROCPRIM_400000_NS6detail17trampoline_kernelINS0_14default_configENS1_27lower_bound_config_selectorIilEEZNS1_14transform_implILb0ES3_S5_N6thrust23THRUST_200600_302600_NS6detail15normal_iteratorINS8_7pointerIiNS8_11hip_rocprim5par_tENS8_11use_defaultESE_EEEENSA_INSB_IlSD_SE_SE_EEEEZNS1_13binary_searchIS3_S5_PiSG_SI_NS1_21lower_bound_search_opENS9_16wrapped_functionINS8_6system6detail7generic6detail18binary_search_lessEbEEEE10hipError_tPvRmT1_T2_T3_mmT4_T5_P12ihipStream_tbEUlRKiE_EEST_SX_SY_mSZ_S12_bEUlT_E_NS1_11comp_targetILNS1_3genE4ELNS1_11target_archE910ELNS1_3gpuE8ELNS1_3repE0EEENS1_30default_config_static_selectorELNS0_4arch9wavefront6targetE1EEEvSW_,comdat
.Lfunc_end134:
	.size	_ZN7rocprim17ROCPRIM_400000_NS6detail17trampoline_kernelINS0_14default_configENS1_27lower_bound_config_selectorIilEEZNS1_14transform_implILb0ES3_S5_N6thrust23THRUST_200600_302600_NS6detail15normal_iteratorINS8_7pointerIiNS8_11hip_rocprim5par_tENS8_11use_defaultESE_EEEENSA_INSB_IlSD_SE_SE_EEEEZNS1_13binary_searchIS3_S5_PiSG_SI_NS1_21lower_bound_search_opENS9_16wrapped_functionINS8_6system6detail7generic6detail18binary_search_lessEbEEEE10hipError_tPvRmT1_T2_T3_mmT4_T5_P12ihipStream_tbEUlRKiE_EEST_SX_SY_mSZ_S12_bEUlT_E_NS1_11comp_targetILNS1_3genE4ELNS1_11target_archE910ELNS1_3gpuE8ELNS1_3repE0EEENS1_30default_config_static_selectorELNS0_4arch9wavefront6targetE1EEEvSW_, .Lfunc_end134-_ZN7rocprim17ROCPRIM_400000_NS6detail17trampoline_kernelINS0_14default_configENS1_27lower_bound_config_selectorIilEEZNS1_14transform_implILb0ES3_S5_N6thrust23THRUST_200600_302600_NS6detail15normal_iteratorINS8_7pointerIiNS8_11hip_rocprim5par_tENS8_11use_defaultESE_EEEENSA_INSB_IlSD_SE_SE_EEEEZNS1_13binary_searchIS3_S5_PiSG_SI_NS1_21lower_bound_search_opENS9_16wrapped_functionINS8_6system6detail7generic6detail18binary_search_lessEbEEEE10hipError_tPvRmT1_T2_T3_mmT4_T5_P12ihipStream_tbEUlRKiE_EEST_SX_SY_mSZ_S12_bEUlT_E_NS1_11comp_targetILNS1_3genE4ELNS1_11target_archE910ELNS1_3gpuE8ELNS1_3repE0EEENS1_30default_config_static_selectorELNS0_4arch9wavefront6targetE1EEEvSW_
                                        ; -- End function
	.set _ZN7rocprim17ROCPRIM_400000_NS6detail17trampoline_kernelINS0_14default_configENS1_27lower_bound_config_selectorIilEEZNS1_14transform_implILb0ES3_S5_N6thrust23THRUST_200600_302600_NS6detail15normal_iteratorINS8_7pointerIiNS8_11hip_rocprim5par_tENS8_11use_defaultESE_EEEENSA_INSB_IlSD_SE_SE_EEEEZNS1_13binary_searchIS3_S5_PiSG_SI_NS1_21lower_bound_search_opENS9_16wrapped_functionINS8_6system6detail7generic6detail18binary_search_lessEbEEEE10hipError_tPvRmT1_T2_T3_mmT4_T5_P12ihipStream_tbEUlRKiE_EEST_SX_SY_mSZ_S12_bEUlT_E_NS1_11comp_targetILNS1_3genE4ELNS1_11target_archE910ELNS1_3gpuE8ELNS1_3repE0EEENS1_30default_config_static_selectorELNS0_4arch9wavefront6targetE1EEEvSW_.num_vgpr, 0
	.set _ZN7rocprim17ROCPRIM_400000_NS6detail17trampoline_kernelINS0_14default_configENS1_27lower_bound_config_selectorIilEEZNS1_14transform_implILb0ES3_S5_N6thrust23THRUST_200600_302600_NS6detail15normal_iteratorINS8_7pointerIiNS8_11hip_rocprim5par_tENS8_11use_defaultESE_EEEENSA_INSB_IlSD_SE_SE_EEEEZNS1_13binary_searchIS3_S5_PiSG_SI_NS1_21lower_bound_search_opENS9_16wrapped_functionINS8_6system6detail7generic6detail18binary_search_lessEbEEEE10hipError_tPvRmT1_T2_T3_mmT4_T5_P12ihipStream_tbEUlRKiE_EEST_SX_SY_mSZ_S12_bEUlT_E_NS1_11comp_targetILNS1_3genE4ELNS1_11target_archE910ELNS1_3gpuE8ELNS1_3repE0EEENS1_30default_config_static_selectorELNS0_4arch9wavefront6targetE1EEEvSW_.num_agpr, 0
	.set _ZN7rocprim17ROCPRIM_400000_NS6detail17trampoline_kernelINS0_14default_configENS1_27lower_bound_config_selectorIilEEZNS1_14transform_implILb0ES3_S5_N6thrust23THRUST_200600_302600_NS6detail15normal_iteratorINS8_7pointerIiNS8_11hip_rocprim5par_tENS8_11use_defaultESE_EEEENSA_INSB_IlSD_SE_SE_EEEEZNS1_13binary_searchIS3_S5_PiSG_SI_NS1_21lower_bound_search_opENS9_16wrapped_functionINS8_6system6detail7generic6detail18binary_search_lessEbEEEE10hipError_tPvRmT1_T2_T3_mmT4_T5_P12ihipStream_tbEUlRKiE_EEST_SX_SY_mSZ_S12_bEUlT_E_NS1_11comp_targetILNS1_3genE4ELNS1_11target_archE910ELNS1_3gpuE8ELNS1_3repE0EEENS1_30default_config_static_selectorELNS0_4arch9wavefront6targetE1EEEvSW_.numbered_sgpr, 0
	.set _ZN7rocprim17ROCPRIM_400000_NS6detail17trampoline_kernelINS0_14default_configENS1_27lower_bound_config_selectorIilEEZNS1_14transform_implILb0ES3_S5_N6thrust23THRUST_200600_302600_NS6detail15normal_iteratorINS8_7pointerIiNS8_11hip_rocprim5par_tENS8_11use_defaultESE_EEEENSA_INSB_IlSD_SE_SE_EEEEZNS1_13binary_searchIS3_S5_PiSG_SI_NS1_21lower_bound_search_opENS9_16wrapped_functionINS8_6system6detail7generic6detail18binary_search_lessEbEEEE10hipError_tPvRmT1_T2_T3_mmT4_T5_P12ihipStream_tbEUlRKiE_EEST_SX_SY_mSZ_S12_bEUlT_E_NS1_11comp_targetILNS1_3genE4ELNS1_11target_archE910ELNS1_3gpuE8ELNS1_3repE0EEENS1_30default_config_static_selectorELNS0_4arch9wavefront6targetE1EEEvSW_.num_named_barrier, 0
	.set _ZN7rocprim17ROCPRIM_400000_NS6detail17trampoline_kernelINS0_14default_configENS1_27lower_bound_config_selectorIilEEZNS1_14transform_implILb0ES3_S5_N6thrust23THRUST_200600_302600_NS6detail15normal_iteratorINS8_7pointerIiNS8_11hip_rocprim5par_tENS8_11use_defaultESE_EEEENSA_INSB_IlSD_SE_SE_EEEEZNS1_13binary_searchIS3_S5_PiSG_SI_NS1_21lower_bound_search_opENS9_16wrapped_functionINS8_6system6detail7generic6detail18binary_search_lessEbEEEE10hipError_tPvRmT1_T2_T3_mmT4_T5_P12ihipStream_tbEUlRKiE_EEST_SX_SY_mSZ_S12_bEUlT_E_NS1_11comp_targetILNS1_3genE4ELNS1_11target_archE910ELNS1_3gpuE8ELNS1_3repE0EEENS1_30default_config_static_selectorELNS0_4arch9wavefront6targetE1EEEvSW_.private_seg_size, 0
	.set _ZN7rocprim17ROCPRIM_400000_NS6detail17trampoline_kernelINS0_14default_configENS1_27lower_bound_config_selectorIilEEZNS1_14transform_implILb0ES3_S5_N6thrust23THRUST_200600_302600_NS6detail15normal_iteratorINS8_7pointerIiNS8_11hip_rocprim5par_tENS8_11use_defaultESE_EEEENSA_INSB_IlSD_SE_SE_EEEEZNS1_13binary_searchIS3_S5_PiSG_SI_NS1_21lower_bound_search_opENS9_16wrapped_functionINS8_6system6detail7generic6detail18binary_search_lessEbEEEE10hipError_tPvRmT1_T2_T3_mmT4_T5_P12ihipStream_tbEUlRKiE_EEST_SX_SY_mSZ_S12_bEUlT_E_NS1_11comp_targetILNS1_3genE4ELNS1_11target_archE910ELNS1_3gpuE8ELNS1_3repE0EEENS1_30default_config_static_selectorELNS0_4arch9wavefront6targetE1EEEvSW_.uses_vcc, 0
	.set _ZN7rocprim17ROCPRIM_400000_NS6detail17trampoline_kernelINS0_14default_configENS1_27lower_bound_config_selectorIilEEZNS1_14transform_implILb0ES3_S5_N6thrust23THRUST_200600_302600_NS6detail15normal_iteratorINS8_7pointerIiNS8_11hip_rocprim5par_tENS8_11use_defaultESE_EEEENSA_INSB_IlSD_SE_SE_EEEEZNS1_13binary_searchIS3_S5_PiSG_SI_NS1_21lower_bound_search_opENS9_16wrapped_functionINS8_6system6detail7generic6detail18binary_search_lessEbEEEE10hipError_tPvRmT1_T2_T3_mmT4_T5_P12ihipStream_tbEUlRKiE_EEST_SX_SY_mSZ_S12_bEUlT_E_NS1_11comp_targetILNS1_3genE4ELNS1_11target_archE910ELNS1_3gpuE8ELNS1_3repE0EEENS1_30default_config_static_selectorELNS0_4arch9wavefront6targetE1EEEvSW_.uses_flat_scratch, 0
	.set _ZN7rocprim17ROCPRIM_400000_NS6detail17trampoline_kernelINS0_14default_configENS1_27lower_bound_config_selectorIilEEZNS1_14transform_implILb0ES3_S5_N6thrust23THRUST_200600_302600_NS6detail15normal_iteratorINS8_7pointerIiNS8_11hip_rocprim5par_tENS8_11use_defaultESE_EEEENSA_INSB_IlSD_SE_SE_EEEEZNS1_13binary_searchIS3_S5_PiSG_SI_NS1_21lower_bound_search_opENS9_16wrapped_functionINS8_6system6detail7generic6detail18binary_search_lessEbEEEE10hipError_tPvRmT1_T2_T3_mmT4_T5_P12ihipStream_tbEUlRKiE_EEST_SX_SY_mSZ_S12_bEUlT_E_NS1_11comp_targetILNS1_3genE4ELNS1_11target_archE910ELNS1_3gpuE8ELNS1_3repE0EEENS1_30default_config_static_selectorELNS0_4arch9wavefront6targetE1EEEvSW_.has_dyn_sized_stack, 0
	.set _ZN7rocprim17ROCPRIM_400000_NS6detail17trampoline_kernelINS0_14default_configENS1_27lower_bound_config_selectorIilEEZNS1_14transform_implILb0ES3_S5_N6thrust23THRUST_200600_302600_NS6detail15normal_iteratorINS8_7pointerIiNS8_11hip_rocprim5par_tENS8_11use_defaultESE_EEEENSA_INSB_IlSD_SE_SE_EEEEZNS1_13binary_searchIS3_S5_PiSG_SI_NS1_21lower_bound_search_opENS9_16wrapped_functionINS8_6system6detail7generic6detail18binary_search_lessEbEEEE10hipError_tPvRmT1_T2_T3_mmT4_T5_P12ihipStream_tbEUlRKiE_EEST_SX_SY_mSZ_S12_bEUlT_E_NS1_11comp_targetILNS1_3genE4ELNS1_11target_archE910ELNS1_3gpuE8ELNS1_3repE0EEENS1_30default_config_static_selectorELNS0_4arch9wavefront6targetE1EEEvSW_.has_recursion, 0
	.set _ZN7rocprim17ROCPRIM_400000_NS6detail17trampoline_kernelINS0_14default_configENS1_27lower_bound_config_selectorIilEEZNS1_14transform_implILb0ES3_S5_N6thrust23THRUST_200600_302600_NS6detail15normal_iteratorINS8_7pointerIiNS8_11hip_rocprim5par_tENS8_11use_defaultESE_EEEENSA_INSB_IlSD_SE_SE_EEEEZNS1_13binary_searchIS3_S5_PiSG_SI_NS1_21lower_bound_search_opENS9_16wrapped_functionINS8_6system6detail7generic6detail18binary_search_lessEbEEEE10hipError_tPvRmT1_T2_T3_mmT4_T5_P12ihipStream_tbEUlRKiE_EEST_SX_SY_mSZ_S12_bEUlT_E_NS1_11comp_targetILNS1_3genE4ELNS1_11target_archE910ELNS1_3gpuE8ELNS1_3repE0EEENS1_30default_config_static_selectorELNS0_4arch9wavefront6targetE1EEEvSW_.has_indirect_call, 0
	.section	.AMDGPU.csdata,"",@progbits
; Kernel info:
; codeLenInByte = 0
; TotalNumSgprs: 4
; NumVgprs: 0
; ScratchSize: 0
; MemoryBound: 0
; FloatMode: 240
; IeeeMode: 1
; LDSByteSize: 0 bytes/workgroup (compile time only)
; SGPRBlocks: 0
; VGPRBlocks: 0
; NumSGPRsForWavesPerEU: 4
; NumVGPRsForWavesPerEU: 1
; Occupancy: 10
; WaveLimiterHint : 0
; COMPUTE_PGM_RSRC2:SCRATCH_EN: 0
; COMPUTE_PGM_RSRC2:USER_SGPR: 6
; COMPUTE_PGM_RSRC2:TRAP_HANDLER: 0
; COMPUTE_PGM_RSRC2:TGID_X_EN: 1
; COMPUTE_PGM_RSRC2:TGID_Y_EN: 0
; COMPUTE_PGM_RSRC2:TGID_Z_EN: 0
; COMPUTE_PGM_RSRC2:TIDIG_COMP_CNT: 0
	.section	.text._ZN7rocprim17ROCPRIM_400000_NS6detail17trampoline_kernelINS0_14default_configENS1_27lower_bound_config_selectorIilEEZNS1_14transform_implILb0ES3_S5_N6thrust23THRUST_200600_302600_NS6detail15normal_iteratorINS8_7pointerIiNS8_11hip_rocprim5par_tENS8_11use_defaultESE_EEEENSA_INSB_IlSD_SE_SE_EEEEZNS1_13binary_searchIS3_S5_PiSG_SI_NS1_21lower_bound_search_opENS9_16wrapped_functionINS8_6system6detail7generic6detail18binary_search_lessEbEEEE10hipError_tPvRmT1_T2_T3_mmT4_T5_P12ihipStream_tbEUlRKiE_EEST_SX_SY_mSZ_S12_bEUlT_E_NS1_11comp_targetILNS1_3genE3ELNS1_11target_archE908ELNS1_3gpuE7ELNS1_3repE0EEENS1_30default_config_static_selectorELNS0_4arch9wavefront6targetE1EEEvSW_,"axG",@progbits,_ZN7rocprim17ROCPRIM_400000_NS6detail17trampoline_kernelINS0_14default_configENS1_27lower_bound_config_selectorIilEEZNS1_14transform_implILb0ES3_S5_N6thrust23THRUST_200600_302600_NS6detail15normal_iteratorINS8_7pointerIiNS8_11hip_rocprim5par_tENS8_11use_defaultESE_EEEENSA_INSB_IlSD_SE_SE_EEEEZNS1_13binary_searchIS3_S5_PiSG_SI_NS1_21lower_bound_search_opENS9_16wrapped_functionINS8_6system6detail7generic6detail18binary_search_lessEbEEEE10hipError_tPvRmT1_T2_T3_mmT4_T5_P12ihipStream_tbEUlRKiE_EEST_SX_SY_mSZ_S12_bEUlT_E_NS1_11comp_targetILNS1_3genE3ELNS1_11target_archE908ELNS1_3gpuE7ELNS1_3repE0EEENS1_30default_config_static_selectorELNS0_4arch9wavefront6targetE1EEEvSW_,comdat
	.protected	_ZN7rocprim17ROCPRIM_400000_NS6detail17trampoline_kernelINS0_14default_configENS1_27lower_bound_config_selectorIilEEZNS1_14transform_implILb0ES3_S5_N6thrust23THRUST_200600_302600_NS6detail15normal_iteratorINS8_7pointerIiNS8_11hip_rocprim5par_tENS8_11use_defaultESE_EEEENSA_INSB_IlSD_SE_SE_EEEEZNS1_13binary_searchIS3_S5_PiSG_SI_NS1_21lower_bound_search_opENS9_16wrapped_functionINS8_6system6detail7generic6detail18binary_search_lessEbEEEE10hipError_tPvRmT1_T2_T3_mmT4_T5_P12ihipStream_tbEUlRKiE_EEST_SX_SY_mSZ_S12_bEUlT_E_NS1_11comp_targetILNS1_3genE3ELNS1_11target_archE908ELNS1_3gpuE7ELNS1_3repE0EEENS1_30default_config_static_selectorELNS0_4arch9wavefront6targetE1EEEvSW_ ; -- Begin function _ZN7rocprim17ROCPRIM_400000_NS6detail17trampoline_kernelINS0_14default_configENS1_27lower_bound_config_selectorIilEEZNS1_14transform_implILb0ES3_S5_N6thrust23THRUST_200600_302600_NS6detail15normal_iteratorINS8_7pointerIiNS8_11hip_rocprim5par_tENS8_11use_defaultESE_EEEENSA_INSB_IlSD_SE_SE_EEEEZNS1_13binary_searchIS3_S5_PiSG_SI_NS1_21lower_bound_search_opENS9_16wrapped_functionINS8_6system6detail7generic6detail18binary_search_lessEbEEEE10hipError_tPvRmT1_T2_T3_mmT4_T5_P12ihipStream_tbEUlRKiE_EEST_SX_SY_mSZ_S12_bEUlT_E_NS1_11comp_targetILNS1_3genE3ELNS1_11target_archE908ELNS1_3gpuE7ELNS1_3repE0EEENS1_30default_config_static_selectorELNS0_4arch9wavefront6targetE1EEEvSW_
	.globl	_ZN7rocprim17ROCPRIM_400000_NS6detail17trampoline_kernelINS0_14default_configENS1_27lower_bound_config_selectorIilEEZNS1_14transform_implILb0ES3_S5_N6thrust23THRUST_200600_302600_NS6detail15normal_iteratorINS8_7pointerIiNS8_11hip_rocprim5par_tENS8_11use_defaultESE_EEEENSA_INSB_IlSD_SE_SE_EEEEZNS1_13binary_searchIS3_S5_PiSG_SI_NS1_21lower_bound_search_opENS9_16wrapped_functionINS8_6system6detail7generic6detail18binary_search_lessEbEEEE10hipError_tPvRmT1_T2_T3_mmT4_T5_P12ihipStream_tbEUlRKiE_EEST_SX_SY_mSZ_S12_bEUlT_E_NS1_11comp_targetILNS1_3genE3ELNS1_11target_archE908ELNS1_3gpuE7ELNS1_3repE0EEENS1_30default_config_static_selectorELNS0_4arch9wavefront6targetE1EEEvSW_
	.p2align	8
	.type	_ZN7rocprim17ROCPRIM_400000_NS6detail17trampoline_kernelINS0_14default_configENS1_27lower_bound_config_selectorIilEEZNS1_14transform_implILb0ES3_S5_N6thrust23THRUST_200600_302600_NS6detail15normal_iteratorINS8_7pointerIiNS8_11hip_rocprim5par_tENS8_11use_defaultESE_EEEENSA_INSB_IlSD_SE_SE_EEEEZNS1_13binary_searchIS3_S5_PiSG_SI_NS1_21lower_bound_search_opENS9_16wrapped_functionINS8_6system6detail7generic6detail18binary_search_lessEbEEEE10hipError_tPvRmT1_T2_T3_mmT4_T5_P12ihipStream_tbEUlRKiE_EEST_SX_SY_mSZ_S12_bEUlT_E_NS1_11comp_targetILNS1_3genE3ELNS1_11target_archE908ELNS1_3gpuE7ELNS1_3repE0EEENS1_30default_config_static_selectorELNS0_4arch9wavefront6targetE1EEEvSW_,@function
_ZN7rocprim17ROCPRIM_400000_NS6detail17trampoline_kernelINS0_14default_configENS1_27lower_bound_config_selectorIilEEZNS1_14transform_implILb0ES3_S5_N6thrust23THRUST_200600_302600_NS6detail15normal_iteratorINS8_7pointerIiNS8_11hip_rocprim5par_tENS8_11use_defaultESE_EEEENSA_INSB_IlSD_SE_SE_EEEEZNS1_13binary_searchIS3_S5_PiSG_SI_NS1_21lower_bound_search_opENS9_16wrapped_functionINS8_6system6detail7generic6detail18binary_search_lessEbEEEE10hipError_tPvRmT1_T2_T3_mmT4_T5_P12ihipStream_tbEUlRKiE_EEST_SX_SY_mSZ_S12_bEUlT_E_NS1_11comp_targetILNS1_3genE3ELNS1_11target_archE908ELNS1_3gpuE7ELNS1_3repE0EEENS1_30default_config_static_selectorELNS0_4arch9wavefront6targetE1EEEvSW_: ; @_ZN7rocprim17ROCPRIM_400000_NS6detail17trampoline_kernelINS0_14default_configENS1_27lower_bound_config_selectorIilEEZNS1_14transform_implILb0ES3_S5_N6thrust23THRUST_200600_302600_NS6detail15normal_iteratorINS8_7pointerIiNS8_11hip_rocprim5par_tENS8_11use_defaultESE_EEEENSA_INSB_IlSD_SE_SE_EEEEZNS1_13binary_searchIS3_S5_PiSG_SI_NS1_21lower_bound_search_opENS9_16wrapped_functionINS8_6system6detail7generic6detail18binary_search_lessEbEEEE10hipError_tPvRmT1_T2_T3_mmT4_T5_P12ihipStream_tbEUlRKiE_EEST_SX_SY_mSZ_S12_bEUlT_E_NS1_11comp_targetILNS1_3genE3ELNS1_11target_archE908ELNS1_3gpuE7ELNS1_3repE0EEENS1_30default_config_static_selectorELNS0_4arch9wavefront6targetE1EEEvSW_
; %bb.0:
	.section	.rodata,"a",@progbits
	.p2align	6, 0x0
	.amdhsa_kernel _ZN7rocprim17ROCPRIM_400000_NS6detail17trampoline_kernelINS0_14default_configENS1_27lower_bound_config_selectorIilEEZNS1_14transform_implILb0ES3_S5_N6thrust23THRUST_200600_302600_NS6detail15normal_iteratorINS8_7pointerIiNS8_11hip_rocprim5par_tENS8_11use_defaultESE_EEEENSA_INSB_IlSD_SE_SE_EEEEZNS1_13binary_searchIS3_S5_PiSG_SI_NS1_21lower_bound_search_opENS9_16wrapped_functionINS8_6system6detail7generic6detail18binary_search_lessEbEEEE10hipError_tPvRmT1_T2_T3_mmT4_T5_P12ihipStream_tbEUlRKiE_EEST_SX_SY_mSZ_S12_bEUlT_E_NS1_11comp_targetILNS1_3genE3ELNS1_11target_archE908ELNS1_3gpuE7ELNS1_3repE0EEENS1_30default_config_static_selectorELNS0_4arch9wavefront6targetE1EEEvSW_
		.amdhsa_group_segment_fixed_size 0
		.amdhsa_private_segment_fixed_size 0
		.amdhsa_kernarg_size 56
		.amdhsa_user_sgpr_count 6
		.amdhsa_user_sgpr_private_segment_buffer 1
		.amdhsa_user_sgpr_dispatch_ptr 0
		.amdhsa_user_sgpr_queue_ptr 0
		.amdhsa_user_sgpr_kernarg_segment_ptr 1
		.amdhsa_user_sgpr_dispatch_id 0
		.amdhsa_user_sgpr_flat_scratch_init 0
		.amdhsa_user_sgpr_private_segment_size 0
		.amdhsa_uses_dynamic_stack 0
		.amdhsa_system_sgpr_private_segment_wavefront_offset 0
		.amdhsa_system_sgpr_workgroup_id_x 1
		.amdhsa_system_sgpr_workgroup_id_y 0
		.amdhsa_system_sgpr_workgroup_id_z 0
		.amdhsa_system_sgpr_workgroup_info 0
		.amdhsa_system_vgpr_workitem_id 0
		.amdhsa_next_free_vgpr 1
		.amdhsa_next_free_sgpr 0
		.amdhsa_reserve_vcc 0
		.amdhsa_reserve_flat_scratch 0
		.amdhsa_float_round_mode_32 0
		.amdhsa_float_round_mode_16_64 0
		.amdhsa_float_denorm_mode_32 3
		.amdhsa_float_denorm_mode_16_64 3
		.amdhsa_dx10_clamp 1
		.amdhsa_ieee_mode 1
		.amdhsa_fp16_overflow 0
		.amdhsa_exception_fp_ieee_invalid_op 0
		.amdhsa_exception_fp_denorm_src 0
		.amdhsa_exception_fp_ieee_div_zero 0
		.amdhsa_exception_fp_ieee_overflow 0
		.amdhsa_exception_fp_ieee_underflow 0
		.amdhsa_exception_fp_ieee_inexact 0
		.amdhsa_exception_int_div_zero 0
	.end_amdhsa_kernel
	.section	.text._ZN7rocprim17ROCPRIM_400000_NS6detail17trampoline_kernelINS0_14default_configENS1_27lower_bound_config_selectorIilEEZNS1_14transform_implILb0ES3_S5_N6thrust23THRUST_200600_302600_NS6detail15normal_iteratorINS8_7pointerIiNS8_11hip_rocprim5par_tENS8_11use_defaultESE_EEEENSA_INSB_IlSD_SE_SE_EEEEZNS1_13binary_searchIS3_S5_PiSG_SI_NS1_21lower_bound_search_opENS9_16wrapped_functionINS8_6system6detail7generic6detail18binary_search_lessEbEEEE10hipError_tPvRmT1_T2_T3_mmT4_T5_P12ihipStream_tbEUlRKiE_EEST_SX_SY_mSZ_S12_bEUlT_E_NS1_11comp_targetILNS1_3genE3ELNS1_11target_archE908ELNS1_3gpuE7ELNS1_3repE0EEENS1_30default_config_static_selectorELNS0_4arch9wavefront6targetE1EEEvSW_,"axG",@progbits,_ZN7rocprim17ROCPRIM_400000_NS6detail17trampoline_kernelINS0_14default_configENS1_27lower_bound_config_selectorIilEEZNS1_14transform_implILb0ES3_S5_N6thrust23THRUST_200600_302600_NS6detail15normal_iteratorINS8_7pointerIiNS8_11hip_rocprim5par_tENS8_11use_defaultESE_EEEENSA_INSB_IlSD_SE_SE_EEEEZNS1_13binary_searchIS3_S5_PiSG_SI_NS1_21lower_bound_search_opENS9_16wrapped_functionINS8_6system6detail7generic6detail18binary_search_lessEbEEEE10hipError_tPvRmT1_T2_T3_mmT4_T5_P12ihipStream_tbEUlRKiE_EEST_SX_SY_mSZ_S12_bEUlT_E_NS1_11comp_targetILNS1_3genE3ELNS1_11target_archE908ELNS1_3gpuE7ELNS1_3repE0EEENS1_30default_config_static_selectorELNS0_4arch9wavefront6targetE1EEEvSW_,comdat
.Lfunc_end135:
	.size	_ZN7rocprim17ROCPRIM_400000_NS6detail17trampoline_kernelINS0_14default_configENS1_27lower_bound_config_selectorIilEEZNS1_14transform_implILb0ES3_S5_N6thrust23THRUST_200600_302600_NS6detail15normal_iteratorINS8_7pointerIiNS8_11hip_rocprim5par_tENS8_11use_defaultESE_EEEENSA_INSB_IlSD_SE_SE_EEEEZNS1_13binary_searchIS3_S5_PiSG_SI_NS1_21lower_bound_search_opENS9_16wrapped_functionINS8_6system6detail7generic6detail18binary_search_lessEbEEEE10hipError_tPvRmT1_T2_T3_mmT4_T5_P12ihipStream_tbEUlRKiE_EEST_SX_SY_mSZ_S12_bEUlT_E_NS1_11comp_targetILNS1_3genE3ELNS1_11target_archE908ELNS1_3gpuE7ELNS1_3repE0EEENS1_30default_config_static_selectorELNS0_4arch9wavefront6targetE1EEEvSW_, .Lfunc_end135-_ZN7rocprim17ROCPRIM_400000_NS6detail17trampoline_kernelINS0_14default_configENS1_27lower_bound_config_selectorIilEEZNS1_14transform_implILb0ES3_S5_N6thrust23THRUST_200600_302600_NS6detail15normal_iteratorINS8_7pointerIiNS8_11hip_rocprim5par_tENS8_11use_defaultESE_EEEENSA_INSB_IlSD_SE_SE_EEEEZNS1_13binary_searchIS3_S5_PiSG_SI_NS1_21lower_bound_search_opENS9_16wrapped_functionINS8_6system6detail7generic6detail18binary_search_lessEbEEEE10hipError_tPvRmT1_T2_T3_mmT4_T5_P12ihipStream_tbEUlRKiE_EEST_SX_SY_mSZ_S12_bEUlT_E_NS1_11comp_targetILNS1_3genE3ELNS1_11target_archE908ELNS1_3gpuE7ELNS1_3repE0EEENS1_30default_config_static_selectorELNS0_4arch9wavefront6targetE1EEEvSW_
                                        ; -- End function
	.set _ZN7rocprim17ROCPRIM_400000_NS6detail17trampoline_kernelINS0_14default_configENS1_27lower_bound_config_selectorIilEEZNS1_14transform_implILb0ES3_S5_N6thrust23THRUST_200600_302600_NS6detail15normal_iteratorINS8_7pointerIiNS8_11hip_rocprim5par_tENS8_11use_defaultESE_EEEENSA_INSB_IlSD_SE_SE_EEEEZNS1_13binary_searchIS3_S5_PiSG_SI_NS1_21lower_bound_search_opENS9_16wrapped_functionINS8_6system6detail7generic6detail18binary_search_lessEbEEEE10hipError_tPvRmT1_T2_T3_mmT4_T5_P12ihipStream_tbEUlRKiE_EEST_SX_SY_mSZ_S12_bEUlT_E_NS1_11comp_targetILNS1_3genE3ELNS1_11target_archE908ELNS1_3gpuE7ELNS1_3repE0EEENS1_30default_config_static_selectorELNS0_4arch9wavefront6targetE1EEEvSW_.num_vgpr, 0
	.set _ZN7rocprim17ROCPRIM_400000_NS6detail17trampoline_kernelINS0_14default_configENS1_27lower_bound_config_selectorIilEEZNS1_14transform_implILb0ES3_S5_N6thrust23THRUST_200600_302600_NS6detail15normal_iteratorINS8_7pointerIiNS8_11hip_rocprim5par_tENS8_11use_defaultESE_EEEENSA_INSB_IlSD_SE_SE_EEEEZNS1_13binary_searchIS3_S5_PiSG_SI_NS1_21lower_bound_search_opENS9_16wrapped_functionINS8_6system6detail7generic6detail18binary_search_lessEbEEEE10hipError_tPvRmT1_T2_T3_mmT4_T5_P12ihipStream_tbEUlRKiE_EEST_SX_SY_mSZ_S12_bEUlT_E_NS1_11comp_targetILNS1_3genE3ELNS1_11target_archE908ELNS1_3gpuE7ELNS1_3repE0EEENS1_30default_config_static_selectorELNS0_4arch9wavefront6targetE1EEEvSW_.num_agpr, 0
	.set _ZN7rocprim17ROCPRIM_400000_NS6detail17trampoline_kernelINS0_14default_configENS1_27lower_bound_config_selectorIilEEZNS1_14transform_implILb0ES3_S5_N6thrust23THRUST_200600_302600_NS6detail15normal_iteratorINS8_7pointerIiNS8_11hip_rocprim5par_tENS8_11use_defaultESE_EEEENSA_INSB_IlSD_SE_SE_EEEEZNS1_13binary_searchIS3_S5_PiSG_SI_NS1_21lower_bound_search_opENS9_16wrapped_functionINS8_6system6detail7generic6detail18binary_search_lessEbEEEE10hipError_tPvRmT1_T2_T3_mmT4_T5_P12ihipStream_tbEUlRKiE_EEST_SX_SY_mSZ_S12_bEUlT_E_NS1_11comp_targetILNS1_3genE3ELNS1_11target_archE908ELNS1_3gpuE7ELNS1_3repE0EEENS1_30default_config_static_selectorELNS0_4arch9wavefront6targetE1EEEvSW_.numbered_sgpr, 0
	.set _ZN7rocprim17ROCPRIM_400000_NS6detail17trampoline_kernelINS0_14default_configENS1_27lower_bound_config_selectorIilEEZNS1_14transform_implILb0ES3_S5_N6thrust23THRUST_200600_302600_NS6detail15normal_iteratorINS8_7pointerIiNS8_11hip_rocprim5par_tENS8_11use_defaultESE_EEEENSA_INSB_IlSD_SE_SE_EEEEZNS1_13binary_searchIS3_S5_PiSG_SI_NS1_21lower_bound_search_opENS9_16wrapped_functionINS8_6system6detail7generic6detail18binary_search_lessEbEEEE10hipError_tPvRmT1_T2_T3_mmT4_T5_P12ihipStream_tbEUlRKiE_EEST_SX_SY_mSZ_S12_bEUlT_E_NS1_11comp_targetILNS1_3genE3ELNS1_11target_archE908ELNS1_3gpuE7ELNS1_3repE0EEENS1_30default_config_static_selectorELNS0_4arch9wavefront6targetE1EEEvSW_.num_named_barrier, 0
	.set _ZN7rocprim17ROCPRIM_400000_NS6detail17trampoline_kernelINS0_14default_configENS1_27lower_bound_config_selectorIilEEZNS1_14transform_implILb0ES3_S5_N6thrust23THRUST_200600_302600_NS6detail15normal_iteratorINS8_7pointerIiNS8_11hip_rocprim5par_tENS8_11use_defaultESE_EEEENSA_INSB_IlSD_SE_SE_EEEEZNS1_13binary_searchIS3_S5_PiSG_SI_NS1_21lower_bound_search_opENS9_16wrapped_functionINS8_6system6detail7generic6detail18binary_search_lessEbEEEE10hipError_tPvRmT1_T2_T3_mmT4_T5_P12ihipStream_tbEUlRKiE_EEST_SX_SY_mSZ_S12_bEUlT_E_NS1_11comp_targetILNS1_3genE3ELNS1_11target_archE908ELNS1_3gpuE7ELNS1_3repE0EEENS1_30default_config_static_selectorELNS0_4arch9wavefront6targetE1EEEvSW_.private_seg_size, 0
	.set _ZN7rocprim17ROCPRIM_400000_NS6detail17trampoline_kernelINS0_14default_configENS1_27lower_bound_config_selectorIilEEZNS1_14transform_implILb0ES3_S5_N6thrust23THRUST_200600_302600_NS6detail15normal_iteratorINS8_7pointerIiNS8_11hip_rocprim5par_tENS8_11use_defaultESE_EEEENSA_INSB_IlSD_SE_SE_EEEEZNS1_13binary_searchIS3_S5_PiSG_SI_NS1_21lower_bound_search_opENS9_16wrapped_functionINS8_6system6detail7generic6detail18binary_search_lessEbEEEE10hipError_tPvRmT1_T2_T3_mmT4_T5_P12ihipStream_tbEUlRKiE_EEST_SX_SY_mSZ_S12_bEUlT_E_NS1_11comp_targetILNS1_3genE3ELNS1_11target_archE908ELNS1_3gpuE7ELNS1_3repE0EEENS1_30default_config_static_selectorELNS0_4arch9wavefront6targetE1EEEvSW_.uses_vcc, 0
	.set _ZN7rocprim17ROCPRIM_400000_NS6detail17trampoline_kernelINS0_14default_configENS1_27lower_bound_config_selectorIilEEZNS1_14transform_implILb0ES3_S5_N6thrust23THRUST_200600_302600_NS6detail15normal_iteratorINS8_7pointerIiNS8_11hip_rocprim5par_tENS8_11use_defaultESE_EEEENSA_INSB_IlSD_SE_SE_EEEEZNS1_13binary_searchIS3_S5_PiSG_SI_NS1_21lower_bound_search_opENS9_16wrapped_functionINS8_6system6detail7generic6detail18binary_search_lessEbEEEE10hipError_tPvRmT1_T2_T3_mmT4_T5_P12ihipStream_tbEUlRKiE_EEST_SX_SY_mSZ_S12_bEUlT_E_NS1_11comp_targetILNS1_3genE3ELNS1_11target_archE908ELNS1_3gpuE7ELNS1_3repE0EEENS1_30default_config_static_selectorELNS0_4arch9wavefront6targetE1EEEvSW_.uses_flat_scratch, 0
	.set _ZN7rocprim17ROCPRIM_400000_NS6detail17trampoline_kernelINS0_14default_configENS1_27lower_bound_config_selectorIilEEZNS1_14transform_implILb0ES3_S5_N6thrust23THRUST_200600_302600_NS6detail15normal_iteratorINS8_7pointerIiNS8_11hip_rocprim5par_tENS8_11use_defaultESE_EEEENSA_INSB_IlSD_SE_SE_EEEEZNS1_13binary_searchIS3_S5_PiSG_SI_NS1_21lower_bound_search_opENS9_16wrapped_functionINS8_6system6detail7generic6detail18binary_search_lessEbEEEE10hipError_tPvRmT1_T2_T3_mmT4_T5_P12ihipStream_tbEUlRKiE_EEST_SX_SY_mSZ_S12_bEUlT_E_NS1_11comp_targetILNS1_3genE3ELNS1_11target_archE908ELNS1_3gpuE7ELNS1_3repE0EEENS1_30default_config_static_selectorELNS0_4arch9wavefront6targetE1EEEvSW_.has_dyn_sized_stack, 0
	.set _ZN7rocprim17ROCPRIM_400000_NS6detail17trampoline_kernelINS0_14default_configENS1_27lower_bound_config_selectorIilEEZNS1_14transform_implILb0ES3_S5_N6thrust23THRUST_200600_302600_NS6detail15normal_iteratorINS8_7pointerIiNS8_11hip_rocprim5par_tENS8_11use_defaultESE_EEEENSA_INSB_IlSD_SE_SE_EEEEZNS1_13binary_searchIS3_S5_PiSG_SI_NS1_21lower_bound_search_opENS9_16wrapped_functionINS8_6system6detail7generic6detail18binary_search_lessEbEEEE10hipError_tPvRmT1_T2_T3_mmT4_T5_P12ihipStream_tbEUlRKiE_EEST_SX_SY_mSZ_S12_bEUlT_E_NS1_11comp_targetILNS1_3genE3ELNS1_11target_archE908ELNS1_3gpuE7ELNS1_3repE0EEENS1_30default_config_static_selectorELNS0_4arch9wavefront6targetE1EEEvSW_.has_recursion, 0
	.set _ZN7rocprim17ROCPRIM_400000_NS6detail17trampoline_kernelINS0_14default_configENS1_27lower_bound_config_selectorIilEEZNS1_14transform_implILb0ES3_S5_N6thrust23THRUST_200600_302600_NS6detail15normal_iteratorINS8_7pointerIiNS8_11hip_rocprim5par_tENS8_11use_defaultESE_EEEENSA_INSB_IlSD_SE_SE_EEEEZNS1_13binary_searchIS3_S5_PiSG_SI_NS1_21lower_bound_search_opENS9_16wrapped_functionINS8_6system6detail7generic6detail18binary_search_lessEbEEEE10hipError_tPvRmT1_T2_T3_mmT4_T5_P12ihipStream_tbEUlRKiE_EEST_SX_SY_mSZ_S12_bEUlT_E_NS1_11comp_targetILNS1_3genE3ELNS1_11target_archE908ELNS1_3gpuE7ELNS1_3repE0EEENS1_30default_config_static_selectorELNS0_4arch9wavefront6targetE1EEEvSW_.has_indirect_call, 0
	.section	.AMDGPU.csdata,"",@progbits
; Kernel info:
; codeLenInByte = 0
; TotalNumSgprs: 4
; NumVgprs: 0
; ScratchSize: 0
; MemoryBound: 0
; FloatMode: 240
; IeeeMode: 1
; LDSByteSize: 0 bytes/workgroup (compile time only)
; SGPRBlocks: 0
; VGPRBlocks: 0
; NumSGPRsForWavesPerEU: 4
; NumVGPRsForWavesPerEU: 1
; Occupancy: 10
; WaveLimiterHint : 0
; COMPUTE_PGM_RSRC2:SCRATCH_EN: 0
; COMPUTE_PGM_RSRC2:USER_SGPR: 6
; COMPUTE_PGM_RSRC2:TRAP_HANDLER: 0
; COMPUTE_PGM_RSRC2:TGID_X_EN: 1
; COMPUTE_PGM_RSRC2:TGID_Y_EN: 0
; COMPUTE_PGM_RSRC2:TGID_Z_EN: 0
; COMPUTE_PGM_RSRC2:TIDIG_COMP_CNT: 0
	.section	.text._ZN7rocprim17ROCPRIM_400000_NS6detail17trampoline_kernelINS0_14default_configENS1_27lower_bound_config_selectorIilEEZNS1_14transform_implILb0ES3_S5_N6thrust23THRUST_200600_302600_NS6detail15normal_iteratorINS8_7pointerIiNS8_11hip_rocprim5par_tENS8_11use_defaultESE_EEEENSA_INSB_IlSD_SE_SE_EEEEZNS1_13binary_searchIS3_S5_PiSG_SI_NS1_21lower_bound_search_opENS9_16wrapped_functionINS8_6system6detail7generic6detail18binary_search_lessEbEEEE10hipError_tPvRmT1_T2_T3_mmT4_T5_P12ihipStream_tbEUlRKiE_EEST_SX_SY_mSZ_S12_bEUlT_E_NS1_11comp_targetILNS1_3genE2ELNS1_11target_archE906ELNS1_3gpuE6ELNS1_3repE0EEENS1_30default_config_static_selectorELNS0_4arch9wavefront6targetE1EEEvSW_,"axG",@progbits,_ZN7rocprim17ROCPRIM_400000_NS6detail17trampoline_kernelINS0_14default_configENS1_27lower_bound_config_selectorIilEEZNS1_14transform_implILb0ES3_S5_N6thrust23THRUST_200600_302600_NS6detail15normal_iteratorINS8_7pointerIiNS8_11hip_rocprim5par_tENS8_11use_defaultESE_EEEENSA_INSB_IlSD_SE_SE_EEEEZNS1_13binary_searchIS3_S5_PiSG_SI_NS1_21lower_bound_search_opENS9_16wrapped_functionINS8_6system6detail7generic6detail18binary_search_lessEbEEEE10hipError_tPvRmT1_T2_T3_mmT4_T5_P12ihipStream_tbEUlRKiE_EEST_SX_SY_mSZ_S12_bEUlT_E_NS1_11comp_targetILNS1_3genE2ELNS1_11target_archE906ELNS1_3gpuE6ELNS1_3repE0EEENS1_30default_config_static_selectorELNS0_4arch9wavefront6targetE1EEEvSW_,comdat
	.protected	_ZN7rocprim17ROCPRIM_400000_NS6detail17trampoline_kernelINS0_14default_configENS1_27lower_bound_config_selectorIilEEZNS1_14transform_implILb0ES3_S5_N6thrust23THRUST_200600_302600_NS6detail15normal_iteratorINS8_7pointerIiNS8_11hip_rocprim5par_tENS8_11use_defaultESE_EEEENSA_INSB_IlSD_SE_SE_EEEEZNS1_13binary_searchIS3_S5_PiSG_SI_NS1_21lower_bound_search_opENS9_16wrapped_functionINS8_6system6detail7generic6detail18binary_search_lessEbEEEE10hipError_tPvRmT1_T2_T3_mmT4_T5_P12ihipStream_tbEUlRKiE_EEST_SX_SY_mSZ_S12_bEUlT_E_NS1_11comp_targetILNS1_3genE2ELNS1_11target_archE906ELNS1_3gpuE6ELNS1_3repE0EEENS1_30default_config_static_selectorELNS0_4arch9wavefront6targetE1EEEvSW_ ; -- Begin function _ZN7rocprim17ROCPRIM_400000_NS6detail17trampoline_kernelINS0_14default_configENS1_27lower_bound_config_selectorIilEEZNS1_14transform_implILb0ES3_S5_N6thrust23THRUST_200600_302600_NS6detail15normal_iteratorINS8_7pointerIiNS8_11hip_rocprim5par_tENS8_11use_defaultESE_EEEENSA_INSB_IlSD_SE_SE_EEEEZNS1_13binary_searchIS3_S5_PiSG_SI_NS1_21lower_bound_search_opENS9_16wrapped_functionINS8_6system6detail7generic6detail18binary_search_lessEbEEEE10hipError_tPvRmT1_T2_T3_mmT4_T5_P12ihipStream_tbEUlRKiE_EEST_SX_SY_mSZ_S12_bEUlT_E_NS1_11comp_targetILNS1_3genE2ELNS1_11target_archE906ELNS1_3gpuE6ELNS1_3repE0EEENS1_30default_config_static_selectorELNS0_4arch9wavefront6targetE1EEEvSW_
	.globl	_ZN7rocprim17ROCPRIM_400000_NS6detail17trampoline_kernelINS0_14default_configENS1_27lower_bound_config_selectorIilEEZNS1_14transform_implILb0ES3_S5_N6thrust23THRUST_200600_302600_NS6detail15normal_iteratorINS8_7pointerIiNS8_11hip_rocprim5par_tENS8_11use_defaultESE_EEEENSA_INSB_IlSD_SE_SE_EEEEZNS1_13binary_searchIS3_S5_PiSG_SI_NS1_21lower_bound_search_opENS9_16wrapped_functionINS8_6system6detail7generic6detail18binary_search_lessEbEEEE10hipError_tPvRmT1_T2_T3_mmT4_T5_P12ihipStream_tbEUlRKiE_EEST_SX_SY_mSZ_S12_bEUlT_E_NS1_11comp_targetILNS1_3genE2ELNS1_11target_archE906ELNS1_3gpuE6ELNS1_3repE0EEENS1_30default_config_static_selectorELNS0_4arch9wavefront6targetE1EEEvSW_
	.p2align	8
	.type	_ZN7rocprim17ROCPRIM_400000_NS6detail17trampoline_kernelINS0_14default_configENS1_27lower_bound_config_selectorIilEEZNS1_14transform_implILb0ES3_S5_N6thrust23THRUST_200600_302600_NS6detail15normal_iteratorINS8_7pointerIiNS8_11hip_rocprim5par_tENS8_11use_defaultESE_EEEENSA_INSB_IlSD_SE_SE_EEEEZNS1_13binary_searchIS3_S5_PiSG_SI_NS1_21lower_bound_search_opENS9_16wrapped_functionINS8_6system6detail7generic6detail18binary_search_lessEbEEEE10hipError_tPvRmT1_T2_T3_mmT4_T5_P12ihipStream_tbEUlRKiE_EEST_SX_SY_mSZ_S12_bEUlT_E_NS1_11comp_targetILNS1_3genE2ELNS1_11target_archE906ELNS1_3gpuE6ELNS1_3repE0EEENS1_30default_config_static_selectorELNS0_4arch9wavefront6targetE1EEEvSW_,@function
_ZN7rocprim17ROCPRIM_400000_NS6detail17trampoline_kernelINS0_14default_configENS1_27lower_bound_config_selectorIilEEZNS1_14transform_implILb0ES3_S5_N6thrust23THRUST_200600_302600_NS6detail15normal_iteratorINS8_7pointerIiNS8_11hip_rocprim5par_tENS8_11use_defaultESE_EEEENSA_INSB_IlSD_SE_SE_EEEEZNS1_13binary_searchIS3_S5_PiSG_SI_NS1_21lower_bound_search_opENS9_16wrapped_functionINS8_6system6detail7generic6detail18binary_search_lessEbEEEE10hipError_tPvRmT1_T2_T3_mmT4_T5_P12ihipStream_tbEUlRKiE_EEST_SX_SY_mSZ_S12_bEUlT_E_NS1_11comp_targetILNS1_3genE2ELNS1_11target_archE906ELNS1_3gpuE6ELNS1_3repE0EEENS1_30default_config_static_selectorELNS0_4arch9wavefront6targetE1EEEvSW_: ; @_ZN7rocprim17ROCPRIM_400000_NS6detail17trampoline_kernelINS0_14default_configENS1_27lower_bound_config_selectorIilEEZNS1_14transform_implILb0ES3_S5_N6thrust23THRUST_200600_302600_NS6detail15normal_iteratorINS8_7pointerIiNS8_11hip_rocprim5par_tENS8_11use_defaultESE_EEEENSA_INSB_IlSD_SE_SE_EEEEZNS1_13binary_searchIS3_S5_PiSG_SI_NS1_21lower_bound_search_opENS9_16wrapped_functionINS8_6system6detail7generic6detail18binary_search_lessEbEEEE10hipError_tPvRmT1_T2_T3_mmT4_T5_P12ihipStream_tbEUlRKiE_EEST_SX_SY_mSZ_S12_bEUlT_E_NS1_11comp_targetILNS1_3genE2ELNS1_11target_archE906ELNS1_3gpuE6ELNS1_3repE0EEENS1_30default_config_static_selectorELNS0_4arch9wavefront6targetE1EEEvSW_
; %bb.0:
	s_load_dwordx4 s[16:19], s[4:5], 0x0
	s_load_dwordx4 s[8:11], s[4:5], 0x18
	s_load_dwordx2 s[12:13], s[4:5], 0x28
	s_load_dword s15, s[4:5], 0x38
	s_waitcnt lgkmcnt(0)
	s_lshl_b64 s[0:1], s[18:19], 2
	s_add_u32 s2, s16, s0
	s_addc_u32 s3, s17, s1
	s_lshl_b64 s[0:1], s[18:19], 3
	s_add_u32 s7, s8, s0
	s_addc_u32 s14, s9, s1
	s_lshl_b32 s8, s6, 8
	s_add_i32 s15, s15, -1
	s_mov_b32 s9, 0
	s_cmp_lg_u32 s6, s15
	s_mov_b64 s[0:1], -1
	s_cbranch_scc0 .LBB136_7
; %bb.1:
	s_cmp_eq_u64 s[12:13], 0
	s_mov_b64 s[0:1], 0
	s_cbranch_scc1 .LBB136_5
; %bb.2:
	s_lshl_b64 s[16:17], s[8:9], 2
	s_add_u32 s6, s2, s16
	s_addc_u32 s15, s3, s17
	v_lshlrev_b32_e32 v1, 2, v0
	v_mov_b32_e32 v2, s15
	v_add_co_u32_e32 v1, vcc, s6, v1
	v_addc_co_u32_e32 v2, vcc, 0, v2, vcc
	flat_load_dword v5, v[1:2]
	v_mov_b32_e32 v1, 0
	v_mov_b32_e32 v3, s12
	;; [unrolled: 1-line block ×5, first 2 shown]
.LBB136_3:                              ; =>This Inner Loop Header: Depth=1
	v_sub_co_u32_e32 v7, vcc, v3, v1
	v_subb_co_u32_e32 v8, vcc, v4, v2, vcc
	v_lshrrev_b64 v[9:10], 1, v[7:8]
	v_lshrrev_b64 v[7:8], 6, v[7:8]
	v_add_co_u32_e32 v9, vcc, v9, v1
	v_addc_co_u32_e32 v10, vcc, v10, v2, vcc
	v_add_co_u32_e32 v7, vcc, v9, v7
	v_addc_co_u32_e32 v8, vcc, v10, v8, vcc
	v_lshlrev_b64 v[9:10], 2, v[7:8]
	v_add_co_u32_e32 v9, vcc, s10, v9
	v_addc_co_u32_e32 v10, vcc, v6, v10, vcc
	global_load_dword v9, v[9:10], off
	v_add_co_u32_e32 v10, vcc, 1, v7
	v_addc_co_u32_e32 v11, vcc, 0, v8, vcc
	s_waitcnt vmcnt(0) lgkmcnt(0)
	v_cmp_lt_i32_e32 vcc, v9, v5
	v_cndmask_b32_e32 v4, v8, v4, vcc
	v_cndmask_b32_e32 v3, v7, v3, vcc
	v_cndmask_b32_e32 v2, v2, v11, vcc
	v_cndmask_b32_e32 v1, v1, v10, vcc
	v_cmp_ge_u64_e32 vcc, v[1:2], v[3:4]
	s_or_b64 s[0:1], vcc, s[0:1]
	s_andn2_b64 exec, exec, s[0:1]
	s_cbranch_execnz .LBB136_3
; %bb.4:
	s_or_b64 exec, exec, s[0:1]
	s_branch .LBB136_6
.LBB136_5:
	v_mov_b32_e32 v1, 0
	v_mov_b32_e32 v2, 0
.LBB136_6:
	s_lshl_b64 s[0:1], s[8:9], 3
	s_add_u32 s0, s7, s0
	s_addc_u32 s1, s14, s1
	v_lshlrev_b32_e32 v3, 3, v0
	v_mov_b32_e32 v4, s1
	v_add_co_u32_e32 v3, vcc, s0, v3
	v_addc_co_u32_e32 v4, vcc, 0, v4, vcc
	s_mov_b64 s[0:1], 0
	flat_store_dwordx2 v[3:4], v[1:2]
.LBB136_7:
	s_and_b64 vcc, exec, s[0:1]
	s_cbranch_vccz .LBB136_16
; %bb.8:
	s_load_dword s0, s[4:5], 0x10
                                        ; implicit-def: $vgpr5
	s_waitcnt lgkmcnt(0)
	s_sub_i32 s4, s0, s8
	v_cmp_le_u32_e64 s[0:1], s4, v0
	v_cmp_gt_u32_e32 vcc, s4, v0
	s_and_saveexec_b64 s[4:5], vcc
	s_cbranch_execz .LBB136_10
; %bb.9:
	s_lshl_b64 s[16:17], s[8:9], 2
	s_add_u32 s2, s2, s16
	s_addc_u32 s3, s3, s17
	v_lshlrev_b32_e32 v1, 2, v0
	v_mov_b32_e32 v2, s3
	v_add_co_u32_e64 v1, s[2:3], s2, v1
	v_addc_co_u32_e64 v2, s[2:3], 0, v2, s[2:3]
	flat_load_dword v5, v[1:2]
.LBB136_10:
	s_or_b64 exec, exec, s[4:5]
	s_cmp_lg_u64 s[12:13], 0
	s_cselect_b64 s[4:5], -1, 0
	s_xor_b64 s[0:1], s[0:1], -1
	v_mov_b32_e32 v1, 0
	s_mov_b64 s[2:3], 0
	v_mov_b32_e32 v2, 0
	s_and_b64 s[0:1], s[0:1], s[4:5]
	s_and_saveexec_b64 s[4:5], s[0:1]
	s_cbranch_execz .LBB136_14
; %bb.11:
	v_mov_b32_e32 v1, 0
	v_mov_b32_e32 v3, s12
	;; [unrolled: 1-line block ×5, first 2 shown]
.LBB136_12:                             ; =>This Inner Loop Header: Depth=1
	v_sub_co_u32_e64 v7, s[0:1], v3, v1
	v_subb_co_u32_e64 v8, s[0:1], v4, v2, s[0:1]
	v_lshrrev_b64 v[9:10], 1, v[7:8]
	v_lshrrev_b64 v[7:8], 6, v[7:8]
	v_add_co_u32_e64 v9, s[0:1], v9, v1
	v_addc_co_u32_e64 v10, s[0:1], v10, v2, s[0:1]
	v_add_co_u32_e64 v7, s[0:1], v9, v7
	v_addc_co_u32_e64 v8, s[0:1], v10, v8, s[0:1]
	v_lshlrev_b64 v[9:10], 2, v[7:8]
	v_add_co_u32_e64 v9, s[0:1], s10, v9
	v_addc_co_u32_e64 v10, s[0:1], v6, v10, s[0:1]
	global_load_dword v9, v[9:10], off
	v_add_co_u32_e64 v10, s[0:1], 1, v7
	v_addc_co_u32_e64 v11, s[0:1], 0, v8, s[0:1]
	s_waitcnt vmcnt(0) lgkmcnt(0)
	v_cmp_lt_i32_e64 s[0:1], v9, v5
	v_cndmask_b32_e64 v4, v8, v4, s[0:1]
	v_cndmask_b32_e64 v3, v7, v3, s[0:1]
	;; [unrolled: 1-line block ×4, first 2 shown]
	v_cmp_ge_u64_e64 s[0:1], v[1:2], v[3:4]
	s_or_b64 s[2:3], s[0:1], s[2:3]
	s_andn2_b64 exec, exec, s[2:3]
	s_cbranch_execnz .LBB136_12
; %bb.13:
	s_or_b64 exec, exec, s[2:3]
.LBB136_14:
	s_or_b64 exec, exec, s[4:5]
	s_and_saveexec_b64 s[0:1], vcc
	s_cbranch_execz .LBB136_16
; %bb.15:
	s_lshl_b64 s[0:1], s[8:9], 3
	s_add_u32 s0, s7, s0
	s_addc_u32 s1, s14, s1
	v_lshlrev_b32_e32 v0, 3, v0
	v_mov_b32_e32 v4, s1
	v_add_co_u32_e32 v3, vcc, s0, v0
	v_addc_co_u32_e32 v4, vcc, 0, v4, vcc
	flat_store_dwordx2 v[3:4], v[1:2]
.LBB136_16:
	s_endpgm
	.section	.rodata,"a",@progbits
	.p2align	6, 0x0
	.amdhsa_kernel _ZN7rocprim17ROCPRIM_400000_NS6detail17trampoline_kernelINS0_14default_configENS1_27lower_bound_config_selectorIilEEZNS1_14transform_implILb0ES3_S5_N6thrust23THRUST_200600_302600_NS6detail15normal_iteratorINS8_7pointerIiNS8_11hip_rocprim5par_tENS8_11use_defaultESE_EEEENSA_INSB_IlSD_SE_SE_EEEEZNS1_13binary_searchIS3_S5_PiSG_SI_NS1_21lower_bound_search_opENS9_16wrapped_functionINS8_6system6detail7generic6detail18binary_search_lessEbEEEE10hipError_tPvRmT1_T2_T3_mmT4_T5_P12ihipStream_tbEUlRKiE_EEST_SX_SY_mSZ_S12_bEUlT_E_NS1_11comp_targetILNS1_3genE2ELNS1_11target_archE906ELNS1_3gpuE6ELNS1_3repE0EEENS1_30default_config_static_selectorELNS0_4arch9wavefront6targetE1EEEvSW_
		.amdhsa_group_segment_fixed_size 0
		.amdhsa_private_segment_fixed_size 0
		.amdhsa_kernarg_size 312
		.amdhsa_user_sgpr_count 6
		.amdhsa_user_sgpr_private_segment_buffer 1
		.amdhsa_user_sgpr_dispatch_ptr 0
		.amdhsa_user_sgpr_queue_ptr 0
		.amdhsa_user_sgpr_kernarg_segment_ptr 1
		.amdhsa_user_sgpr_dispatch_id 0
		.amdhsa_user_sgpr_flat_scratch_init 0
		.amdhsa_user_sgpr_private_segment_size 0
		.amdhsa_uses_dynamic_stack 0
		.amdhsa_system_sgpr_private_segment_wavefront_offset 0
		.amdhsa_system_sgpr_workgroup_id_x 1
		.amdhsa_system_sgpr_workgroup_id_y 0
		.amdhsa_system_sgpr_workgroup_id_z 0
		.amdhsa_system_sgpr_workgroup_info 0
		.amdhsa_system_vgpr_workitem_id 0
		.amdhsa_next_free_vgpr 12
		.amdhsa_next_free_sgpr 20
		.amdhsa_reserve_vcc 1
		.amdhsa_reserve_flat_scratch 0
		.amdhsa_float_round_mode_32 0
		.amdhsa_float_round_mode_16_64 0
		.amdhsa_float_denorm_mode_32 3
		.amdhsa_float_denorm_mode_16_64 3
		.amdhsa_dx10_clamp 1
		.amdhsa_ieee_mode 1
		.amdhsa_fp16_overflow 0
		.amdhsa_exception_fp_ieee_invalid_op 0
		.amdhsa_exception_fp_denorm_src 0
		.amdhsa_exception_fp_ieee_div_zero 0
		.amdhsa_exception_fp_ieee_overflow 0
		.amdhsa_exception_fp_ieee_underflow 0
		.amdhsa_exception_fp_ieee_inexact 0
		.amdhsa_exception_int_div_zero 0
	.end_amdhsa_kernel
	.section	.text._ZN7rocprim17ROCPRIM_400000_NS6detail17trampoline_kernelINS0_14default_configENS1_27lower_bound_config_selectorIilEEZNS1_14transform_implILb0ES3_S5_N6thrust23THRUST_200600_302600_NS6detail15normal_iteratorINS8_7pointerIiNS8_11hip_rocprim5par_tENS8_11use_defaultESE_EEEENSA_INSB_IlSD_SE_SE_EEEEZNS1_13binary_searchIS3_S5_PiSG_SI_NS1_21lower_bound_search_opENS9_16wrapped_functionINS8_6system6detail7generic6detail18binary_search_lessEbEEEE10hipError_tPvRmT1_T2_T3_mmT4_T5_P12ihipStream_tbEUlRKiE_EEST_SX_SY_mSZ_S12_bEUlT_E_NS1_11comp_targetILNS1_3genE2ELNS1_11target_archE906ELNS1_3gpuE6ELNS1_3repE0EEENS1_30default_config_static_selectorELNS0_4arch9wavefront6targetE1EEEvSW_,"axG",@progbits,_ZN7rocprim17ROCPRIM_400000_NS6detail17trampoline_kernelINS0_14default_configENS1_27lower_bound_config_selectorIilEEZNS1_14transform_implILb0ES3_S5_N6thrust23THRUST_200600_302600_NS6detail15normal_iteratorINS8_7pointerIiNS8_11hip_rocprim5par_tENS8_11use_defaultESE_EEEENSA_INSB_IlSD_SE_SE_EEEEZNS1_13binary_searchIS3_S5_PiSG_SI_NS1_21lower_bound_search_opENS9_16wrapped_functionINS8_6system6detail7generic6detail18binary_search_lessEbEEEE10hipError_tPvRmT1_T2_T3_mmT4_T5_P12ihipStream_tbEUlRKiE_EEST_SX_SY_mSZ_S12_bEUlT_E_NS1_11comp_targetILNS1_3genE2ELNS1_11target_archE906ELNS1_3gpuE6ELNS1_3repE0EEENS1_30default_config_static_selectorELNS0_4arch9wavefront6targetE1EEEvSW_,comdat
.Lfunc_end136:
	.size	_ZN7rocprim17ROCPRIM_400000_NS6detail17trampoline_kernelINS0_14default_configENS1_27lower_bound_config_selectorIilEEZNS1_14transform_implILb0ES3_S5_N6thrust23THRUST_200600_302600_NS6detail15normal_iteratorINS8_7pointerIiNS8_11hip_rocprim5par_tENS8_11use_defaultESE_EEEENSA_INSB_IlSD_SE_SE_EEEEZNS1_13binary_searchIS3_S5_PiSG_SI_NS1_21lower_bound_search_opENS9_16wrapped_functionINS8_6system6detail7generic6detail18binary_search_lessEbEEEE10hipError_tPvRmT1_T2_T3_mmT4_T5_P12ihipStream_tbEUlRKiE_EEST_SX_SY_mSZ_S12_bEUlT_E_NS1_11comp_targetILNS1_3genE2ELNS1_11target_archE906ELNS1_3gpuE6ELNS1_3repE0EEENS1_30default_config_static_selectorELNS0_4arch9wavefront6targetE1EEEvSW_, .Lfunc_end136-_ZN7rocprim17ROCPRIM_400000_NS6detail17trampoline_kernelINS0_14default_configENS1_27lower_bound_config_selectorIilEEZNS1_14transform_implILb0ES3_S5_N6thrust23THRUST_200600_302600_NS6detail15normal_iteratorINS8_7pointerIiNS8_11hip_rocprim5par_tENS8_11use_defaultESE_EEEENSA_INSB_IlSD_SE_SE_EEEEZNS1_13binary_searchIS3_S5_PiSG_SI_NS1_21lower_bound_search_opENS9_16wrapped_functionINS8_6system6detail7generic6detail18binary_search_lessEbEEEE10hipError_tPvRmT1_T2_T3_mmT4_T5_P12ihipStream_tbEUlRKiE_EEST_SX_SY_mSZ_S12_bEUlT_E_NS1_11comp_targetILNS1_3genE2ELNS1_11target_archE906ELNS1_3gpuE6ELNS1_3repE0EEENS1_30default_config_static_selectorELNS0_4arch9wavefront6targetE1EEEvSW_
                                        ; -- End function
	.set _ZN7rocprim17ROCPRIM_400000_NS6detail17trampoline_kernelINS0_14default_configENS1_27lower_bound_config_selectorIilEEZNS1_14transform_implILb0ES3_S5_N6thrust23THRUST_200600_302600_NS6detail15normal_iteratorINS8_7pointerIiNS8_11hip_rocprim5par_tENS8_11use_defaultESE_EEEENSA_INSB_IlSD_SE_SE_EEEEZNS1_13binary_searchIS3_S5_PiSG_SI_NS1_21lower_bound_search_opENS9_16wrapped_functionINS8_6system6detail7generic6detail18binary_search_lessEbEEEE10hipError_tPvRmT1_T2_T3_mmT4_T5_P12ihipStream_tbEUlRKiE_EEST_SX_SY_mSZ_S12_bEUlT_E_NS1_11comp_targetILNS1_3genE2ELNS1_11target_archE906ELNS1_3gpuE6ELNS1_3repE0EEENS1_30default_config_static_selectorELNS0_4arch9wavefront6targetE1EEEvSW_.num_vgpr, 12
	.set _ZN7rocprim17ROCPRIM_400000_NS6detail17trampoline_kernelINS0_14default_configENS1_27lower_bound_config_selectorIilEEZNS1_14transform_implILb0ES3_S5_N6thrust23THRUST_200600_302600_NS6detail15normal_iteratorINS8_7pointerIiNS8_11hip_rocprim5par_tENS8_11use_defaultESE_EEEENSA_INSB_IlSD_SE_SE_EEEEZNS1_13binary_searchIS3_S5_PiSG_SI_NS1_21lower_bound_search_opENS9_16wrapped_functionINS8_6system6detail7generic6detail18binary_search_lessEbEEEE10hipError_tPvRmT1_T2_T3_mmT4_T5_P12ihipStream_tbEUlRKiE_EEST_SX_SY_mSZ_S12_bEUlT_E_NS1_11comp_targetILNS1_3genE2ELNS1_11target_archE906ELNS1_3gpuE6ELNS1_3repE0EEENS1_30default_config_static_selectorELNS0_4arch9wavefront6targetE1EEEvSW_.num_agpr, 0
	.set _ZN7rocprim17ROCPRIM_400000_NS6detail17trampoline_kernelINS0_14default_configENS1_27lower_bound_config_selectorIilEEZNS1_14transform_implILb0ES3_S5_N6thrust23THRUST_200600_302600_NS6detail15normal_iteratorINS8_7pointerIiNS8_11hip_rocprim5par_tENS8_11use_defaultESE_EEEENSA_INSB_IlSD_SE_SE_EEEEZNS1_13binary_searchIS3_S5_PiSG_SI_NS1_21lower_bound_search_opENS9_16wrapped_functionINS8_6system6detail7generic6detail18binary_search_lessEbEEEE10hipError_tPvRmT1_T2_T3_mmT4_T5_P12ihipStream_tbEUlRKiE_EEST_SX_SY_mSZ_S12_bEUlT_E_NS1_11comp_targetILNS1_3genE2ELNS1_11target_archE906ELNS1_3gpuE6ELNS1_3repE0EEENS1_30default_config_static_selectorELNS0_4arch9wavefront6targetE1EEEvSW_.numbered_sgpr, 20
	.set _ZN7rocprim17ROCPRIM_400000_NS6detail17trampoline_kernelINS0_14default_configENS1_27lower_bound_config_selectorIilEEZNS1_14transform_implILb0ES3_S5_N6thrust23THRUST_200600_302600_NS6detail15normal_iteratorINS8_7pointerIiNS8_11hip_rocprim5par_tENS8_11use_defaultESE_EEEENSA_INSB_IlSD_SE_SE_EEEEZNS1_13binary_searchIS3_S5_PiSG_SI_NS1_21lower_bound_search_opENS9_16wrapped_functionINS8_6system6detail7generic6detail18binary_search_lessEbEEEE10hipError_tPvRmT1_T2_T3_mmT4_T5_P12ihipStream_tbEUlRKiE_EEST_SX_SY_mSZ_S12_bEUlT_E_NS1_11comp_targetILNS1_3genE2ELNS1_11target_archE906ELNS1_3gpuE6ELNS1_3repE0EEENS1_30default_config_static_selectorELNS0_4arch9wavefront6targetE1EEEvSW_.num_named_barrier, 0
	.set _ZN7rocprim17ROCPRIM_400000_NS6detail17trampoline_kernelINS0_14default_configENS1_27lower_bound_config_selectorIilEEZNS1_14transform_implILb0ES3_S5_N6thrust23THRUST_200600_302600_NS6detail15normal_iteratorINS8_7pointerIiNS8_11hip_rocprim5par_tENS8_11use_defaultESE_EEEENSA_INSB_IlSD_SE_SE_EEEEZNS1_13binary_searchIS3_S5_PiSG_SI_NS1_21lower_bound_search_opENS9_16wrapped_functionINS8_6system6detail7generic6detail18binary_search_lessEbEEEE10hipError_tPvRmT1_T2_T3_mmT4_T5_P12ihipStream_tbEUlRKiE_EEST_SX_SY_mSZ_S12_bEUlT_E_NS1_11comp_targetILNS1_3genE2ELNS1_11target_archE906ELNS1_3gpuE6ELNS1_3repE0EEENS1_30default_config_static_selectorELNS0_4arch9wavefront6targetE1EEEvSW_.private_seg_size, 0
	.set _ZN7rocprim17ROCPRIM_400000_NS6detail17trampoline_kernelINS0_14default_configENS1_27lower_bound_config_selectorIilEEZNS1_14transform_implILb0ES3_S5_N6thrust23THRUST_200600_302600_NS6detail15normal_iteratorINS8_7pointerIiNS8_11hip_rocprim5par_tENS8_11use_defaultESE_EEEENSA_INSB_IlSD_SE_SE_EEEEZNS1_13binary_searchIS3_S5_PiSG_SI_NS1_21lower_bound_search_opENS9_16wrapped_functionINS8_6system6detail7generic6detail18binary_search_lessEbEEEE10hipError_tPvRmT1_T2_T3_mmT4_T5_P12ihipStream_tbEUlRKiE_EEST_SX_SY_mSZ_S12_bEUlT_E_NS1_11comp_targetILNS1_3genE2ELNS1_11target_archE906ELNS1_3gpuE6ELNS1_3repE0EEENS1_30default_config_static_selectorELNS0_4arch9wavefront6targetE1EEEvSW_.uses_vcc, 1
	.set _ZN7rocprim17ROCPRIM_400000_NS6detail17trampoline_kernelINS0_14default_configENS1_27lower_bound_config_selectorIilEEZNS1_14transform_implILb0ES3_S5_N6thrust23THRUST_200600_302600_NS6detail15normal_iteratorINS8_7pointerIiNS8_11hip_rocprim5par_tENS8_11use_defaultESE_EEEENSA_INSB_IlSD_SE_SE_EEEEZNS1_13binary_searchIS3_S5_PiSG_SI_NS1_21lower_bound_search_opENS9_16wrapped_functionINS8_6system6detail7generic6detail18binary_search_lessEbEEEE10hipError_tPvRmT1_T2_T3_mmT4_T5_P12ihipStream_tbEUlRKiE_EEST_SX_SY_mSZ_S12_bEUlT_E_NS1_11comp_targetILNS1_3genE2ELNS1_11target_archE906ELNS1_3gpuE6ELNS1_3repE0EEENS1_30default_config_static_selectorELNS0_4arch9wavefront6targetE1EEEvSW_.uses_flat_scratch, 0
	.set _ZN7rocprim17ROCPRIM_400000_NS6detail17trampoline_kernelINS0_14default_configENS1_27lower_bound_config_selectorIilEEZNS1_14transform_implILb0ES3_S5_N6thrust23THRUST_200600_302600_NS6detail15normal_iteratorINS8_7pointerIiNS8_11hip_rocprim5par_tENS8_11use_defaultESE_EEEENSA_INSB_IlSD_SE_SE_EEEEZNS1_13binary_searchIS3_S5_PiSG_SI_NS1_21lower_bound_search_opENS9_16wrapped_functionINS8_6system6detail7generic6detail18binary_search_lessEbEEEE10hipError_tPvRmT1_T2_T3_mmT4_T5_P12ihipStream_tbEUlRKiE_EEST_SX_SY_mSZ_S12_bEUlT_E_NS1_11comp_targetILNS1_3genE2ELNS1_11target_archE906ELNS1_3gpuE6ELNS1_3repE0EEENS1_30default_config_static_selectorELNS0_4arch9wavefront6targetE1EEEvSW_.has_dyn_sized_stack, 0
	.set _ZN7rocprim17ROCPRIM_400000_NS6detail17trampoline_kernelINS0_14default_configENS1_27lower_bound_config_selectorIilEEZNS1_14transform_implILb0ES3_S5_N6thrust23THRUST_200600_302600_NS6detail15normal_iteratorINS8_7pointerIiNS8_11hip_rocprim5par_tENS8_11use_defaultESE_EEEENSA_INSB_IlSD_SE_SE_EEEEZNS1_13binary_searchIS3_S5_PiSG_SI_NS1_21lower_bound_search_opENS9_16wrapped_functionINS8_6system6detail7generic6detail18binary_search_lessEbEEEE10hipError_tPvRmT1_T2_T3_mmT4_T5_P12ihipStream_tbEUlRKiE_EEST_SX_SY_mSZ_S12_bEUlT_E_NS1_11comp_targetILNS1_3genE2ELNS1_11target_archE906ELNS1_3gpuE6ELNS1_3repE0EEENS1_30default_config_static_selectorELNS0_4arch9wavefront6targetE1EEEvSW_.has_recursion, 0
	.set _ZN7rocprim17ROCPRIM_400000_NS6detail17trampoline_kernelINS0_14default_configENS1_27lower_bound_config_selectorIilEEZNS1_14transform_implILb0ES3_S5_N6thrust23THRUST_200600_302600_NS6detail15normal_iteratorINS8_7pointerIiNS8_11hip_rocprim5par_tENS8_11use_defaultESE_EEEENSA_INSB_IlSD_SE_SE_EEEEZNS1_13binary_searchIS3_S5_PiSG_SI_NS1_21lower_bound_search_opENS9_16wrapped_functionINS8_6system6detail7generic6detail18binary_search_lessEbEEEE10hipError_tPvRmT1_T2_T3_mmT4_T5_P12ihipStream_tbEUlRKiE_EEST_SX_SY_mSZ_S12_bEUlT_E_NS1_11comp_targetILNS1_3genE2ELNS1_11target_archE906ELNS1_3gpuE6ELNS1_3repE0EEENS1_30default_config_static_selectorELNS0_4arch9wavefront6targetE1EEEvSW_.has_indirect_call, 0
	.section	.AMDGPU.csdata,"",@progbits
; Kernel info:
; codeLenInByte = 700
; TotalNumSgprs: 24
; NumVgprs: 12
; ScratchSize: 0
; MemoryBound: 0
; FloatMode: 240
; IeeeMode: 1
; LDSByteSize: 0 bytes/workgroup (compile time only)
; SGPRBlocks: 2
; VGPRBlocks: 2
; NumSGPRsForWavesPerEU: 24
; NumVGPRsForWavesPerEU: 12
; Occupancy: 10
; WaveLimiterHint : 0
; COMPUTE_PGM_RSRC2:SCRATCH_EN: 0
; COMPUTE_PGM_RSRC2:USER_SGPR: 6
; COMPUTE_PGM_RSRC2:TRAP_HANDLER: 0
; COMPUTE_PGM_RSRC2:TGID_X_EN: 1
; COMPUTE_PGM_RSRC2:TGID_Y_EN: 0
; COMPUTE_PGM_RSRC2:TGID_Z_EN: 0
; COMPUTE_PGM_RSRC2:TIDIG_COMP_CNT: 0
	.section	.text._ZN7rocprim17ROCPRIM_400000_NS6detail17trampoline_kernelINS0_14default_configENS1_27lower_bound_config_selectorIilEEZNS1_14transform_implILb0ES3_S5_N6thrust23THRUST_200600_302600_NS6detail15normal_iteratorINS8_7pointerIiNS8_11hip_rocprim5par_tENS8_11use_defaultESE_EEEENSA_INSB_IlSD_SE_SE_EEEEZNS1_13binary_searchIS3_S5_PiSG_SI_NS1_21lower_bound_search_opENS9_16wrapped_functionINS8_6system6detail7generic6detail18binary_search_lessEbEEEE10hipError_tPvRmT1_T2_T3_mmT4_T5_P12ihipStream_tbEUlRKiE_EEST_SX_SY_mSZ_S12_bEUlT_E_NS1_11comp_targetILNS1_3genE10ELNS1_11target_archE1201ELNS1_3gpuE5ELNS1_3repE0EEENS1_30default_config_static_selectorELNS0_4arch9wavefront6targetE1EEEvSW_,"axG",@progbits,_ZN7rocprim17ROCPRIM_400000_NS6detail17trampoline_kernelINS0_14default_configENS1_27lower_bound_config_selectorIilEEZNS1_14transform_implILb0ES3_S5_N6thrust23THRUST_200600_302600_NS6detail15normal_iteratorINS8_7pointerIiNS8_11hip_rocprim5par_tENS8_11use_defaultESE_EEEENSA_INSB_IlSD_SE_SE_EEEEZNS1_13binary_searchIS3_S5_PiSG_SI_NS1_21lower_bound_search_opENS9_16wrapped_functionINS8_6system6detail7generic6detail18binary_search_lessEbEEEE10hipError_tPvRmT1_T2_T3_mmT4_T5_P12ihipStream_tbEUlRKiE_EEST_SX_SY_mSZ_S12_bEUlT_E_NS1_11comp_targetILNS1_3genE10ELNS1_11target_archE1201ELNS1_3gpuE5ELNS1_3repE0EEENS1_30default_config_static_selectorELNS0_4arch9wavefront6targetE1EEEvSW_,comdat
	.protected	_ZN7rocprim17ROCPRIM_400000_NS6detail17trampoline_kernelINS0_14default_configENS1_27lower_bound_config_selectorIilEEZNS1_14transform_implILb0ES3_S5_N6thrust23THRUST_200600_302600_NS6detail15normal_iteratorINS8_7pointerIiNS8_11hip_rocprim5par_tENS8_11use_defaultESE_EEEENSA_INSB_IlSD_SE_SE_EEEEZNS1_13binary_searchIS3_S5_PiSG_SI_NS1_21lower_bound_search_opENS9_16wrapped_functionINS8_6system6detail7generic6detail18binary_search_lessEbEEEE10hipError_tPvRmT1_T2_T3_mmT4_T5_P12ihipStream_tbEUlRKiE_EEST_SX_SY_mSZ_S12_bEUlT_E_NS1_11comp_targetILNS1_3genE10ELNS1_11target_archE1201ELNS1_3gpuE5ELNS1_3repE0EEENS1_30default_config_static_selectorELNS0_4arch9wavefront6targetE1EEEvSW_ ; -- Begin function _ZN7rocprim17ROCPRIM_400000_NS6detail17trampoline_kernelINS0_14default_configENS1_27lower_bound_config_selectorIilEEZNS1_14transform_implILb0ES3_S5_N6thrust23THRUST_200600_302600_NS6detail15normal_iteratorINS8_7pointerIiNS8_11hip_rocprim5par_tENS8_11use_defaultESE_EEEENSA_INSB_IlSD_SE_SE_EEEEZNS1_13binary_searchIS3_S5_PiSG_SI_NS1_21lower_bound_search_opENS9_16wrapped_functionINS8_6system6detail7generic6detail18binary_search_lessEbEEEE10hipError_tPvRmT1_T2_T3_mmT4_T5_P12ihipStream_tbEUlRKiE_EEST_SX_SY_mSZ_S12_bEUlT_E_NS1_11comp_targetILNS1_3genE10ELNS1_11target_archE1201ELNS1_3gpuE5ELNS1_3repE0EEENS1_30default_config_static_selectorELNS0_4arch9wavefront6targetE1EEEvSW_
	.globl	_ZN7rocprim17ROCPRIM_400000_NS6detail17trampoline_kernelINS0_14default_configENS1_27lower_bound_config_selectorIilEEZNS1_14transform_implILb0ES3_S5_N6thrust23THRUST_200600_302600_NS6detail15normal_iteratorINS8_7pointerIiNS8_11hip_rocprim5par_tENS8_11use_defaultESE_EEEENSA_INSB_IlSD_SE_SE_EEEEZNS1_13binary_searchIS3_S5_PiSG_SI_NS1_21lower_bound_search_opENS9_16wrapped_functionINS8_6system6detail7generic6detail18binary_search_lessEbEEEE10hipError_tPvRmT1_T2_T3_mmT4_T5_P12ihipStream_tbEUlRKiE_EEST_SX_SY_mSZ_S12_bEUlT_E_NS1_11comp_targetILNS1_3genE10ELNS1_11target_archE1201ELNS1_3gpuE5ELNS1_3repE0EEENS1_30default_config_static_selectorELNS0_4arch9wavefront6targetE1EEEvSW_
	.p2align	8
	.type	_ZN7rocprim17ROCPRIM_400000_NS6detail17trampoline_kernelINS0_14default_configENS1_27lower_bound_config_selectorIilEEZNS1_14transform_implILb0ES3_S5_N6thrust23THRUST_200600_302600_NS6detail15normal_iteratorINS8_7pointerIiNS8_11hip_rocprim5par_tENS8_11use_defaultESE_EEEENSA_INSB_IlSD_SE_SE_EEEEZNS1_13binary_searchIS3_S5_PiSG_SI_NS1_21lower_bound_search_opENS9_16wrapped_functionINS8_6system6detail7generic6detail18binary_search_lessEbEEEE10hipError_tPvRmT1_T2_T3_mmT4_T5_P12ihipStream_tbEUlRKiE_EEST_SX_SY_mSZ_S12_bEUlT_E_NS1_11comp_targetILNS1_3genE10ELNS1_11target_archE1201ELNS1_3gpuE5ELNS1_3repE0EEENS1_30default_config_static_selectorELNS0_4arch9wavefront6targetE1EEEvSW_,@function
_ZN7rocprim17ROCPRIM_400000_NS6detail17trampoline_kernelINS0_14default_configENS1_27lower_bound_config_selectorIilEEZNS1_14transform_implILb0ES3_S5_N6thrust23THRUST_200600_302600_NS6detail15normal_iteratorINS8_7pointerIiNS8_11hip_rocprim5par_tENS8_11use_defaultESE_EEEENSA_INSB_IlSD_SE_SE_EEEEZNS1_13binary_searchIS3_S5_PiSG_SI_NS1_21lower_bound_search_opENS9_16wrapped_functionINS8_6system6detail7generic6detail18binary_search_lessEbEEEE10hipError_tPvRmT1_T2_T3_mmT4_T5_P12ihipStream_tbEUlRKiE_EEST_SX_SY_mSZ_S12_bEUlT_E_NS1_11comp_targetILNS1_3genE10ELNS1_11target_archE1201ELNS1_3gpuE5ELNS1_3repE0EEENS1_30default_config_static_selectorELNS0_4arch9wavefront6targetE1EEEvSW_: ; @_ZN7rocprim17ROCPRIM_400000_NS6detail17trampoline_kernelINS0_14default_configENS1_27lower_bound_config_selectorIilEEZNS1_14transform_implILb0ES3_S5_N6thrust23THRUST_200600_302600_NS6detail15normal_iteratorINS8_7pointerIiNS8_11hip_rocprim5par_tENS8_11use_defaultESE_EEEENSA_INSB_IlSD_SE_SE_EEEEZNS1_13binary_searchIS3_S5_PiSG_SI_NS1_21lower_bound_search_opENS9_16wrapped_functionINS8_6system6detail7generic6detail18binary_search_lessEbEEEE10hipError_tPvRmT1_T2_T3_mmT4_T5_P12ihipStream_tbEUlRKiE_EEST_SX_SY_mSZ_S12_bEUlT_E_NS1_11comp_targetILNS1_3genE10ELNS1_11target_archE1201ELNS1_3gpuE5ELNS1_3repE0EEENS1_30default_config_static_selectorELNS0_4arch9wavefront6targetE1EEEvSW_
; %bb.0:
	.section	.rodata,"a",@progbits
	.p2align	6, 0x0
	.amdhsa_kernel _ZN7rocprim17ROCPRIM_400000_NS6detail17trampoline_kernelINS0_14default_configENS1_27lower_bound_config_selectorIilEEZNS1_14transform_implILb0ES3_S5_N6thrust23THRUST_200600_302600_NS6detail15normal_iteratorINS8_7pointerIiNS8_11hip_rocprim5par_tENS8_11use_defaultESE_EEEENSA_INSB_IlSD_SE_SE_EEEEZNS1_13binary_searchIS3_S5_PiSG_SI_NS1_21lower_bound_search_opENS9_16wrapped_functionINS8_6system6detail7generic6detail18binary_search_lessEbEEEE10hipError_tPvRmT1_T2_T3_mmT4_T5_P12ihipStream_tbEUlRKiE_EEST_SX_SY_mSZ_S12_bEUlT_E_NS1_11comp_targetILNS1_3genE10ELNS1_11target_archE1201ELNS1_3gpuE5ELNS1_3repE0EEENS1_30default_config_static_selectorELNS0_4arch9wavefront6targetE1EEEvSW_
		.amdhsa_group_segment_fixed_size 0
		.amdhsa_private_segment_fixed_size 0
		.amdhsa_kernarg_size 56
		.amdhsa_user_sgpr_count 6
		.amdhsa_user_sgpr_private_segment_buffer 1
		.amdhsa_user_sgpr_dispatch_ptr 0
		.amdhsa_user_sgpr_queue_ptr 0
		.amdhsa_user_sgpr_kernarg_segment_ptr 1
		.amdhsa_user_sgpr_dispatch_id 0
		.amdhsa_user_sgpr_flat_scratch_init 0
		.amdhsa_user_sgpr_private_segment_size 0
		.amdhsa_uses_dynamic_stack 0
		.amdhsa_system_sgpr_private_segment_wavefront_offset 0
		.amdhsa_system_sgpr_workgroup_id_x 1
		.amdhsa_system_sgpr_workgroup_id_y 0
		.amdhsa_system_sgpr_workgroup_id_z 0
		.amdhsa_system_sgpr_workgroup_info 0
		.amdhsa_system_vgpr_workitem_id 0
		.amdhsa_next_free_vgpr 1
		.amdhsa_next_free_sgpr 0
		.amdhsa_reserve_vcc 0
		.amdhsa_reserve_flat_scratch 0
		.amdhsa_float_round_mode_32 0
		.amdhsa_float_round_mode_16_64 0
		.amdhsa_float_denorm_mode_32 3
		.amdhsa_float_denorm_mode_16_64 3
		.amdhsa_dx10_clamp 1
		.amdhsa_ieee_mode 1
		.amdhsa_fp16_overflow 0
		.amdhsa_exception_fp_ieee_invalid_op 0
		.amdhsa_exception_fp_denorm_src 0
		.amdhsa_exception_fp_ieee_div_zero 0
		.amdhsa_exception_fp_ieee_overflow 0
		.amdhsa_exception_fp_ieee_underflow 0
		.amdhsa_exception_fp_ieee_inexact 0
		.amdhsa_exception_int_div_zero 0
	.end_amdhsa_kernel
	.section	.text._ZN7rocprim17ROCPRIM_400000_NS6detail17trampoline_kernelINS0_14default_configENS1_27lower_bound_config_selectorIilEEZNS1_14transform_implILb0ES3_S5_N6thrust23THRUST_200600_302600_NS6detail15normal_iteratorINS8_7pointerIiNS8_11hip_rocprim5par_tENS8_11use_defaultESE_EEEENSA_INSB_IlSD_SE_SE_EEEEZNS1_13binary_searchIS3_S5_PiSG_SI_NS1_21lower_bound_search_opENS9_16wrapped_functionINS8_6system6detail7generic6detail18binary_search_lessEbEEEE10hipError_tPvRmT1_T2_T3_mmT4_T5_P12ihipStream_tbEUlRKiE_EEST_SX_SY_mSZ_S12_bEUlT_E_NS1_11comp_targetILNS1_3genE10ELNS1_11target_archE1201ELNS1_3gpuE5ELNS1_3repE0EEENS1_30default_config_static_selectorELNS0_4arch9wavefront6targetE1EEEvSW_,"axG",@progbits,_ZN7rocprim17ROCPRIM_400000_NS6detail17trampoline_kernelINS0_14default_configENS1_27lower_bound_config_selectorIilEEZNS1_14transform_implILb0ES3_S5_N6thrust23THRUST_200600_302600_NS6detail15normal_iteratorINS8_7pointerIiNS8_11hip_rocprim5par_tENS8_11use_defaultESE_EEEENSA_INSB_IlSD_SE_SE_EEEEZNS1_13binary_searchIS3_S5_PiSG_SI_NS1_21lower_bound_search_opENS9_16wrapped_functionINS8_6system6detail7generic6detail18binary_search_lessEbEEEE10hipError_tPvRmT1_T2_T3_mmT4_T5_P12ihipStream_tbEUlRKiE_EEST_SX_SY_mSZ_S12_bEUlT_E_NS1_11comp_targetILNS1_3genE10ELNS1_11target_archE1201ELNS1_3gpuE5ELNS1_3repE0EEENS1_30default_config_static_selectorELNS0_4arch9wavefront6targetE1EEEvSW_,comdat
.Lfunc_end137:
	.size	_ZN7rocprim17ROCPRIM_400000_NS6detail17trampoline_kernelINS0_14default_configENS1_27lower_bound_config_selectorIilEEZNS1_14transform_implILb0ES3_S5_N6thrust23THRUST_200600_302600_NS6detail15normal_iteratorINS8_7pointerIiNS8_11hip_rocprim5par_tENS8_11use_defaultESE_EEEENSA_INSB_IlSD_SE_SE_EEEEZNS1_13binary_searchIS3_S5_PiSG_SI_NS1_21lower_bound_search_opENS9_16wrapped_functionINS8_6system6detail7generic6detail18binary_search_lessEbEEEE10hipError_tPvRmT1_T2_T3_mmT4_T5_P12ihipStream_tbEUlRKiE_EEST_SX_SY_mSZ_S12_bEUlT_E_NS1_11comp_targetILNS1_3genE10ELNS1_11target_archE1201ELNS1_3gpuE5ELNS1_3repE0EEENS1_30default_config_static_selectorELNS0_4arch9wavefront6targetE1EEEvSW_, .Lfunc_end137-_ZN7rocprim17ROCPRIM_400000_NS6detail17trampoline_kernelINS0_14default_configENS1_27lower_bound_config_selectorIilEEZNS1_14transform_implILb0ES3_S5_N6thrust23THRUST_200600_302600_NS6detail15normal_iteratorINS8_7pointerIiNS8_11hip_rocprim5par_tENS8_11use_defaultESE_EEEENSA_INSB_IlSD_SE_SE_EEEEZNS1_13binary_searchIS3_S5_PiSG_SI_NS1_21lower_bound_search_opENS9_16wrapped_functionINS8_6system6detail7generic6detail18binary_search_lessEbEEEE10hipError_tPvRmT1_T2_T3_mmT4_T5_P12ihipStream_tbEUlRKiE_EEST_SX_SY_mSZ_S12_bEUlT_E_NS1_11comp_targetILNS1_3genE10ELNS1_11target_archE1201ELNS1_3gpuE5ELNS1_3repE0EEENS1_30default_config_static_selectorELNS0_4arch9wavefront6targetE1EEEvSW_
                                        ; -- End function
	.set _ZN7rocprim17ROCPRIM_400000_NS6detail17trampoline_kernelINS0_14default_configENS1_27lower_bound_config_selectorIilEEZNS1_14transform_implILb0ES3_S5_N6thrust23THRUST_200600_302600_NS6detail15normal_iteratorINS8_7pointerIiNS8_11hip_rocprim5par_tENS8_11use_defaultESE_EEEENSA_INSB_IlSD_SE_SE_EEEEZNS1_13binary_searchIS3_S5_PiSG_SI_NS1_21lower_bound_search_opENS9_16wrapped_functionINS8_6system6detail7generic6detail18binary_search_lessEbEEEE10hipError_tPvRmT1_T2_T3_mmT4_T5_P12ihipStream_tbEUlRKiE_EEST_SX_SY_mSZ_S12_bEUlT_E_NS1_11comp_targetILNS1_3genE10ELNS1_11target_archE1201ELNS1_3gpuE5ELNS1_3repE0EEENS1_30default_config_static_selectorELNS0_4arch9wavefront6targetE1EEEvSW_.num_vgpr, 0
	.set _ZN7rocprim17ROCPRIM_400000_NS6detail17trampoline_kernelINS0_14default_configENS1_27lower_bound_config_selectorIilEEZNS1_14transform_implILb0ES3_S5_N6thrust23THRUST_200600_302600_NS6detail15normal_iteratorINS8_7pointerIiNS8_11hip_rocprim5par_tENS8_11use_defaultESE_EEEENSA_INSB_IlSD_SE_SE_EEEEZNS1_13binary_searchIS3_S5_PiSG_SI_NS1_21lower_bound_search_opENS9_16wrapped_functionINS8_6system6detail7generic6detail18binary_search_lessEbEEEE10hipError_tPvRmT1_T2_T3_mmT4_T5_P12ihipStream_tbEUlRKiE_EEST_SX_SY_mSZ_S12_bEUlT_E_NS1_11comp_targetILNS1_3genE10ELNS1_11target_archE1201ELNS1_3gpuE5ELNS1_3repE0EEENS1_30default_config_static_selectorELNS0_4arch9wavefront6targetE1EEEvSW_.num_agpr, 0
	.set _ZN7rocprim17ROCPRIM_400000_NS6detail17trampoline_kernelINS0_14default_configENS1_27lower_bound_config_selectorIilEEZNS1_14transform_implILb0ES3_S5_N6thrust23THRUST_200600_302600_NS6detail15normal_iteratorINS8_7pointerIiNS8_11hip_rocprim5par_tENS8_11use_defaultESE_EEEENSA_INSB_IlSD_SE_SE_EEEEZNS1_13binary_searchIS3_S5_PiSG_SI_NS1_21lower_bound_search_opENS9_16wrapped_functionINS8_6system6detail7generic6detail18binary_search_lessEbEEEE10hipError_tPvRmT1_T2_T3_mmT4_T5_P12ihipStream_tbEUlRKiE_EEST_SX_SY_mSZ_S12_bEUlT_E_NS1_11comp_targetILNS1_3genE10ELNS1_11target_archE1201ELNS1_3gpuE5ELNS1_3repE0EEENS1_30default_config_static_selectorELNS0_4arch9wavefront6targetE1EEEvSW_.numbered_sgpr, 0
	.set _ZN7rocprim17ROCPRIM_400000_NS6detail17trampoline_kernelINS0_14default_configENS1_27lower_bound_config_selectorIilEEZNS1_14transform_implILb0ES3_S5_N6thrust23THRUST_200600_302600_NS6detail15normal_iteratorINS8_7pointerIiNS8_11hip_rocprim5par_tENS8_11use_defaultESE_EEEENSA_INSB_IlSD_SE_SE_EEEEZNS1_13binary_searchIS3_S5_PiSG_SI_NS1_21lower_bound_search_opENS9_16wrapped_functionINS8_6system6detail7generic6detail18binary_search_lessEbEEEE10hipError_tPvRmT1_T2_T3_mmT4_T5_P12ihipStream_tbEUlRKiE_EEST_SX_SY_mSZ_S12_bEUlT_E_NS1_11comp_targetILNS1_3genE10ELNS1_11target_archE1201ELNS1_3gpuE5ELNS1_3repE0EEENS1_30default_config_static_selectorELNS0_4arch9wavefront6targetE1EEEvSW_.num_named_barrier, 0
	.set _ZN7rocprim17ROCPRIM_400000_NS6detail17trampoline_kernelINS0_14default_configENS1_27lower_bound_config_selectorIilEEZNS1_14transform_implILb0ES3_S5_N6thrust23THRUST_200600_302600_NS6detail15normal_iteratorINS8_7pointerIiNS8_11hip_rocprim5par_tENS8_11use_defaultESE_EEEENSA_INSB_IlSD_SE_SE_EEEEZNS1_13binary_searchIS3_S5_PiSG_SI_NS1_21lower_bound_search_opENS9_16wrapped_functionINS8_6system6detail7generic6detail18binary_search_lessEbEEEE10hipError_tPvRmT1_T2_T3_mmT4_T5_P12ihipStream_tbEUlRKiE_EEST_SX_SY_mSZ_S12_bEUlT_E_NS1_11comp_targetILNS1_3genE10ELNS1_11target_archE1201ELNS1_3gpuE5ELNS1_3repE0EEENS1_30default_config_static_selectorELNS0_4arch9wavefront6targetE1EEEvSW_.private_seg_size, 0
	.set _ZN7rocprim17ROCPRIM_400000_NS6detail17trampoline_kernelINS0_14default_configENS1_27lower_bound_config_selectorIilEEZNS1_14transform_implILb0ES3_S5_N6thrust23THRUST_200600_302600_NS6detail15normal_iteratorINS8_7pointerIiNS8_11hip_rocprim5par_tENS8_11use_defaultESE_EEEENSA_INSB_IlSD_SE_SE_EEEEZNS1_13binary_searchIS3_S5_PiSG_SI_NS1_21lower_bound_search_opENS9_16wrapped_functionINS8_6system6detail7generic6detail18binary_search_lessEbEEEE10hipError_tPvRmT1_T2_T3_mmT4_T5_P12ihipStream_tbEUlRKiE_EEST_SX_SY_mSZ_S12_bEUlT_E_NS1_11comp_targetILNS1_3genE10ELNS1_11target_archE1201ELNS1_3gpuE5ELNS1_3repE0EEENS1_30default_config_static_selectorELNS0_4arch9wavefront6targetE1EEEvSW_.uses_vcc, 0
	.set _ZN7rocprim17ROCPRIM_400000_NS6detail17trampoline_kernelINS0_14default_configENS1_27lower_bound_config_selectorIilEEZNS1_14transform_implILb0ES3_S5_N6thrust23THRUST_200600_302600_NS6detail15normal_iteratorINS8_7pointerIiNS8_11hip_rocprim5par_tENS8_11use_defaultESE_EEEENSA_INSB_IlSD_SE_SE_EEEEZNS1_13binary_searchIS3_S5_PiSG_SI_NS1_21lower_bound_search_opENS9_16wrapped_functionINS8_6system6detail7generic6detail18binary_search_lessEbEEEE10hipError_tPvRmT1_T2_T3_mmT4_T5_P12ihipStream_tbEUlRKiE_EEST_SX_SY_mSZ_S12_bEUlT_E_NS1_11comp_targetILNS1_3genE10ELNS1_11target_archE1201ELNS1_3gpuE5ELNS1_3repE0EEENS1_30default_config_static_selectorELNS0_4arch9wavefront6targetE1EEEvSW_.uses_flat_scratch, 0
	.set _ZN7rocprim17ROCPRIM_400000_NS6detail17trampoline_kernelINS0_14default_configENS1_27lower_bound_config_selectorIilEEZNS1_14transform_implILb0ES3_S5_N6thrust23THRUST_200600_302600_NS6detail15normal_iteratorINS8_7pointerIiNS8_11hip_rocprim5par_tENS8_11use_defaultESE_EEEENSA_INSB_IlSD_SE_SE_EEEEZNS1_13binary_searchIS3_S5_PiSG_SI_NS1_21lower_bound_search_opENS9_16wrapped_functionINS8_6system6detail7generic6detail18binary_search_lessEbEEEE10hipError_tPvRmT1_T2_T3_mmT4_T5_P12ihipStream_tbEUlRKiE_EEST_SX_SY_mSZ_S12_bEUlT_E_NS1_11comp_targetILNS1_3genE10ELNS1_11target_archE1201ELNS1_3gpuE5ELNS1_3repE0EEENS1_30default_config_static_selectorELNS0_4arch9wavefront6targetE1EEEvSW_.has_dyn_sized_stack, 0
	.set _ZN7rocprim17ROCPRIM_400000_NS6detail17trampoline_kernelINS0_14default_configENS1_27lower_bound_config_selectorIilEEZNS1_14transform_implILb0ES3_S5_N6thrust23THRUST_200600_302600_NS6detail15normal_iteratorINS8_7pointerIiNS8_11hip_rocprim5par_tENS8_11use_defaultESE_EEEENSA_INSB_IlSD_SE_SE_EEEEZNS1_13binary_searchIS3_S5_PiSG_SI_NS1_21lower_bound_search_opENS9_16wrapped_functionINS8_6system6detail7generic6detail18binary_search_lessEbEEEE10hipError_tPvRmT1_T2_T3_mmT4_T5_P12ihipStream_tbEUlRKiE_EEST_SX_SY_mSZ_S12_bEUlT_E_NS1_11comp_targetILNS1_3genE10ELNS1_11target_archE1201ELNS1_3gpuE5ELNS1_3repE0EEENS1_30default_config_static_selectorELNS0_4arch9wavefront6targetE1EEEvSW_.has_recursion, 0
	.set _ZN7rocprim17ROCPRIM_400000_NS6detail17trampoline_kernelINS0_14default_configENS1_27lower_bound_config_selectorIilEEZNS1_14transform_implILb0ES3_S5_N6thrust23THRUST_200600_302600_NS6detail15normal_iteratorINS8_7pointerIiNS8_11hip_rocprim5par_tENS8_11use_defaultESE_EEEENSA_INSB_IlSD_SE_SE_EEEEZNS1_13binary_searchIS3_S5_PiSG_SI_NS1_21lower_bound_search_opENS9_16wrapped_functionINS8_6system6detail7generic6detail18binary_search_lessEbEEEE10hipError_tPvRmT1_T2_T3_mmT4_T5_P12ihipStream_tbEUlRKiE_EEST_SX_SY_mSZ_S12_bEUlT_E_NS1_11comp_targetILNS1_3genE10ELNS1_11target_archE1201ELNS1_3gpuE5ELNS1_3repE0EEENS1_30default_config_static_selectorELNS0_4arch9wavefront6targetE1EEEvSW_.has_indirect_call, 0
	.section	.AMDGPU.csdata,"",@progbits
; Kernel info:
; codeLenInByte = 0
; TotalNumSgprs: 4
; NumVgprs: 0
; ScratchSize: 0
; MemoryBound: 0
; FloatMode: 240
; IeeeMode: 1
; LDSByteSize: 0 bytes/workgroup (compile time only)
; SGPRBlocks: 0
; VGPRBlocks: 0
; NumSGPRsForWavesPerEU: 4
; NumVGPRsForWavesPerEU: 1
; Occupancy: 10
; WaveLimiterHint : 0
; COMPUTE_PGM_RSRC2:SCRATCH_EN: 0
; COMPUTE_PGM_RSRC2:USER_SGPR: 6
; COMPUTE_PGM_RSRC2:TRAP_HANDLER: 0
; COMPUTE_PGM_RSRC2:TGID_X_EN: 1
; COMPUTE_PGM_RSRC2:TGID_Y_EN: 0
; COMPUTE_PGM_RSRC2:TGID_Z_EN: 0
; COMPUTE_PGM_RSRC2:TIDIG_COMP_CNT: 0
	.section	.text._ZN7rocprim17ROCPRIM_400000_NS6detail17trampoline_kernelINS0_14default_configENS1_27lower_bound_config_selectorIilEEZNS1_14transform_implILb0ES3_S5_N6thrust23THRUST_200600_302600_NS6detail15normal_iteratorINS8_7pointerIiNS8_11hip_rocprim5par_tENS8_11use_defaultESE_EEEENSA_INSB_IlSD_SE_SE_EEEEZNS1_13binary_searchIS3_S5_PiSG_SI_NS1_21lower_bound_search_opENS9_16wrapped_functionINS8_6system6detail7generic6detail18binary_search_lessEbEEEE10hipError_tPvRmT1_T2_T3_mmT4_T5_P12ihipStream_tbEUlRKiE_EEST_SX_SY_mSZ_S12_bEUlT_E_NS1_11comp_targetILNS1_3genE10ELNS1_11target_archE1200ELNS1_3gpuE4ELNS1_3repE0EEENS1_30default_config_static_selectorELNS0_4arch9wavefront6targetE1EEEvSW_,"axG",@progbits,_ZN7rocprim17ROCPRIM_400000_NS6detail17trampoline_kernelINS0_14default_configENS1_27lower_bound_config_selectorIilEEZNS1_14transform_implILb0ES3_S5_N6thrust23THRUST_200600_302600_NS6detail15normal_iteratorINS8_7pointerIiNS8_11hip_rocprim5par_tENS8_11use_defaultESE_EEEENSA_INSB_IlSD_SE_SE_EEEEZNS1_13binary_searchIS3_S5_PiSG_SI_NS1_21lower_bound_search_opENS9_16wrapped_functionINS8_6system6detail7generic6detail18binary_search_lessEbEEEE10hipError_tPvRmT1_T2_T3_mmT4_T5_P12ihipStream_tbEUlRKiE_EEST_SX_SY_mSZ_S12_bEUlT_E_NS1_11comp_targetILNS1_3genE10ELNS1_11target_archE1200ELNS1_3gpuE4ELNS1_3repE0EEENS1_30default_config_static_selectorELNS0_4arch9wavefront6targetE1EEEvSW_,comdat
	.protected	_ZN7rocprim17ROCPRIM_400000_NS6detail17trampoline_kernelINS0_14default_configENS1_27lower_bound_config_selectorIilEEZNS1_14transform_implILb0ES3_S5_N6thrust23THRUST_200600_302600_NS6detail15normal_iteratorINS8_7pointerIiNS8_11hip_rocprim5par_tENS8_11use_defaultESE_EEEENSA_INSB_IlSD_SE_SE_EEEEZNS1_13binary_searchIS3_S5_PiSG_SI_NS1_21lower_bound_search_opENS9_16wrapped_functionINS8_6system6detail7generic6detail18binary_search_lessEbEEEE10hipError_tPvRmT1_T2_T3_mmT4_T5_P12ihipStream_tbEUlRKiE_EEST_SX_SY_mSZ_S12_bEUlT_E_NS1_11comp_targetILNS1_3genE10ELNS1_11target_archE1200ELNS1_3gpuE4ELNS1_3repE0EEENS1_30default_config_static_selectorELNS0_4arch9wavefront6targetE1EEEvSW_ ; -- Begin function _ZN7rocprim17ROCPRIM_400000_NS6detail17trampoline_kernelINS0_14default_configENS1_27lower_bound_config_selectorIilEEZNS1_14transform_implILb0ES3_S5_N6thrust23THRUST_200600_302600_NS6detail15normal_iteratorINS8_7pointerIiNS8_11hip_rocprim5par_tENS8_11use_defaultESE_EEEENSA_INSB_IlSD_SE_SE_EEEEZNS1_13binary_searchIS3_S5_PiSG_SI_NS1_21lower_bound_search_opENS9_16wrapped_functionINS8_6system6detail7generic6detail18binary_search_lessEbEEEE10hipError_tPvRmT1_T2_T3_mmT4_T5_P12ihipStream_tbEUlRKiE_EEST_SX_SY_mSZ_S12_bEUlT_E_NS1_11comp_targetILNS1_3genE10ELNS1_11target_archE1200ELNS1_3gpuE4ELNS1_3repE0EEENS1_30default_config_static_selectorELNS0_4arch9wavefront6targetE1EEEvSW_
	.globl	_ZN7rocprim17ROCPRIM_400000_NS6detail17trampoline_kernelINS0_14default_configENS1_27lower_bound_config_selectorIilEEZNS1_14transform_implILb0ES3_S5_N6thrust23THRUST_200600_302600_NS6detail15normal_iteratorINS8_7pointerIiNS8_11hip_rocprim5par_tENS8_11use_defaultESE_EEEENSA_INSB_IlSD_SE_SE_EEEEZNS1_13binary_searchIS3_S5_PiSG_SI_NS1_21lower_bound_search_opENS9_16wrapped_functionINS8_6system6detail7generic6detail18binary_search_lessEbEEEE10hipError_tPvRmT1_T2_T3_mmT4_T5_P12ihipStream_tbEUlRKiE_EEST_SX_SY_mSZ_S12_bEUlT_E_NS1_11comp_targetILNS1_3genE10ELNS1_11target_archE1200ELNS1_3gpuE4ELNS1_3repE0EEENS1_30default_config_static_selectorELNS0_4arch9wavefront6targetE1EEEvSW_
	.p2align	8
	.type	_ZN7rocprim17ROCPRIM_400000_NS6detail17trampoline_kernelINS0_14default_configENS1_27lower_bound_config_selectorIilEEZNS1_14transform_implILb0ES3_S5_N6thrust23THRUST_200600_302600_NS6detail15normal_iteratorINS8_7pointerIiNS8_11hip_rocprim5par_tENS8_11use_defaultESE_EEEENSA_INSB_IlSD_SE_SE_EEEEZNS1_13binary_searchIS3_S5_PiSG_SI_NS1_21lower_bound_search_opENS9_16wrapped_functionINS8_6system6detail7generic6detail18binary_search_lessEbEEEE10hipError_tPvRmT1_T2_T3_mmT4_T5_P12ihipStream_tbEUlRKiE_EEST_SX_SY_mSZ_S12_bEUlT_E_NS1_11comp_targetILNS1_3genE10ELNS1_11target_archE1200ELNS1_3gpuE4ELNS1_3repE0EEENS1_30default_config_static_selectorELNS0_4arch9wavefront6targetE1EEEvSW_,@function
_ZN7rocprim17ROCPRIM_400000_NS6detail17trampoline_kernelINS0_14default_configENS1_27lower_bound_config_selectorIilEEZNS1_14transform_implILb0ES3_S5_N6thrust23THRUST_200600_302600_NS6detail15normal_iteratorINS8_7pointerIiNS8_11hip_rocprim5par_tENS8_11use_defaultESE_EEEENSA_INSB_IlSD_SE_SE_EEEEZNS1_13binary_searchIS3_S5_PiSG_SI_NS1_21lower_bound_search_opENS9_16wrapped_functionINS8_6system6detail7generic6detail18binary_search_lessEbEEEE10hipError_tPvRmT1_T2_T3_mmT4_T5_P12ihipStream_tbEUlRKiE_EEST_SX_SY_mSZ_S12_bEUlT_E_NS1_11comp_targetILNS1_3genE10ELNS1_11target_archE1200ELNS1_3gpuE4ELNS1_3repE0EEENS1_30default_config_static_selectorELNS0_4arch9wavefront6targetE1EEEvSW_: ; @_ZN7rocprim17ROCPRIM_400000_NS6detail17trampoline_kernelINS0_14default_configENS1_27lower_bound_config_selectorIilEEZNS1_14transform_implILb0ES3_S5_N6thrust23THRUST_200600_302600_NS6detail15normal_iteratorINS8_7pointerIiNS8_11hip_rocprim5par_tENS8_11use_defaultESE_EEEENSA_INSB_IlSD_SE_SE_EEEEZNS1_13binary_searchIS3_S5_PiSG_SI_NS1_21lower_bound_search_opENS9_16wrapped_functionINS8_6system6detail7generic6detail18binary_search_lessEbEEEE10hipError_tPvRmT1_T2_T3_mmT4_T5_P12ihipStream_tbEUlRKiE_EEST_SX_SY_mSZ_S12_bEUlT_E_NS1_11comp_targetILNS1_3genE10ELNS1_11target_archE1200ELNS1_3gpuE4ELNS1_3repE0EEENS1_30default_config_static_selectorELNS0_4arch9wavefront6targetE1EEEvSW_
; %bb.0:
	.section	.rodata,"a",@progbits
	.p2align	6, 0x0
	.amdhsa_kernel _ZN7rocprim17ROCPRIM_400000_NS6detail17trampoline_kernelINS0_14default_configENS1_27lower_bound_config_selectorIilEEZNS1_14transform_implILb0ES3_S5_N6thrust23THRUST_200600_302600_NS6detail15normal_iteratorINS8_7pointerIiNS8_11hip_rocprim5par_tENS8_11use_defaultESE_EEEENSA_INSB_IlSD_SE_SE_EEEEZNS1_13binary_searchIS3_S5_PiSG_SI_NS1_21lower_bound_search_opENS9_16wrapped_functionINS8_6system6detail7generic6detail18binary_search_lessEbEEEE10hipError_tPvRmT1_T2_T3_mmT4_T5_P12ihipStream_tbEUlRKiE_EEST_SX_SY_mSZ_S12_bEUlT_E_NS1_11comp_targetILNS1_3genE10ELNS1_11target_archE1200ELNS1_3gpuE4ELNS1_3repE0EEENS1_30default_config_static_selectorELNS0_4arch9wavefront6targetE1EEEvSW_
		.amdhsa_group_segment_fixed_size 0
		.amdhsa_private_segment_fixed_size 0
		.amdhsa_kernarg_size 56
		.amdhsa_user_sgpr_count 6
		.amdhsa_user_sgpr_private_segment_buffer 1
		.amdhsa_user_sgpr_dispatch_ptr 0
		.amdhsa_user_sgpr_queue_ptr 0
		.amdhsa_user_sgpr_kernarg_segment_ptr 1
		.amdhsa_user_sgpr_dispatch_id 0
		.amdhsa_user_sgpr_flat_scratch_init 0
		.amdhsa_user_sgpr_private_segment_size 0
		.amdhsa_uses_dynamic_stack 0
		.amdhsa_system_sgpr_private_segment_wavefront_offset 0
		.amdhsa_system_sgpr_workgroup_id_x 1
		.amdhsa_system_sgpr_workgroup_id_y 0
		.amdhsa_system_sgpr_workgroup_id_z 0
		.amdhsa_system_sgpr_workgroup_info 0
		.amdhsa_system_vgpr_workitem_id 0
		.amdhsa_next_free_vgpr 1
		.amdhsa_next_free_sgpr 0
		.amdhsa_reserve_vcc 0
		.amdhsa_reserve_flat_scratch 0
		.amdhsa_float_round_mode_32 0
		.amdhsa_float_round_mode_16_64 0
		.amdhsa_float_denorm_mode_32 3
		.amdhsa_float_denorm_mode_16_64 3
		.amdhsa_dx10_clamp 1
		.amdhsa_ieee_mode 1
		.amdhsa_fp16_overflow 0
		.amdhsa_exception_fp_ieee_invalid_op 0
		.amdhsa_exception_fp_denorm_src 0
		.amdhsa_exception_fp_ieee_div_zero 0
		.amdhsa_exception_fp_ieee_overflow 0
		.amdhsa_exception_fp_ieee_underflow 0
		.amdhsa_exception_fp_ieee_inexact 0
		.amdhsa_exception_int_div_zero 0
	.end_amdhsa_kernel
	.section	.text._ZN7rocprim17ROCPRIM_400000_NS6detail17trampoline_kernelINS0_14default_configENS1_27lower_bound_config_selectorIilEEZNS1_14transform_implILb0ES3_S5_N6thrust23THRUST_200600_302600_NS6detail15normal_iteratorINS8_7pointerIiNS8_11hip_rocprim5par_tENS8_11use_defaultESE_EEEENSA_INSB_IlSD_SE_SE_EEEEZNS1_13binary_searchIS3_S5_PiSG_SI_NS1_21lower_bound_search_opENS9_16wrapped_functionINS8_6system6detail7generic6detail18binary_search_lessEbEEEE10hipError_tPvRmT1_T2_T3_mmT4_T5_P12ihipStream_tbEUlRKiE_EEST_SX_SY_mSZ_S12_bEUlT_E_NS1_11comp_targetILNS1_3genE10ELNS1_11target_archE1200ELNS1_3gpuE4ELNS1_3repE0EEENS1_30default_config_static_selectorELNS0_4arch9wavefront6targetE1EEEvSW_,"axG",@progbits,_ZN7rocprim17ROCPRIM_400000_NS6detail17trampoline_kernelINS0_14default_configENS1_27lower_bound_config_selectorIilEEZNS1_14transform_implILb0ES3_S5_N6thrust23THRUST_200600_302600_NS6detail15normal_iteratorINS8_7pointerIiNS8_11hip_rocprim5par_tENS8_11use_defaultESE_EEEENSA_INSB_IlSD_SE_SE_EEEEZNS1_13binary_searchIS3_S5_PiSG_SI_NS1_21lower_bound_search_opENS9_16wrapped_functionINS8_6system6detail7generic6detail18binary_search_lessEbEEEE10hipError_tPvRmT1_T2_T3_mmT4_T5_P12ihipStream_tbEUlRKiE_EEST_SX_SY_mSZ_S12_bEUlT_E_NS1_11comp_targetILNS1_3genE10ELNS1_11target_archE1200ELNS1_3gpuE4ELNS1_3repE0EEENS1_30default_config_static_selectorELNS0_4arch9wavefront6targetE1EEEvSW_,comdat
.Lfunc_end138:
	.size	_ZN7rocprim17ROCPRIM_400000_NS6detail17trampoline_kernelINS0_14default_configENS1_27lower_bound_config_selectorIilEEZNS1_14transform_implILb0ES3_S5_N6thrust23THRUST_200600_302600_NS6detail15normal_iteratorINS8_7pointerIiNS8_11hip_rocprim5par_tENS8_11use_defaultESE_EEEENSA_INSB_IlSD_SE_SE_EEEEZNS1_13binary_searchIS3_S5_PiSG_SI_NS1_21lower_bound_search_opENS9_16wrapped_functionINS8_6system6detail7generic6detail18binary_search_lessEbEEEE10hipError_tPvRmT1_T2_T3_mmT4_T5_P12ihipStream_tbEUlRKiE_EEST_SX_SY_mSZ_S12_bEUlT_E_NS1_11comp_targetILNS1_3genE10ELNS1_11target_archE1200ELNS1_3gpuE4ELNS1_3repE0EEENS1_30default_config_static_selectorELNS0_4arch9wavefront6targetE1EEEvSW_, .Lfunc_end138-_ZN7rocprim17ROCPRIM_400000_NS6detail17trampoline_kernelINS0_14default_configENS1_27lower_bound_config_selectorIilEEZNS1_14transform_implILb0ES3_S5_N6thrust23THRUST_200600_302600_NS6detail15normal_iteratorINS8_7pointerIiNS8_11hip_rocprim5par_tENS8_11use_defaultESE_EEEENSA_INSB_IlSD_SE_SE_EEEEZNS1_13binary_searchIS3_S5_PiSG_SI_NS1_21lower_bound_search_opENS9_16wrapped_functionINS8_6system6detail7generic6detail18binary_search_lessEbEEEE10hipError_tPvRmT1_T2_T3_mmT4_T5_P12ihipStream_tbEUlRKiE_EEST_SX_SY_mSZ_S12_bEUlT_E_NS1_11comp_targetILNS1_3genE10ELNS1_11target_archE1200ELNS1_3gpuE4ELNS1_3repE0EEENS1_30default_config_static_selectorELNS0_4arch9wavefront6targetE1EEEvSW_
                                        ; -- End function
	.set _ZN7rocprim17ROCPRIM_400000_NS6detail17trampoline_kernelINS0_14default_configENS1_27lower_bound_config_selectorIilEEZNS1_14transform_implILb0ES3_S5_N6thrust23THRUST_200600_302600_NS6detail15normal_iteratorINS8_7pointerIiNS8_11hip_rocprim5par_tENS8_11use_defaultESE_EEEENSA_INSB_IlSD_SE_SE_EEEEZNS1_13binary_searchIS3_S5_PiSG_SI_NS1_21lower_bound_search_opENS9_16wrapped_functionINS8_6system6detail7generic6detail18binary_search_lessEbEEEE10hipError_tPvRmT1_T2_T3_mmT4_T5_P12ihipStream_tbEUlRKiE_EEST_SX_SY_mSZ_S12_bEUlT_E_NS1_11comp_targetILNS1_3genE10ELNS1_11target_archE1200ELNS1_3gpuE4ELNS1_3repE0EEENS1_30default_config_static_selectorELNS0_4arch9wavefront6targetE1EEEvSW_.num_vgpr, 0
	.set _ZN7rocprim17ROCPRIM_400000_NS6detail17trampoline_kernelINS0_14default_configENS1_27lower_bound_config_selectorIilEEZNS1_14transform_implILb0ES3_S5_N6thrust23THRUST_200600_302600_NS6detail15normal_iteratorINS8_7pointerIiNS8_11hip_rocprim5par_tENS8_11use_defaultESE_EEEENSA_INSB_IlSD_SE_SE_EEEEZNS1_13binary_searchIS3_S5_PiSG_SI_NS1_21lower_bound_search_opENS9_16wrapped_functionINS8_6system6detail7generic6detail18binary_search_lessEbEEEE10hipError_tPvRmT1_T2_T3_mmT4_T5_P12ihipStream_tbEUlRKiE_EEST_SX_SY_mSZ_S12_bEUlT_E_NS1_11comp_targetILNS1_3genE10ELNS1_11target_archE1200ELNS1_3gpuE4ELNS1_3repE0EEENS1_30default_config_static_selectorELNS0_4arch9wavefront6targetE1EEEvSW_.num_agpr, 0
	.set _ZN7rocprim17ROCPRIM_400000_NS6detail17trampoline_kernelINS0_14default_configENS1_27lower_bound_config_selectorIilEEZNS1_14transform_implILb0ES3_S5_N6thrust23THRUST_200600_302600_NS6detail15normal_iteratorINS8_7pointerIiNS8_11hip_rocprim5par_tENS8_11use_defaultESE_EEEENSA_INSB_IlSD_SE_SE_EEEEZNS1_13binary_searchIS3_S5_PiSG_SI_NS1_21lower_bound_search_opENS9_16wrapped_functionINS8_6system6detail7generic6detail18binary_search_lessEbEEEE10hipError_tPvRmT1_T2_T3_mmT4_T5_P12ihipStream_tbEUlRKiE_EEST_SX_SY_mSZ_S12_bEUlT_E_NS1_11comp_targetILNS1_3genE10ELNS1_11target_archE1200ELNS1_3gpuE4ELNS1_3repE0EEENS1_30default_config_static_selectorELNS0_4arch9wavefront6targetE1EEEvSW_.numbered_sgpr, 0
	.set _ZN7rocprim17ROCPRIM_400000_NS6detail17trampoline_kernelINS0_14default_configENS1_27lower_bound_config_selectorIilEEZNS1_14transform_implILb0ES3_S5_N6thrust23THRUST_200600_302600_NS6detail15normal_iteratorINS8_7pointerIiNS8_11hip_rocprim5par_tENS8_11use_defaultESE_EEEENSA_INSB_IlSD_SE_SE_EEEEZNS1_13binary_searchIS3_S5_PiSG_SI_NS1_21lower_bound_search_opENS9_16wrapped_functionINS8_6system6detail7generic6detail18binary_search_lessEbEEEE10hipError_tPvRmT1_T2_T3_mmT4_T5_P12ihipStream_tbEUlRKiE_EEST_SX_SY_mSZ_S12_bEUlT_E_NS1_11comp_targetILNS1_3genE10ELNS1_11target_archE1200ELNS1_3gpuE4ELNS1_3repE0EEENS1_30default_config_static_selectorELNS0_4arch9wavefront6targetE1EEEvSW_.num_named_barrier, 0
	.set _ZN7rocprim17ROCPRIM_400000_NS6detail17trampoline_kernelINS0_14default_configENS1_27lower_bound_config_selectorIilEEZNS1_14transform_implILb0ES3_S5_N6thrust23THRUST_200600_302600_NS6detail15normal_iteratorINS8_7pointerIiNS8_11hip_rocprim5par_tENS8_11use_defaultESE_EEEENSA_INSB_IlSD_SE_SE_EEEEZNS1_13binary_searchIS3_S5_PiSG_SI_NS1_21lower_bound_search_opENS9_16wrapped_functionINS8_6system6detail7generic6detail18binary_search_lessEbEEEE10hipError_tPvRmT1_T2_T3_mmT4_T5_P12ihipStream_tbEUlRKiE_EEST_SX_SY_mSZ_S12_bEUlT_E_NS1_11comp_targetILNS1_3genE10ELNS1_11target_archE1200ELNS1_3gpuE4ELNS1_3repE0EEENS1_30default_config_static_selectorELNS0_4arch9wavefront6targetE1EEEvSW_.private_seg_size, 0
	.set _ZN7rocprim17ROCPRIM_400000_NS6detail17trampoline_kernelINS0_14default_configENS1_27lower_bound_config_selectorIilEEZNS1_14transform_implILb0ES3_S5_N6thrust23THRUST_200600_302600_NS6detail15normal_iteratorINS8_7pointerIiNS8_11hip_rocprim5par_tENS8_11use_defaultESE_EEEENSA_INSB_IlSD_SE_SE_EEEEZNS1_13binary_searchIS3_S5_PiSG_SI_NS1_21lower_bound_search_opENS9_16wrapped_functionINS8_6system6detail7generic6detail18binary_search_lessEbEEEE10hipError_tPvRmT1_T2_T3_mmT4_T5_P12ihipStream_tbEUlRKiE_EEST_SX_SY_mSZ_S12_bEUlT_E_NS1_11comp_targetILNS1_3genE10ELNS1_11target_archE1200ELNS1_3gpuE4ELNS1_3repE0EEENS1_30default_config_static_selectorELNS0_4arch9wavefront6targetE1EEEvSW_.uses_vcc, 0
	.set _ZN7rocprim17ROCPRIM_400000_NS6detail17trampoline_kernelINS0_14default_configENS1_27lower_bound_config_selectorIilEEZNS1_14transform_implILb0ES3_S5_N6thrust23THRUST_200600_302600_NS6detail15normal_iteratorINS8_7pointerIiNS8_11hip_rocprim5par_tENS8_11use_defaultESE_EEEENSA_INSB_IlSD_SE_SE_EEEEZNS1_13binary_searchIS3_S5_PiSG_SI_NS1_21lower_bound_search_opENS9_16wrapped_functionINS8_6system6detail7generic6detail18binary_search_lessEbEEEE10hipError_tPvRmT1_T2_T3_mmT4_T5_P12ihipStream_tbEUlRKiE_EEST_SX_SY_mSZ_S12_bEUlT_E_NS1_11comp_targetILNS1_3genE10ELNS1_11target_archE1200ELNS1_3gpuE4ELNS1_3repE0EEENS1_30default_config_static_selectorELNS0_4arch9wavefront6targetE1EEEvSW_.uses_flat_scratch, 0
	.set _ZN7rocprim17ROCPRIM_400000_NS6detail17trampoline_kernelINS0_14default_configENS1_27lower_bound_config_selectorIilEEZNS1_14transform_implILb0ES3_S5_N6thrust23THRUST_200600_302600_NS6detail15normal_iteratorINS8_7pointerIiNS8_11hip_rocprim5par_tENS8_11use_defaultESE_EEEENSA_INSB_IlSD_SE_SE_EEEEZNS1_13binary_searchIS3_S5_PiSG_SI_NS1_21lower_bound_search_opENS9_16wrapped_functionINS8_6system6detail7generic6detail18binary_search_lessEbEEEE10hipError_tPvRmT1_T2_T3_mmT4_T5_P12ihipStream_tbEUlRKiE_EEST_SX_SY_mSZ_S12_bEUlT_E_NS1_11comp_targetILNS1_3genE10ELNS1_11target_archE1200ELNS1_3gpuE4ELNS1_3repE0EEENS1_30default_config_static_selectorELNS0_4arch9wavefront6targetE1EEEvSW_.has_dyn_sized_stack, 0
	.set _ZN7rocprim17ROCPRIM_400000_NS6detail17trampoline_kernelINS0_14default_configENS1_27lower_bound_config_selectorIilEEZNS1_14transform_implILb0ES3_S5_N6thrust23THRUST_200600_302600_NS6detail15normal_iteratorINS8_7pointerIiNS8_11hip_rocprim5par_tENS8_11use_defaultESE_EEEENSA_INSB_IlSD_SE_SE_EEEEZNS1_13binary_searchIS3_S5_PiSG_SI_NS1_21lower_bound_search_opENS9_16wrapped_functionINS8_6system6detail7generic6detail18binary_search_lessEbEEEE10hipError_tPvRmT1_T2_T3_mmT4_T5_P12ihipStream_tbEUlRKiE_EEST_SX_SY_mSZ_S12_bEUlT_E_NS1_11comp_targetILNS1_3genE10ELNS1_11target_archE1200ELNS1_3gpuE4ELNS1_3repE0EEENS1_30default_config_static_selectorELNS0_4arch9wavefront6targetE1EEEvSW_.has_recursion, 0
	.set _ZN7rocprim17ROCPRIM_400000_NS6detail17trampoline_kernelINS0_14default_configENS1_27lower_bound_config_selectorIilEEZNS1_14transform_implILb0ES3_S5_N6thrust23THRUST_200600_302600_NS6detail15normal_iteratorINS8_7pointerIiNS8_11hip_rocprim5par_tENS8_11use_defaultESE_EEEENSA_INSB_IlSD_SE_SE_EEEEZNS1_13binary_searchIS3_S5_PiSG_SI_NS1_21lower_bound_search_opENS9_16wrapped_functionINS8_6system6detail7generic6detail18binary_search_lessEbEEEE10hipError_tPvRmT1_T2_T3_mmT4_T5_P12ihipStream_tbEUlRKiE_EEST_SX_SY_mSZ_S12_bEUlT_E_NS1_11comp_targetILNS1_3genE10ELNS1_11target_archE1200ELNS1_3gpuE4ELNS1_3repE0EEENS1_30default_config_static_selectorELNS0_4arch9wavefront6targetE1EEEvSW_.has_indirect_call, 0
	.section	.AMDGPU.csdata,"",@progbits
; Kernel info:
; codeLenInByte = 0
; TotalNumSgprs: 4
; NumVgprs: 0
; ScratchSize: 0
; MemoryBound: 0
; FloatMode: 240
; IeeeMode: 1
; LDSByteSize: 0 bytes/workgroup (compile time only)
; SGPRBlocks: 0
; VGPRBlocks: 0
; NumSGPRsForWavesPerEU: 4
; NumVGPRsForWavesPerEU: 1
; Occupancy: 10
; WaveLimiterHint : 0
; COMPUTE_PGM_RSRC2:SCRATCH_EN: 0
; COMPUTE_PGM_RSRC2:USER_SGPR: 6
; COMPUTE_PGM_RSRC2:TRAP_HANDLER: 0
; COMPUTE_PGM_RSRC2:TGID_X_EN: 1
; COMPUTE_PGM_RSRC2:TGID_Y_EN: 0
; COMPUTE_PGM_RSRC2:TGID_Z_EN: 0
; COMPUTE_PGM_RSRC2:TIDIG_COMP_CNT: 0
	.section	.text._ZN7rocprim17ROCPRIM_400000_NS6detail17trampoline_kernelINS0_14default_configENS1_27lower_bound_config_selectorIilEEZNS1_14transform_implILb0ES3_S5_N6thrust23THRUST_200600_302600_NS6detail15normal_iteratorINS8_7pointerIiNS8_11hip_rocprim5par_tENS8_11use_defaultESE_EEEENSA_INSB_IlSD_SE_SE_EEEEZNS1_13binary_searchIS3_S5_PiSG_SI_NS1_21lower_bound_search_opENS9_16wrapped_functionINS8_6system6detail7generic6detail18binary_search_lessEbEEEE10hipError_tPvRmT1_T2_T3_mmT4_T5_P12ihipStream_tbEUlRKiE_EEST_SX_SY_mSZ_S12_bEUlT_E_NS1_11comp_targetILNS1_3genE9ELNS1_11target_archE1100ELNS1_3gpuE3ELNS1_3repE0EEENS1_30default_config_static_selectorELNS0_4arch9wavefront6targetE1EEEvSW_,"axG",@progbits,_ZN7rocprim17ROCPRIM_400000_NS6detail17trampoline_kernelINS0_14default_configENS1_27lower_bound_config_selectorIilEEZNS1_14transform_implILb0ES3_S5_N6thrust23THRUST_200600_302600_NS6detail15normal_iteratorINS8_7pointerIiNS8_11hip_rocprim5par_tENS8_11use_defaultESE_EEEENSA_INSB_IlSD_SE_SE_EEEEZNS1_13binary_searchIS3_S5_PiSG_SI_NS1_21lower_bound_search_opENS9_16wrapped_functionINS8_6system6detail7generic6detail18binary_search_lessEbEEEE10hipError_tPvRmT1_T2_T3_mmT4_T5_P12ihipStream_tbEUlRKiE_EEST_SX_SY_mSZ_S12_bEUlT_E_NS1_11comp_targetILNS1_3genE9ELNS1_11target_archE1100ELNS1_3gpuE3ELNS1_3repE0EEENS1_30default_config_static_selectorELNS0_4arch9wavefront6targetE1EEEvSW_,comdat
	.protected	_ZN7rocprim17ROCPRIM_400000_NS6detail17trampoline_kernelINS0_14default_configENS1_27lower_bound_config_selectorIilEEZNS1_14transform_implILb0ES3_S5_N6thrust23THRUST_200600_302600_NS6detail15normal_iteratorINS8_7pointerIiNS8_11hip_rocprim5par_tENS8_11use_defaultESE_EEEENSA_INSB_IlSD_SE_SE_EEEEZNS1_13binary_searchIS3_S5_PiSG_SI_NS1_21lower_bound_search_opENS9_16wrapped_functionINS8_6system6detail7generic6detail18binary_search_lessEbEEEE10hipError_tPvRmT1_T2_T3_mmT4_T5_P12ihipStream_tbEUlRKiE_EEST_SX_SY_mSZ_S12_bEUlT_E_NS1_11comp_targetILNS1_3genE9ELNS1_11target_archE1100ELNS1_3gpuE3ELNS1_3repE0EEENS1_30default_config_static_selectorELNS0_4arch9wavefront6targetE1EEEvSW_ ; -- Begin function _ZN7rocprim17ROCPRIM_400000_NS6detail17trampoline_kernelINS0_14default_configENS1_27lower_bound_config_selectorIilEEZNS1_14transform_implILb0ES3_S5_N6thrust23THRUST_200600_302600_NS6detail15normal_iteratorINS8_7pointerIiNS8_11hip_rocprim5par_tENS8_11use_defaultESE_EEEENSA_INSB_IlSD_SE_SE_EEEEZNS1_13binary_searchIS3_S5_PiSG_SI_NS1_21lower_bound_search_opENS9_16wrapped_functionINS8_6system6detail7generic6detail18binary_search_lessEbEEEE10hipError_tPvRmT1_T2_T3_mmT4_T5_P12ihipStream_tbEUlRKiE_EEST_SX_SY_mSZ_S12_bEUlT_E_NS1_11comp_targetILNS1_3genE9ELNS1_11target_archE1100ELNS1_3gpuE3ELNS1_3repE0EEENS1_30default_config_static_selectorELNS0_4arch9wavefront6targetE1EEEvSW_
	.globl	_ZN7rocprim17ROCPRIM_400000_NS6detail17trampoline_kernelINS0_14default_configENS1_27lower_bound_config_selectorIilEEZNS1_14transform_implILb0ES3_S5_N6thrust23THRUST_200600_302600_NS6detail15normal_iteratorINS8_7pointerIiNS8_11hip_rocprim5par_tENS8_11use_defaultESE_EEEENSA_INSB_IlSD_SE_SE_EEEEZNS1_13binary_searchIS3_S5_PiSG_SI_NS1_21lower_bound_search_opENS9_16wrapped_functionINS8_6system6detail7generic6detail18binary_search_lessEbEEEE10hipError_tPvRmT1_T2_T3_mmT4_T5_P12ihipStream_tbEUlRKiE_EEST_SX_SY_mSZ_S12_bEUlT_E_NS1_11comp_targetILNS1_3genE9ELNS1_11target_archE1100ELNS1_3gpuE3ELNS1_3repE0EEENS1_30default_config_static_selectorELNS0_4arch9wavefront6targetE1EEEvSW_
	.p2align	8
	.type	_ZN7rocprim17ROCPRIM_400000_NS6detail17trampoline_kernelINS0_14default_configENS1_27lower_bound_config_selectorIilEEZNS1_14transform_implILb0ES3_S5_N6thrust23THRUST_200600_302600_NS6detail15normal_iteratorINS8_7pointerIiNS8_11hip_rocprim5par_tENS8_11use_defaultESE_EEEENSA_INSB_IlSD_SE_SE_EEEEZNS1_13binary_searchIS3_S5_PiSG_SI_NS1_21lower_bound_search_opENS9_16wrapped_functionINS8_6system6detail7generic6detail18binary_search_lessEbEEEE10hipError_tPvRmT1_T2_T3_mmT4_T5_P12ihipStream_tbEUlRKiE_EEST_SX_SY_mSZ_S12_bEUlT_E_NS1_11comp_targetILNS1_3genE9ELNS1_11target_archE1100ELNS1_3gpuE3ELNS1_3repE0EEENS1_30default_config_static_selectorELNS0_4arch9wavefront6targetE1EEEvSW_,@function
_ZN7rocprim17ROCPRIM_400000_NS6detail17trampoline_kernelINS0_14default_configENS1_27lower_bound_config_selectorIilEEZNS1_14transform_implILb0ES3_S5_N6thrust23THRUST_200600_302600_NS6detail15normal_iteratorINS8_7pointerIiNS8_11hip_rocprim5par_tENS8_11use_defaultESE_EEEENSA_INSB_IlSD_SE_SE_EEEEZNS1_13binary_searchIS3_S5_PiSG_SI_NS1_21lower_bound_search_opENS9_16wrapped_functionINS8_6system6detail7generic6detail18binary_search_lessEbEEEE10hipError_tPvRmT1_T2_T3_mmT4_T5_P12ihipStream_tbEUlRKiE_EEST_SX_SY_mSZ_S12_bEUlT_E_NS1_11comp_targetILNS1_3genE9ELNS1_11target_archE1100ELNS1_3gpuE3ELNS1_3repE0EEENS1_30default_config_static_selectorELNS0_4arch9wavefront6targetE1EEEvSW_: ; @_ZN7rocprim17ROCPRIM_400000_NS6detail17trampoline_kernelINS0_14default_configENS1_27lower_bound_config_selectorIilEEZNS1_14transform_implILb0ES3_S5_N6thrust23THRUST_200600_302600_NS6detail15normal_iteratorINS8_7pointerIiNS8_11hip_rocprim5par_tENS8_11use_defaultESE_EEEENSA_INSB_IlSD_SE_SE_EEEEZNS1_13binary_searchIS3_S5_PiSG_SI_NS1_21lower_bound_search_opENS9_16wrapped_functionINS8_6system6detail7generic6detail18binary_search_lessEbEEEE10hipError_tPvRmT1_T2_T3_mmT4_T5_P12ihipStream_tbEUlRKiE_EEST_SX_SY_mSZ_S12_bEUlT_E_NS1_11comp_targetILNS1_3genE9ELNS1_11target_archE1100ELNS1_3gpuE3ELNS1_3repE0EEENS1_30default_config_static_selectorELNS0_4arch9wavefront6targetE1EEEvSW_
; %bb.0:
	.section	.rodata,"a",@progbits
	.p2align	6, 0x0
	.amdhsa_kernel _ZN7rocprim17ROCPRIM_400000_NS6detail17trampoline_kernelINS0_14default_configENS1_27lower_bound_config_selectorIilEEZNS1_14transform_implILb0ES3_S5_N6thrust23THRUST_200600_302600_NS6detail15normal_iteratorINS8_7pointerIiNS8_11hip_rocprim5par_tENS8_11use_defaultESE_EEEENSA_INSB_IlSD_SE_SE_EEEEZNS1_13binary_searchIS3_S5_PiSG_SI_NS1_21lower_bound_search_opENS9_16wrapped_functionINS8_6system6detail7generic6detail18binary_search_lessEbEEEE10hipError_tPvRmT1_T2_T3_mmT4_T5_P12ihipStream_tbEUlRKiE_EEST_SX_SY_mSZ_S12_bEUlT_E_NS1_11comp_targetILNS1_3genE9ELNS1_11target_archE1100ELNS1_3gpuE3ELNS1_3repE0EEENS1_30default_config_static_selectorELNS0_4arch9wavefront6targetE1EEEvSW_
		.amdhsa_group_segment_fixed_size 0
		.amdhsa_private_segment_fixed_size 0
		.amdhsa_kernarg_size 56
		.amdhsa_user_sgpr_count 6
		.amdhsa_user_sgpr_private_segment_buffer 1
		.amdhsa_user_sgpr_dispatch_ptr 0
		.amdhsa_user_sgpr_queue_ptr 0
		.amdhsa_user_sgpr_kernarg_segment_ptr 1
		.amdhsa_user_sgpr_dispatch_id 0
		.amdhsa_user_sgpr_flat_scratch_init 0
		.amdhsa_user_sgpr_private_segment_size 0
		.amdhsa_uses_dynamic_stack 0
		.amdhsa_system_sgpr_private_segment_wavefront_offset 0
		.amdhsa_system_sgpr_workgroup_id_x 1
		.amdhsa_system_sgpr_workgroup_id_y 0
		.amdhsa_system_sgpr_workgroup_id_z 0
		.amdhsa_system_sgpr_workgroup_info 0
		.amdhsa_system_vgpr_workitem_id 0
		.amdhsa_next_free_vgpr 1
		.amdhsa_next_free_sgpr 0
		.amdhsa_reserve_vcc 0
		.amdhsa_reserve_flat_scratch 0
		.amdhsa_float_round_mode_32 0
		.amdhsa_float_round_mode_16_64 0
		.amdhsa_float_denorm_mode_32 3
		.amdhsa_float_denorm_mode_16_64 3
		.amdhsa_dx10_clamp 1
		.amdhsa_ieee_mode 1
		.amdhsa_fp16_overflow 0
		.amdhsa_exception_fp_ieee_invalid_op 0
		.amdhsa_exception_fp_denorm_src 0
		.amdhsa_exception_fp_ieee_div_zero 0
		.amdhsa_exception_fp_ieee_overflow 0
		.amdhsa_exception_fp_ieee_underflow 0
		.amdhsa_exception_fp_ieee_inexact 0
		.amdhsa_exception_int_div_zero 0
	.end_amdhsa_kernel
	.section	.text._ZN7rocprim17ROCPRIM_400000_NS6detail17trampoline_kernelINS0_14default_configENS1_27lower_bound_config_selectorIilEEZNS1_14transform_implILb0ES3_S5_N6thrust23THRUST_200600_302600_NS6detail15normal_iteratorINS8_7pointerIiNS8_11hip_rocprim5par_tENS8_11use_defaultESE_EEEENSA_INSB_IlSD_SE_SE_EEEEZNS1_13binary_searchIS3_S5_PiSG_SI_NS1_21lower_bound_search_opENS9_16wrapped_functionINS8_6system6detail7generic6detail18binary_search_lessEbEEEE10hipError_tPvRmT1_T2_T3_mmT4_T5_P12ihipStream_tbEUlRKiE_EEST_SX_SY_mSZ_S12_bEUlT_E_NS1_11comp_targetILNS1_3genE9ELNS1_11target_archE1100ELNS1_3gpuE3ELNS1_3repE0EEENS1_30default_config_static_selectorELNS0_4arch9wavefront6targetE1EEEvSW_,"axG",@progbits,_ZN7rocprim17ROCPRIM_400000_NS6detail17trampoline_kernelINS0_14default_configENS1_27lower_bound_config_selectorIilEEZNS1_14transform_implILb0ES3_S5_N6thrust23THRUST_200600_302600_NS6detail15normal_iteratorINS8_7pointerIiNS8_11hip_rocprim5par_tENS8_11use_defaultESE_EEEENSA_INSB_IlSD_SE_SE_EEEEZNS1_13binary_searchIS3_S5_PiSG_SI_NS1_21lower_bound_search_opENS9_16wrapped_functionINS8_6system6detail7generic6detail18binary_search_lessEbEEEE10hipError_tPvRmT1_T2_T3_mmT4_T5_P12ihipStream_tbEUlRKiE_EEST_SX_SY_mSZ_S12_bEUlT_E_NS1_11comp_targetILNS1_3genE9ELNS1_11target_archE1100ELNS1_3gpuE3ELNS1_3repE0EEENS1_30default_config_static_selectorELNS0_4arch9wavefront6targetE1EEEvSW_,comdat
.Lfunc_end139:
	.size	_ZN7rocprim17ROCPRIM_400000_NS6detail17trampoline_kernelINS0_14default_configENS1_27lower_bound_config_selectorIilEEZNS1_14transform_implILb0ES3_S5_N6thrust23THRUST_200600_302600_NS6detail15normal_iteratorINS8_7pointerIiNS8_11hip_rocprim5par_tENS8_11use_defaultESE_EEEENSA_INSB_IlSD_SE_SE_EEEEZNS1_13binary_searchIS3_S5_PiSG_SI_NS1_21lower_bound_search_opENS9_16wrapped_functionINS8_6system6detail7generic6detail18binary_search_lessEbEEEE10hipError_tPvRmT1_T2_T3_mmT4_T5_P12ihipStream_tbEUlRKiE_EEST_SX_SY_mSZ_S12_bEUlT_E_NS1_11comp_targetILNS1_3genE9ELNS1_11target_archE1100ELNS1_3gpuE3ELNS1_3repE0EEENS1_30default_config_static_selectorELNS0_4arch9wavefront6targetE1EEEvSW_, .Lfunc_end139-_ZN7rocprim17ROCPRIM_400000_NS6detail17trampoline_kernelINS0_14default_configENS1_27lower_bound_config_selectorIilEEZNS1_14transform_implILb0ES3_S5_N6thrust23THRUST_200600_302600_NS6detail15normal_iteratorINS8_7pointerIiNS8_11hip_rocprim5par_tENS8_11use_defaultESE_EEEENSA_INSB_IlSD_SE_SE_EEEEZNS1_13binary_searchIS3_S5_PiSG_SI_NS1_21lower_bound_search_opENS9_16wrapped_functionINS8_6system6detail7generic6detail18binary_search_lessEbEEEE10hipError_tPvRmT1_T2_T3_mmT4_T5_P12ihipStream_tbEUlRKiE_EEST_SX_SY_mSZ_S12_bEUlT_E_NS1_11comp_targetILNS1_3genE9ELNS1_11target_archE1100ELNS1_3gpuE3ELNS1_3repE0EEENS1_30default_config_static_selectorELNS0_4arch9wavefront6targetE1EEEvSW_
                                        ; -- End function
	.set _ZN7rocprim17ROCPRIM_400000_NS6detail17trampoline_kernelINS0_14default_configENS1_27lower_bound_config_selectorIilEEZNS1_14transform_implILb0ES3_S5_N6thrust23THRUST_200600_302600_NS6detail15normal_iteratorINS8_7pointerIiNS8_11hip_rocprim5par_tENS8_11use_defaultESE_EEEENSA_INSB_IlSD_SE_SE_EEEEZNS1_13binary_searchIS3_S5_PiSG_SI_NS1_21lower_bound_search_opENS9_16wrapped_functionINS8_6system6detail7generic6detail18binary_search_lessEbEEEE10hipError_tPvRmT1_T2_T3_mmT4_T5_P12ihipStream_tbEUlRKiE_EEST_SX_SY_mSZ_S12_bEUlT_E_NS1_11comp_targetILNS1_3genE9ELNS1_11target_archE1100ELNS1_3gpuE3ELNS1_3repE0EEENS1_30default_config_static_selectorELNS0_4arch9wavefront6targetE1EEEvSW_.num_vgpr, 0
	.set _ZN7rocprim17ROCPRIM_400000_NS6detail17trampoline_kernelINS0_14default_configENS1_27lower_bound_config_selectorIilEEZNS1_14transform_implILb0ES3_S5_N6thrust23THRUST_200600_302600_NS6detail15normal_iteratorINS8_7pointerIiNS8_11hip_rocprim5par_tENS8_11use_defaultESE_EEEENSA_INSB_IlSD_SE_SE_EEEEZNS1_13binary_searchIS3_S5_PiSG_SI_NS1_21lower_bound_search_opENS9_16wrapped_functionINS8_6system6detail7generic6detail18binary_search_lessEbEEEE10hipError_tPvRmT1_T2_T3_mmT4_T5_P12ihipStream_tbEUlRKiE_EEST_SX_SY_mSZ_S12_bEUlT_E_NS1_11comp_targetILNS1_3genE9ELNS1_11target_archE1100ELNS1_3gpuE3ELNS1_3repE0EEENS1_30default_config_static_selectorELNS0_4arch9wavefront6targetE1EEEvSW_.num_agpr, 0
	.set _ZN7rocprim17ROCPRIM_400000_NS6detail17trampoline_kernelINS0_14default_configENS1_27lower_bound_config_selectorIilEEZNS1_14transform_implILb0ES3_S5_N6thrust23THRUST_200600_302600_NS6detail15normal_iteratorINS8_7pointerIiNS8_11hip_rocprim5par_tENS8_11use_defaultESE_EEEENSA_INSB_IlSD_SE_SE_EEEEZNS1_13binary_searchIS3_S5_PiSG_SI_NS1_21lower_bound_search_opENS9_16wrapped_functionINS8_6system6detail7generic6detail18binary_search_lessEbEEEE10hipError_tPvRmT1_T2_T3_mmT4_T5_P12ihipStream_tbEUlRKiE_EEST_SX_SY_mSZ_S12_bEUlT_E_NS1_11comp_targetILNS1_3genE9ELNS1_11target_archE1100ELNS1_3gpuE3ELNS1_3repE0EEENS1_30default_config_static_selectorELNS0_4arch9wavefront6targetE1EEEvSW_.numbered_sgpr, 0
	.set _ZN7rocprim17ROCPRIM_400000_NS6detail17trampoline_kernelINS0_14default_configENS1_27lower_bound_config_selectorIilEEZNS1_14transform_implILb0ES3_S5_N6thrust23THRUST_200600_302600_NS6detail15normal_iteratorINS8_7pointerIiNS8_11hip_rocprim5par_tENS8_11use_defaultESE_EEEENSA_INSB_IlSD_SE_SE_EEEEZNS1_13binary_searchIS3_S5_PiSG_SI_NS1_21lower_bound_search_opENS9_16wrapped_functionINS8_6system6detail7generic6detail18binary_search_lessEbEEEE10hipError_tPvRmT1_T2_T3_mmT4_T5_P12ihipStream_tbEUlRKiE_EEST_SX_SY_mSZ_S12_bEUlT_E_NS1_11comp_targetILNS1_3genE9ELNS1_11target_archE1100ELNS1_3gpuE3ELNS1_3repE0EEENS1_30default_config_static_selectorELNS0_4arch9wavefront6targetE1EEEvSW_.num_named_barrier, 0
	.set _ZN7rocprim17ROCPRIM_400000_NS6detail17trampoline_kernelINS0_14default_configENS1_27lower_bound_config_selectorIilEEZNS1_14transform_implILb0ES3_S5_N6thrust23THRUST_200600_302600_NS6detail15normal_iteratorINS8_7pointerIiNS8_11hip_rocprim5par_tENS8_11use_defaultESE_EEEENSA_INSB_IlSD_SE_SE_EEEEZNS1_13binary_searchIS3_S5_PiSG_SI_NS1_21lower_bound_search_opENS9_16wrapped_functionINS8_6system6detail7generic6detail18binary_search_lessEbEEEE10hipError_tPvRmT1_T2_T3_mmT4_T5_P12ihipStream_tbEUlRKiE_EEST_SX_SY_mSZ_S12_bEUlT_E_NS1_11comp_targetILNS1_3genE9ELNS1_11target_archE1100ELNS1_3gpuE3ELNS1_3repE0EEENS1_30default_config_static_selectorELNS0_4arch9wavefront6targetE1EEEvSW_.private_seg_size, 0
	.set _ZN7rocprim17ROCPRIM_400000_NS6detail17trampoline_kernelINS0_14default_configENS1_27lower_bound_config_selectorIilEEZNS1_14transform_implILb0ES3_S5_N6thrust23THRUST_200600_302600_NS6detail15normal_iteratorINS8_7pointerIiNS8_11hip_rocprim5par_tENS8_11use_defaultESE_EEEENSA_INSB_IlSD_SE_SE_EEEEZNS1_13binary_searchIS3_S5_PiSG_SI_NS1_21lower_bound_search_opENS9_16wrapped_functionINS8_6system6detail7generic6detail18binary_search_lessEbEEEE10hipError_tPvRmT1_T2_T3_mmT4_T5_P12ihipStream_tbEUlRKiE_EEST_SX_SY_mSZ_S12_bEUlT_E_NS1_11comp_targetILNS1_3genE9ELNS1_11target_archE1100ELNS1_3gpuE3ELNS1_3repE0EEENS1_30default_config_static_selectorELNS0_4arch9wavefront6targetE1EEEvSW_.uses_vcc, 0
	.set _ZN7rocprim17ROCPRIM_400000_NS6detail17trampoline_kernelINS0_14default_configENS1_27lower_bound_config_selectorIilEEZNS1_14transform_implILb0ES3_S5_N6thrust23THRUST_200600_302600_NS6detail15normal_iteratorINS8_7pointerIiNS8_11hip_rocprim5par_tENS8_11use_defaultESE_EEEENSA_INSB_IlSD_SE_SE_EEEEZNS1_13binary_searchIS3_S5_PiSG_SI_NS1_21lower_bound_search_opENS9_16wrapped_functionINS8_6system6detail7generic6detail18binary_search_lessEbEEEE10hipError_tPvRmT1_T2_T3_mmT4_T5_P12ihipStream_tbEUlRKiE_EEST_SX_SY_mSZ_S12_bEUlT_E_NS1_11comp_targetILNS1_3genE9ELNS1_11target_archE1100ELNS1_3gpuE3ELNS1_3repE0EEENS1_30default_config_static_selectorELNS0_4arch9wavefront6targetE1EEEvSW_.uses_flat_scratch, 0
	.set _ZN7rocprim17ROCPRIM_400000_NS6detail17trampoline_kernelINS0_14default_configENS1_27lower_bound_config_selectorIilEEZNS1_14transform_implILb0ES3_S5_N6thrust23THRUST_200600_302600_NS6detail15normal_iteratorINS8_7pointerIiNS8_11hip_rocprim5par_tENS8_11use_defaultESE_EEEENSA_INSB_IlSD_SE_SE_EEEEZNS1_13binary_searchIS3_S5_PiSG_SI_NS1_21lower_bound_search_opENS9_16wrapped_functionINS8_6system6detail7generic6detail18binary_search_lessEbEEEE10hipError_tPvRmT1_T2_T3_mmT4_T5_P12ihipStream_tbEUlRKiE_EEST_SX_SY_mSZ_S12_bEUlT_E_NS1_11comp_targetILNS1_3genE9ELNS1_11target_archE1100ELNS1_3gpuE3ELNS1_3repE0EEENS1_30default_config_static_selectorELNS0_4arch9wavefront6targetE1EEEvSW_.has_dyn_sized_stack, 0
	.set _ZN7rocprim17ROCPRIM_400000_NS6detail17trampoline_kernelINS0_14default_configENS1_27lower_bound_config_selectorIilEEZNS1_14transform_implILb0ES3_S5_N6thrust23THRUST_200600_302600_NS6detail15normal_iteratorINS8_7pointerIiNS8_11hip_rocprim5par_tENS8_11use_defaultESE_EEEENSA_INSB_IlSD_SE_SE_EEEEZNS1_13binary_searchIS3_S5_PiSG_SI_NS1_21lower_bound_search_opENS9_16wrapped_functionINS8_6system6detail7generic6detail18binary_search_lessEbEEEE10hipError_tPvRmT1_T2_T3_mmT4_T5_P12ihipStream_tbEUlRKiE_EEST_SX_SY_mSZ_S12_bEUlT_E_NS1_11comp_targetILNS1_3genE9ELNS1_11target_archE1100ELNS1_3gpuE3ELNS1_3repE0EEENS1_30default_config_static_selectorELNS0_4arch9wavefront6targetE1EEEvSW_.has_recursion, 0
	.set _ZN7rocprim17ROCPRIM_400000_NS6detail17trampoline_kernelINS0_14default_configENS1_27lower_bound_config_selectorIilEEZNS1_14transform_implILb0ES3_S5_N6thrust23THRUST_200600_302600_NS6detail15normal_iteratorINS8_7pointerIiNS8_11hip_rocprim5par_tENS8_11use_defaultESE_EEEENSA_INSB_IlSD_SE_SE_EEEEZNS1_13binary_searchIS3_S5_PiSG_SI_NS1_21lower_bound_search_opENS9_16wrapped_functionINS8_6system6detail7generic6detail18binary_search_lessEbEEEE10hipError_tPvRmT1_T2_T3_mmT4_T5_P12ihipStream_tbEUlRKiE_EEST_SX_SY_mSZ_S12_bEUlT_E_NS1_11comp_targetILNS1_3genE9ELNS1_11target_archE1100ELNS1_3gpuE3ELNS1_3repE0EEENS1_30default_config_static_selectorELNS0_4arch9wavefront6targetE1EEEvSW_.has_indirect_call, 0
	.section	.AMDGPU.csdata,"",@progbits
; Kernel info:
; codeLenInByte = 0
; TotalNumSgprs: 4
; NumVgprs: 0
; ScratchSize: 0
; MemoryBound: 0
; FloatMode: 240
; IeeeMode: 1
; LDSByteSize: 0 bytes/workgroup (compile time only)
; SGPRBlocks: 0
; VGPRBlocks: 0
; NumSGPRsForWavesPerEU: 4
; NumVGPRsForWavesPerEU: 1
; Occupancy: 10
; WaveLimiterHint : 0
; COMPUTE_PGM_RSRC2:SCRATCH_EN: 0
; COMPUTE_PGM_RSRC2:USER_SGPR: 6
; COMPUTE_PGM_RSRC2:TRAP_HANDLER: 0
; COMPUTE_PGM_RSRC2:TGID_X_EN: 1
; COMPUTE_PGM_RSRC2:TGID_Y_EN: 0
; COMPUTE_PGM_RSRC2:TGID_Z_EN: 0
; COMPUTE_PGM_RSRC2:TIDIG_COMP_CNT: 0
	.section	.text._ZN7rocprim17ROCPRIM_400000_NS6detail17trampoline_kernelINS0_14default_configENS1_27lower_bound_config_selectorIilEEZNS1_14transform_implILb0ES3_S5_N6thrust23THRUST_200600_302600_NS6detail15normal_iteratorINS8_7pointerIiNS8_11hip_rocprim5par_tENS8_11use_defaultESE_EEEENSA_INSB_IlSD_SE_SE_EEEEZNS1_13binary_searchIS3_S5_PiSG_SI_NS1_21lower_bound_search_opENS9_16wrapped_functionINS8_6system6detail7generic6detail18binary_search_lessEbEEEE10hipError_tPvRmT1_T2_T3_mmT4_T5_P12ihipStream_tbEUlRKiE_EEST_SX_SY_mSZ_S12_bEUlT_E_NS1_11comp_targetILNS1_3genE8ELNS1_11target_archE1030ELNS1_3gpuE2ELNS1_3repE0EEENS1_30default_config_static_selectorELNS0_4arch9wavefront6targetE1EEEvSW_,"axG",@progbits,_ZN7rocprim17ROCPRIM_400000_NS6detail17trampoline_kernelINS0_14default_configENS1_27lower_bound_config_selectorIilEEZNS1_14transform_implILb0ES3_S5_N6thrust23THRUST_200600_302600_NS6detail15normal_iteratorINS8_7pointerIiNS8_11hip_rocprim5par_tENS8_11use_defaultESE_EEEENSA_INSB_IlSD_SE_SE_EEEEZNS1_13binary_searchIS3_S5_PiSG_SI_NS1_21lower_bound_search_opENS9_16wrapped_functionINS8_6system6detail7generic6detail18binary_search_lessEbEEEE10hipError_tPvRmT1_T2_T3_mmT4_T5_P12ihipStream_tbEUlRKiE_EEST_SX_SY_mSZ_S12_bEUlT_E_NS1_11comp_targetILNS1_3genE8ELNS1_11target_archE1030ELNS1_3gpuE2ELNS1_3repE0EEENS1_30default_config_static_selectorELNS0_4arch9wavefront6targetE1EEEvSW_,comdat
	.protected	_ZN7rocprim17ROCPRIM_400000_NS6detail17trampoline_kernelINS0_14default_configENS1_27lower_bound_config_selectorIilEEZNS1_14transform_implILb0ES3_S5_N6thrust23THRUST_200600_302600_NS6detail15normal_iteratorINS8_7pointerIiNS8_11hip_rocprim5par_tENS8_11use_defaultESE_EEEENSA_INSB_IlSD_SE_SE_EEEEZNS1_13binary_searchIS3_S5_PiSG_SI_NS1_21lower_bound_search_opENS9_16wrapped_functionINS8_6system6detail7generic6detail18binary_search_lessEbEEEE10hipError_tPvRmT1_T2_T3_mmT4_T5_P12ihipStream_tbEUlRKiE_EEST_SX_SY_mSZ_S12_bEUlT_E_NS1_11comp_targetILNS1_3genE8ELNS1_11target_archE1030ELNS1_3gpuE2ELNS1_3repE0EEENS1_30default_config_static_selectorELNS0_4arch9wavefront6targetE1EEEvSW_ ; -- Begin function _ZN7rocprim17ROCPRIM_400000_NS6detail17trampoline_kernelINS0_14default_configENS1_27lower_bound_config_selectorIilEEZNS1_14transform_implILb0ES3_S5_N6thrust23THRUST_200600_302600_NS6detail15normal_iteratorINS8_7pointerIiNS8_11hip_rocprim5par_tENS8_11use_defaultESE_EEEENSA_INSB_IlSD_SE_SE_EEEEZNS1_13binary_searchIS3_S5_PiSG_SI_NS1_21lower_bound_search_opENS9_16wrapped_functionINS8_6system6detail7generic6detail18binary_search_lessEbEEEE10hipError_tPvRmT1_T2_T3_mmT4_T5_P12ihipStream_tbEUlRKiE_EEST_SX_SY_mSZ_S12_bEUlT_E_NS1_11comp_targetILNS1_3genE8ELNS1_11target_archE1030ELNS1_3gpuE2ELNS1_3repE0EEENS1_30default_config_static_selectorELNS0_4arch9wavefront6targetE1EEEvSW_
	.globl	_ZN7rocprim17ROCPRIM_400000_NS6detail17trampoline_kernelINS0_14default_configENS1_27lower_bound_config_selectorIilEEZNS1_14transform_implILb0ES3_S5_N6thrust23THRUST_200600_302600_NS6detail15normal_iteratorINS8_7pointerIiNS8_11hip_rocprim5par_tENS8_11use_defaultESE_EEEENSA_INSB_IlSD_SE_SE_EEEEZNS1_13binary_searchIS3_S5_PiSG_SI_NS1_21lower_bound_search_opENS9_16wrapped_functionINS8_6system6detail7generic6detail18binary_search_lessEbEEEE10hipError_tPvRmT1_T2_T3_mmT4_T5_P12ihipStream_tbEUlRKiE_EEST_SX_SY_mSZ_S12_bEUlT_E_NS1_11comp_targetILNS1_3genE8ELNS1_11target_archE1030ELNS1_3gpuE2ELNS1_3repE0EEENS1_30default_config_static_selectorELNS0_4arch9wavefront6targetE1EEEvSW_
	.p2align	8
	.type	_ZN7rocprim17ROCPRIM_400000_NS6detail17trampoline_kernelINS0_14default_configENS1_27lower_bound_config_selectorIilEEZNS1_14transform_implILb0ES3_S5_N6thrust23THRUST_200600_302600_NS6detail15normal_iteratorINS8_7pointerIiNS8_11hip_rocprim5par_tENS8_11use_defaultESE_EEEENSA_INSB_IlSD_SE_SE_EEEEZNS1_13binary_searchIS3_S5_PiSG_SI_NS1_21lower_bound_search_opENS9_16wrapped_functionINS8_6system6detail7generic6detail18binary_search_lessEbEEEE10hipError_tPvRmT1_T2_T3_mmT4_T5_P12ihipStream_tbEUlRKiE_EEST_SX_SY_mSZ_S12_bEUlT_E_NS1_11comp_targetILNS1_3genE8ELNS1_11target_archE1030ELNS1_3gpuE2ELNS1_3repE0EEENS1_30default_config_static_selectorELNS0_4arch9wavefront6targetE1EEEvSW_,@function
_ZN7rocprim17ROCPRIM_400000_NS6detail17trampoline_kernelINS0_14default_configENS1_27lower_bound_config_selectorIilEEZNS1_14transform_implILb0ES3_S5_N6thrust23THRUST_200600_302600_NS6detail15normal_iteratorINS8_7pointerIiNS8_11hip_rocprim5par_tENS8_11use_defaultESE_EEEENSA_INSB_IlSD_SE_SE_EEEEZNS1_13binary_searchIS3_S5_PiSG_SI_NS1_21lower_bound_search_opENS9_16wrapped_functionINS8_6system6detail7generic6detail18binary_search_lessEbEEEE10hipError_tPvRmT1_T2_T3_mmT4_T5_P12ihipStream_tbEUlRKiE_EEST_SX_SY_mSZ_S12_bEUlT_E_NS1_11comp_targetILNS1_3genE8ELNS1_11target_archE1030ELNS1_3gpuE2ELNS1_3repE0EEENS1_30default_config_static_selectorELNS0_4arch9wavefront6targetE1EEEvSW_: ; @_ZN7rocprim17ROCPRIM_400000_NS6detail17trampoline_kernelINS0_14default_configENS1_27lower_bound_config_selectorIilEEZNS1_14transform_implILb0ES3_S5_N6thrust23THRUST_200600_302600_NS6detail15normal_iteratorINS8_7pointerIiNS8_11hip_rocprim5par_tENS8_11use_defaultESE_EEEENSA_INSB_IlSD_SE_SE_EEEEZNS1_13binary_searchIS3_S5_PiSG_SI_NS1_21lower_bound_search_opENS9_16wrapped_functionINS8_6system6detail7generic6detail18binary_search_lessEbEEEE10hipError_tPvRmT1_T2_T3_mmT4_T5_P12ihipStream_tbEUlRKiE_EEST_SX_SY_mSZ_S12_bEUlT_E_NS1_11comp_targetILNS1_3genE8ELNS1_11target_archE1030ELNS1_3gpuE2ELNS1_3repE0EEENS1_30default_config_static_selectorELNS0_4arch9wavefront6targetE1EEEvSW_
; %bb.0:
	.section	.rodata,"a",@progbits
	.p2align	6, 0x0
	.amdhsa_kernel _ZN7rocprim17ROCPRIM_400000_NS6detail17trampoline_kernelINS0_14default_configENS1_27lower_bound_config_selectorIilEEZNS1_14transform_implILb0ES3_S5_N6thrust23THRUST_200600_302600_NS6detail15normal_iteratorINS8_7pointerIiNS8_11hip_rocprim5par_tENS8_11use_defaultESE_EEEENSA_INSB_IlSD_SE_SE_EEEEZNS1_13binary_searchIS3_S5_PiSG_SI_NS1_21lower_bound_search_opENS9_16wrapped_functionINS8_6system6detail7generic6detail18binary_search_lessEbEEEE10hipError_tPvRmT1_T2_T3_mmT4_T5_P12ihipStream_tbEUlRKiE_EEST_SX_SY_mSZ_S12_bEUlT_E_NS1_11comp_targetILNS1_3genE8ELNS1_11target_archE1030ELNS1_3gpuE2ELNS1_3repE0EEENS1_30default_config_static_selectorELNS0_4arch9wavefront6targetE1EEEvSW_
		.amdhsa_group_segment_fixed_size 0
		.amdhsa_private_segment_fixed_size 0
		.amdhsa_kernarg_size 56
		.amdhsa_user_sgpr_count 6
		.amdhsa_user_sgpr_private_segment_buffer 1
		.amdhsa_user_sgpr_dispatch_ptr 0
		.amdhsa_user_sgpr_queue_ptr 0
		.amdhsa_user_sgpr_kernarg_segment_ptr 1
		.amdhsa_user_sgpr_dispatch_id 0
		.amdhsa_user_sgpr_flat_scratch_init 0
		.amdhsa_user_sgpr_private_segment_size 0
		.amdhsa_uses_dynamic_stack 0
		.amdhsa_system_sgpr_private_segment_wavefront_offset 0
		.amdhsa_system_sgpr_workgroup_id_x 1
		.amdhsa_system_sgpr_workgroup_id_y 0
		.amdhsa_system_sgpr_workgroup_id_z 0
		.amdhsa_system_sgpr_workgroup_info 0
		.amdhsa_system_vgpr_workitem_id 0
		.amdhsa_next_free_vgpr 1
		.amdhsa_next_free_sgpr 0
		.amdhsa_reserve_vcc 0
		.amdhsa_reserve_flat_scratch 0
		.amdhsa_float_round_mode_32 0
		.amdhsa_float_round_mode_16_64 0
		.amdhsa_float_denorm_mode_32 3
		.amdhsa_float_denorm_mode_16_64 3
		.amdhsa_dx10_clamp 1
		.amdhsa_ieee_mode 1
		.amdhsa_fp16_overflow 0
		.amdhsa_exception_fp_ieee_invalid_op 0
		.amdhsa_exception_fp_denorm_src 0
		.amdhsa_exception_fp_ieee_div_zero 0
		.amdhsa_exception_fp_ieee_overflow 0
		.amdhsa_exception_fp_ieee_underflow 0
		.amdhsa_exception_fp_ieee_inexact 0
		.amdhsa_exception_int_div_zero 0
	.end_amdhsa_kernel
	.section	.text._ZN7rocprim17ROCPRIM_400000_NS6detail17trampoline_kernelINS0_14default_configENS1_27lower_bound_config_selectorIilEEZNS1_14transform_implILb0ES3_S5_N6thrust23THRUST_200600_302600_NS6detail15normal_iteratorINS8_7pointerIiNS8_11hip_rocprim5par_tENS8_11use_defaultESE_EEEENSA_INSB_IlSD_SE_SE_EEEEZNS1_13binary_searchIS3_S5_PiSG_SI_NS1_21lower_bound_search_opENS9_16wrapped_functionINS8_6system6detail7generic6detail18binary_search_lessEbEEEE10hipError_tPvRmT1_T2_T3_mmT4_T5_P12ihipStream_tbEUlRKiE_EEST_SX_SY_mSZ_S12_bEUlT_E_NS1_11comp_targetILNS1_3genE8ELNS1_11target_archE1030ELNS1_3gpuE2ELNS1_3repE0EEENS1_30default_config_static_selectorELNS0_4arch9wavefront6targetE1EEEvSW_,"axG",@progbits,_ZN7rocprim17ROCPRIM_400000_NS6detail17trampoline_kernelINS0_14default_configENS1_27lower_bound_config_selectorIilEEZNS1_14transform_implILb0ES3_S5_N6thrust23THRUST_200600_302600_NS6detail15normal_iteratorINS8_7pointerIiNS8_11hip_rocprim5par_tENS8_11use_defaultESE_EEEENSA_INSB_IlSD_SE_SE_EEEEZNS1_13binary_searchIS3_S5_PiSG_SI_NS1_21lower_bound_search_opENS9_16wrapped_functionINS8_6system6detail7generic6detail18binary_search_lessEbEEEE10hipError_tPvRmT1_T2_T3_mmT4_T5_P12ihipStream_tbEUlRKiE_EEST_SX_SY_mSZ_S12_bEUlT_E_NS1_11comp_targetILNS1_3genE8ELNS1_11target_archE1030ELNS1_3gpuE2ELNS1_3repE0EEENS1_30default_config_static_selectorELNS0_4arch9wavefront6targetE1EEEvSW_,comdat
.Lfunc_end140:
	.size	_ZN7rocprim17ROCPRIM_400000_NS6detail17trampoline_kernelINS0_14default_configENS1_27lower_bound_config_selectorIilEEZNS1_14transform_implILb0ES3_S5_N6thrust23THRUST_200600_302600_NS6detail15normal_iteratorINS8_7pointerIiNS8_11hip_rocprim5par_tENS8_11use_defaultESE_EEEENSA_INSB_IlSD_SE_SE_EEEEZNS1_13binary_searchIS3_S5_PiSG_SI_NS1_21lower_bound_search_opENS9_16wrapped_functionINS8_6system6detail7generic6detail18binary_search_lessEbEEEE10hipError_tPvRmT1_T2_T3_mmT4_T5_P12ihipStream_tbEUlRKiE_EEST_SX_SY_mSZ_S12_bEUlT_E_NS1_11comp_targetILNS1_3genE8ELNS1_11target_archE1030ELNS1_3gpuE2ELNS1_3repE0EEENS1_30default_config_static_selectorELNS0_4arch9wavefront6targetE1EEEvSW_, .Lfunc_end140-_ZN7rocprim17ROCPRIM_400000_NS6detail17trampoline_kernelINS0_14default_configENS1_27lower_bound_config_selectorIilEEZNS1_14transform_implILb0ES3_S5_N6thrust23THRUST_200600_302600_NS6detail15normal_iteratorINS8_7pointerIiNS8_11hip_rocprim5par_tENS8_11use_defaultESE_EEEENSA_INSB_IlSD_SE_SE_EEEEZNS1_13binary_searchIS3_S5_PiSG_SI_NS1_21lower_bound_search_opENS9_16wrapped_functionINS8_6system6detail7generic6detail18binary_search_lessEbEEEE10hipError_tPvRmT1_T2_T3_mmT4_T5_P12ihipStream_tbEUlRKiE_EEST_SX_SY_mSZ_S12_bEUlT_E_NS1_11comp_targetILNS1_3genE8ELNS1_11target_archE1030ELNS1_3gpuE2ELNS1_3repE0EEENS1_30default_config_static_selectorELNS0_4arch9wavefront6targetE1EEEvSW_
                                        ; -- End function
	.set _ZN7rocprim17ROCPRIM_400000_NS6detail17trampoline_kernelINS0_14default_configENS1_27lower_bound_config_selectorIilEEZNS1_14transform_implILb0ES3_S5_N6thrust23THRUST_200600_302600_NS6detail15normal_iteratorINS8_7pointerIiNS8_11hip_rocprim5par_tENS8_11use_defaultESE_EEEENSA_INSB_IlSD_SE_SE_EEEEZNS1_13binary_searchIS3_S5_PiSG_SI_NS1_21lower_bound_search_opENS9_16wrapped_functionINS8_6system6detail7generic6detail18binary_search_lessEbEEEE10hipError_tPvRmT1_T2_T3_mmT4_T5_P12ihipStream_tbEUlRKiE_EEST_SX_SY_mSZ_S12_bEUlT_E_NS1_11comp_targetILNS1_3genE8ELNS1_11target_archE1030ELNS1_3gpuE2ELNS1_3repE0EEENS1_30default_config_static_selectorELNS0_4arch9wavefront6targetE1EEEvSW_.num_vgpr, 0
	.set _ZN7rocprim17ROCPRIM_400000_NS6detail17trampoline_kernelINS0_14default_configENS1_27lower_bound_config_selectorIilEEZNS1_14transform_implILb0ES3_S5_N6thrust23THRUST_200600_302600_NS6detail15normal_iteratorINS8_7pointerIiNS8_11hip_rocprim5par_tENS8_11use_defaultESE_EEEENSA_INSB_IlSD_SE_SE_EEEEZNS1_13binary_searchIS3_S5_PiSG_SI_NS1_21lower_bound_search_opENS9_16wrapped_functionINS8_6system6detail7generic6detail18binary_search_lessEbEEEE10hipError_tPvRmT1_T2_T3_mmT4_T5_P12ihipStream_tbEUlRKiE_EEST_SX_SY_mSZ_S12_bEUlT_E_NS1_11comp_targetILNS1_3genE8ELNS1_11target_archE1030ELNS1_3gpuE2ELNS1_3repE0EEENS1_30default_config_static_selectorELNS0_4arch9wavefront6targetE1EEEvSW_.num_agpr, 0
	.set _ZN7rocprim17ROCPRIM_400000_NS6detail17trampoline_kernelINS0_14default_configENS1_27lower_bound_config_selectorIilEEZNS1_14transform_implILb0ES3_S5_N6thrust23THRUST_200600_302600_NS6detail15normal_iteratorINS8_7pointerIiNS8_11hip_rocprim5par_tENS8_11use_defaultESE_EEEENSA_INSB_IlSD_SE_SE_EEEEZNS1_13binary_searchIS3_S5_PiSG_SI_NS1_21lower_bound_search_opENS9_16wrapped_functionINS8_6system6detail7generic6detail18binary_search_lessEbEEEE10hipError_tPvRmT1_T2_T3_mmT4_T5_P12ihipStream_tbEUlRKiE_EEST_SX_SY_mSZ_S12_bEUlT_E_NS1_11comp_targetILNS1_3genE8ELNS1_11target_archE1030ELNS1_3gpuE2ELNS1_3repE0EEENS1_30default_config_static_selectorELNS0_4arch9wavefront6targetE1EEEvSW_.numbered_sgpr, 0
	.set _ZN7rocprim17ROCPRIM_400000_NS6detail17trampoline_kernelINS0_14default_configENS1_27lower_bound_config_selectorIilEEZNS1_14transform_implILb0ES3_S5_N6thrust23THRUST_200600_302600_NS6detail15normal_iteratorINS8_7pointerIiNS8_11hip_rocprim5par_tENS8_11use_defaultESE_EEEENSA_INSB_IlSD_SE_SE_EEEEZNS1_13binary_searchIS3_S5_PiSG_SI_NS1_21lower_bound_search_opENS9_16wrapped_functionINS8_6system6detail7generic6detail18binary_search_lessEbEEEE10hipError_tPvRmT1_T2_T3_mmT4_T5_P12ihipStream_tbEUlRKiE_EEST_SX_SY_mSZ_S12_bEUlT_E_NS1_11comp_targetILNS1_3genE8ELNS1_11target_archE1030ELNS1_3gpuE2ELNS1_3repE0EEENS1_30default_config_static_selectorELNS0_4arch9wavefront6targetE1EEEvSW_.num_named_barrier, 0
	.set _ZN7rocprim17ROCPRIM_400000_NS6detail17trampoline_kernelINS0_14default_configENS1_27lower_bound_config_selectorIilEEZNS1_14transform_implILb0ES3_S5_N6thrust23THRUST_200600_302600_NS6detail15normal_iteratorINS8_7pointerIiNS8_11hip_rocprim5par_tENS8_11use_defaultESE_EEEENSA_INSB_IlSD_SE_SE_EEEEZNS1_13binary_searchIS3_S5_PiSG_SI_NS1_21lower_bound_search_opENS9_16wrapped_functionINS8_6system6detail7generic6detail18binary_search_lessEbEEEE10hipError_tPvRmT1_T2_T3_mmT4_T5_P12ihipStream_tbEUlRKiE_EEST_SX_SY_mSZ_S12_bEUlT_E_NS1_11comp_targetILNS1_3genE8ELNS1_11target_archE1030ELNS1_3gpuE2ELNS1_3repE0EEENS1_30default_config_static_selectorELNS0_4arch9wavefront6targetE1EEEvSW_.private_seg_size, 0
	.set _ZN7rocprim17ROCPRIM_400000_NS6detail17trampoline_kernelINS0_14default_configENS1_27lower_bound_config_selectorIilEEZNS1_14transform_implILb0ES3_S5_N6thrust23THRUST_200600_302600_NS6detail15normal_iteratorINS8_7pointerIiNS8_11hip_rocprim5par_tENS8_11use_defaultESE_EEEENSA_INSB_IlSD_SE_SE_EEEEZNS1_13binary_searchIS3_S5_PiSG_SI_NS1_21lower_bound_search_opENS9_16wrapped_functionINS8_6system6detail7generic6detail18binary_search_lessEbEEEE10hipError_tPvRmT1_T2_T3_mmT4_T5_P12ihipStream_tbEUlRKiE_EEST_SX_SY_mSZ_S12_bEUlT_E_NS1_11comp_targetILNS1_3genE8ELNS1_11target_archE1030ELNS1_3gpuE2ELNS1_3repE0EEENS1_30default_config_static_selectorELNS0_4arch9wavefront6targetE1EEEvSW_.uses_vcc, 0
	.set _ZN7rocprim17ROCPRIM_400000_NS6detail17trampoline_kernelINS0_14default_configENS1_27lower_bound_config_selectorIilEEZNS1_14transform_implILb0ES3_S5_N6thrust23THRUST_200600_302600_NS6detail15normal_iteratorINS8_7pointerIiNS8_11hip_rocprim5par_tENS8_11use_defaultESE_EEEENSA_INSB_IlSD_SE_SE_EEEEZNS1_13binary_searchIS3_S5_PiSG_SI_NS1_21lower_bound_search_opENS9_16wrapped_functionINS8_6system6detail7generic6detail18binary_search_lessEbEEEE10hipError_tPvRmT1_T2_T3_mmT4_T5_P12ihipStream_tbEUlRKiE_EEST_SX_SY_mSZ_S12_bEUlT_E_NS1_11comp_targetILNS1_3genE8ELNS1_11target_archE1030ELNS1_3gpuE2ELNS1_3repE0EEENS1_30default_config_static_selectorELNS0_4arch9wavefront6targetE1EEEvSW_.uses_flat_scratch, 0
	.set _ZN7rocprim17ROCPRIM_400000_NS6detail17trampoline_kernelINS0_14default_configENS1_27lower_bound_config_selectorIilEEZNS1_14transform_implILb0ES3_S5_N6thrust23THRUST_200600_302600_NS6detail15normal_iteratorINS8_7pointerIiNS8_11hip_rocprim5par_tENS8_11use_defaultESE_EEEENSA_INSB_IlSD_SE_SE_EEEEZNS1_13binary_searchIS3_S5_PiSG_SI_NS1_21lower_bound_search_opENS9_16wrapped_functionINS8_6system6detail7generic6detail18binary_search_lessEbEEEE10hipError_tPvRmT1_T2_T3_mmT4_T5_P12ihipStream_tbEUlRKiE_EEST_SX_SY_mSZ_S12_bEUlT_E_NS1_11comp_targetILNS1_3genE8ELNS1_11target_archE1030ELNS1_3gpuE2ELNS1_3repE0EEENS1_30default_config_static_selectorELNS0_4arch9wavefront6targetE1EEEvSW_.has_dyn_sized_stack, 0
	.set _ZN7rocprim17ROCPRIM_400000_NS6detail17trampoline_kernelINS0_14default_configENS1_27lower_bound_config_selectorIilEEZNS1_14transform_implILb0ES3_S5_N6thrust23THRUST_200600_302600_NS6detail15normal_iteratorINS8_7pointerIiNS8_11hip_rocprim5par_tENS8_11use_defaultESE_EEEENSA_INSB_IlSD_SE_SE_EEEEZNS1_13binary_searchIS3_S5_PiSG_SI_NS1_21lower_bound_search_opENS9_16wrapped_functionINS8_6system6detail7generic6detail18binary_search_lessEbEEEE10hipError_tPvRmT1_T2_T3_mmT4_T5_P12ihipStream_tbEUlRKiE_EEST_SX_SY_mSZ_S12_bEUlT_E_NS1_11comp_targetILNS1_3genE8ELNS1_11target_archE1030ELNS1_3gpuE2ELNS1_3repE0EEENS1_30default_config_static_selectorELNS0_4arch9wavefront6targetE1EEEvSW_.has_recursion, 0
	.set _ZN7rocprim17ROCPRIM_400000_NS6detail17trampoline_kernelINS0_14default_configENS1_27lower_bound_config_selectorIilEEZNS1_14transform_implILb0ES3_S5_N6thrust23THRUST_200600_302600_NS6detail15normal_iteratorINS8_7pointerIiNS8_11hip_rocprim5par_tENS8_11use_defaultESE_EEEENSA_INSB_IlSD_SE_SE_EEEEZNS1_13binary_searchIS3_S5_PiSG_SI_NS1_21lower_bound_search_opENS9_16wrapped_functionINS8_6system6detail7generic6detail18binary_search_lessEbEEEE10hipError_tPvRmT1_T2_T3_mmT4_T5_P12ihipStream_tbEUlRKiE_EEST_SX_SY_mSZ_S12_bEUlT_E_NS1_11comp_targetILNS1_3genE8ELNS1_11target_archE1030ELNS1_3gpuE2ELNS1_3repE0EEENS1_30default_config_static_selectorELNS0_4arch9wavefront6targetE1EEEvSW_.has_indirect_call, 0
	.section	.AMDGPU.csdata,"",@progbits
; Kernel info:
; codeLenInByte = 0
; TotalNumSgprs: 4
; NumVgprs: 0
; ScratchSize: 0
; MemoryBound: 0
; FloatMode: 240
; IeeeMode: 1
; LDSByteSize: 0 bytes/workgroup (compile time only)
; SGPRBlocks: 0
; VGPRBlocks: 0
; NumSGPRsForWavesPerEU: 4
; NumVGPRsForWavesPerEU: 1
; Occupancy: 10
; WaveLimiterHint : 0
; COMPUTE_PGM_RSRC2:SCRATCH_EN: 0
; COMPUTE_PGM_RSRC2:USER_SGPR: 6
; COMPUTE_PGM_RSRC2:TRAP_HANDLER: 0
; COMPUTE_PGM_RSRC2:TGID_X_EN: 1
; COMPUTE_PGM_RSRC2:TGID_Y_EN: 0
; COMPUTE_PGM_RSRC2:TGID_Z_EN: 0
; COMPUTE_PGM_RSRC2:TIDIG_COMP_CNT: 0
	.section	.text._ZN6thrust23THRUST_200600_302600_NS11hip_rocprim14__parallel_for6kernelILj256ENS1_20__uninitialized_fill7functorINS0_10device_ptrIsEEsEEmLj1EEEvT0_T1_SA_,"axG",@progbits,_ZN6thrust23THRUST_200600_302600_NS11hip_rocprim14__parallel_for6kernelILj256ENS1_20__uninitialized_fill7functorINS0_10device_ptrIsEEsEEmLj1EEEvT0_T1_SA_,comdat
	.protected	_ZN6thrust23THRUST_200600_302600_NS11hip_rocprim14__parallel_for6kernelILj256ENS1_20__uninitialized_fill7functorINS0_10device_ptrIsEEsEEmLj1EEEvT0_T1_SA_ ; -- Begin function _ZN6thrust23THRUST_200600_302600_NS11hip_rocprim14__parallel_for6kernelILj256ENS1_20__uninitialized_fill7functorINS0_10device_ptrIsEEsEEmLj1EEEvT0_T1_SA_
	.globl	_ZN6thrust23THRUST_200600_302600_NS11hip_rocprim14__parallel_for6kernelILj256ENS1_20__uninitialized_fill7functorINS0_10device_ptrIsEEsEEmLj1EEEvT0_T1_SA_
	.p2align	8
	.type	_ZN6thrust23THRUST_200600_302600_NS11hip_rocprim14__parallel_for6kernelILj256ENS1_20__uninitialized_fill7functorINS0_10device_ptrIsEEsEEmLj1EEEvT0_T1_SA_,@function
_ZN6thrust23THRUST_200600_302600_NS11hip_rocprim14__parallel_for6kernelILj256ENS1_20__uninitialized_fill7functorINS0_10device_ptrIsEEsEEmLj1EEEvT0_T1_SA_: ; @_ZN6thrust23THRUST_200600_302600_NS11hip_rocprim14__parallel_for6kernelILj256ENS1_20__uninitialized_fill7functorINS0_10device_ptrIsEEsEEmLj1EEEvT0_T1_SA_
; %bb.0:
	s_load_dwordx4 s[12:15], s[4:5], 0x10
	s_load_dwordx2 s[0:1], s[4:5], 0x0
	s_load_dword s8, s[4:5], 0x8
	s_lshl_b32 s2, s6, 8
	v_mov_b32_e32 v1, 0xff
	s_waitcnt lgkmcnt(0)
	s_add_u32 s2, s14, s2
	s_addc_u32 s3, s15, 0
	s_sub_u32 s4, s12, s2
	v_mov_b32_e32 v2, 0
	s_subb_u32 s5, s13, s3
	v_cmp_gt_u64_e32 vcc, s[4:5], v[1:2]
	s_mov_b64 s[6:7], -1
	s_cbranch_vccz .LBB141_3
; %bb.1:
	s_andn2_b64 vcc, exec, s[6:7]
	s_cbranch_vccz .LBB141_6
.LBB141_2:
	s_endpgm
.LBB141_3:
	v_cmp_gt_u32_e32 vcc, s4, v0
	s_and_saveexec_b64 s[4:5], vcc
	s_cbranch_execz .LBB141_5
; %bb.4:
	s_lshl_b64 s[6:7], s[2:3], 1
	s_add_u32 s6, s0, s6
	s_addc_u32 s7, s1, s7
	v_lshlrev_b32_e32 v1, 1, v0
	v_mov_b32_e32 v2, s7
	v_add_co_u32_e32 v1, vcc, s6, v1
	v_addc_co_u32_e32 v2, vcc, 0, v2, vcc
	v_mov_b32_e32 v3, s8
	flat_store_short v[1:2], v3
.LBB141_5:
	s_or_b64 exec, exec, s[4:5]
	s_cbranch_execnz .LBB141_2
.LBB141_6:
	s_lshl_b64 s[2:3], s[2:3], 1
	s_add_u32 s0, s0, s2
	s_addc_u32 s1, s1, s3
	v_lshlrev_b32_e32 v0, 1, v0
	v_mov_b32_e32 v1, s1
	v_add_co_u32_e32 v0, vcc, s0, v0
	v_addc_co_u32_e32 v1, vcc, 0, v1, vcc
	v_mov_b32_e32 v2, s8
	flat_store_short v[0:1], v2
	s_endpgm
	.section	.rodata,"a",@progbits
	.p2align	6, 0x0
	.amdhsa_kernel _ZN6thrust23THRUST_200600_302600_NS11hip_rocprim14__parallel_for6kernelILj256ENS1_20__uninitialized_fill7functorINS0_10device_ptrIsEEsEEmLj1EEEvT0_T1_SA_
		.amdhsa_group_segment_fixed_size 0
		.amdhsa_private_segment_fixed_size 0
		.amdhsa_kernarg_size 32
		.amdhsa_user_sgpr_count 6
		.amdhsa_user_sgpr_private_segment_buffer 1
		.amdhsa_user_sgpr_dispatch_ptr 0
		.amdhsa_user_sgpr_queue_ptr 0
		.amdhsa_user_sgpr_kernarg_segment_ptr 1
		.amdhsa_user_sgpr_dispatch_id 0
		.amdhsa_user_sgpr_flat_scratch_init 0
		.amdhsa_user_sgpr_private_segment_size 0
		.amdhsa_uses_dynamic_stack 0
		.amdhsa_system_sgpr_private_segment_wavefront_offset 0
		.amdhsa_system_sgpr_workgroup_id_x 1
		.amdhsa_system_sgpr_workgroup_id_y 0
		.amdhsa_system_sgpr_workgroup_id_z 0
		.amdhsa_system_sgpr_workgroup_info 0
		.amdhsa_system_vgpr_workitem_id 0
		.amdhsa_next_free_vgpr 4
		.amdhsa_next_free_sgpr 16
		.amdhsa_reserve_vcc 1
		.amdhsa_reserve_flat_scratch 0
		.amdhsa_float_round_mode_32 0
		.amdhsa_float_round_mode_16_64 0
		.amdhsa_float_denorm_mode_32 3
		.amdhsa_float_denorm_mode_16_64 3
		.amdhsa_dx10_clamp 1
		.amdhsa_ieee_mode 1
		.amdhsa_fp16_overflow 0
		.amdhsa_exception_fp_ieee_invalid_op 0
		.amdhsa_exception_fp_denorm_src 0
		.amdhsa_exception_fp_ieee_div_zero 0
		.amdhsa_exception_fp_ieee_overflow 0
		.amdhsa_exception_fp_ieee_underflow 0
		.amdhsa_exception_fp_ieee_inexact 0
		.amdhsa_exception_int_div_zero 0
	.end_amdhsa_kernel
	.section	.text._ZN6thrust23THRUST_200600_302600_NS11hip_rocprim14__parallel_for6kernelILj256ENS1_20__uninitialized_fill7functorINS0_10device_ptrIsEEsEEmLj1EEEvT0_T1_SA_,"axG",@progbits,_ZN6thrust23THRUST_200600_302600_NS11hip_rocprim14__parallel_for6kernelILj256ENS1_20__uninitialized_fill7functorINS0_10device_ptrIsEEsEEmLj1EEEvT0_T1_SA_,comdat
.Lfunc_end141:
	.size	_ZN6thrust23THRUST_200600_302600_NS11hip_rocprim14__parallel_for6kernelILj256ENS1_20__uninitialized_fill7functorINS0_10device_ptrIsEEsEEmLj1EEEvT0_T1_SA_, .Lfunc_end141-_ZN6thrust23THRUST_200600_302600_NS11hip_rocprim14__parallel_for6kernelILj256ENS1_20__uninitialized_fill7functorINS0_10device_ptrIsEEsEEmLj1EEEvT0_T1_SA_
                                        ; -- End function
	.set _ZN6thrust23THRUST_200600_302600_NS11hip_rocprim14__parallel_for6kernelILj256ENS1_20__uninitialized_fill7functorINS0_10device_ptrIsEEsEEmLj1EEEvT0_T1_SA_.num_vgpr, 4
	.set _ZN6thrust23THRUST_200600_302600_NS11hip_rocprim14__parallel_for6kernelILj256ENS1_20__uninitialized_fill7functorINS0_10device_ptrIsEEsEEmLj1EEEvT0_T1_SA_.num_agpr, 0
	.set _ZN6thrust23THRUST_200600_302600_NS11hip_rocprim14__parallel_for6kernelILj256ENS1_20__uninitialized_fill7functorINS0_10device_ptrIsEEsEEmLj1EEEvT0_T1_SA_.numbered_sgpr, 16
	.set _ZN6thrust23THRUST_200600_302600_NS11hip_rocprim14__parallel_for6kernelILj256ENS1_20__uninitialized_fill7functorINS0_10device_ptrIsEEsEEmLj1EEEvT0_T1_SA_.num_named_barrier, 0
	.set _ZN6thrust23THRUST_200600_302600_NS11hip_rocprim14__parallel_for6kernelILj256ENS1_20__uninitialized_fill7functorINS0_10device_ptrIsEEsEEmLj1EEEvT0_T1_SA_.private_seg_size, 0
	.set _ZN6thrust23THRUST_200600_302600_NS11hip_rocprim14__parallel_for6kernelILj256ENS1_20__uninitialized_fill7functorINS0_10device_ptrIsEEsEEmLj1EEEvT0_T1_SA_.uses_vcc, 1
	.set _ZN6thrust23THRUST_200600_302600_NS11hip_rocprim14__parallel_for6kernelILj256ENS1_20__uninitialized_fill7functorINS0_10device_ptrIsEEsEEmLj1EEEvT0_T1_SA_.uses_flat_scratch, 0
	.set _ZN6thrust23THRUST_200600_302600_NS11hip_rocprim14__parallel_for6kernelILj256ENS1_20__uninitialized_fill7functorINS0_10device_ptrIsEEsEEmLj1EEEvT0_T1_SA_.has_dyn_sized_stack, 0
	.set _ZN6thrust23THRUST_200600_302600_NS11hip_rocprim14__parallel_for6kernelILj256ENS1_20__uninitialized_fill7functorINS0_10device_ptrIsEEsEEmLj1EEEvT0_T1_SA_.has_recursion, 0
	.set _ZN6thrust23THRUST_200600_302600_NS11hip_rocprim14__parallel_for6kernelILj256ENS1_20__uninitialized_fill7functorINS0_10device_ptrIsEEsEEmLj1EEEvT0_T1_SA_.has_indirect_call, 0
	.section	.AMDGPU.csdata,"",@progbits
; Kernel info:
; codeLenInByte = 188
; TotalNumSgprs: 20
; NumVgprs: 4
; ScratchSize: 0
; MemoryBound: 0
; FloatMode: 240
; IeeeMode: 1
; LDSByteSize: 0 bytes/workgroup (compile time only)
; SGPRBlocks: 2
; VGPRBlocks: 0
; NumSGPRsForWavesPerEU: 20
; NumVGPRsForWavesPerEU: 4
; Occupancy: 10
; WaveLimiterHint : 0
; COMPUTE_PGM_RSRC2:SCRATCH_EN: 0
; COMPUTE_PGM_RSRC2:USER_SGPR: 6
; COMPUTE_PGM_RSRC2:TRAP_HANDLER: 0
; COMPUTE_PGM_RSRC2:TGID_X_EN: 1
; COMPUTE_PGM_RSRC2:TGID_Y_EN: 0
; COMPUTE_PGM_RSRC2:TGID_Z_EN: 0
; COMPUTE_PGM_RSRC2:TIDIG_COMP_CNT: 0
	.section	.text._Z18lower_bound_kernelIsEvmPT_Pl,"axG",@progbits,_Z18lower_bound_kernelIsEvmPT_Pl,comdat
	.protected	_Z18lower_bound_kernelIsEvmPT_Pl ; -- Begin function _Z18lower_bound_kernelIsEvmPT_Pl
	.globl	_Z18lower_bound_kernelIsEvmPT_Pl
	.p2align	8
	.type	_Z18lower_bound_kernelIsEvmPT_Pl,@function
_Z18lower_bound_kernelIsEvmPT_Pl:       ; @_Z18lower_bound_kernelIsEvmPT_Pl
; %bb.0:
	s_load_dwordx4 s[0:3], s[4:5], 0x0
	s_load_dwordx2 s[6:7], s[4:5], 0x10
	s_mov_b64 s[8:9], -1
	s_waitcnt lgkmcnt(0)
	s_lshl_b64 s[0:1], s[0:1], 1
	s_add_u32 s0, s2, s0
	s_addc_u32 s1, s3, s1
	s_sub_u32 s0, s0, s2
	s_subb_u32 s1, s1, s3
	s_ashr_i64 s[4:5], s[0:1], 1
	v_cmp_lt_i64_e64 s[0:1], s[4:5], 1
	s_and_b64 s[0:1], exec, s[0:1]
	s_mov_b64 vcc, s[0:1]
	s_cbranch_vccz .LBB142_2
; %bb.1:
	v_mov_b32_e32 v0, 0
	v_mov_b32_e32 v1, v0
	global_store_dwordx2 v0, v[0:1], s[6:7]
	s_mov_b64 s[8:9], 0
.LBB142_2:
	s_andn2_b64 vcc, exec, s[8:9]
	s_mov_b64 s[8:9], 0
	s_cbranch_vccnz .LBB142_7
; %bb.3:
	v_mov_b32_e32 v0, 0
	s_mov_b64 s[10:11], s[4:5]
.LBB142_4:                              ; =>This Inner Loop Header: Depth=1
	s_sub_u32 s12, s10, s8
	s_subb_u32 s13, s11, s9
	s_lshr_b64 s[12:13], s[12:13], 1
	s_add_u32 s12, s12, s8
	s_addc_u32 s13, s13, s9
	s_lshl_b64 s[14:15], s[12:13], 1
	s_add_u32 s14, s2, s14
	s_addc_u32 s15, s3, s15
	global_load_ushort v1, v0, s[14:15]
	s_add_u32 s14, s12, 1
	s_addc_u32 s15, s13, 0
	s_waitcnt vmcnt(0)
	v_readfirstlane_b32 s16, v1
	s_sext_i32_i16 s16, s16
	s_cmp_lt_i32 s16, 0
	s_cselect_b32 s10, s10, s12
	s_cselect_b32 s11, s11, s13
	v_mov_b32_e32 v1, s10
	s_cselect_b32 s9, s15, s9
	s_cselect_b32 s8, s14, s8
	v_mov_b32_e32 v2, s11
	v_cmp_lt_i64_e32 vcc, s[8:9], v[1:2]
	s_cbranch_vccnz .LBB142_4
; %bb.5:
	s_lshl_b64 s[8:9], s[8:9], 1
	s_add_u32 s8, s2, s8
	s_addc_u32 s9, s3, s9
	s_sub_u32 s8, s8, s2
	s_subb_u32 s9, s9, s3
	s_ashr_i64 s[8:9], s[8:9], 1
	v_mov_b32_e32 v1, s8
	v_mov_b32_e32 v0, 0
	;; [unrolled: 1-line block ×3, first 2 shown]
	s_mov_b64 s[8:9], 0
	s_mov_b64 s[10:11], s[4:5]
	global_store_dwordx2 v0, v[1:2], s[6:7]
.LBB142_6:                              ; =>This Inner Loop Header: Depth=1
	s_sub_u32 s12, s10, s8
	s_subb_u32 s13, s11, s9
	s_lshr_b64 s[12:13], s[12:13], 1
	s_add_u32 s12, s12, s8
	s_addc_u32 s13, s13, s9
	s_lshl_b64 s[14:15], s[12:13], 1
	s_add_u32 s14, s2, s14
	s_addc_u32 s15, s3, s15
	global_load_ushort v1, v0, s[14:15]
	s_add_u32 s14, s12, 1
	s_addc_u32 s15, s13, 0
	s_waitcnt vmcnt(0)
	v_readfirstlane_b32 s16, v1
	s_sext_i32_i16 s16, s16
	s_cmp_lt_i32 s16, 1
	s_cselect_b32 s10, s10, s12
	s_cselect_b32 s11, s11, s13
	v_mov_b32_e32 v1, s10
	s_cselect_b32 s9, s15, s9
	s_cselect_b32 s8, s14, s8
	v_mov_b32_e32 v2, s11
	v_cmp_ge_i64_e32 vcc, s[8:9], v[1:2]
	s_cbranch_vccz .LBB142_6
.LBB142_7:
	s_lshl_b64 s[8:9], s[8:9], 1
	s_add_u32 s8, s2, s8
	s_addc_u32 s9, s3, s9
	s_sub_u32 s8, s8, s2
	s_subb_u32 s9, s9, s3
	s_ashr_i64 s[8:9], s[8:9], 1
	v_mov_b32_e32 v1, s8
	v_mov_b32_e32 v0, 0
	;; [unrolled: 1-line block ×3, first 2 shown]
	s_mov_b64 s[8:9], -1
	s_mov_b64 vcc, s[0:1]
	global_store_dwordx2 v0, v[1:2], s[6:7] offset:8
	s_cbranch_vccz .LBB142_9
; %bb.8:
	v_mov_b32_e32 v1, v0
	global_store_dwordx2 v0, v[0:1], s[6:7] offset:16
	s_mov_b64 s[8:9], 0
.LBB142_9:
	s_andn2_b64 vcc, exec, s[8:9]
	s_mov_b64 s[8:9], 0
	s_cbranch_vccnz .LBB142_14
; %bb.10:
	v_mov_b32_e32 v0, 0
	s_mov_b64 s[10:11], s[4:5]
.LBB142_11:                             ; =>This Inner Loop Header: Depth=1
	s_sub_u32 s12, s10, s8
	s_subb_u32 s13, s11, s9
	s_lshr_b64 s[12:13], s[12:13], 1
	s_add_u32 s12, s12, s8
	s_addc_u32 s13, s13, s9
	s_lshl_b64 s[14:15], s[12:13], 1
	s_add_u32 s14, s2, s14
	s_addc_u32 s15, s3, s15
	global_load_ushort v1, v0, s[14:15]
	s_add_u32 s14, s12, 1
	s_addc_u32 s15, s13, 0
	s_waitcnt vmcnt(0)
	v_readfirstlane_b32 s16, v1
	s_sext_i32_i16 s16, s16
	s_cmp_lt_i32 s16, 2
	s_cselect_b32 s10, s10, s12
	s_cselect_b32 s11, s11, s13
	v_mov_b32_e32 v1, s10
	s_cselect_b32 s9, s15, s9
	s_cselect_b32 s8, s14, s8
	v_mov_b32_e32 v2, s11
	v_cmp_lt_i64_e32 vcc, s[8:9], v[1:2]
	s_cbranch_vccnz .LBB142_11
; %bb.12:
	s_lshl_b64 s[8:9], s[8:9], 1
	s_add_u32 s8, s2, s8
	s_addc_u32 s9, s3, s9
	s_sub_u32 s8, s8, s2
	s_subb_u32 s9, s9, s3
	s_ashr_i64 s[8:9], s[8:9], 1
	v_mov_b32_e32 v1, s8
	v_mov_b32_e32 v0, 0
	;; [unrolled: 1-line block ×3, first 2 shown]
	s_mov_b64 s[8:9], 0
	s_mov_b64 s[10:11], s[4:5]
	global_store_dwordx2 v0, v[1:2], s[6:7] offset:16
.LBB142_13:                             ; =>This Inner Loop Header: Depth=1
	s_sub_u32 s12, s10, s8
	s_subb_u32 s13, s11, s9
	s_lshr_b64 s[12:13], s[12:13], 1
	s_add_u32 s12, s12, s8
	s_addc_u32 s13, s13, s9
	s_lshl_b64 s[14:15], s[12:13], 1
	s_add_u32 s14, s2, s14
	s_addc_u32 s15, s3, s15
	global_load_ushort v1, v0, s[14:15]
	s_add_u32 s14, s12, 1
	s_addc_u32 s15, s13, 0
	s_waitcnt vmcnt(0)
	v_readfirstlane_b32 s16, v1
	s_sext_i32_i16 s16, s16
	s_cmp_lt_i32 s16, 3
	s_cselect_b32 s10, s10, s12
	s_cselect_b32 s11, s11, s13
	v_mov_b32_e32 v1, s10
	s_cselect_b32 s9, s15, s9
	s_cselect_b32 s8, s14, s8
	v_mov_b32_e32 v2, s11
	v_cmp_ge_i64_e32 vcc, s[8:9], v[1:2]
	s_cbranch_vccz .LBB142_13
.LBB142_14:
	s_lshl_b64 s[8:9], s[8:9], 1
	s_add_u32 s8, s2, s8
	s_addc_u32 s9, s3, s9
	s_sub_u32 s8, s8, s2
	s_subb_u32 s9, s9, s3
	s_ashr_i64 s[8:9], s[8:9], 1
	v_mov_b32_e32 v1, s8
	v_mov_b32_e32 v0, 0
	;; [unrolled: 1-line block ×3, first 2 shown]
	s_mov_b64 s[8:9], -1
	s_mov_b64 vcc, s[0:1]
	global_store_dwordx2 v0, v[1:2], s[6:7] offset:24
	s_cbranch_vccz .LBB142_16
; %bb.15:
	v_mov_b32_e32 v1, v0
	global_store_dwordx2 v0, v[0:1], s[6:7] offset:32
	s_mov_b64 s[8:9], 0
.LBB142_16:
	s_andn2_b64 vcc, exec, s[8:9]
	s_mov_b64 s[8:9], 0
	s_cbranch_vccnz .LBB142_21
; %bb.17:
	v_mov_b32_e32 v0, 0
	s_mov_b64 s[10:11], s[4:5]
.LBB142_18:                             ; =>This Inner Loop Header: Depth=1
	s_sub_u32 s12, s10, s8
	s_subb_u32 s13, s11, s9
	s_lshr_b64 s[12:13], s[12:13], 1
	s_add_u32 s12, s12, s8
	s_addc_u32 s13, s13, s9
	s_lshl_b64 s[14:15], s[12:13], 1
	s_add_u32 s14, s2, s14
	s_addc_u32 s15, s3, s15
	global_load_ushort v1, v0, s[14:15]
	s_add_u32 s14, s12, 1
	s_addc_u32 s15, s13, 0
	s_waitcnt vmcnt(0)
	v_readfirstlane_b32 s16, v1
	s_sext_i32_i16 s16, s16
	s_cmp_lt_i32 s16, 4
	s_cselect_b32 s10, s10, s12
	s_cselect_b32 s11, s11, s13
	v_mov_b32_e32 v1, s10
	s_cselect_b32 s9, s15, s9
	s_cselect_b32 s8, s14, s8
	v_mov_b32_e32 v2, s11
	v_cmp_lt_i64_e32 vcc, s[8:9], v[1:2]
	s_cbranch_vccnz .LBB142_18
; %bb.19:
	s_lshl_b64 s[8:9], s[8:9], 1
	s_add_u32 s8, s2, s8
	s_addc_u32 s9, s3, s9
	s_sub_u32 s8, s8, s2
	s_subb_u32 s9, s9, s3
	s_ashr_i64 s[8:9], s[8:9], 1
	v_mov_b32_e32 v1, s8
	v_mov_b32_e32 v0, 0
	;; [unrolled: 1-line block ×3, first 2 shown]
	s_mov_b64 s[8:9], 0
	s_mov_b64 s[10:11], s[4:5]
	global_store_dwordx2 v0, v[1:2], s[6:7] offset:32
.LBB142_20:                             ; =>This Inner Loop Header: Depth=1
	s_sub_u32 s12, s10, s8
	s_subb_u32 s13, s11, s9
	s_lshr_b64 s[12:13], s[12:13], 1
	s_add_u32 s12, s12, s8
	s_addc_u32 s13, s13, s9
	s_lshl_b64 s[14:15], s[12:13], 1
	s_add_u32 s14, s2, s14
	s_addc_u32 s15, s3, s15
	global_load_ushort v1, v0, s[14:15]
	s_add_u32 s14, s12, 1
	s_addc_u32 s15, s13, 0
	s_waitcnt vmcnt(0)
	v_readfirstlane_b32 s16, v1
	s_sext_i32_i16 s16, s16
	s_cmp_lt_i32 s16, 5
	s_cselect_b32 s10, s10, s12
	s_cselect_b32 s11, s11, s13
	v_mov_b32_e32 v1, s10
	s_cselect_b32 s9, s15, s9
	s_cselect_b32 s8, s14, s8
	v_mov_b32_e32 v2, s11
	v_cmp_ge_i64_e32 vcc, s[8:9], v[1:2]
	s_cbranch_vccz .LBB142_20
.LBB142_21:
	s_lshl_b64 s[8:9], s[8:9], 1
	s_add_u32 s8, s2, s8
	s_addc_u32 s9, s3, s9
	s_sub_u32 s8, s8, s2
	s_subb_u32 s9, s9, s3
	s_ashr_i64 s[8:9], s[8:9], 1
	v_mov_b32_e32 v1, s8
	v_mov_b32_e32 v0, 0
	;; [unrolled: 1-line block ×3, first 2 shown]
	s_mov_b64 s[8:9], -1
	s_mov_b64 vcc, s[0:1]
	global_store_dwordx2 v0, v[1:2], s[6:7] offset:40
	s_cbranch_vccz .LBB142_23
; %bb.22:
	v_mov_b32_e32 v1, v0
	global_store_dwordx2 v0, v[0:1], s[6:7] offset:48
	s_mov_b64 s[8:9], 0
.LBB142_23:
	s_andn2_b64 vcc, exec, s[8:9]
	s_mov_b64 s[8:9], 0
	s_cbranch_vccnz .LBB142_28
; %bb.24:
	v_mov_b32_e32 v0, 0
	s_mov_b64 s[10:11], s[4:5]
.LBB142_25:                             ; =>This Inner Loop Header: Depth=1
	s_sub_u32 s12, s10, s8
	s_subb_u32 s13, s11, s9
	s_lshr_b64 s[12:13], s[12:13], 1
	s_add_u32 s12, s12, s8
	s_addc_u32 s13, s13, s9
	s_lshl_b64 s[14:15], s[12:13], 1
	s_add_u32 s14, s2, s14
	s_addc_u32 s15, s3, s15
	global_load_ushort v1, v0, s[14:15]
	s_add_u32 s14, s12, 1
	s_addc_u32 s15, s13, 0
	s_waitcnt vmcnt(0)
	v_readfirstlane_b32 s16, v1
	s_sext_i32_i16 s16, s16
	s_cmp_lt_i32 s16, 6
	s_cselect_b32 s10, s10, s12
	s_cselect_b32 s11, s11, s13
	v_mov_b32_e32 v1, s10
	s_cselect_b32 s9, s15, s9
	s_cselect_b32 s8, s14, s8
	v_mov_b32_e32 v2, s11
	v_cmp_lt_i64_e32 vcc, s[8:9], v[1:2]
	s_cbranch_vccnz .LBB142_25
; %bb.26:
	s_lshl_b64 s[8:9], s[8:9], 1
	s_add_u32 s8, s2, s8
	s_addc_u32 s9, s3, s9
	s_sub_u32 s8, s8, s2
	s_subb_u32 s9, s9, s3
	s_ashr_i64 s[8:9], s[8:9], 1
	v_mov_b32_e32 v1, s8
	v_mov_b32_e32 v0, 0
	;; [unrolled: 1-line block ×3, first 2 shown]
	s_mov_b64 s[8:9], 0
	s_mov_b64 s[10:11], s[4:5]
	global_store_dwordx2 v0, v[1:2], s[6:7] offset:48
.LBB142_27:                             ; =>This Inner Loop Header: Depth=1
	s_sub_u32 s12, s10, s8
	s_subb_u32 s13, s11, s9
	s_lshr_b64 s[12:13], s[12:13], 1
	s_add_u32 s12, s12, s8
	s_addc_u32 s13, s13, s9
	s_lshl_b64 s[14:15], s[12:13], 1
	s_add_u32 s14, s2, s14
	s_addc_u32 s15, s3, s15
	global_load_ushort v1, v0, s[14:15]
	s_add_u32 s14, s12, 1
	s_addc_u32 s15, s13, 0
	s_waitcnt vmcnt(0)
	v_readfirstlane_b32 s16, v1
	s_sext_i32_i16 s16, s16
	s_cmp_lt_i32 s16, 7
	s_cselect_b32 s10, s10, s12
	s_cselect_b32 s11, s11, s13
	v_mov_b32_e32 v1, s10
	s_cselect_b32 s9, s15, s9
	s_cselect_b32 s8, s14, s8
	v_mov_b32_e32 v2, s11
	v_cmp_ge_i64_e32 vcc, s[8:9], v[1:2]
	s_cbranch_vccz .LBB142_27
.LBB142_28:
	s_lshl_b64 s[8:9], s[8:9], 1
	s_add_u32 s8, s2, s8
	s_addc_u32 s9, s3, s9
	s_sub_u32 s8, s8, s2
	s_subb_u32 s9, s9, s3
	s_ashr_i64 s[8:9], s[8:9], 1
	v_mov_b32_e32 v1, s8
	v_mov_b32_e32 v0, 0
	;; [unrolled: 1-line block ×3, first 2 shown]
	s_mov_b64 s[8:9], -1
	s_mov_b64 vcc, s[0:1]
	global_store_dwordx2 v0, v[1:2], s[6:7] offset:56
	s_cbranch_vccz .LBB142_30
; %bb.29:
	v_mov_b32_e32 v1, v0
	global_store_dwordx2 v0, v[0:1], s[6:7] offset:64
	s_mov_b64 s[8:9], 0
.LBB142_30:
	s_andn2_b64 vcc, exec, s[8:9]
	s_mov_b64 s[0:1], 0
	s_cbranch_vccnz .LBB142_35
; %bb.31:
	v_mov_b32_e32 v0, 0
	s_mov_b64 s[8:9], s[4:5]
.LBB142_32:                             ; =>This Inner Loop Header: Depth=1
	s_sub_u32 s10, s8, s0
	s_subb_u32 s11, s9, s1
	s_lshr_b64 s[10:11], s[10:11], 1
	s_add_u32 s10, s10, s0
	s_addc_u32 s11, s11, s1
	s_lshl_b64 s[12:13], s[10:11], 1
	s_add_u32 s12, s2, s12
	s_addc_u32 s13, s3, s13
	global_load_ushort v1, v0, s[12:13]
	s_add_u32 s12, s10, 1
	s_addc_u32 s13, s11, 0
	s_waitcnt vmcnt(0)
	v_readfirstlane_b32 s14, v1
	s_sext_i32_i16 s14, s14
	s_cmp_lt_i32 s14, 8
	s_cselect_b32 s8, s8, s10
	s_cselect_b32 s9, s9, s11
	v_mov_b32_e32 v1, s8
	s_cselect_b32 s1, s13, s1
	s_cselect_b32 s0, s12, s0
	v_mov_b32_e32 v2, s9
	v_cmp_lt_i64_e32 vcc, s[0:1], v[1:2]
	s_cbranch_vccnz .LBB142_32
; %bb.33:
	s_lshl_b64 s[0:1], s[0:1], 1
	s_add_u32 s0, s2, s0
	s_addc_u32 s1, s3, s1
	s_sub_u32 s0, s0, s2
	s_subb_u32 s1, s1, s3
	s_ashr_i64 s[0:1], s[0:1], 1
	v_mov_b32_e32 v2, s1
	v_mov_b32_e32 v0, 0
	v_mov_b32_e32 v1, s0
	s_mov_b64 s[0:1], 0
	global_store_dwordx2 v0, v[1:2], s[6:7] offset:64
.LBB142_34:                             ; =>This Inner Loop Header: Depth=1
	s_sub_u32 s8, s4, s0
	s_subb_u32 s9, s5, s1
	s_lshr_b64 s[8:9], s[8:9], 1
	s_add_u32 s8, s8, s0
	s_addc_u32 s9, s9, s1
	s_lshl_b64 s[10:11], s[8:9], 1
	s_add_u32 s10, s2, s10
	s_addc_u32 s11, s3, s11
	global_load_ushort v1, v0, s[10:11]
	s_add_u32 s10, s8, 1
	s_addc_u32 s11, s9, 0
	s_waitcnt vmcnt(0)
	v_readfirstlane_b32 s12, v1
	s_sext_i32_i16 s12, s12
	s_cmp_lt_i32 s12, 9
	s_cselect_b32 s4, s4, s8
	s_cselect_b32 s5, s5, s9
	v_mov_b32_e32 v1, s4
	s_cselect_b32 s1, s11, s1
	s_cselect_b32 s0, s10, s0
	v_mov_b32_e32 v2, s5
	v_cmp_ge_i64_e32 vcc, s[0:1], v[1:2]
	s_cbranch_vccz .LBB142_34
.LBB142_35:
	s_lshl_b64 s[0:1], s[0:1], 1
	s_add_u32 s0, s2, s0
	s_addc_u32 s1, s3, s1
	s_sub_u32 s0, s0, s2
	s_subb_u32 s1, s1, s3
	s_ashr_i64 s[0:1], s[0:1], 1
	v_mov_b32_e32 v0, s0
	v_mov_b32_e32 v2, 0
	v_mov_b32_e32 v1, s1
	global_store_dwordx2 v2, v[0:1], s[6:7] offset:72
	s_endpgm
	.section	.rodata,"a",@progbits
	.p2align	6, 0x0
	.amdhsa_kernel _Z18lower_bound_kernelIsEvmPT_Pl
		.amdhsa_group_segment_fixed_size 0
		.amdhsa_private_segment_fixed_size 0
		.amdhsa_kernarg_size 24
		.amdhsa_user_sgpr_count 6
		.amdhsa_user_sgpr_private_segment_buffer 1
		.amdhsa_user_sgpr_dispatch_ptr 0
		.amdhsa_user_sgpr_queue_ptr 0
		.amdhsa_user_sgpr_kernarg_segment_ptr 1
		.amdhsa_user_sgpr_dispatch_id 0
		.amdhsa_user_sgpr_flat_scratch_init 0
		.amdhsa_user_sgpr_private_segment_size 0
		.amdhsa_uses_dynamic_stack 0
		.amdhsa_system_sgpr_private_segment_wavefront_offset 0
		.amdhsa_system_sgpr_workgroup_id_x 1
		.amdhsa_system_sgpr_workgroup_id_y 0
		.amdhsa_system_sgpr_workgroup_id_z 0
		.amdhsa_system_sgpr_workgroup_info 0
		.amdhsa_system_vgpr_workitem_id 0
		.amdhsa_next_free_vgpr 3
		.amdhsa_next_free_sgpr 17
		.amdhsa_reserve_vcc 1
		.amdhsa_reserve_flat_scratch 0
		.amdhsa_float_round_mode_32 0
		.amdhsa_float_round_mode_16_64 0
		.amdhsa_float_denorm_mode_32 3
		.amdhsa_float_denorm_mode_16_64 3
		.amdhsa_dx10_clamp 1
		.amdhsa_ieee_mode 1
		.amdhsa_fp16_overflow 0
		.amdhsa_exception_fp_ieee_invalid_op 0
		.amdhsa_exception_fp_denorm_src 0
		.amdhsa_exception_fp_ieee_div_zero 0
		.amdhsa_exception_fp_ieee_overflow 0
		.amdhsa_exception_fp_ieee_underflow 0
		.amdhsa_exception_fp_ieee_inexact 0
		.amdhsa_exception_int_div_zero 0
	.end_amdhsa_kernel
	.section	.text._Z18lower_bound_kernelIsEvmPT_Pl,"axG",@progbits,_Z18lower_bound_kernelIsEvmPT_Pl,comdat
.Lfunc_end142:
	.size	_Z18lower_bound_kernelIsEvmPT_Pl, .Lfunc_end142-_Z18lower_bound_kernelIsEvmPT_Pl
                                        ; -- End function
	.set _Z18lower_bound_kernelIsEvmPT_Pl.num_vgpr, 3
	.set _Z18lower_bound_kernelIsEvmPT_Pl.num_agpr, 0
	.set _Z18lower_bound_kernelIsEvmPT_Pl.numbered_sgpr, 17
	.set _Z18lower_bound_kernelIsEvmPT_Pl.num_named_barrier, 0
	.set _Z18lower_bound_kernelIsEvmPT_Pl.private_seg_size, 0
	.set _Z18lower_bound_kernelIsEvmPT_Pl.uses_vcc, 1
	.set _Z18lower_bound_kernelIsEvmPT_Pl.uses_flat_scratch, 0
	.set _Z18lower_bound_kernelIsEvmPT_Pl.has_dyn_sized_stack, 0
	.set _Z18lower_bound_kernelIsEvmPT_Pl.has_recursion, 0
	.set _Z18lower_bound_kernelIsEvmPT_Pl.has_indirect_call, 0
	.section	.AMDGPU.csdata,"",@progbits
; Kernel info:
; codeLenInByte = 1740
; TotalNumSgprs: 21
; NumVgprs: 3
; ScratchSize: 0
; MemoryBound: 0
; FloatMode: 240
; IeeeMode: 1
; LDSByteSize: 0 bytes/workgroup (compile time only)
; SGPRBlocks: 2
; VGPRBlocks: 0
; NumSGPRsForWavesPerEU: 21
; NumVGPRsForWavesPerEU: 3
; Occupancy: 10
; WaveLimiterHint : 0
; COMPUTE_PGM_RSRC2:SCRATCH_EN: 0
; COMPUTE_PGM_RSRC2:USER_SGPR: 6
; COMPUTE_PGM_RSRC2:TRAP_HANDLER: 0
; COMPUTE_PGM_RSRC2:TGID_X_EN: 1
; COMPUTE_PGM_RSRC2:TGID_Y_EN: 0
; COMPUTE_PGM_RSRC2:TGID_Z_EN: 0
; COMPUTE_PGM_RSRC2:TIDIG_COMP_CNT: 0
	.section	.text._ZN7rocprim17ROCPRIM_400000_NS6detail17trampoline_kernelINS0_14default_configENS1_27lower_bound_config_selectorIslEEZNS1_14transform_implILb0ES3_S5_N6thrust23THRUST_200600_302600_NS6detail15normal_iteratorINS8_7pointerIsNS8_11hip_rocprim5par_tENS8_11use_defaultESE_EEEENSA_INSB_IlSD_SE_SE_EEEEZNS1_13binary_searchIS3_S5_PsSG_SI_NS1_21lower_bound_search_opENS9_16wrapped_functionI11custom_lessbEEEE10hipError_tPvRmT1_T2_T3_mmT4_T5_P12ihipStream_tbEUlRKsE_EESP_ST_SU_mSV_SY_bEUlT_E_NS1_11comp_targetILNS1_3genE0ELNS1_11target_archE4294967295ELNS1_3gpuE0ELNS1_3repE0EEENS1_30default_config_static_selectorELNS0_4arch9wavefront6targetE1EEEvSS_,"axG",@progbits,_ZN7rocprim17ROCPRIM_400000_NS6detail17trampoline_kernelINS0_14default_configENS1_27lower_bound_config_selectorIslEEZNS1_14transform_implILb0ES3_S5_N6thrust23THRUST_200600_302600_NS6detail15normal_iteratorINS8_7pointerIsNS8_11hip_rocprim5par_tENS8_11use_defaultESE_EEEENSA_INSB_IlSD_SE_SE_EEEEZNS1_13binary_searchIS3_S5_PsSG_SI_NS1_21lower_bound_search_opENS9_16wrapped_functionI11custom_lessbEEEE10hipError_tPvRmT1_T2_T3_mmT4_T5_P12ihipStream_tbEUlRKsE_EESP_ST_SU_mSV_SY_bEUlT_E_NS1_11comp_targetILNS1_3genE0ELNS1_11target_archE4294967295ELNS1_3gpuE0ELNS1_3repE0EEENS1_30default_config_static_selectorELNS0_4arch9wavefront6targetE1EEEvSS_,comdat
	.protected	_ZN7rocprim17ROCPRIM_400000_NS6detail17trampoline_kernelINS0_14default_configENS1_27lower_bound_config_selectorIslEEZNS1_14transform_implILb0ES3_S5_N6thrust23THRUST_200600_302600_NS6detail15normal_iteratorINS8_7pointerIsNS8_11hip_rocprim5par_tENS8_11use_defaultESE_EEEENSA_INSB_IlSD_SE_SE_EEEEZNS1_13binary_searchIS3_S5_PsSG_SI_NS1_21lower_bound_search_opENS9_16wrapped_functionI11custom_lessbEEEE10hipError_tPvRmT1_T2_T3_mmT4_T5_P12ihipStream_tbEUlRKsE_EESP_ST_SU_mSV_SY_bEUlT_E_NS1_11comp_targetILNS1_3genE0ELNS1_11target_archE4294967295ELNS1_3gpuE0ELNS1_3repE0EEENS1_30default_config_static_selectorELNS0_4arch9wavefront6targetE1EEEvSS_ ; -- Begin function _ZN7rocprim17ROCPRIM_400000_NS6detail17trampoline_kernelINS0_14default_configENS1_27lower_bound_config_selectorIslEEZNS1_14transform_implILb0ES3_S5_N6thrust23THRUST_200600_302600_NS6detail15normal_iteratorINS8_7pointerIsNS8_11hip_rocprim5par_tENS8_11use_defaultESE_EEEENSA_INSB_IlSD_SE_SE_EEEEZNS1_13binary_searchIS3_S5_PsSG_SI_NS1_21lower_bound_search_opENS9_16wrapped_functionI11custom_lessbEEEE10hipError_tPvRmT1_T2_T3_mmT4_T5_P12ihipStream_tbEUlRKsE_EESP_ST_SU_mSV_SY_bEUlT_E_NS1_11comp_targetILNS1_3genE0ELNS1_11target_archE4294967295ELNS1_3gpuE0ELNS1_3repE0EEENS1_30default_config_static_selectorELNS0_4arch9wavefront6targetE1EEEvSS_
	.globl	_ZN7rocprim17ROCPRIM_400000_NS6detail17trampoline_kernelINS0_14default_configENS1_27lower_bound_config_selectorIslEEZNS1_14transform_implILb0ES3_S5_N6thrust23THRUST_200600_302600_NS6detail15normal_iteratorINS8_7pointerIsNS8_11hip_rocprim5par_tENS8_11use_defaultESE_EEEENSA_INSB_IlSD_SE_SE_EEEEZNS1_13binary_searchIS3_S5_PsSG_SI_NS1_21lower_bound_search_opENS9_16wrapped_functionI11custom_lessbEEEE10hipError_tPvRmT1_T2_T3_mmT4_T5_P12ihipStream_tbEUlRKsE_EESP_ST_SU_mSV_SY_bEUlT_E_NS1_11comp_targetILNS1_3genE0ELNS1_11target_archE4294967295ELNS1_3gpuE0ELNS1_3repE0EEENS1_30default_config_static_selectorELNS0_4arch9wavefront6targetE1EEEvSS_
	.p2align	8
	.type	_ZN7rocprim17ROCPRIM_400000_NS6detail17trampoline_kernelINS0_14default_configENS1_27lower_bound_config_selectorIslEEZNS1_14transform_implILb0ES3_S5_N6thrust23THRUST_200600_302600_NS6detail15normal_iteratorINS8_7pointerIsNS8_11hip_rocprim5par_tENS8_11use_defaultESE_EEEENSA_INSB_IlSD_SE_SE_EEEEZNS1_13binary_searchIS3_S5_PsSG_SI_NS1_21lower_bound_search_opENS9_16wrapped_functionI11custom_lessbEEEE10hipError_tPvRmT1_T2_T3_mmT4_T5_P12ihipStream_tbEUlRKsE_EESP_ST_SU_mSV_SY_bEUlT_E_NS1_11comp_targetILNS1_3genE0ELNS1_11target_archE4294967295ELNS1_3gpuE0ELNS1_3repE0EEENS1_30default_config_static_selectorELNS0_4arch9wavefront6targetE1EEEvSS_,@function
_ZN7rocprim17ROCPRIM_400000_NS6detail17trampoline_kernelINS0_14default_configENS1_27lower_bound_config_selectorIslEEZNS1_14transform_implILb0ES3_S5_N6thrust23THRUST_200600_302600_NS6detail15normal_iteratorINS8_7pointerIsNS8_11hip_rocprim5par_tENS8_11use_defaultESE_EEEENSA_INSB_IlSD_SE_SE_EEEEZNS1_13binary_searchIS3_S5_PsSG_SI_NS1_21lower_bound_search_opENS9_16wrapped_functionI11custom_lessbEEEE10hipError_tPvRmT1_T2_T3_mmT4_T5_P12ihipStream_tbEUlRKsE_EESP_ST_SU_mSV_SY_bEUlT_E_NS1_11comp_targetILNS1_3genE0ELNS1_11target_archE4294967295ELNS1_3gpuE0ELNS1_3repE0EEENS1_30default_config_static_selectorELNS0_4arch9wavefront6targetE1EEEvSS_: ; @_ZN7rocprim17ROCPRIM_400000_NS6detail17trampoline_kernelINS0_14default_configENS1_27lower_bound_config_selectorIslEEZNS1_14transform_implILb0ES3_S5_N6thrust23THRUST_200600_302600_NS6detail15normal_iteratorINS8_7pointerIsNS8_11hip_rocprim5par_tENS8_11use_defaultESE_EEEENSA_INSB_IlSD_SE_SE_EEEEZNS1_13binary_searchIS3_S5_PsSG_SI_NS1_21lower_bound_search_opENS9_16wrapped_functionI11custom_lessbEEEE10hipError_tPvRmT1_T2_T3_mmT4_T5_P12ihipStream_tbEUlRKsE_EESP_ST_SU_mSV_SY_bEUlT_E_NS1_11comp_targetILNS1_3genE0ELNS1_11target_archE4294967295ELNS1_3gpuE0ELNS1_3repE0EEENS1_30default_config_static_selectorELNS0_4arch9wavefront6targetE1EEEvSS_
; %bb.0:
	.section	.rodata,"a",@progbits
	.p2align	6, 0x0
	.amdhsa_kernel _ZN7rocprim17ROCPRIM_400000_NS6detail17trampoline_kernelINS0_14default_configENS1_27lower_bound_config_selectorIslEEZNS1_14transform_implILb0ES3_S5_N6thrust23THRUST_200600_302600_NS6detail15normal_iteratorINS8_7pointerIsNS8_11hip_rocprim5par_tENS8_11use_defaultESE_EEEENSA_INSB_IlSD_SE_SE_EEEEZNS1_13binary_searchIS3_S5_PsSG_SI_NS1_21lower_bound_search_opENS9_16wrapped_functionI11custom_lessbEEEE10hipError_tPvRmT1_T2_T3_mmT4_T5_P12ihipStream_tbEUlRKsE_EESP_ST_SU_mSV_SY_bEUlT_E_NS1_11comp_targetILNS1_3genE0ELNS1_11target_archE4294967295ELNS1_3gpuE0ELNS1_3repE0EEENS1_30default_config_static_selectorELNS0_4arch9wavefront6targetE1EEEvSS_
		.amdhsa_group_segment_fixed_size 0
		.amdhsa_private_segment_fixed_size 0
		.amdhsa_kernarg_size 56
		.amdhsa_user_sgpr_count 6
		.amdhsa_user_sgpr_private_segment_buffer 1
		.amdhsa_user_sgpr_dispatch_ptr 0
		.amdhsa_user_sgpr_queue_ptr 0
		.amdhsa_user_sgpr_kernarg_segment_ptr 1
		.amdhsa_user_sgpr_dispatch_id 0
		.amdhsa_user_sgpr_flat_scratch_init 0
		.amdhsa_user_sgpr_private_segment_size 0
		.amdhsa_uses_dynamic_stack 0
		.amdhsa_system_sgpr_private_segment_wavefront_offset 0
		.amdhsa_system_sgpr_workgroup_id_x 1
		.amdhsa_system_sgpr_workgroup_id_y 0
		.amdhsa_system_sgpr_workgroup_id_z 0
		.amdhsa_system_sgpr_workgroup_info 0
		.amdhsa_system_vgpr_workitem_id 0
		.amdhsa_next_free_vgpr 1
		.amdhsa_next_free_sgpr 0
		.amdhsa_reserve_vcc 0
		.amdhsa_reserve_flat_scratch 0
		.amdhsa_float_round_mode_32 0
		.amdhsa_float_round_mode_16_64 0
		.amdhsa_float_denorm_mode_32 3
		.amdhsa_float_denorm_mode_16_64 3
		.amdhsa_dx10_clamp 1
		.amdhsa_ieee_mode 1
		.amdhsa_fp16_overflow 0
		.amdhsa_exception_fp_ieee_invalid_op 0
		.amdhsa_exception_fp_denorm_src 0
		.amdhsa_exception_fp_ieee_div_zero 0
		.amdhsa_exception_fp_ieee_overflow 0
		.amdhsa_exception_fp_ieee_underflow 0
		.amdhsa_exception_fp_ieee_inexact 0
		.amdhsa_exception_int_div_zero 0
	.end_amdhsa_kernel
	.section	.text._ZN7rocprim17ROCPRIM_400000_NS6detail17trampoline_kernelINS0_14default_configENS1_27lower_bound_config_selectorIslEEZNS1_14transform_implILb0ES3_S5_N6thrust23THRUST_200600_302600_NS6detail15normal_iteratorINS8_7pointerIsNS8_11hip_rocprim5par_tENS8_11use_defaultESE_EEEENSA_INSB_IlSD_SE_SE_EEEEZNS1_13binary_searchIS3_S5_PsSG_SI_NS1_21lower_bound_search_opENS9_16wrapped_functionI11custom_lessbEEEE10hipError_tPvRmT1_T2_T3_mmT4_T5_P12ihipStream_tbEUlRKsE_EESP_ST_SU_mSV_SY_bEUlT_E_NS1_11comp_targetILNS1_3genE0ELNS1_11target_archE4294967295ELNS1_3gpuE0ELNS1_3repE0EEENS1_30default_config_static_selectorELNS0_4arch9wavefront6targetE1EEEvSS_,"axG",@progbits,_ZN7rocprim17ROCPRIM_400000_NS6detail17trampoline_kernelINS0_14default_configENS1_27lower_bound_config_selectorIslEEZNS1_14transform_implILb0ES3_S5_N6thrust23THRUST_200600_302600_NS6detail15normal_iteratorINS8_7pointerIsNS8_11hip_rocprim5par_tENS8_11use_defaultESE_EEEENSA_INSB_IlSD_SE_SE_EEEEZNS1_13binary_searchIS3_S5_PsSG_SI_NS1_21lower_bound_search_opENS9_16wrapped_functionI11custom_lessbEEEE10hipError_tPvRmT1_T2_T3_mmT4_T5_P12ihipStream_tbEUlRKsE_EESP_ST_SU_mSV_SY_bEUlT_E_NS1_11comp_targetILNS1_3genE0ELNS1_11target_archE4294967295ELNS1_3gpuE0ELNS1_3repE0EEENS1_30default_config_static_selectorELNS0_4arch9wavefront6targetE1EEEvSS_,comdat
.Lfunc_end143:
	.size	_ZN7rocprim17ROCPRIM_400000_NS6detail17trampoline_kernelINS0_14default_configENS1_27lower_bound_config_selectorIslEEZNS1_14transform_implILb0ES3_S5_N6thrust23THRUST_200600_302600_NS6detail15normal_iteratorINS8_7pointerIsNS8_11hip_rocprim5par_tENS8_11use_defaultESE_EEEENSA_INSB_IlSD_SE_SE_EEEEZNS1_13binary_searchIS3_S5_PsSG_SI_NS1_21lower_bound_search_opENS9_16wrapped_functionI11custom_lessbEEEE10hipError_tPvRmT1_T2_T3_mmT4_T5_P12ihipStream_tbEUlRKsE_EESP_ST_SU_mSV_SY_bEUlT_E_NS1_11comp_targetILNS1_3genE0ELNS1_11target_archE4294967295ELNS1_3gpuE0ELNS1_3repE0EEENS1_30default_config_static_selectorELNS0_4arch9wavefront6targetE1EEEvSS_, .Lfunc_end143-_ZN7rocprim17ROCPRIM_400000_NS6detail17trampoline_kernelINS0_14default_configENS1_27lower_bound_config_selectorIslEEZNS1_14transform_implILb0ES3_S5_N6thrust23THRUST_200600_302600_NS6detail15normal_iteratorINS8_7pointerIsNS8_11hip_rocprim5par_tENS8_11use_defaultESE_EEEENSA_INSB_IlSD_SE_SE_EEEEZNS1_13binary_searchIS3_S5_PsSG_SI_NS1_21lower_bound_search_opENS9_16wrapped_functionI11custom_lessbEEEE10hipError_tPvRmT1_T2_T3_mmT4_T5_P12ihipStream_tbEUlRKsE_EESP_ST_SU_mSV_SY_bEUlT_E_NS1_11comp_targetILNS1_3genE0ELNS1_11target_archE4294967295ELNS1_3gpuE0ELNS1_3repE0EEENS1_30default_config_static_selectorELNS0_4arch9wavefront6targetE1EEEvSS_
                                        ; -- End function
	.set _ZN7rocprim17ROCPRIM_400000_NS6detail17trampoline_kernelINS0_14default_configENS1_27lower_bound_config_selectorIslEEZNS1_14transform_implILb0ES3_S5_N6thrust23THRUST_200600_302600_NS6detail15normal_iteratorINS8_7pointerIsNS8_11hip_rocprim5par_tENS8_11use_defaultESE_EEEENSA_INSB_IlSD_SE_SE_EEEEZNS1_13binary_searchIS3_S5_PsSG_SI_NS1_21lower_bound_search_opENS9_16wrapped_functionI11custom_lessbEEEE10hipError_tPvRmT1_T2_T3_mmT4_T5_P12ihipStream_tbEUlRKsE_EESP_ST_SU_mSV_SY_bEUlT_E_NS1_11comp_targetILNS1_3genE0ELNS1_11target_archE4294967295ELNS1_3gpuE0ELNS1_3repE0EEENS1_30default_config_static_selectorELNS0_4arch9wavefront6targetE1EEEvSS_.num_vgpr, 0
	.set _ZN7rocprim17ROCPRIM_400000_NS6detail17trampoline_kernelINS0_14default_configENS1_27lower_bound_config_selectorIslEEZNS1_14transform_implILb0ES3_S5_N6thrust23THRUST_200600_302600_NS6detail15normal_iteratorINS8_7pointerIsNS8_11hip_rocprim5par_tENS8_11use_defaultESE_EEEENSA_INSB_IlSD_SE_SE_EEEEZNS1_13binary_searchIS3_S5_PsSG_SI_NS1_21lower_bound_search_opENS9_16wrapped_functionI11custom_lessbEEEE10hipError_tPvRmT1_T2_T3_mmT4_T5_P12ihipStream_tbEUlRKsE_EESP_ST_SU_mSV_SY_bEUlT_E_NS1_11comp_targetILNS1_3genE0ELNS1_11target_archE4294967295ELNS1_3gpuE0ELNS1_3repE0EEENS1_30default_config_static_selectorELNS0_4arch9wavefront6targetE1EEEvSS_.num_agpr, 0
	.set _ZN7rocprim17ROCPRIM_400000_NS6detail17trampoline_kernelINS0_14default_configENS1_27lower_bound_config_selectorIslEEZNS1_14transform_implILb0ES3_S5_N6thrust23THRUST_200600_302600_NS6detail15normal_iteratorINS8_7pointerIsNS8_11hip_rocprim5par_tENS8_11use_defaultESE_EEEENSA_INSB_IlSD_SE_SE_EEEEZNS1_13binary_searchIS3_S5_PsSG_SI_NS1_21lower_bound_search_opENS9_16wrapped_functionI11custom_lessbEEEE10hipError_tPvRmT1_T2_T3_mmT4_T5_P12ihipStream_tbEUlRKsE_EESP_ST_SU_mSV_SY_bEUlT_E_NS1_11comp_targetILNS1_3genE0ELNS1_11target_archE4294967295ELNS1_3gpuE0ELNS1_3repE0EEENS1_30default_config_static_selectorELNS0_4arch9wavefront6targetE1EEEvSS_.numbered_sgpr, 0
	.set _ZN7rocprim17ROCPRIM_400000_NS6detail17trampoline_kernelINS0_14default_configENS1_27lower_bound_config_selectorIslEEZNS1_14transform_implILb0ES3_S5_N6thrust23THRUST_200600_302600_NS6detail15normal_iteratorINS8_7pointerIsNS8_11hip_rocprim5par_tENS8_11use_defaultESE_EEEENSA_INSB_IlSD_SE_SE_EEEEZNS1_13binary_searchIS3_S5_PsSG_SI_NS1_21lower_bound_search_opENS9_16wrapped_functionI11custom_lessbEEEE10hipError_tPvRmT1_T2_T3_mmT4_T5_P12ihipStream_tbEUlRKsE_EESP_ST_SU_mSV_SY_bEUlT_E_NS1_11comp_targetILNS1_3genE0ELNS1_11target_archE4294967295ELNS1_3gpuE0ELNS1_3repE0EEENS1_30default_config_static_selectorELNS0_4arch9wavefront6targetE1EEEvSS_.num_named_barrier, 0
	.set _ZN7rocprim17ROCPRIM_400000_NS6detail17trampoline_kernelINS0_14default_configENS1_27lower_bound_config_selectorIslEEZNS1_14transform_implILb0ES3_S5_N6thrust23THRUST_200600_302600_NS6detail15normal_iteratorINS8_7pointerIsNS8_11hip_rocprim5par_tENS8_11use_defaultESE_EEEENSA_INSB_IlSD_SE_SE_EEEEZNS1_13binary_searchIS3_S5_PsSG_SI_NS1_21lower_bound_search_opENS9_16wrapped_functionI11custom_lessbEEEE10hipError_tPvRmT1_T2_T3_mmT4_T5_P12ihipStream_tbEUlRKsE_EESP_ST_SU_mSV_SY_bEUlT_E_NS1_11comp_targetILNS1_3genE0ELNS1_11target_archE4294967295ELNS1_3gpuE0ELNS1_3repE0EEENS1_30default_config_static_selectorELNS0_4arch9wavefront6targetE1EEEvSS_.private_seg_size, 0
	.set _ZN7rocprim17ROCPRIM_400000_NS6detail17trampoline_kernelINS0_14default_configENS1_27lower_bound_config_selectorIslEEZNS1_14transform_implILb0ES3_S5_N6thrust23THRUST_200600_302600_NS6detail15normal_iteratorINS8_7pointerIsNS8_11hip_rocprim5par_tENS8_11use_defaultESE_EEEENSA_INSB_IlSD_SE_SE_EEEEZNS1_13binary_searchIS3_S5_PsSG_SI_NS1_21lower_bound_search_opENS9_16wrapped_functionI11custom_lessbEEEE10hipError_tPvRmT1_T2_T3_mmT4_T5_P12ihipStream_tbEUlRKsE_EESP_ST_SU_mSV_SY_bEUlT_E_NS1_11comp_targetILNS1_3genE0ELNS1_11target_archE4294967295ELNS1_3gpuE0ELNS1_3repE0EEENS1_30default_config_static_selectorELNS0_4arch9wavefront6targetE1EEEvSS_.uses_vcc, 0
	.set _ZN7rocprim17ROCPRIM_400000_NS6detail17trampoline_kernelINS0_14default_configENS1_27lower_bound_config_selectorIslEEZNS1_14transform_implILb0ES3_S5_N6thrust23THRUST_200600_302600_NS6detail15normal_iteratorINS8_7pointerIsNS8_11hip_rocprim5par_tENS8_11use_defaultESE_EEEENSA_INSB_IlSD_SE_SE_EEEEZNS1_13binary_searchIS3_S5_PsSG_SI_NS1_21lower_bound_search_opENS9_16wrapped_functionI11custom_lessbEEEE10hipError_tPvRmT1_T2_T3_mmT4_T5_P12ihipStream_tbEUlRKsE_EESP_ST_SU_mSV_SY_bEUlT_E_NS1_11comp_targetILNS1_3genE0ELNS1_11target_archE4294967295ELNS1_3gpuE0ELNS1_3repE0EEENS1_30default_config_static_selectorELNS0_4arch9wavefront6targetE1EEEvSS_.uses_flat_scratch, 0
	.set _ZN7rocprim17ROCPRIM_400000_NS6detail17trampoline_kernelINS0_14default_configENS1_27lower_bound_config_selectorIslEEZNS1_14transform_implILb0ES3_S5_N6thrust23THRUST_200600_302600_NS6detail15normal_iteratorINS8_7pointerIsNS8_11hip_rocprim5par_tENS8_11use_defaultESE_EEEENSA_INSB_IlSD_SE_SE_EEEEZNS1_13binary_searchIS3_S5_PsSG_SI_NS1_21lower_bound_search_opENS9_16wrapped_functionI11custom_lessbEEEE10hipError_tPvRmT1_T2_T3_mmT4_T5_P12ihipStream_tbEUlRKsE_EESP_ST_SU_mSV_SY_bEUlT_E_NS1_11comp_targetILNS1_3genE0ELNS1_11target_archE4294967295ELNS1_3gpuE0ELNS1_3repE0EEENS1_30default_config_static_selectorELNS0_4arch9wavefront6targetE1EEEvSS_.has_dyn_sized_stack, 0
	.set _ZN7rocprim17ROCPRIM_400000_NS6detail17trampoline_kernelINS0_14default_configENS1_27lower_bound_config_selectorIslEEZNS1_14transform_implILb0ES3_S5_N6thrust23THRUST_200600_302600_NS6detail15normal_iteratorINS8_7pointerIsNS8_11hip_rocprim5par_tENS8_11use_defaultESE_EEEENSA_INSB_IlSD_SE_SE_EEEEZNS1_13binary_searchIS3_S5_PsSG_SI_NS1_21lower_bound_search_opENS9_16wrapped_functionI11custom_lessbEEEE10hipError_tPvRmT1_T2_T3_mmT4_T5_P12ihipStream_tbEUlRKsE_EESP_ST_SU_mSV_SY_bEUlT_E_NS1_11comp_targetILNS1_3genE0ELNS1_11target_archE4294967295ELNS1_3gpuE0ELNS1_3repE0EEENS1_30default_config_static_selectorELNS0_4arch9wavefront6targetE1EEEvSS_.has_recursion, 0
	.set _ZN7rocprim17ROCPRIM_400000_NS6detail17trampoline_kernelINS0_14default_configENS1_27lower_bound_config_selectorIslEEZNS1_14transform_implILb0ES3_S5_N6thrust23THRUST_200600_302600_NS6detail15normal_iteratorINS8_7pointerIsNS8_11hip_rocprim5par_tENS8_11use_defaultESE_EEEENSA_INSB_IlSD_SE_SE_EEEEZNS1_13binary_searchIS3_S5_PsSG_SI_NS1_21lower_bound_search_opENS9_16wrapped_functionI11custom_lessbEEEE10hipError_tPvRmT1_T2_T3_mmT4_T5_P12ihipStream_tbEUlRKsE_EESP_ST_SU_mSV_SY_bEUlT_E_NS1_11comp_targetILNS1_3genE0ELNS1_11target_archE4294967295ELNS1_3gpuE0ELNS1_3repE0EEENS1_30default_config_static_selectorELNS0_4arch9wavefront6targetE1EEEvSS_.has_indirect_call, 0
	.section	.AMDGPU.csdata,"",@progbits
; Kernel info:
; codeLenInByte = 0
; TotalNumSgprs: 4
; NumVgprs: 0
; ScratchSize: 0
; MemoryBound: 0
; FloatMode: 240
; IeeeMode: 1
; LDSByteSize: 0 bytes/workgroup (compile time only)
; SGPRBlocks: 0
; VGPRBlocks: 0
; NumSGPRsForWavesPerEU: 4
; NumVGPRsForWavesPerEU: 1
; Occupancy: 10
; WaveLimiterHint : 0
; COMPUTE_PGM_RSRC2:SCRATCH_EN: 0
; COMPUTE_PGM_RSRC2:USER_SGPR: 6
; COMPUTE_PGM_RSRC2:TRAP_HANDLER: 0
; COMPUTE_PGM_RSRC2:TGID_X_EN: 1
; COMPUTE_PGM_RSRC2:TGID_Y_EN: 0
; COMPUTE_PGM_RSRC2:TGID_Z_EN: 0
; COMPUTE_PGM_RSRC2:TIDIG_COMP_CNT: 0
	.section	.text._ZN7rocprim17ROCPRIM_400000_NS6detail17trampoline_kernelINS0_14default_configENS1_27lower_bound_config_selectorIslEEZNS1_14transform_implILb0ES3_S5_N6thrust23THRUST_200600_302600_NS6detail15normal_iteratorINS8_7pointerIsNS8_11hip_rocprim5par_tENS8_11use_defaultESE_EEEENSA_INSB_IlSD_SE_SE_EEEEZNS1_13binary_searchIS3_S5_PsSG_SI_NS1_21lower_bound_search_opENS9_16wrapped_functionI11custom_lessbEEEE10hipError_tPvRmT1_T2_T3_mmT4_T5_P12ihipStream_tbEUlRKsE_EESP_ST_SU_mSV_SY_bEUlT_E_NS1_11comp_targetILNS1_3genE5ELNS1_11target_archE942ELNS1_3gpuE9ELNS1_3repE0EEENS1_30default_config_static_selectorELNS0_4arch9wavefront6targetE1EEEvSS_,"axG",@progbits,_ZN7rocprim17ROCPRIM_400000_NS6detail17trampoline_kernelINS0_14default_configENS1_27lower_bound_config_selectorIslEEZNS1_14transform_implILb0ES3_S5_N6thrust23THRUST_200600_302600_NS6detail15normal_iteratorINS8_7pointerIsNS8_11hip_rocprim5par_tENS8_11use_defaultESE_EEEENSA_INSB_IlSD_SE_SE_EEEEZNS1_13binary_searchIS3_S5_PsSG_SI_NS1_21lower_bound_search_opENS9_16wrapped_functionI11custom_lessbEEEE10hipError_tPvRmT1_T2_T3_mmT4_T5_P12ihipStream_tbEUlRKsE_EESP_ST_SU_mSV_SY_bEUlT_E_NS1_11comp_targetILNS1_3genE5ELNS1_11target_archE942ELNS1_3gpuE9ELNS1_3repE0EEENS1_30default_config_static_selectorELNS0_4arch9wavefront6targetE1EEEvSS_,comdat
	.protected	_ZN7rocprim17ROCPRIM_400000_NS6detail17trampoline_kernelINS0_14default_configENS1_27lower_bound_config_selectorIslEEZNS1_14transform_implILb0ES3_S5_N6thrust23THRUST_200600_302600_NS6detail15normal_iteratorINS8_7pointerIsNS8_11hip_rocprim5par_tENS8_11use_defaultESE_EEEENSA_INSB_IlSD_SE_SE_EEEEZNS1_13binary_searchIS3_S5_PsSG_SI_NS1_21lower_bound_search_opENS9_16wrapped_functionI11custom_lessbEEEE10hipError_tPvRmT1_T2_T3_mmT4_T5_P12ihipStream_tbEUlRKsE_EESP_ST_SU_mSV_SY_bEUlT_E_NS1_11comp_targetILNS1_3genE5ELNS1_11target_archE942ELNS1_3gpuE9ELNS1_3repE0EEENS1_30default_config_static_selectorELNS0_4arch9wavefront6targetE1EEEvSS_ ; -- Begin function _ZN7rocprim17ROCPRIM_400000_NS6detail17trampoline_kernelINS0_14default_configENS1_27lower_bound_config_selectorIslEEZNS1_14transform_implILb0ES3_S5_N6thrust23THRUST_200600_302600_NS6detail15normal_iteratorINS8_7pointerIsNS8_11hip_rocprim5par_tENS8_11use_defaultESE_EEEENSA_INSB_IlSD_SE_SE_EEEEZNS1_13binary_searchIS3_S5_PsSG_SI_NS1_21lower_bound_search_opENS9_16wrapped_functionI11custom_lessbEEEE10hipError_tPvRmT1_T2_T3_mmT4_T5_P12ihipStream_tbEUlRKsE_EESP_ST_SU_mSV_SY_bEUlT_E_NS1_11comp_targetILNS1_3genE5ELNS1_11target_archE942ELNS1_3gpuE9ELNS1_3repE0EEENS1_30default_config_static_selectorELNS0_4arch9wavefront6targetE1EEEvSS_
	.globl	_ZN7rocprim17ROCPRIM_400000_NS6detail17trampoline_kernelINS0_14default_configENS1_27lower_bound_config_selectorIslEEZNS1_14transform_implILb0ES3_S5_N6thrust23THRUST_200600_302600_NS6detail15normal_iteratorINS8_7pointerIsNS8_11hip_rocprim5par_tENS8_11use_defaultESE_EEEENSA_INSB_IlSD_SE_SE_EEEEZNS1_13binary_searchIS3_S5_PsSG_SI_NS1_21lower_bound_search_opENS9_16wrapped_functionI11custom_lessbEEEE10hipError_tPvRmT1_T2_T3_mmT4_T5_P12ihipStream_tbEUlRKsE_EESP_ST_SU_mSV_SY_bEUlT_E_NS1_11comp_targetILNS1_3genE5ELNS1_11target_archE942ELNS1_3gpuE9ELNS1_3repE0EEENS1_30default_config_static_selectorELNS0_4arch9wavefront6targetE1EEEvSS_
	.p2align	8
	.type	_ZN7rocprim17ROCPRIM_400000_NS6detail17trampoline_kernelINS0_14default_configENS1_27lower_bound_config_selectorIslEEZNS1_14transform_implILb0ES3_S5_N6thrust23THRUST_200600_302600_NS6detail15normal_iteratorINS8_7pointerIsNS8_11hip_rocprim5par_tENS8_11use_defaultESE_EEEENSA_INSB_IlSD_SE_SE_EEEEZNS1_13binary_searchIS3_S5_PsSG_SI_NS1_21lower_bound_search_opENS9_16wrapped_functionI11custom_lessbEEEE10hipError_tPvRmT1_T2_T3_mmT4_T5_P12ihipStream_tbEUlRKsE_EESP_ST_SU_mSV_SY_bEUlT_E_NS1_11comp_targetILNS1_3genE5ELNS1_11target_archE942ELNS1_3gpuE9ELNS1_3repE0EEENS1_30default_config_static_selectorELNS0_4arch9wavefront6targetE1EEEvSS_,@function
_ZN7rocprim17ROCPRIM_400000_NS6detail17trampoline_kernelINS0_14default_configENS1_27lower_bound_config_selectorIslEEZNS1_14transform_implILb0ES3_S5_N6thrust23THRUST_200600_302600_NS6detail15normal_iteratorINS8_7pointerIsNS8_11hip_rocprim5par_tENS8_11use_defaultESE_EEEENSA_INSB_IlSD_SE_SE_EEEEZNS1_13binary_searchIS3_S5_PsSG_SI_NS1_21lower_bound_search_opENS9_16wrapped_functionI11custom_lessbEEEE10hipError_tPvRmT1_T2_T3_mmT4_T5_P12ihipStream_tbEUlRKsE_EESP_ST_SU_mSV_SY_bEUlT_E_NS1_11comp_targetILNS1_3genE5ELNS1_11target_archE942ELNS1_3gpuE9ELNS1_3repE0EEENS1_30default_config_static_selectorELNS0_4arch9wavefront6targetE1EEEvSS_: ; @_ZN7rocprim17ROCPRIM_400000_NS6detail17trampoline_kernelINS0_14default_configENS1_27lower_bound_config_selectorIslEEZNS1_14transform_implILb0ES3_S5_N6thrust23THRUST_200600_302600_NS6detail15normal_iteratorINS8_7pointerIsNS8_11hip_rocprim5par_tENS8_11use_defaultESE_EEEENSA_INSB_IlSD_SE_SE_EEEEZNS1_13binary_searchIS3_S5_PsSG_SI_NS1_21lower_bound_search_opENS9_16wrapped_functionI11custom_lessbEEEE10hipError_tPvRmT1_T2_T3_mmT4_T5_P12ihipStream_tbEUlRKsE_EESP_ST_SU_mSV_SY_bEUlT_E_NS1_11comp_targetILNS1_3genE5ELNS1_11target_archE942ELNS1_3gpuE9ELNS1_3repE0EEENS1_30default_config_static_selectorELNS0_4arch9wavefront6targetE1EEEvSS_
; %bb.0:
	.section	.rodata,"a",@progbits
	.p2align	6, 0x0
	.amdhsa_kernel _ZN7rocprim17ROCPRIM_400000_NS6detail17trampoline_kernelINS0_14default_configENS1_27lower_bound_config_selectorIslEEZNS1_14transform_implILb0ES3_S5_N6thrust23THRUST_200600_302600_NS6detail15normal_iteratorINS8_7pointerIsNS8_11hip_rocprim5par_tENS8_11use_defaultESE_EEEENSA_INSB_IlSD_SE_SE_EEEEZNS1_13binary_searchIS3_S5_PsSG_SI_NS1_21lower_bound_search_opENS9_16wrapped_functionI11custom_lessbEEEE10hipError_tPvRmT1_T2_T3_mmT4_T5_P12ihipStream_tbEUlRKsE_EESP_ST_SU_mSV_SY_bEUlT_E_NS1_11comp_targetILNS1_3genE5ELNS1_11target_archE942ELNS1_3gpuE9ELNS1_3repE0EEENS1_30default_config_static_selectorELNS0_4arch9wavefront6targetE1EEEvSS_
		.amdhsa_group_segment_fixed_size 0
		.amdhsa_private_segment_fixed_size 0
		.amdhsa_kernarg_size 56
		.amdhsa_user_sgpr_count 6
		.amdhsa_user_sgpr_private_segment_buffer 1
		.amdhsa_user_sgpr_dispatch_ptr 0
		.amdhsa_user_sgpr_queue_ptr 0
		.amdhsa_user_sgpr_kernarg_segment_ptr 1
		.amdhsa_user_sgpr_dispatch_id 0
		.amdhsa_user_sgpr_flat_scratch_init 0
		.amdhsa_user_sgpr_private_segment_size 0
		.amdhsa_uses_dynamic_stack 0
		.amdhsa_system_sgpr_private_segment_wavefront_offset 0
		.amdhsa_system_sgpr_workgroup_id_x 1
		.amdhsa_system_sgpr_workgroup_id_y 0
		.amdhsa_system_sgpr_workgroup_id_z 0
		.amdhsa_system_sgpr_workgroup_info 0
		.amdhsa_system_vgpr_workitem_id 0
		.amdhsa_next_free_vgpr 1
		.amdhsa_next_free_sgpr 0
		.amdhsa_reserve_vcc 0
		.amdhsa_reserve_flat_scratch 0
		.amdhsa_float_round_mode_32 0
		.amdhsa_float_round_mode_16_64 0
		.amdhsa_float_denorm_mode_32 3
		.amdhsa_float_denorm_mode_16_64 3
		.amdhsa_dx10_clamp 1
		.amdhsa_ieee_mode 1
		.amdhsa_fp16_overflow 0
		.amdhsa_exception_fp_ieee_invalid_op 0
		.amdhsa_exception_fp_denorm_src 0
		.amdhsa_exception_fp_ieee_div_zero 0
		.amdhsa_exception_fp_ieee_overflow 0
		.amdhsa_exception_fp_ieee_underflow 0
		.amdhsa_exception_fp_ieee_inexact 0
		.amdhsa_exception_int_div_zero 0
	.end_amdhsa_kernel
	.section	.text._ZN7rocprim17ROCPRIM_400000_NS6detail17trampoline_kernelINS0_14default_configENS1_27lower_bound_config_selectorIslEEZNS1_14transform_implILb0ES3_S5_N6thrust23THRUST_200600_302600_NS6detail15normal_iteratorINS8_7pointerIsNS8_11hip_rocprim5par_tENS8_11use_defaultESE_EEEENSA_INSB_IlSD_SE_SE_EEEEZNS1_13binary_searchIS3_S5_PsSG_SI_NS1_21lower_bound_search_opENS9_16wrapped_functionI11custom_lessbEEEE10hipError_tPvRmT1_T2_T3_mmT4_T5_P12ihipStream_tbEUlRKsE_EESP_ST_SU_mSV_SY_bEUlT_E_NS1_11comp_targetILNS1_3genE5ELNS1_11target_archE942ELNS1_3gpuE9ELNS1_3repE0EEENS1_30default_config_static_selectorELNS0_4arch9wavefront6targetE1EEEvSS_,"axG",@progbits,_ZN7rocprim17ROCPRIM_400000_NS6detail17trampoline_kernelINS0_14default_configENS1_27lower_bound_config_selectorIslEEZNS1_14transform_implILb0ES3_S5_N6thrust23THRUST_200600_302600_NS6detail15normal_iteratorINS8_7pointerIsNS8_11hip_rocprim5par_tENS8_11use_defaultESE_EEEENSA_INSB_IlSD_SE_SE_EEEEZNS1_13binary_searchIS3_S5_PsSG_SI_NS1_21lower_bound_search_opENS9_16wrapped_functionI11custom_lessbEEEE10hipError_tPvRmT1_T2_T3_mmT4_T5_P12ihipStream_tbEUlRKsE_EESP_ST_SU_mSV_SY_bEUlT_E_NS1_11comp_targetILNS1_3genE5ELNS1_11target_archE942ELNS1_3gpuE9ELNS1_3repE0EEENS1_30default_config_static_selectorELNS0_4arch9wavefront6targetE1EEEvSS_,comdat
.Lfunc_end144:
	.size	_ZN7rocprim17ROCPRIM_400000_NS6detail17trampoline_kernelINS0_14default_configENS1_27lower_bound_config_selectorIslEEZNS1_14transform_implILb0ES3_S5_N6thrust23THRUST_200600_302600_NS6detail15normal_iteratorINS8_7pointerIsNS8_11hip_rocprim5par_tENS8_11use_defaultESE_EEEENSA_INSB_IlSD_SE_SE_EEEEZNS1_13binary_searchIS3_S5_PsSG_SI_NS1_21lower_bound_search_opENS9_16wrapped_functionI11custom_lessbEEEE10hipError_tPvRmT1_T2_T3_mmT4_T5_P12ihipStream_tbEUlRKsE_EESP_ST_SU_mSV_SY_bEUlT_E_NS1_11comp_targetILNS1_3genE5ELNS1_11target_archE942ELNS1_3gpuE9ELNS1_3repE0EEENS1_30default_config_static_selectorELNS0_4arch9wavefront6targetE1EEEvSS_, .Lfunc_end144-_ZN7rocprim17ROCPRIM_400000_NS6detail17trampoline_kernelINS0_14default_configENS1_27lower_bound_config_selectorIslEEZNS1_14transform_implILb0ES3_S5_N6thrust23THRUST_200600_302600_NS6detail15normal_iteratorINS8_7pointerIsNS8_11hip_rocprim5par_tENS8_11use_defaultESE_EEEENSA_INSB_IlSD_SE_SE_EEEEZNS1_13binary_searchIS3_S5_PsSG_SI_NS1_21lower_bound_search_opENS9_16wrapped_functionI11custom_lessbEEEE10hipError_tPvRmT1_T2_T3_mmT4_T5_P12ihipStream_tbEUlRKsE_EESP_ST_SU_mSV_SY_bEUlT_E_NS1_11comp_targetILNS1_3genE5ELNS1_11target_archE942ELNS1_3gpuE9ELNS1_3repE0EEENS1_30default_config_static_selectorELNS0_4arch9wavefront6targetE1EEEvSS_
                                        ; -- End function
	.set _ZN7rocprim17ROCPRIM_400000_NS6detail17trampoline_kernelINS0_14default_configENS1_27lower_bound_config_selectorIslEEZNS1_14transform_implILb0ES3_S5_N6thrust23THRUST_200600_302600_NS6detail15normal_iteratorINS8_7pointerIsNS8_11hip_rocprim5par_tENS8_11use_defaultESE_EEEENSA_INSB_IlSD_SE_SE_EEEEZNS1_13binary_searchIS3_S5_PsSG_SI_NS1_21lower_bound_search_opENS9_16wrapped_functionI11custom_lessbEEEE10hipError_tPvRmT1_T2_T3_mmT4_T5_P12ihipStream_tbEUlRKsE_EESP_ST_SU_mSV_SY_bEUlT_E_NS1_11comp_targetILNS1_3genE5ELNS1_11target_archE942ELNS1_3gpuE9ELNS1_3repE0EEENS1_30default_config_static_selectorELNS0_4arch9wavefront6targetE1EEEvSS_.num_vgpr, 0
	.set _ZN7rocprim17ROCPRIM_400000_NS6detail17trampoline_kernelINS0_14default_configENS1_27lower_bound_config_selectorIslEEZNS1_14transform_implILb0ES3_S5_N6thrust23THRUST_200600_302600_NS6detail15normal_iteratorINS8_7pointerIsNS8_11hip_rocprim5par_tENS8_11use_defaultESE_EEEENSA_INSB_IlSD_SE_SE_EEEEZNS1_13binary_searchIS3_S5_PsSG_SI_NS1_21lower_bound_search_opENS9_16wrapped_functionI11custom_lessbEEEE10hipError_tPvRmT1_T2_T3_mmT4_T5_P12ihipStream_tbEUlRKsE_EESP_ST_SU_mSV_SY_bEUlT_E_NS1_11comp_targetILNS1_3genE5ELNS1_11target_archE942ELNS1_3gpuE9ELNS1_3repE0EEENS1_30default_config_static_selectorELNS0_4arch9wavefront6targetE1EEEvSS_.num_agpr, 0
	.set _ZN7rocprim17ROCPRIM_400000_NS6detail17trampoline_kernelINS0_14default_configENS1_27lower_bound_config_selectorIslEEZNS1_14transform_implILb0ES3_S5_N6thrust23THRUST_200600_302600_NS6detail15normal_iteratorINS8_7pointerIsNS8_11hip_rocprim5par_tENS8_11use_defaultESE_EEEENSA_INSB_IlSD_SE_SE_EEEEZNS1_13binary_searchIS3_S5_PsSG_SI_NS1_21lower_bound_search_opENS9_16wrapped_functionI11custom_lessbEEEE10hipError_tPvRmT1_T2_T3_mmT4_T5_P12ihipStream_tbEUlRKsE_EESP_ST_SU_mSV_SY_bEUlT_E_NS1_11comp_targetILNS1_3genE5ELNS1_11target_archE942ELNS1_3gpuE9ELNS1_3repE0EEENS1_30default_config_static_selectorELNS0_4arch9wavefront6targetE1EEEvSS_.numbered_sgpr, 0
	.set _ZN7rocprim17ROCPRIM_400000_NS6detail17trampoline_kernelINS0_14default_configENS1_27lower_bound_config_selectorIslEEZNS1_14transform_implILb0ES3_S5_N6thrust23THRUST_200600_302600_NS6detail15normal_iteratorINS8_7pointerIsNS8_11hip_rocprim5par_tENS8_11use_defaultESE_EEEENSA_INSB_IlSD_SE_SE_EEEEZNS1_13binary_searchIS3_S5_PsSG_SI_NS1_21lower_bound_search_opENS9_16wrapped_functionI11custom_lessbEEEE10hipError_tPvRmT1_T2_T3_mmT4_T5_P12ihipStream_tbEUlRKsE_EESP_ST_SU_mSV_SY_bEUlT_E_NS1_11comp_targetILNS1_3genE5ELNS1_11target_archE942ELNS1_3gpuE9ELNS1_3repE0EEENS1_30default_config_static_selectorELNS0_4arch9wavefront6targetE1EEEvSS_.num_named_barrier, 0
	.set _ZN7rocprim17ROCPRIM_400000_NS6detail17trampoline_kernelINS0_14default_configENS1_27lower_bound_config_selectorIslEEZNS1_14transform_implILb0ES3_S5_N6thrust23THRUST_200600_302600_NS6detail15normal_iteratorINS8_7pointerIsNS8_11hip_rocprim5par_tENS8_11use_defaultESE_EEEENSA_INSB_IlSD_SE_SE_EEEEZNS1_13binary_searchIS3_S5_PsSG_SI_NS1_21lower_bound_search_opENS9_16wrapped_functionI11custom_lessbEEEE10hipError_tPvRmT1_T2_T3_mmT4_T5_P12ihipStream_tbEUlRKsE_EESP_ST_SU_mSV_SY_bEUlT_E_NS1_11comp_targetILNS1_3genE5ELNS1_11target_archE942ELNS1_3gpuE9ELNS1_3repE0EEENS1_30default_config_static_selectorELNS0_4arch9wavefront6targetE1EEEvSS_.private_seg_size, 0
	.set _ZN7rocprim17ROCPRIM_400000_NS6detail17trampoline_kernelINS0_14default_configENS1_27lower_bound_config_selectorIslEEZNS1_14transform_implILb0ES3_S5_N6thrust23THRUST_200600_302600_NS6detail15normal_iteratorINS8_7pointerIsNS8_11hip_rocprim5par_tENS8_11use_defaultESE_EEEENSA_INSB_IlSD_SE_SE_EEEEZNS1_13binary_searchIS3_S5_PsSG_SI_NS1_21lower_bound_search_opENS9_16wrapped_functionI11custom_lessbEEEE10hipError_tPvRmT1_T2_T3_mmT4_T5_P12ihipStream_tbEUlRKsE_EESP_ST_SU_mSV_SY_bEUlT_E_NS1_11comp_targetILNS1_3genE5ELNS1_11target_archE942ELNS1_3gpuE9ELNS1_3repE0EEENS1_30default_config_static_selectorELNS0_4arch9wavefront6targetE1EEEvSS_.uses_vcc, 0
	.set _ZN7rocprim17ROCPRIM_400000_NS6detail17trampoline_kernelINS0_14default_configENS1_27lower_bound_config_selectorIslEEZNS1_14transform_implILb0ES3_S5_N6thrust23THRUST_200600_302600_NS6detail15normal_iteratorINS8_7pointerIsNS8_11hip_rocprim5par_tENS8_11use_defaultESE_EEEENSA_INSB_IlSD_SE_SE_EEEEZNS1_13binary_searchIS3_S5_PsSG_SI_NS1_21lower_bound_search_opENS9_16wrapped_functionI11custom_lessbEEEE10hipError_tPvRmT1_T2_T3_mmT4_T5_P12ihipStream_tbEUlRKsE_EESP_ST_SU_mSV_SY_bEUlT_E_NS1_11comp_targetILNS1_3genE5ELNS1_11target_archE942ELNS1_3gpuE9ELNS1_3repE0EEENS1_30default_config_static_selectorELNS0_4arch9wavefront6targetE1EEEvSS_.uses_flat_scratch, 0
	.set _ZN7rocprim17ROCPRIM_400000_NS6detail17trampoline_kernelINS0_14default_configENS1_27lower_bound_config_selectorIslEEZNS1_14transform_implILb0ES3_S5_N6thrust23THRUST_200600_302600_NS6detail15normal_iteratorINS8_7pointerIsNS8_11hip_rocprim5par_tENS8_11use_defaultESE_EEEENSA_INSB_IlSD_SE_SE_EEEEZNS1_13binary_searchIS3_S5_PsSG_SI_NS1_21lower_bound_search_opENS9_16wrapped_functionI11custom_lessbEEEE10hipError_tPvRmT1_T2_T3_mmT4_T5_P12ihipStream_tbEUlRKsE_EESP_ST_SU_mSV_SY_bEUlT_E_NS1_11comp_targetILNS1_3genE5ELNS1_11target_archE942ELNS1_3gpuE9ELNS1_3repE0EEENS1_30default_config_static_selectorELNS0_4arch9wavefront6targetE1EEEvSS_.has_dyn_sized_stack, 0
	.set _ZN7rocprim17ROCPRIM_400000_NS6detail17trampoline_kernelINS0_14default_configENS1_27lower_bound_config_selectorIslEEZNS1_14transform_implILb0ES3_S5_N6thrust23THRUST_200600_302600_NS6detail15normal_iteratorINS8_7pointerIsNS8_11hip_rocprim5par_tENS8_11use_defaultESE_EEEENSA_INSB_IlSD_SE_SE_EEEEZNS1_13binary_searchIS3_S5_PsSG_SI_NS1_21lower_bound_search_opENS9_16wrapped_functionI11custom_lessbEEEE10hipError_tPvRmT1_T2_T3_mmT4_T5_P12ihipStream_tbEUlRKsE_EESP_ST_SU_mSV_SY_bEUlT_E_NS1_11comp_targetILNS1_3genE5ELNS1_11target_archE942ELNS1_3gpuE9ELNS1_3repE0EEENS1_30default_config_static_selectorELNS0_4arch9wavefront6targetE1EEEvSS_.has_recursion, 0
	.set _ZN7rocprim17ROCPRIM_400000_NS6detail17trampoline_kernelINS0_14default_configENS1_27lower_bound_config_selectorIslEEZNS1_14transform_implILb0ES3_S5_N6thrust23THRUST_200600_302600_NS6detail15normal_iteratorINS8_7pointerIsNS8_11hip_rocprim5par_tENS8_11use_defaultESE_EEEENSA_INSB_IlSD_SE_SE_EEEEZNS1_13binary_searchIS3_S5_PsSG_SI_NS1_21lower_bound_search_opENS9_16wrapped_functionI11custom_lessbEEEE10hipError_tPvRmT1_T2_T3_mmT4_T5_P12ihipStream_tbEUlRKsE_EESP_ST_SU_mSV_SY_bEUlT_E_NS1_11comp_targetILNS1_3genE5ELNS1_11target_archE942ELNS1_3gpuE9ELNS1_3repE0EEENS1_30default_config_static_selectorELNS0_4arch9wavefront6targetE1EEEvSS_.has_indirect_call, 0
	.section	.AMDGPU.csdata,"",@progbits
; Kernel info:
; codeLenInByte = 0
; TotalNumSgprs: 4
; NumVgprs: 0
; ScratchSize: 0
; MemoryBound: 0
; FloatMode: 240
; IeeeMode: 1
; LDSByteSize: 0 bytes/workgroup (compile time only)
; SGPRBlocks: 0
; VGPRBlocks: 0
; NumSGPRsForWavesPerEU: 4
; NumVGPRsForWavesPerEU: 1
; Occupancy: 10
; WaveLimiterHint : 0
; COMPUTE_PGM_RSRC2:SCRATCH_EN: 0
; COMPUTE_PGM_RSRC2:USER_SGPR: 6
; COMPUTE_PGM_RSRC2:TRAP_HANDLER: 0
; COMPUTE_PGM_RSRC2:TGID_X_EN: 1
; COMPUTE_PGM_RSRC2:TGID_Y_EN: 0
; COMPUTE_PGM_RSRC2:TGID_Z_EN: 0
; COMPUTE_PGM_RSRC2:TIDIG_COMP_CNT: 0
	.section	.text._ZN7rocprim17ROCPRIM_400000_NS6detail17trampoline_kernelINS0_14default_configENS1_27lower_bound_config_selectorIslEEZNS1_14transform_implILb0ES3_S5_N6thrust23THRUST_200600_302600_NS6detail15normal_iteratorINS8_7pointerIsNS8_11hip_rocprim5par_tENS8_11use_defaultESE_EEEENSA_INSB_IlSD_SE_SE_EEEEZNS1_13binary_searchIS3_S5_PsSG_SI_NS1_21lower_bound_search_opENS9_16wrapped_functionI11custom_lessbEEEE10hipError_tPvRmT1_T2_T3_mmT4_T5_P12ihipStream_tbEUlRKsE_EESP_ST_SU_mSV_SY_bEUlT_E_NS1_11comp_targetILNS1_3genE4ELNS1_11target_archE910ELNS1_3gpuE8ELNS1_3repE0EEENS1_30default_config_static_selectorELNS0_4arch9wavefront6targetE1EEEvSS_,"axG",@progbits,_ZN7rocprim17ROCPRIM_400000_NS6detail17trampoline_kernelINS0_14default_configENS1_27lower_bound_config_selectorIslEEZNS1_14transform_implILb0ES3_S5_N6thrust23THRUST_200600_302600_NS6detail15normal_iteratorINS8_7pointerIsNS8_11hip_rocprim5par_tENS8_11use_defaultESE_EEEENSA_INSB_IlSD_SE_SE_EEEEZNS1_13binary_searchIS3_S5_PsSG_SI_NS1_21lower_bound_search_opENS9_16wrapped_functionI11custom_lessbEEEE10hipError_tPvRmT1_T2_T3_mmT4_T5_P12ihipStream_tbEUlRKsE_EESP_ST_SU_mSV_SY_bEUlT_E_NS1_11comp_targetILNS1_3genE4ELNS1_11target_archE910ELNS1_3gpuE8ELNS1_3repE0EEENS1_30default_config_static_selectorELNS0_4arch9wavefront6targetE1EEEvSS_,comdat
	.protected	_ZN7rocprim17ROCPRIM_400000_NS6detail17trampoline_kernelINS0_14default_configENS1_27lower_bound_config_selectorIslEEZNS1_14transform_implILb0ES3_S5_N6thrust23THRUST_200600_302600_NS6detail15normal_iteratorINS8_7pointerIsNS8_11hip_rocprim5par_tENS8_11use_defaultESE_EEEENSA_INSB_IlSD_SE_SE_EEEEZNS1_13binary_searchIS3_S5_PsSG_SI_NS1_21lower_bound_search_opENS9_16wrapped_functionI11custom_lessbEEEE10hipError_tPvRmT1_T2_T3_mmT4_T5_P12ihipStream_tbEUlRKsE_EESP_ST_SU_mSV_SY_bEUlT_E_NS1_11comp_targetILNS1_3genE4ELNS1_11target_archE910ELNS1_3gpuE8ELNS1_3repE0EEENS1_30default_config_static_selectorELNS0_4arch9wavefront6targetE1EEEvSS_ ; -- Begin function _ZN7rocprim17ROCPRIM_400000_NS6detail17trampoline_kernelINS0_14default_configENS1_27lower_bound_config_selectorIslEEZNS1_14transform_implILb0ES3_S5_N6thrust23THRUST_200600_302600_NS6detail15normal_iteratorINS8_7pointerIsNS8_11hip_rocprim5par_tENS8_11use_defaultESE_EEEENSA_INSB_IlSD_SE_SE_EEEEZNS1_13binary_searchIS3_S5_PsSG_SI_NS1_21lower_bound_search_opENS9_16wrapped_functionI11custom_lessbEEEE10hipError_tPvRmT1_T2_T3_mmT4_T5_P12ihipStream_tbEUlRKsE_EESP_ST_SU_mSV_SY_bEUlT_E_NS1_11comp_targetILNS1_3genE4ELNS1_11target_archE910ELNS1_3gpuE8ELNS1_3repE0EEENS1_30default_config_static_selectorELNS0_4arch9wavefront6targetE1EEEvSS_
	.globl	_ZN7rocprim17ROCPRIM_400000_NS6detail17trampoline_kernelINS0_14default_configENS1_27lower_bound_config_selectorIslEEZNS1_14transform_implILb0ES3_S5_N6thrust23THRUST_200600_302600_NS6detail15normal_iteratorINS8_7pointerIsNS8_11hip_rocprim5par_tENS8_11use_defaultESE_EEEENSA_INSB_IlSD_SE_SE_EEEEZNS1_13binary_searchIS3_S5_PsSG_SI_NS1_21lower_bound_search_opENS9_16wrapped_functionI11custom_lessbEEEE10hipError_tPvRmT1_T2_T3_mmT4_T5_P12ihipStream_tbEUlRKsE_EESP_ST_SU_mSV_SY_bEUlT_E_NS1_11comp_targetILNS1_3genE4ELNS1_11target_archE910ELNS1_3gpuE8ELNS1_3repE0EEENS1_30default_config_static_selectorELNS0_4arch9wavefront6targetE1EEEvSS_
	.p2align	8
	.type	_ZN7rocprim17ROCPRIM_400000_NS6detail17trampoline_kernelINS0_14default_configENS1_27lower_bound_config_selectorIslEEZNS1_14transform_implILb0ES3_S5_N6thrust23THRUST_200600_302600_NS6detail15normal_iteratorINS8_7pointerIsNS8_11hip_rocprim5par_tENS8_11use_defaultESE_EEEENSA_INSB_IlSD_SE_SE_EEEEZNS1_13binary_searchIS3_S5_PsSG_SI_NS1_21lower_bound_search_opENS9_16wrapped_functionI11custom_lessbEEEE10hipError_tPvRmT1_T2_T3_mmT4_T5_P12ihipStream_tbEUlRKsE_EESP_ST_SU_mSV_SY_bEUlT_E_NS1_11comp_targetILNS1_3genE4ELNS1_11target_archE910ELNS1_3gpuE8ELNS1_3repE0EEENS1_30default_config_static_selectorELNS0_4arch9wavefront6targetE1EEEvSS_,@function
_ZN7rocprim17ROCPRIM_400000_NS6detail17trampoline_kernelINS0_14default_configENS1_27lower_bound_config_selectorIslEEZNS1_14transform_implILb0ES3_S5_N6thrust23THRUST_200600_302600_NS6detail15normal_iteratorINS8_7pointerIsNS8_11hip_rocprim5par_tENS8_11use_defaultESE_EEEENSA_INSB_IlSD_SE_SE_EEEEZNS1_13binary_searchIS3_S5_PsSG_SI_NS1_21lower_bound_search_opENS9_16wrapped_functionI11custom_lessbEEEE10hipError_tPvRmT1_T2_T3_mmT4_T5_P12ihipStream_tbEUlRKsE_EESP_ST_SU_mSV_SY_bEUlT_E_NS1_11comp_targetILNS1_3genE4ELNS1_11target_archE910ELNS1_3gpuE8ELNS1_3repE0EEENS1_30default_config_static_selectorELNS0_4arch9wavefront6targetE1EEEvSS_: ; @_ZN7rocprim17ROCPRIM_400000_NS6detail17trampoline_kernelINS0_14default_configENS1_27lower_bound_config_selectorIslEEZNS1_14transform_implILb0ES3_S5_N6thrust23THRUST_200600_302600_NS6detail15normal_iteratorINS8_7pointerIsNS8_11hip_rocprim5par_tENS8_11use_defaultESE_EEEENSA_INSB_IlSD_SE_SE_EEEEZNS1_13binary_searchIS3_S5_PsSG_SI_NS1_21lower_bound_search_opENS9_16wrapped_functionI11custom_lessbEEEE10hipError_tPvRmT1_T2_T3_mmT4_T5_P12ihipStream_tbEUlRKsE_EESP_ST_SU_mSV_SY_bEUlT_E_NS1_11comp_targetILNS1_3genE4ELNS1_11target_archE910ELNS1_3gpuE8ELNS1_3repE0EEENS1_30default_config_static_selectorELNS0_4arch9wavefront6targetE1EEEvSS_
; %bb.0:
	.section	.rodata,"a",@progbits
	.p2align	6, 0x0
	.amdhsa_kernel _ZN7rocprim17ROCPRIM_400000_NS6detail17trampoline_kernelINS0_14default_configENS1_27lower_bound_config_selectorIslEEZNS1_14transform_implILb0ES3_S5_N6thrust23THRUST_200600_302600_NS6detail15normal_iteratorINS8_7pointerIsNS8_11hip_rocprim5par_tENS8_11use_defaultESE_EEEENSA_INSB_IlSD_SE_SE_EEEEZNS1_13binary_searchIS3_S5_PsSG_SI_NS1_21lower_bound_search_opENS9_16wrapped_functionI11custom_lessbEEEE10hipError_tPvRmT1_T2_T3_mmT4_T5_P12ihipStream_tbEUlRKsE_EESP_ST_SU_mSV_SY_bEUlT_E_NS1_11comp_targetILNS1_3genE4ELNS1_11target_archE910ELNS1_3gpuE8ELNS1_3repE0EEENS1_30default_config_static_selectorELNS0_4arch9wavefront6targetE1EEEvSS_
		.amdhsa_group_segment_fixed_size 0
		.amdhsa_private_segment_fixed_size 0
		.amdhsa_kernarg_size 56
		.amdhsa_user_sgpr_count 6
		.amdhsa_user_sgpr_private_segment_buffer 1
		.amdhsa_user_sgpr_dispatch_ptr 0
		.amdhsa_user_sgpr_queue_ptr 0
		.amdhsa_user_sgpr_kernarg_segment_ptr 1
		.amdhsa_user_sgpr_dispatch_id 0
		.amdhsa_user_sgpr_flat_scratch_init 0
		.amdhsa_user_sgpr_private_segment_size 0
		.amdhsa_uses_dynamic_stack 0
		.amdhsa_system_sgpr_private_segment_wavefront_offset 0
		.amdhsa_system_sgpr_workgroup_id_x 1
		.amdhsa_system_sgpr_workgroup_id_y 0
		.amdhsa_system_sgpr_workgroup_id_z 0
		.amdhsa_system_sgpr_workgroup_info 0
		.amdhsa_system_vgpr_workitem_id 0
		.amdhsa_next_free_vgpr 1
		.amdhsa_next_free_sgpr 0
		.amdhsa_reserve_vcc 0
		.amdhsa_reserve_flat_scratch 0
		.amdhsa_float_round_mode_32 0
		.amdhsa_float_round_mode_16_64 0
		.amdhsa_float_denorm_mode_32 3
		.amdhsa_float_denorm_mode_16_64 3
		.amdhsa_dx10_clamp 1
		.amdhsa_ieee_mode 1
		.amdhsa_fp16_overflow 0
		.amdhsa_exception_fp_ieee_invalid_op 0
		.amdhsa_exception_fp_denorm_src 0
		.amdhsa_exception_fp_ieee_div_zero 0
		.amdhsa_exception_fp_ieee_overflow 0
		.amdhsa_exception_fp_ieee_underflow 0
		.amdhsa_exception_fp_ieee_inexact 0
		.amdhsa_exception_int_div_zero 0
	.end_amdhsa_kernel
	.section	.text._ZN7rocprim17ROCPRIM_400000_NS6detail17trampoline_kernelINS0_14default_configENS1_27lower_bound_config_selectorIslEEZNS1_14transform_implILb0ES3_S5_N6thrust23THRUST_200600_302600_NS6detail15normal_iteratorINS8_7pointerIsNS8_11hip_rocprim5par_tENS8_11use_defaultESE_EEEENSA_INSB_IlSD_SE_SE_EEEEZNS1_13binary_searchIS3_S5_PsSG_SI_NS1_21lower_bound_search_opENS9_16wrapped_functionI11custom_lessbEEEE10hipError_tPvRmT1_T2_T3_mmT4_T5_P12ihipStream_tbEUlRKsE_EESP_ST_SU_mSV_SY_bEUlT_E_NS1_11comp_targetILNS1_3genE4ELNS1_11target_archE910ELNS1_3gpuE8ELNS1_3repE0EEENS1_30default_config_static_selectorELNS0_4arch9wavefront6targetE1EEEvSS_,"axG",@progbits,_ZN7rocprim17ROCPRIM_400000_NS6detail17trampoline_kernelINS0_14default_configENS1_27lower_bound_config_selectorIslEEZNS1_14transform_implILb0ES3_S5_N6thrust23THRUST_200600_302600_NS6detail15normal_iteratorINS8_7pointerIsNS8_11hip_rocprim5par_tENS8_11use_defaultESE_EEEENSA_INSB_IlSD_SE_SE_EEEEZNS1_13binary_searchIS3_S5_PsSG_SI_NS1_21lower_bound_search_opENS9_16wrapped_functionI11custom_lessbEEEE10hipError_tPvRmT1_T2_T3_mmT4_T5_P12ihipStream_tbEUlRKsE_EESP_ST_SU_mSV_SY_bEUlT_E_NS1_11comp_targetILNS1_3genE4ELNS1_11target_archE910ELNS1_3gpuE8ELNS1_3repE0EEENS1_30default_config_static_selectorELNS0_4arch9wavefront6targetE1EEEvSS_,comdat
.Lfunc_end145:
	.size	_ZN7rocprim17ROCPRIM_400000_NS6detail17trampoline_kernelINS0_14default_configENS1_27lower_bound_config_selectorIslEEZNS1_14transform_implILb0ES3_S5_N6thrust23THRUST_200600_302600_NS6detail15normal_iteratorINS8_7pointerIsNS8_11hip_rocprim5par_tENS8_11use_defaultESE_EEEENSA_INSB_IlSD_SE_SE_EEEEZNS1_13binary_searchIS3_S5_PsSG_SI_NS1_21lower_bound_search_opENS9_16wrapped_functionI11custom_lessbEEEE10hipError_tPvRmT1_T2_T3_mmT4_T5_P12ihipStream_tbEUlRKsE_EESP_ST_SU_mSV_SY_bEUlT_E_NS1_11comp_targetILNS1_3genE4ELNS1_11target_archE910ELNS1_3gpuE8ELNS1_3repE0EEENS1_30default_config_static_selectorELNS0_4arch9wavefront6targetE1EEEvSS_, .Lfunc_end145-_ZN7rocprim17ROCPRIM_400000_NS6detail17trampoline_kernelINS0_14default_configENS1_27lower_bound_config_selectorIslEEZNS1_14transform_implILb0ES3_S5_N6thrust23THRUST_200600_302600_NS6detail15normal_iteratorINS8_7pointerIsNS8_11hip_rocprim5par_tENS8_11use_defaultESE_EEEENSA_INSB_IlSD_SE_SE_EEEEZNS1_13binary_searchIS3_S5_PsSG_SI_NS1_21lower_bound_search_opENS9_16wrapped_functionI11custom_lessbEEEE10hipError_tPvRmT1_T2_T3_mmT4_T5_P12ihipStream_tbEUlRKsE_EESP_ST_SU_mSV_SY_bEUlT_E_NS1_11comp_targetILNS1_3genE4ELNS1_11target_archE910ELNS1_3gpuE8ELNS1_3repE0EEENS1_30default_config_static_selectorELNS0_4arch9wavefront6targetE1EEEvSS_
                                        ; -- End function
	.set _ZN7rocprim17ROCPRIM_400000_NS6detail17trampoline_kernelINS0_14default_configENS1_27lower_bound_config_selectorIslEEZNS1_14transform_implILb0ES3_S5_N6thrust23THRUST_200600_302600_NS6detail15normal_iteratorINS8_7pointerIsNS8_11hip_rocprim5par_tENS8_11use_defaultESE_EEEENSA_INSB_IlSD_SE_SE_EEEEZNS1_13binary_searchIS3_S5_PsSG_SI_NS1_21lower_bound_search_opENS9_16wrapped_functionI11custom_lessbEEEE10hipError_tPvRmT1_T2_T3_mmT4_T5_P12ihipStream_tbEUlRKsE_EESP_ST_SU_mSV_SY_bEUlT_E_NS1_11comp_targetILNS1_3genE4ELNS1_11target_archE910ELNS1_3gpuE8ELNS1_3repE0EEENS1_30default_config_static_selectorELNS0_4arch9wavefront6targetE1EEEvSS_.num_vgpr, 0
	.set _ZN7rocprim17ROCPRIM_400000_NS6detail17trampoline_kernelINS0_14default_configENS1_27lower_bound_config_selectorIslEEZNS1_14transform_implILb0ES3_S5_N6thrust23THRUST_200600_302600_NS6detail15normal_iteratorINS8_7pointerIsNS8_11hip_rocprim5par_tENS8_11use_defaultESE_EEEENSA_INSB_IlSD_SE_SE_EEEEZNS1_13binary_searchIS3_S5_PsSG_SI_NS1_21lower_bound_search_opENS9_16wrapped_functionI11custom_lessbEEEE10hipError_tPvRmT1_T2_T3_mmT4_T5_P12ihipStream_tbEUlRKsE_EESP_ST_SU_mSV_SY_bEUlT_E_NS1_11comp_targetILNS1_3genE4ELNS1_11target_archE910ELNS1_3gpuE8ELNS1_3repE0EEENS1_30default_config_static_selectorELNS0_4arch9wavefront6targetE1EEEvSS_.num_agpr, 0
	.set _ZN7rocprim17ROCPRIM_400000_NS6detail17trampoline_kernelINS0_14default_configENS1_27lower_bound_config_selectorIslEEZNS1_14transform_implILb0ES3_S5_N6thrust23THRUST_200600_302600_NS6detail15normal_iteratorINS8_7pointerIsNS8_11hip_rocprim5par_tENS8_11use_defaultESE_EEEENSA_INSB_IlSD_SE_SE_EEEEZNS1_13binary_searchIS3_S5_PsSG_SI_NS1_21lower_bound_search_opENS9_16wrapped_functionI11custom_lessbEEEE10hipError_tPvRmT1_T2_T3_mmT4_T5_P12ihipStream_tbEUlRKsE_EESP_ST_SU_mSV_SY_bEUlT_E_NS1_11comp_targetILNS1_3genE4ELNS1_11target_archE910ELNS1_3gpuE8ELNS1_3repE0EEENS1_30default_config_static_selectorELNS0_4arch9wavefront6targetE1EEEvSS_.numbered_sgpr, 0
	.set _ZN7rocprim17ROCPRIM_400000_NS6detail17trampoline_kernelINS0_14default_configENS1_27lower_bound_config_selectorIslEEZNS1_14transform_implILb0ES3_S5_N6thrust23THRUST_200600_302600_NS6detail15normal_iteratorINS8_7pointerIsNS8_11hip_rocprim5par_tENS8_11use_defaultESE_EEEENSA_INSB_IlSD_SE_SE_EEEEZNS1_13binary_searchIS3_S5_PsSG_SI_NS1_21lower_bound_search_opENS9_16wrapped_functionI11custom_lessbEEEE10hipError_tPvRmT1_T2_T3_mmT4_T5_P12ihipStream_tbEUlRKsE_EESP_ST_SU_mSV_SY_bEUlT_E_NS1_11comp_targetILNS1_3genE4ELNS1_11target_archE910ELNS1_3gpuE8ELNS1_3repE0EEENS1_30default_config_static_selectorELNS0_4arch9wavefront6targetE1EEEvSS_.num_named_barrier, 0
	.set _ZN7rocprim17ROCPRIM_400000_NS6detail17trampoline_kernelINS0_14default_configENS1_27lower_bound_config_selectorIslEEZNS1_14transform_implILb0ES3_S5_N6thrust23THRUST_200600_302600_NS6detail15normal_iteratorINS8_7pointerIsNS8_11hip_rocprim5par_tENS8_11use_defaultESE_EEEENSA_INSB_IlSD_SE_SE_EEEEZNS1_13binary_searchIS3_S5_PsSG_SI_NS1_21lower_bound_search_opENS9_16wrapped_functionI11custom_lessbEEEE10hipError_tPvRmT1_T2_T3_mmT4_T5_P12ihipStream_tbEUlRKsE_EESP_ST_SU_mSV_SY_bEUlT_E_NS1_11comp_targetILNS1_3genE4ELNS1_11target_archE910ELNS1_3gpuE8ELNS1_3repE0EEENS1_30default_config_static_selectorELNS0_4arch9wavefront6targetE1EEEvSS_.private_seg_size, 0
	.set _ZN7rocprim17ROCPRIM_400000_NS6detail17trampoline_kernelINS0_14default_configENS1_27lower_bound_config_selectorIslEEZNS1_14transform_implILb0ES3_S5_N6thrust23THRUST_200600_302600_NS6detail15normal_iteratorINS8_7pointerIsNS8_11hip_rocprim5par_tENS8_11use_defaultESE_EEEENSA_INSB_IlSD_SE_SE_EEEEZNS1_13binary_searchIS3_S5_PsSG_SI_NS1_21lower_bound_search_opENS9_16wrapped_functionI11custom_lessbEEEE10hipError_tPvRmT1_T2_T3_mmT4_T5_P12ihipStream_tbEUlRKsE_EESP_ST_SU_mSV_SY_bEUlT_E_NS1_11comp_targetILNS1_3genE4ELNS1_11target_archE910ELNS1_3gpuE8ELNS1_3repE0EEENS1_30default_config_static_selectorELNS0_4arch9wavefront6targetE1EEEvSS_.uses_vcc, 0
	.set _ZN7rocprim17ROCPRIM_400000_NS6detail17trampoline_kernelINS0_14default_configENS1_27lower_bound_config_selectorIslEEZNS1_14transform_implILb0ES3_S5_N6thrust23THRUST_200600_302600_NS6detail15normal_iteratorINS8_7pointerIsNS8_11hip_rocprim5par_tENS8_11use_defaultESE_EEEENSA_INSB_IlSD_SE_SE_EEEEZNS1_13binary_searchIS3_S5_PsSG_SI_NS1_21lower_bound_search_opENS9_16wrapped_functionI11custom_lessbEEEE10hipError_tPvRmT1_T2_T3_mmT4_T5_P12ihipStream_tbEUlRKsE_EESP_ST_SU_mSV_SY_bEUlT_E_NS1_11comp_targetILNS1_3genE4ELNS1_11target_archE910ELNS1_3gpuE8ELNS1_3repE0EEENS1_30default_config_static_selectorELNS0_4arch9wavefront6targetE1EEEvSS_.uses_flat_scratch, 0
	.set _ZN7rocprim17ROCPRIM_400000_NS6detail17trampoline_kernelINS0_14default_configENS1_27lower_bound_config_selectorIslEEZNS1_14transform_implILb0ES3_S5_N6thrust23THRUST_200600_302600_NS6detail15normal_iteratorINS8_7pointerIsNS8_11hip_rocprim5par_tENS8_11use_defaultESE_EEEENSA_INSB_IlSD_SE_SE_EEEEZNS1_13binary_searchIS3_S5_PsSG_SI_NS1_21lower_bound_search_opENS9_16wrapped_functionI11custom_lessbEEEE10hipError_tPvRmT1_T2_T3_mmT4_T5_P12ihipStream_tbEUlRKsE_EESP_ST_SU_mSV_SY_bEUlT_E_NS1_11comp_targetILNS1_3genE4ELNS1_11target_archE910ELNS1_3gpuE8ELNS1_3repE0EEENS1_30default_config_static_selectorELNS0_4arch9wavefront6targetE1EEEvSS_.has_dyn_sized_stack, 0
	.set _ZN7rocprim17ROCPRIM_400000_NS6detail17trampoline_kernelINS0_14default_configENS1_27lower_bound_config_selectorIslEEZNS1_14transform_implILb0ES3_S5_N6thrust23THRUST_200600_302600_NS6detail15normal_iteratorINS8_7pointerIsNS8_11hip_rocprim5par_tENS8_11use_defaultESE_EEEENSA_INSB_IlSD_SE_SE_EEEEZNS1_13binary_searchIS3_S5_PsSG_SI_NS1_21lower_bound_search_opENS9_16wrapped_functionI11custom_lessbEEEE10hipError_tPvRmT1_T2_T3_mmT4_T5_P12ihipStream_tbEUlRKsE_EESP_ST_SU_mSV_SY_bEUlT_E_NS1_11comp_targetILNS1_3genE4ELNS1_11target_archE910ELNS1_3gpuE8ELNS1_3repE0EEENS1_30default_config_static_selectorELNS0_4arch9wavefront6targetE1EEEvSS_.has_recursion, 0
	.set _ZN7rocprim17ROCPRIM_400000_NS6detail17trampoline_kernelINS0_14default_configENS1_27lower_bound_config_selectorIslEEZNS1_14transform_implILb0ES3_S5_N6thrust23THRUST_200600_302600_NS6detail15normal_iteratorINS8_7pointerIsNS8_11hip_rocprim5par_tENS8_11use_defaultESE_EEEENSA_INSB_IlSD_SE_SE_EEEEZNS1_13binary_searchIS3_S5_PsSG_SI_NS1_21lower_bound_search_opENS9_16wrapped_functionI11custom_lessbEEEE10hipError_tPvRmT1_T2_T3_mmT4_T5_P12ihipStream_tbEUlRKsE_EESP_ST_SU_mSV_SY_bEUlT_E_NS1_11comp_targetILNS1_3genE4ELNS1_11target_archE910ELNS1_3gpuE8ELNS1_3repE0EEENS1_30default_config_static_selectorELNS0_4arch9wavefront6targetE1EEEvSS_.has_indirect_call, 0
	.section	.AMDGPU.csdata,"",@progbits
; Kernel info:
; codeLenInByte = 0
; TotalNumSgprs: 4
; NumVgprs: 0
; ScratchSize: 0
; MemoryBound: 0
; FloatMode: 240
; IeeeMode: 1
; LDSByteSize: 0 bytes/workgroup (compile time only)
; SGPRBlocks: 0
; VGPRBlocks: 0
; NumSGPRsForWavesPerEU: 4
; NumVGPRsForWavesPerEU: 1
; Occupancy: 10
; WaveLimiterHint : 0
; COMPUTE_PGM_RSRC2:SCRATCH_EN: 0
; COMPUTE_PGM_RSRC2:USER_SGPR: 6
; COMPUTE_PGM_RSRC2:TRAP_HANDLER: 0
; COMPUTE_PGM_RSRC2:TGID_X_EN: 1
; COMPUTE_PGM_RSRC2:TGID_Y_EN: 0
; COMPUTE_PGM_RSRC2:TGID_Z_EN: 0
; COMPUTE_PGM_RSRC2:TIDIG_COMP_CNT: 0
	.section	.text._ZN7rocprim17ROCPRIM_400000_NS6detail17trampoline_kernelINS0_14default_configENS1_27lower_bound_config_selectorIslEEZNS1_14transform_implILb0ES3_S5_N6thrust23THRUST_200600_302600_NS6detail15normal_iteratorINS8_7pointerIsNS8_11hip_rocprim5par_tENS8_11use_defaultESE_EEEENSA_INSB_IlSD_SE_SE_EEEEZNS1_13binary_searchIS3_S5_PsSG_SI_NS1_21lower_bound_search_opENS9_16wrapped_functionI11custom_lessbEEEE10hipError_tPvRmT1_T2_T3_mmT4_T5_P12ihipStream_tbEUlRKsE_EESP_ST_SU_mSV_SY_bEUlT_E_NS1_11comp_targetILNS1_3genE3ELNS1_11target_archE908ELNS1_3gpuE7ELNS1_3repE0EEENS1_30default_config_static_selectorELNS0_4arch9wavefront6targetE1EEEvSS_,"axG",@progbits,_ZN7rocprim17ROCPRIM_400000_NS6detail17trampoline_kernelINS0_14default_configENS1_27lower_bound_config_selectorIslEEZNS1_14transform_implILb0ES3_S5_N6thrust23THRUST_200600_302600_NS6detail15normal_iteratorINS8_7pointerIsNS8_11hip_rocprim5par_tENS8_11use_defaultESE_EEEENSA_INSB_IlSD_SE_SE_EEEEZNS1_13binary_searchIS3_S5_PsSG_SI_NS1_21lower_bound_search_opENS9_16wrapped_functionI11custom_lessbEEEE10hipError_tPvRmT1_T2_T3_mmT4_T5_P12ihipStream_tbEUlRKsE_EESP_ST_SU_mSV_SY_bEUlT_E_NS1_11comp_targetILNS1_3genE3ELNS1_11target_archE908ELNS1_3gpuE7ELNS1_3repE0EEENS1_30default_config_static_selectorELNS0_4arch9wavefront6targetE1EEEvSS_,comdat
	.protected	_ZN7rocprim17ROCPRIM_400000_NS6detail17trampoline_kernelINS0_14default_configENS1_27lower_bound_config_selectorIslEEZNS1_14transform_implILb0ES3_S5_N6thrust23THRUST_200600_302600_NS6detail15normal_iteratorINS8_7pointerIsNS8_11hip_rocprim5par_tENS8_11use_defaultESE_EEEENSA_INSB_IlSD_SE_SE_EEEEZNS1_13binary_searchIS3_S5_PsSG_SI_NS1_21lower_bound_search_opENS9_16wrapped_functionI11custom_lessbEEEE10hipError_tPvRmT1_T2_T3_mmT4_T5_P12ihipStream_tbEUlRKsE_EESP_ST_SU_mSV_SY_bEUlT_E_NS1_11comp_targetILNS1_3genE3ELNS1_11target_archE908ELNS1_3gpuE7ELNS1_3repE0EEENS1_30default_config_static_selectorELNS0_4arch9wavefront6targetE1EEEvSS_ ; -- Begin function _ZN7rocprim17ROCPRIM_400000_NS6detail17trampoline_kernelINS0_14default_configENS1_27lower_bound_config_selectorIslEEZNS1_14transform_implILb0ES3_S5_N6thrust23THRUST_200600_302600_NS6detail15normal_iteratorINS8_7pointerIsNS8_11hip_rocprim5par_tENS8_11use_defaultESE_EEEENSA_INSB_IlSD_SE_SE_EEEEZNS1_13binary_searchIS3_S5_PsSG_SI_NS1_21lower_bound_search_opENS9_16wrapped_functionI11custom_lessbEEEE10hipError_tPvRmT1_T2_T3_mmT4_T5_P12ihipStream_tbEUlRKsE_EESP_ST_SU_mSV_SY_bEUlT_E_NS1_11comp_targetILNS1_3genE3ELNS1_11target_archE908ELNS1_3gpuE7ELNS1_3repE0EEENS1_30default_config_static_selectorELNS0_4arch9wavefront6targetE1EEEvSS_
	.globl	_ZN7rocprim17ROCPRIM_400000_NS6detail17trampoline_kernelINS0_14default_configENS1_27lower_bound_config_selectorIslEEZNS1_14transform_implILb0ES3_S5_N6thrust23THRUST_200600_302600_NS6detail15normal_iteratorINS8_7pointerIsNS8_11hip_rocprim5par_tENS8_11use_defaultESE_EEEENSA_INSB_IlSD_SE_SE_EEEEZNS1_13binary_searchIS3_S5_PsSG_SI_NS1_21lower_bound_search_opENS9_16wrapped_functionI11custom_lessbEEEE10hipError_tPvRmT1_T2_T3_mmT4_T5_P12ihipStream_tbEUlRKsE_EESP_ST_SU_mSV_SY_bEUlT_E_NS1_11comp_targetILNS1_3genE3ELNS1_11target_archE908ELNS1_3gpuE7ELNS1_3repE0EEENS1_30default_config_static_selectorELNS0_4arch9wavefront6targetE1EEEvSS_
	.p2align	8
	.type	_ZN7rocprim17ROCPRIM_400000_NS6detail17trampoline_kernelINS0_14default_configENS1_27lower_bound_config_selectorIslEEZNS1_14transform_implILb0ES3_S5_N6thrust23THRUST_200600_302600_NS6detail15normal_iteratorINS8_7pointerIsNS8_11hip_rocprim5par_tENS8_11use_defaultESE_EEEENSA_INSB_IlSD_SE_SE_EEEEZNS1_13binary_searchIS3_S5_PsSG_SI_NS1_21lower_bound_search_opENS9_16wrapped_functionI11custom_lessbEEEE10hipError_tPvRmT1_T2_T3_mmT4_T5_P12ihipStream_tbEUlRKsE_EESP_ST_SU_mSV_SY_bEUlT_E_NS1_11comp_targetILNS1_3genE3ELNS1_11target_archE908ELNS1_3gpuE7ELNS1_3repE0EEENS1_30default_config_static_selectorELNS0_4arch9wavefront6targetE1EEEvSS_,@function
_ZN7rocprim17ROCPRIM_400000_NS6detail17trampoline_kernelINS0_14default_configENS1_27lower_bound_config_selectorIslEEZNS1_14transform_implILb0ES3_S5_N6thrust23THRUST_200600_302600_NS6detail15normal_iteratorINS8_7pointerIsNS8_11hip_rocprim5par_tENS8_11use_defaultESE_EEEENSA_INSB_IlSD_SE_SE_EEEEZNS1_13binary_searchIS3_S5_PsSG_SI_NS1_21lower_bound_search_opENS9_16wrapped_functionI11custom_lessbEEEE10hipError_tPvRmT1_T2_T3_mmT4_T5_P12ihipStream_tbEUlRKsE_EESP_ST_SU_mSV_SY_bEUlT_E_NS1_11comp_targetILNS1_3genE3ELNS1_11target_archE908ELNS1_3gpuE7ELNS1_3repE0EEENS1_30default_config_static_selectorELNS0_4arch9wavefront6targetE1EEEvSS_: ; @_ZN7rocprim17ROCPRIM_400000_NS6detail17trampoline_kernelINS0_14default_configENS1_27lower_bound_config_selectorIslEEZNS1_14transform_implILb0ES3_S5_N6thrust23THRUST_200600_302600_NS6detail15normal_iteratorINS8_7pointerIsNS8_11hip_rocprim5par_tENS8_11use_defaultESE_EEEENSA_INSB_IlSD_SE_SE_EEEEZNS1_13binary_searchIS3_S5_PsSG_SI_NS1_21lower_bound_search_opENS9_16wrapped_functionI11custom_lessbEEEE10hipError_tPvRmT1_T2_T3_mmT4_T5_P12ihipStream_tbEUlRKsE_EESP_ST_SU_mSV_SY_bEUlT_E_NS1_11comp_targetILNS1_3genE3ELNS1_11target_archE908ELNS1_3gpuE7ELNS1_3repE0EEENS1_30default_config_static_selectorELNS0_4arch9wavefront6targetE1EEEvSS_
; %bb.0:
	.section	.rodata,"a",@progbits
	.p2align	6, 0x0
	.amdhsa_kernel _ZN7rocprim17ROCPRIM_400000_NS6detail17trampoline_kernelINS0_14default_configENS1_27lower_bound_config_selectorIslEEZNS1_14transform_implILb0ES3_S5_N6thrust23THRUST_200600_302600_NS6detail15normal_iteratorINS8_7pointerIsNS8_11hip_rocprim5par_tENS8_11use_defaultESE_EEEENSA_INSB_IlSD_SE_SE_EEEEZNS1_13binary_searchIS3_S5_PsSG_SI_NS1_21lower_bound_search_opENS9_16wrapped_functionI11custom_lessbEEEE10hipError_tPvRmT1_T2_T3_mmT4_T5_P12ihipStream_tbEUlRKsE_EESP_ST_SU_mSV_SY_bEUlT_E_NS1_11comp_targetILNS1_3genE3ELNS1_11target_archE908ELNS1_3gpuE7ELNS1_3repE0EEENS1_30default_config_static_selectorELNS0_4arch9wavefront6targetE1EEEvSS_
		.amdhsa_group_segment_fixed_size 0
		.amdhsa_private_segment_fixed_size 0
		.amdhsa_kernarg_size 56
		.amdhsa_user_sgpr_count 6
		.amdhsa_user_sgpr_private_segment_buffer 1
		.amdhsa_user_sgpr_dispatch_ptr 0
		.amdhsa_user_sgpr_queue_ptr 0
		.amdhsa_user_sgpr_kernarg_segment_ptr 1
		.amdhsa_user_sgpr_dispatch_id 0
		.amdhsa_user_sgpr_flat_scratch_init 0
		.amdhsa_user_sgpr_private_segment_size 0
		.amdhsa_uses_dynamic_stack 0
		.amdhsa_system_sgpr_private_segment_wavefront_offset 0
		.amdhsa_system_sgpr_workgroup_id_x 1
		.amdhsa_system_sgpr_workgroup_id_y 0
		.amdhsa_system_sgpr_workgroup_id_z 0
		.amdhsa_system_sgpr_workgroup_info 0
		.amdhsa_system_vgpr_workitem_id 0
		.amdhsa_next_free_vgpr 1
		.amdhsa_next_free_sgpr 0
		.amdhsa_reserve_vcc 0
		.amdhsa_reserve_flat_scratch 0
		.amdhsa_float_round_mode_32 0
		.amdhsa_float_round_mode_16_64 0
		.amdhsa_float_denorm_mode_32 3
		.amdhsa_float_denorm_mode_16_64 3
		.amdhsa_dx10_clamp 1
		.amdhsa_ieee_mode 1
		.amdhsa_fp16_overflow 0
		.amdhsa_exception_fp_ieee_invalid_op 0
		.amdhsa_exception_fp_denorm_src 0
		.amdhsa_exception_fp_ieee_div_zero 0
		.amdhsa_exception_fp_ieee_overflow 0
		.amdhsa_exception_fp_ieee_underflow 0
		.amdhsa_exception_fp_ieee_inexact 0
		.amdhsa_exception_int_div_zero 0
	.end_amdhsa_kernel
	.section	.text._ZN7rocprim17ROCPRIM_400000_NS6detail17trampoline_kernelINS0_14default_configENS1_27lower_bound_config_selectorIslEEZNS1_14transform_implILb0ES3_S5_N6thrust23THRUST_200600_302600_NS6detail15normal_iteratorINS8_7pointerIsNS8_11hip_rocprim5par_tENS8_11use_defaultESE_EEEENSA_INSB_IlSD_SE_SE_EEEEZNS1_13binary_searchIS3_S5_PsSG_SI_NS1_21lower_bound_search_opENS9_16wrapped_functionI11custom_lessbEEEE10hipError_tPvRmT1_T2_T3_mmT4_T5_P12ihipStream_tbEUlRKsE_EESP_ST_SU_mSV_SY_bEUlT_E_NS1_11comp_targetILNS1_3genE3ELNS1_11target_archE908ELNS1_3gpuE7ELNS1_3repE0EEENS1_30default_config_static_selectorELNS0_4arch9wavefront6targetE1EEEvSS_,"axG",@progbits,_ZN7rocprim17ROCPRIM_400000_NS6detail17trampoline_kernelINS0_14default_configENS1_27lower_bound_config_selectorIslEEZNS1_14transform_implILb0ES3_S5_N6thrust23THRUST_200600_302600_NS6detail15normal_iteratorINS8_7pointerIsNS8_11hip_rocprim5par_tENS8_11use_defaultESE_EEEENSA_INSB_IlSD_SE_SE_EEEEZNS1_13binary_searchIS3_S5_PsSG_SI_NS1_21lower_bound_search_opENS9_16wrapped_functionI11custom_lessbEEEE10hipError_tPvRmT1_T2_T3_mmT4_T5_P12ihipStream_tbEUlRKsE_EESP_ST_SU_mSV_SY_bEUlT_E_NS1_11comp_targetILNS1_3genE3ELNS1_11target_archE908ELNS1_3gpuE7ELNS1_3repE0EEENS1_30default_config_static_selectorELNS0_4arch9wavefront6targetE1EEEvSS_,comdat
.Lfunc_end146:
	.size	_ZN7rocprim17ROCPRIM_400000_NS6detail17trampoline_kernelINS0_14default_configENS1_27lower_bound_config_selectorIslEEZNS1_14transform_implILb0ES3_S5_N6thrust23THRUST_200600_302600_NS6detail15normal_iteratorINS8_7pointerIsNS8_11hip_rocprim5par_tENS8_11use_defaultESE_EEEENSA_INSB_IlSD_SE_SE_EEEEZNS1_13binary_searchIS3_S5_PsSG_SI_NS1_21lower_bound_search_opENS9_16wrapped_functionI11custom_lessbEEEE10hipError_tPvRmT1_T2_T3_mmT4_T5_P12ihipStream_tbEUlRKsE_EESP_ST_SU_mSV_SY_bEUlT_E_NS1_11comp_targetILNS1_3genE3ELNS1_11target_archE908ELNS1_3gpuE7ELNS1_3repE0EEENS1_30default_config_static_selectorELNS0_4arch9wavefront6targetE1EEEvSS_, .Lfunc_end146-_ZN7rocprim17ROCPRIM_400000_NS6detail17trampoline_kernelINS0_14default_configENS1_27lower_bound_config_selectorIslEEZNS1_14transform_implILb0ES3_S5_N6thrust23THRUST_200600_302600_NS6detail15normal_iteratorINS8_7pointerIsNS8_11hip_rocprim5par_tENS8_11use_defaultESE_EEEENSA_INSB_IlSD_SE_SE_EEEEZNS1_13binary_searchIS3_S5_PsSG_SI_NS1_21lower_bound_search_opENS9_16wrapped_functionI11custom_lessbEEEE10hipError_tPvRmT1_T2_T3_mmT4_T5_P12ihipStream_tbEUlRKsE_EESP_ST_SU_mSV_SY_bEUlT_E_NS1_11comp_targetILNS1_3genE3ELNS1_11target_archE908ELNS1_3gpuE7ELNS1_3repE0EEENS1_30default_config_static_selectorELNS0_4arch9wavefront6targetE1EEEvSS_
                                        ; -- End function
	.set _ZN7rocprim17ROCPRIM_400000_NS6detail17trampoline_kernelINS0_14default_configENS1_27lower_bound_config_selectorIslEEZNS1_14transform_implILb0ES3_S5_N6thrust23THRUST_200600_302600_NS6detail15normal_iteratorINS8_7pointerIsNS8_11hip_rocprim5par_tENS8_11use_defaultESE_EEEENSA_INSB_IlSD_SE_SE_EEEEZNS1_13binary_searchIS3_S5_PsSG_SI_NS1_21lower_bound_search_opENS9_16wrapped_functionI11custom_lessbEEEE10hipError_tPvRmT1_T2_T3_mmT4_T5_P12ihipStream_tbEUlRKsE_EESP_ST_SU_mSV_SY_bEUlT_E_NS1_11comp_targetILNS1_3genE3ELNS1_11target_archE908ELNS1_3gpuE7ELNS1_3repE0EEENS1_30default_config_static_selectorELNS0_4arch9wavefront6targetE1EEEvSS_.num_vgpr, 0
	.set _ZN7rocprim17ROCPRIM_400000_NS6detail17trampoline_kernelINS0_14default_configENS1_27lower_bound_config_selectorIslEEZNS1_14transform_implILb0ES3_S5_N6thrust23THRUST_200600_302600_NS6detail15normal_iteratorINS8_7pointerIsNS8_11hip_rocprim5par_tENS8_11use_defaultESE_EEEENSA_INSB_IlSD_SE_SE_EEEEZNS1_13binary_searchIS3_S5_PsSG_SI_NS1_21lower_bound_search_opENS9_16wrapped_functionI11custom_lessbEEEE10hipError_tPvRmT1_T2_T3_mmT4_T5_P12ihipStream_tbEUlRKsE_EESP_ST_SU_mSV_SY_bEUlT_E_NS1_11comp_targetILNS1_3genE3ELNS1_11target_archE908ELNS1_3gpuE7ELNS1_3repE0EEENS1_30default_config_static_selectorELNS0_4arch9wavefront6targetE1EEEvSS_.num_agpr, 0
	.set _ZN7rocprim17ROCPRIM_400000_NS6detail17trampoline_kernelINS0_14default_configENS1_27lower_bound_config_selectorIslEEZNS1_14transform_implILb0ES3_S5_N6thrust23THRUST_200600_302600_NS6detail15normal_iteratorINS8_7pointerIsNS8_11hip_rocprim5par_tENS8_11use_defaultESE_EEEENSA_INSB_IlSD_SE_SE_EEEEZNS1_13binary_searchIS3_S5_PsSG_SI_NS1_21lower_bound_search_opENS9_16wrapped_functionI11custom_lessbEEEE10hipError_tPvRmT1_T2_T3_mmT4_T5_P12ihipStream_tbEUlRKsE_EESP_ST_SU_mSV_SY_bEUlT_E_NS1_11comp_targetILNS1_3genE3ELNS1_11target_archE908ELNS1_3gpuE7ELNS1_3repE0EEENS1_30default_config_static_selectorELNS0_4arch9wavefront6targetE1EEEvSS_.numbered_sgpr, 0
	.set _ZN7rocprim17ROCPRIM_400000_NS6detail17trampoline_kernelINS0_14default_configENS1_27lower_bound_config_selectorIslEEZNS1_14transform_implILb0ES3_S5_N6thrust23THRUST_200600_302600_NS6detail15normal_iteratorINS8_7pointerIsNS8_11hip_rocprim5par_tENS8_11use_defaultESE_EEEENSA_INSB_IlSD_SE_SE_EEEEZNS1_13binary_searchIS3_S5_PsSG_SI_NS1_21lower_bound_search_opENS9_16wrapped_functionI11custom_lessbEEEE10hipError_tPvRmT1_T2_T3_mmT4_T5_P12ihipStream_tbEUlRKsE_EESP_ST_SU_mSV_SY_bEUlT_E_NS1_11comp_targetILNS1_3genE3ELNS1_11target_archE908ELNS1_3gpuE7ELNS1_3repE0EEENS1_30default_config_static_selectorELNS0_4arch9wavefront6targetE1EEEvSS_.num_named_barrier, 0
	.set _ZN7rocprim17ROCPRIM_400000_NS6detail17trampoline_kernelINS0_14default_configENS1_27lower_bound_config_selectorIslEEZNS1_14transform_implILb0ES3_S5_N6thrust23THRUST_200600_302600_NS6detail15normal_iteratorINS8_7pointerIsNS8_11hip_rocprim5par_tENS8_11use_defaultESE_EEEENSA_INSB_IlSD_SE_SE_EEEEZNS1_13binary_searchIS3_S5_PsSG_SI_NS1_21lower_bound_search_opENS9_16wrapped_functionI11custom_lessbEEEE10hipError_tPvRmT1_T2_T3_mmT4_T5_P12ihipStream_tbEUlRKsE_EESP_ST_SU_mSV_SY_bEUlT_E_NS1_11comp_targetILNS1_3genE3ELNS1_11target_archE908ELNS1_3gpuE7ELNS1_3repE0EEENS1_30default_config_static_selectorELNS0_4arch9wavefront6targetE1EEEvSS_.private_seg_size, 0
	.set _ZN7rocprim17ROCPRIM_400000_NS6detail17trampoline_kernelINS0_14default_configENS1_27lower_bound_config_selectorIslEEZNS1_14transform_implILb0ES3_S5_N6thrust23THRUST_200600_302600_NS6detail15normal_iteratorINS8_7pointerIsNS8_11hip_rocprim5par_tENS8_11use_defaultESE_EEEENSA_INSB_IlSD_SE_SE_EEEEZNS1_13binary_searchIS3_S5_PsSG_SI_NS1_21lower_bound_search_opENS9_16wrapped_functionI11custom_lessbEEEE10hipError_tPvRmT1_T2_T3_mmT4_T5_P12ihipStream_tbEUlRKsE_EESP_ST_SU_mSV_SY_bEUlT_E_NS1_11comp_targetILNS1_3genE3ELNS1_11target_archE908ELNS1_3gpuE7ELNS1_3repE0EEENS1_30default_config_static_selectorELNS0_4arch9wavefront6targetE1EEEvSS_.uses_vcc, 0
	.set _ZN7rocprim17ROCPRIM_400000_NS6detail17trampoline_kernelINS0_14default_configENS1_27lower_bound_config_selectorIslEEZNS1_14transform_implILb0ES3_S5_N6thrust23THRUST_200600_302600_NS6detail15normal_iteratorINS8_7pointerIsNS8_11hip_rocprim5par_tENS8_11use_defaultESE_EEEENSA_INSB_IlSD_SE_SE_EEEEZNS1_13binary_searchIS3_S5_PsSG_SI_NS1_21lower_bound_search_opENS9_16wrapped_functionI11custom_lessbEEEE10hipError_tPvRmT1_T2_T3_mmT4_T5_P12ihipStream_tbEUlRKsE_EESP_ST_SU_mSV_SY_bEUlT_E_NS1_11comp_targetILNS1_3genE3ELNS1_11target_archE908ELNS1_3gpuE7ELNS1_3repE0EEENS1_30default_config_static_selectorELNS0_4arch9wavefront6targetE1EEEvSS_.uses_flat_scratch, 0
	.set _ZN7rocprim17ROCPRIM_400000_NS6detail17trampoline_kernelINS0_14default_configENS1_27lower_bound_config_selectorIslEEZNS1_14transform_implILb0ES3_S5_N6thrust23THRUST_200600_302600_NS6detail15normal_iteratorINS8_7pointerIsNS8_11hip_rocprim5par_tENS8_11use_defaultESE_EEEENSA_INSB_IlSD_SE_SE_EEEEZNS1_13binary_searchIS3_S5_PsSG_SI_NS1_21lower_bound_search_opENS9_16wrapped_functionI11custom_lessbEEEE10hipError_tPvRmT1_T2_T3_mmT4_T5_P12ihipStream_tbEUlRKsE_EESP_ST_SU_mSV_SY_bEUlT_E_NS1_11comp_targetILNS1_3genE3ELNS1_11target_archE908ELNS1_3gpuE7ELNS1_3repE0EEENS1_30default_config_static_selectorELNS0_4arch9wavefront6targetE1EEEvSS_.has_dyn_sized_stack, 0
	.set _ZN7rocprim17ROCPRIM_400000_NS6detail17trampoline_kernelINS0_14default_configENS1_27lower_bound_config_selectorIslEEZNS1_14transform_implILb0ES3_S5_N6thrust23THRUST_200600_302600_NS6detail15normal_iteratorINS8_7pointerIsNS8_11hip_rocprim5par_tENS8_11use_defaultESE_EEEENSA_INSB_IlSD_SE_SE_EEEEZNS1_13binary_searchIS3_S5_PsSG_SI_NS1_21lower_bound_search_opENS9_16wrapped_functionI11custom_lessbEEEE10hipError_tPvRmT1_T2_T3_mmT4_T5_P12ihipStream_tbEUlRKsE_EESP_ST_SU_mSV_SY_bEUlT_E_NS1_11comp_targetILNS1_3genE3ELNS1_11target_archE908ELNS1_3gpuE7ELNS1_3repE0EEENS1_30default_config_static_selectorELNS0_4arch9wavefront6targetE1EEEvSS_.has_recursion, 0
	.set _ZN7rocprim17ROCPRIM_400000_NS6detail17trampoline_kernelINS0_14default_configENS1_27lower_bound_config_selectorIslEEZNS1_14transform_implILb0ES3_S5_N6thrust23THRUST_200600_302600_NS6detail15normal_iteratorINS8_7pointerIsNS8_11hip_rocprim5par_tENS8_11use_defaultESE_EEEENSA_INSB_IlSD_SE_SE_EEEEZNS1_13binary_searchIS3_S5_PsSG_SI_NS1_21lower_bound_search_opENS9_16wrapped_functionI11custom_lessbEEEE10hipError_tPvRmT1_T2_T3_mmT4_T5_P12ihipStream_tbEUlRKsE_EESP_ST_SU_mSV_SY_bEUlT_E_NS1_11comp_targetILNS1_3genE3ELNS1_11target_archE908ELNS1_3gpuE7ELNS1_3repE0EEENS1_30default_config_static_selectorELNS0_4arch9wavefront6targetE1EEEvSS_.has_indirect_call, 0
	.section	.AMDGPU.csdata,"",@progbits
; Kernel info:
; codeLenInByte = 0
; TotalNumSgprs: 4
; NumVgprs: 0
; ScratchSize: 0
; MemoryBound: 0
; FloatMode: 240
; IeeeMode: 1
; LDSByteSize: 0 bytes/workgroup (compile time only)
; SGPRBlocks: 0
; VGPRBlocks: 0
; NumSGPRsForWavesPerEU: 4
; NumVGPRsForWavesPerEU: 1
; Occupancy: 10
; WaveLimiterHint : 0
; COMPUTE_PGM_RSRC2:SCRATCH_EN: 0
; COMPUTE_PGM_RSRC2:USER_SGPR: 6
; COMPUTE_PGM_RSRC2:TRAP_HANDLER: 0
; COMPUTE_PGM_RSRC2:TGID_X_EN: 1
; COMPUTE_PGM_RSRC2:TGID_Y_EN: 0
; COMPUTE_PGM_RSRC2:TGID_Z_EN: 0
; COMPUTE_PGM_RSRC2:TIDIG_COMP_CNT: 0
	.section	.text._ZN7rocprim17ROCPRIM_400000_NS6detail17trampoline_kernelINS0_14default_configENS1_27lower_bound_config_selectorIslEEZNS1_14transform_implILb0ES3_S5_N6thrust23THRUST_200600_302600_NS6detail15normal_iteratorINS8_7pointerIsNS8_11hip_rocprim5par_tENS8_11use_defaultESE_EEEENSA_INSB_IlSD_SE_SE_EEEEZNS1_13binary_searchIS3_S5_PsSG_SI_NS1_21lower_bound_search_opENS9_16wrapped_functionI11custom_lessbEEEE10hipError_tPvRmT1_T2_T3_mmT4_T5_P12ihipStream_tbEUlRKsE_EESP_ST_SU_mSV_SY_bEUlT_E_NS1_11comp_targetILNS1_3genE2ELNS1_11target_archE906ELNS1_3gpuE6ELNS1_3repE0EEENS1_30default_config_static_selectorELNS0_4arch9wavefront6targetE1EEEvSS_,"axG",@progbits,_ZN7rocprim17ROCPRIM_400000_NS6detail17trampoline_kernelINS0_14default_configENS1_27lower_bound_config_selectorIslEEZNS1_14transform_implILb0ES3_S5_N6thrust23THRUST_200600_302600_NS6detail15normal_iteratorINS8_7pointerIsNS8_11hip_rocprim5par_tENS8_11use_defaultESE_EEEENSA_INSB_IlSD_SE_SE_EEEEZNS1_13binary_searchIS3_S5_PsSG_SI_NS1_21lower_bound_search_opENS9_16wrapped_functionI11custom_lessbEEEE10hipError_tPvRmT1_T2_T3_mmT4_T5_P12ihipStream_tbEUlRKsE_EESP_ST_SU_mSV_SY_bEUlT_E_NS1_11comp_targetILNS1_3genE2ELNS1_11target_archE906ELNS1_3gpuE6ELNS1_3repE0EEENS1_30default_config_static_selectorELNS0_4arch9wavefront6targetE1EEEvSS_,comdat
	.protected	_ZN7rocprim17ROCPRIM_400000_NS6detail17trampoline_kernelINS0_14default_configENS1_27lower_bound_config_selectorIslEEZNS1_14transform_implILb0ES3_S5_N6thrust23THRUST_200600_302600_NS6detail15normal_iteratorINS8_7pointerIsNS8_11hip_rocprim5par_tENS8_11use_defaultESE_EEEENSA_INSB_IlSD_SE_SE_EEEEZNS1_13binary_searchIS3_S5_PsSG_SI_NS1_21lower_bound_search_opENS9_16wrapped_functionI11custom_lessbEEEE10hipError_tPvRmT1_T2_T3_mmT4_T5_P12ihipStream_tbEUlRKsE_EESP_ST_SU_mSV_SY_bEUlT_E_NS1_11comp_targetILNS1_3genE2ELNS1_11target_archE906ELNS1_3gpuE6ELNS1_3repE0EEENS1_30default_config_static_selectorELNS0_4arch9wavefront6targetE1EEEvSS_ ; -- Begin function _ZN7rocprim17ROCPRIM_400000_NS6detail17trampoline_kernelINS0_14default_configENS1_27lower_bound_config_selectorIslEEZNS1_14transform_implILb0ES3_S5_N6thrust23THRUST_200600_302600_NS6detail15normal_iteratorINS8_7pointerIsNS8_11hip_rocprim5par_tENS8_11use_defaultESE_EEEENSA_INSB_IlSD_SE_SE_EEEEZNS1_13binary_searchIS3_S5_PsSG_SI_NS1_21lower_bound_search_opENS9_16wrapped_functionI11custom_lessbEEEE10hipError_tPvRmT1_T2_T3_mmT4_T5_P12ihipStream_tbEUlRKsE_EESP_ST_SU_mSV_SY_bEUlT_E_NS1_11comp_targetILNS1_3genE2ELNS1_11target_archE906ELNS1_3gpuE6ELNS1_3repE0EEENS1_30default_config_static_selectorELNS0_4arch9wavefront6targetE1EEEvSS_
	.globl	_ZN7rocprim17ROCPRIM_400000_NS6detail17trampoline_kernelINS0_14default_configENS1_27lower_bound_config_selectorIslEEZNS1_14transform_implILb0ES3_S5_N6thrust23THRUST_200600_302600_NS6detail15normal_iteratorINS8_7pointerIsNS8_11hip_rocprim5par_tENS8_11use_defaultESE_EEEENSA_INSB_IlSD_SE_SE_EEEEZNS1_13binary_searchIS3_S5_PsSG_SI_NS1_21lower_bound_search_opENS9_16wrapped_functionI11custom_lessbEEEE10hipError_tPvRmT1_T2_T3_mmT4_T5_P12ihipStream_tbEUlRKsE_EESP_ST_SU_mSV_SY_bEUlT_E_NS1_11comp_targetILNS1_3genE2ELNS1_11target_archE906ELNS1_3gpuE6ELNS1_3repE0EEENS1_30default_config_static_selectorELNS0_4arch9wavefront6targetE1EEEvSS_
	.p2align	8
	.type	_ZN7rocprim17ROCPRIM_400000_NS6detail17trampoline_kernelINS0_14default_configENS1_27lower_bound_config_selectorIslEEZNS1_14transform_implILb0ES3_S5_N6thrust23THRUST_200600_302600_NS6detail15normal_iteratorINS8_7pointerIsNS8_11hip_rocprim5par_tENS8_11use_defaultESE_EEEENSA_INSB_IlSD_SE_SE_EEEEZNS1_13binary_searchIS3_S5_PsSG_SI_NS1_21lower_bound_search_opENS9_16wrapped_functionI11custom_lessbEEEE10hipError_tPvRmT1_T2_T3_mmT4_T5_P12ihipStream_tbEUlRKsE_EESP_ST_SU_mSV_SY_bEUlT_E_NS1_11comp_targetILNS1_3genE2ELNS1_11target_archE906ELNS1_3gpuE6ELNS1_3repE0EEENS1_30default_config_static_selectorELNS0_4arch9wavefront6targetE1EEEvSS_,@function
_ZN7rocprim17ROCPRIM_400000_NS6detail17trampoline_kernelINS0_14default_configENS1_27lower_bound_config_selectorIslEEZNS1_14transform_implILb0ES3_S5_N6thrust23THRUST_200600_302600_NS6detail15normal_iteratorINS8_7pointerIsNS8_11hip_rocprim5par_tENS8_11use_defaultESE_EEEENSA_INSB_IlSD_SE_SE_EEEEZNS1_13binary_searchIS3_S5_PsSG_SI_NS1_21lower_bound_search_opENS9_16wrapped_functionI11custom_lessbEEEE10hipError_tPvRmT1_T2_T3_mmT4_T5_P12ihipStream_tbEUlRKsE_EESP_ST_SU_mSV_SY_bEUlT_E_NS1_11comp_targetILNS1_3genE2ELNS1_11target_archE906ELNS1_3gpuE6ELNS1_3repE0EEENS1_30default_config_static_selectorELNS0_4arch9wavefront6targetE1EEEvSS_: ; @_ZN7rocprim17ROCPRIM_400000_NS6detail17trampoline_kernelINS0_14default_configENS1_27lower_bound_config_selectorIslEEZNS1_14transform_implILb0ES3_S5_N6thrust23THRUST_200600_302600_NS6detail15normal_iteratorINS8_7pointerIsNS8_11hip_rocprim5par_tENS8_11use_defaultESE_EEEENSA_INSB_IlSD_SE_SE_EEEEZNS1_13binary_searchIS3_S5_PsSG_SI_NS1_21lower_bound_search_opENS9_16wrapped_functionI11custom_lessbEEEE10hipError_tPvRmT1_T2_T3_mmT4_T5_P12ihipStream_tbEUlRKsE_EESP_ST_SU_mSV_SY_bEUlT_E_NS1_11comp_targetILNS1_3genE2ELNS1_11target_archE906ELNS1_3gpuE6ELNS1_3repE0EEENS1_30default_config_static_selectorELNS0_4arch9wavefront6targetE1EEEvSS_
; %bb.0:
	s_load_dwordx8 s[8:15], s[4:5], 0x0
	s_load_dwordx4 s[16:19], s[4:5], 0x20
	s_load_dword s2, s[4:5], 0x38
	s_waitcnt lgkmcnt(0)
	s_lshl_b64 s[0:1], s[10:11], 1
	s_add_u32 s3, s8, s0
	s_addc_u32 s4, s9, s1
	s_lshl_b64 s[0:1], s[10:11], 3
	s_add_u32 s20, s14, s0
	s_addc_u32 s21, s15, s1
	s_lshl_b32 s8, s6, 10
	s_mov_b32 s9, 0
	s_add_i32 s2, s2, -1
	s_lshl_b64 s[0:1], s[8:9], 1
	s_add_u32 s13, s3, s0
	s_addc_u32 s14, s4, s1
	s_cmp_lg_u32 s6, s2
	s_cbranch_scc0 .LBB147_14
; %bb.1:
	v_lshlrev_b32_e32 v1, 1, v0
	v_mov_b32_e32 v2, s14
	v_add_co_u32_e32 v1, vcc, s13, v1
	v_addc_co_u32_e32 v2, vcc, 0, v2, vcc
	flat_load_ushort v7, v[1:2] offset:512
	flat_load_ushort v9, v[1:2] offset:1024
	;; [unrolled: 1-line block ×3, first 2 shown]
	s_cmp_lg_u64 s[18:19], 0
	s_cselect_b64 s[2:3], -1, 0
	s_cmp_eq_u64 s[18:19], 0
	s_mov_b64 s[0:1], 0
	s_cbranch_scc1 .LBB147_15
; %bb.2:
	flat_load_ushort v5, v[1:2]
	v_mov_b32_e32 v1, 0
	v_mov_b32_e32 v3, s18
	;; [unrolled: 1-line block ×5, first 2 shown]
.LBB147_3:                              ; =>This Inner Loop Header: Depth=1
	v_sub_co_u32_e32 v12, vcc, v3, v1
	v_subb_co_u32_e32 v13, vcc, v4, v2, vcc
	v_lshrrev_b64 v[14:15], 1, v[12:13]
	v_lshrrev_b64 v[12:13], 6, v[12:13]
	v_add_co_u32_e32 v8, vcc, v14, v1
	v_addc_co_u32_e32 v10, vcc, v15, v2, vcc
	v_add_co_u32_e32 v12, vcc, v8, v12
	v_addc_co_u32_e32 v13, vcc, v10, v13, vcc
	v_lshlrev_b64 v[14:15], 1, v[12:13]
	v_add_co_u32_e32 v14, vcc, s16, v14
	v_addc_co_u32_e32 v15, vcc, v6, v15, vcc
	global_load_ushort v8, v[14:15], off
	v_add_co_u32_e32 v10, vcc, 1, v12
	v_addc_co_u32_e32 v14, vcc, 0, v13, vcc
	s_waitcnt vmcnt(0) lgkmcnt(0)
	v_cmp_lt_i16_e32 vcc, v8, v5
	v_cndmask_b32_e32 v4, v13, v4, vcc
	v_cndmask_b32_e32 v3, v12, v3, vcc
	;; [unrolled: 1-line block ×4, first 2 shown]
	v_cmp_ge_u64_e32 vcc, v[1:2], v[3:4]
	s_or_b64 s[0:1], vcc, s[0:1]
	s_andn2_b64 exec, exec, s[0:1]
	s_cbranch_execnz .LBB147_3
; %bb.4:
	s_or_b64 exec, exec, s[0:1]
	v_cndmask_b32_e64 v3, 0, 1, s[2:3]
	v_cmp_ne_u32_e64 s[0:1], 1, v3
	s_andn2_b64 vcc, exec, s[2:3]
	s_cbranch_vccnz .LBB147_16
.LBB147_5:
	v_mov_b32_e32 v3, 0
	v_mov_b32_e32 v5, s18
	s_mov_b64 s[2:3], 0
	v_mov_b32_e32 v4, 0
	v_mov_b32_e32 v6, s19
	;; [unrolled: 1-line block ×3, first 2 shown]
.LBB147_6:                              ; =>This Inner Loop Header: Depth=1
	v_sub_co_u32_e32 v12, vcc, v5, v3
	v_subb_co_u32_e32 v13, vcc, v6, v4, vcc
	v_lshrrev_b64 v[14:15], 1, v[12:13]
	v_lshrrev_b64 v[12:13], 6, v[12:13]
	v_add_co_u32_e32 v10, vcc, v14, v3
	v_addc_co_u32_e32 v14, vcc, v15, v4, vcc
	v_add_co_u32_e32 v12, vcc, v10, v12
	v_addc_co_u32_e32 v13, vcc, v14, v13, vcc
	v_lshlrev_b64 v[14:15], 1, v[12:13]
	v_add_co_u32_e32 v14, vcc, s16, v14
	v_addc_co_u32_e32 v15, vcc, v8, v15, vcc
	global_load_ushort v10, v[14:15], off
	v_add_co_u32_e32 v14, vcc, 1, v12
	v_addc_co_u32_e32 v15, vcc, 0, v13, vcc
	s_waitcnt vmcnt(0) lgkmcnt(0)
	v_cmp_lt_i16_e32 vcc, v10, v7
	v_cndmask_b32_e32 v6, v13, v6, vcc
	v_cndmask_b32_e32 v5, v12, v5, vcc
	;; [unrolled: 1-line block ×4, first 2 shown]
	v_cmp_ge_u64_e32 vcc, v[3:4], v[5:6]
	s_or_b64 s[2:3], vcc, s[2:3]
	s_andn2_b64 exec, exec, s[2:3]
	s_cbranch_execnz .LBB147_6
; %bb.7:
	s_or_b64 exec, exec, s[2:3]
	s_and_b64 vcc, exec, s[0:1]
	s_cbranch_vccnz .LBB147_17
.LBB147_8:
	v_mov_b32_e32 v5, 0
	s_waitcnt vmcnt(0) lgkmcnt(0)
	v_mov_b32_e32 v7, s18
	s_mov_b64 s[2:3], 0
	v_mov_b32_e32 v6, 0
	v_mov_b32_e32 v8, s19
	;; [unrolled: 1-line block ×3, first 2 shown]
.LBB147_9:                              ; =>This Inner Loop Header: Depth=1
	v_sub_co_u32_e32 v12, vcc, v7, v5
	v_subb_co_u32_e32 v13, vcc, v8, v6, vcc
	v_lshrrev_b64 v[14:15], 1, v[12:13]
	v_lshrrev_b64 v[12:13], 6, v[12:13]
	v_add_co_u32_e32 v14, vcc, v14, v5
	v_addc_co_u32_e32 v15, vcc, v15, v6, vcc
	v_add_co_u32_e32 v12, vcc, v14, v12
	v_addc_co_u32_e32 v13, vcc, v15, v13, vcc
	v_lshlrev_b64 v[14:15], 1, v[12:13]
	v_add_co_u32_e32 v14, vcc, s16, v14
	v_addc_co_u32_e32 v15, vcc, v10, v15, vcc
	global_load_ushort v14, v[14:15], off
	v_add_co_u32_e32 v15, vcc, 1, v12
	v_addc_co_u32_e32 v16, vcc, 0, v13, vcc
	s_waitcnt vmcnt(0)
	v_cmp_lt_i16_e32 vcc, v14, v9
	v_cndmask_b32_e32 v8, v13, v8, vcc
	v_cndmask_b32_e32 v7, v12, v7, vcc
	;; [unrolled: 1-line block ×4, first 2 shown]
	v_cmp_ge_u64_e32 vcc, v[5:6], v[7:8]
	s_or_b64 s[2:3], vcc, s[2:3]
	s_andn2_b64 exec, exec, s[2:3]
	s_cbranch_execnz .LBB147_9
; %bb.10:
	s_or_b64 exec, exec, s[2:3]
	s_and_b64 vcc, exec, s[0:1]
	s_cbranch_vccnz .LBB147_18
.LBB147_11:
	s_waitcnt vmcnt(0) lgkmcnt(0)
	v_mov_b32_e32 v7, 0
	v_mov_b32_e32 v9, s18
	s_mov_b64 s[0:1], 0
	v_mov_b32_e32 v8, 0
	v_mov_b32_e32 v10, s19
	;; [unrolled: 1-line block ×3, first 2 shown]
.LBB147_12:                             ; =>This Inner Loop Header: Depth=1
	v_sub_co_u32_e32 v13, vcc, v9, v7
	v_subb_co_u32_e32 v14, vcc, v10, v8, vcc
	v_lshrrev_b64 v[15:16], 1, v[13:14]
	v_lshrrev_b64 v[13:14], 6, v[13:14]
	v_add_co_u32_e32 v15, vcc, v15, v7
	v_addc_co_u32_e32 v16, vcc, v16, v8, vcc
	v_add_co_u32_e32 v13, vcc, v15, v13
	v_addc_co_u32_e32 v14, vcc, v16, v14, vcc
	v_lshlrev_b64 v[15:16], 1, v[13:14]
	v_add_co_u32_e32 v15, vcc, s16, v15
	v_addc_co_u32_e32 v16, vcc, v12, v16, vcc
	global_load_ushort v15, v[15:16], off
	v_add_co_u32_e32 v16, vcc, 1, v13
	v_addc_co_u32_e32 v17, vcc, 0, v14, vcc
	s_waitcnt vmcnt(0)
	v_cmp_lt_i16_e32 vcc, v15, v11
	v_cndmask_b32_e32 v10, v14, v10, vcc
	v_cndmask_b32_e32 v9, v13, v9, vcc
	;; [unrolled: 1-line block ×4, first 2 shown]
	v_cmp_ge_u64_e32 vcc, v[7:8], v[9:10]
	s_or_b64 s[0:1], vcc, s[0:1]
	s_andn2_b64 exec, exec, s[0:1]
	s_cbranch_execnz .LBB147_12
; %bb.13:
	s_or_b64 exec, exec, s[0:1]
	s_branch .LBB147_19
.LBB147_14:
	s_mov_b64 s[6:7], 0
                                        ; implicit-def: $vgpr7_vgpr8
                                        ; implicit-def: $vgpr11_vgpr12
	s_cbranch_execnz .LBB147_20
	s_branch .LBB147_59
.LBB147_15:
	v_mov_b32_e32 v1, 0
	v_mov_b32_e32 v2, 0
	v_cndmask_b32_e64 v3, 0, 1, s[2:3]
	v_cmp_ne_u32_e64 s[0:1], 1, v3
	s_andn2_b64 vcc, exec, s[2:3]
	s_cbranch_vccz .LBB147_5
.LBB147_16:
	v_mov_b32_e32 v3, 0
	v_mov_b32_e32 v4, 0
	s_and_b64 vcc, exec, s[0:1]
	s_cbranch_vccz .LBB147_8
.LBB147_17:
	v_mov_b32_e32 v5, 0
	v_mov_b32_e32 v6, 0
	s_and_b64 vcc, exec, s[0:1]
	s_cbranch_vccz .LBB147_11
.LBB147_18:
	s_waitcnt vmcnt(0) lgkmcnt(0)
	v_mov_b32_e32 v7, 0
	v_mov_b32_e32 v8, 0
.LBB147_19:
	s_lshl_b64 s[0:1], s[8:9], 3
	s_add_u32 s0, s20, s0
	s_addc_u32 s1, s21, s1
	v_lshlrev_b32_e32 v9, 3, v0
	v_mov_b32_e32 v10, s1
	v_add_co_u32_e32 v11, vcc, s0, v9
	v_addc_co_u32_e32 v12, vcc, 0, v10, vcc
	flat_store_dwordx2 v[11:12], v[1:2]
	flat_store_dwordx2 v[11:12], v[3:4] offset:2048
	v_add_co_u32_e32 v1, vcc, 0x1000, v11
	v_addc_co_u32_e32 v2, vcc, 0, v12, vcc
	flat_store_dwordx2 v[1:2], v[5:6]
	s_mov_b64 s[6:7], -1
	s_branch .LBB147_59
.LBB147_20:
	s_sub_i32 s10, s12, s8
	v_mov_b32_e32 v1, 0
	v_cmp_gt_u32_e64 s[0:1], s10, v0
	v_mov_b32_e32 v2, v1
	s_and_saveexec_b64 s[2:3], s[0:1]
	s_cbranch_execz .LBB147_22
; %bb.21:
	v_lshlrev_b32_e32 v2, 1, v0
	v_mov_b32_e32 v3, s14
	v_add_co_u32_e32 v2, vcc, s13, v2
	v_addc_co_u32_e32 v3, vcc, 0, v3, vcc
	flat_load_ushort v2, v[2:3]
	v_mov_b32_e32 v3, v1
	s_waitcnt vmcnt(0) lgkmcnt(0)
	v_and_b32_e32 v2, 0xffff, v2
	v_mov_b32_e32 v1, v2
	v_mov_b32_e32 v2, v3
.LBB147_22:
	s_or_b64 exec, exec, s[2:3]
	v_or_b32_e32 v3, 0x100, v0
	v_cmp_gt_u32_e64 s[2:3], s10, v3
	s_and_saveexec_b64 s[4:5], s[2:3]
	s_cbranch_execz .LBB147_24
; %bb.23:
	v_lshlrev_b32_e32 v3, 1, v0
	v_mov_b32_e32 v4, s14
	v_add_co_u32_e32 v3, vcc, s13, v3
	v_addc_co_u32_e32 v4, vcc, 0, v4, vcc
	flat_load_ushort v3, v[3:4] offset:512
	s_mov_b32 s6, 0x5040100
	s_waitcnt vmcnt(0) lgkmcnt(0)
	v_perm_b32 v1, v3, v1, s6
.LBB147_24:
	s_or_b64 exec, exec, s[4:5]
	v_or_b32_e32 v3, 0x200, v0
	v_cmp_gt_u32_e64 s[4:5], s10, v3
	s_and_saveexec_b64 s[6:7], s[4:5]
	s_cbranch_execz .LBB147_26
; %bb.25:
	v_lshlrev_b32_e32 v3, 1, v0
	v_mov_b32_e32 v4, s14
	v_add_co_u32_e32 v3, vcc, s13, v3
	v_addc_co_u32_e32 v4, vcc, 0, v4, vcc
	flat_load_ushort v3, v[3:4] offset:1024
	s_mov_b32 s11, 0xffff
	s_waitcnt vmcnt(0) lgkmcnt(0)
	v_bfi_b32 v2, s11, v3, v2
.LBB147_26:
	s_or_b64 exec, exec, s[6:7]
	v_or_b32_e32 v3, 0x300, v0
	v_cmp_gt_u32_e64 s[6:7], s10, v3
	s_and_saveexec_b64 s[10:11], s[6:7]
	s_cbranch_execz .LBB147_28
; %bb.27:
	v_lshlrev_b32_e32 v3, 1, v0
	v_mov_b32_e32 v4, s14
	v_add_co_u32_e32 v3, vcc, s13, v3
	v_addc_co_u32_e32 v4, vcc, 0, v4, vcc
	flat_load_ushort v3, v[3:4] offset:1536
	s_mov_b32 s12, 0x5040100
	s_waitcnt vmcnt(0) lgkmcnt(0)
	v_perm_b32 v2, v3, v2, s12
.LBB147_28:
	s_or_b64 exec, exec, s[10:11]
	s_cmp_lg_u64 s[18:19], 0
	s_cselect_b64 s[10:11], -1, 0
                                        ; implicit-def: $vgpr3_vgpr4
	s_and_saveexec_b64 s[12:13], s[0:1]
	s_cbranch_execnz .LBB147_32
; %bb.29:
	s_or_b64 exec, exec, s[12:13]
                                        ; implicit-def: $vgpr5_vgpr6
	s_and_saveexec_b64 s[12:13], s[2:3]
	s_cbranch_execnz .LBB147_37
.LBB147_30:
	s_or_b64 exec, exec, s[12:13]
                                        ; implicit-def: $vgpr9_vgpr10
	s_and_saveexec_b64 s[12:13], s[4:5]
	s_cbranch_execnz .LBB147_42
.LBB147_31:
	s_or_b64 exec, exec, s[12:13]
                                        ; implicit-def: $vgpr7_vgpr8
	s_and_saveexec_b64 s[12:13], s[6:7]
	s_cbranch_execnz .LBB147_47
	s_branch .LBB147_52
.LBB147_32:
	s_andn2_b64 vcc, exec, s[10:11]
	s_cbranch_vccnz .LBB147_36
; %bb.33:
	v_mov_b32_e32 v3, 0
	v_mov_b32_e32 v5, s18
	s_mov_b64 s[14:15], 0
	v_mov_b32_e32 v4, 0
	v_mov_b32_e32 v6, s19
	;; [unrolled: 1-line block ×3, first 2 shown]
.LBB147_34:                             ; =>This Inner Loop Header: Depth=1
	v_sub_co_u32_e32 v8, vcc, v5, v3
	v_subb_co_u32_e32 v9, vcc, v6, v4, vcc
	v_lshrrev_b64 v[10:11], 1, v[8:9]
	v_lshrrev_b64 v[8:9], 6, v[8:9]
	v_add_co_u32_e32 v10, vcc, v10, v3
	v_addc_co_u32_e32 v11, vcc, v11, v4, vcc
	v_add_co_u32_e32 v8, vcc, v10, v8
	v_addc_co_u32_e32 v9, vcc, v11, v9, vcc
	v_lshlrev_b64 v[10:11], 1, v[8:9]
	v_add_co_u32_e32 v10, vcc, s16, v10
	v_addc_co_u32_e32 v11, vcc, v7, v11, vcc
	global_load_ushort v10, v[10:11], off
	v_add_co_u32_e32 v11, vcc, 1, v8
	v_addc_co_u32_e32 v12, vcc, 0, v9, vcc
	s_waitcnt vmcnt(0)
	v_cmp_lt_i16_e32 vcc, v10, v1
	v_cndmask_b32_e32 v6, v9, v6, vcc
	v_cndmask_b32_e32 v5, v8, v5, vcc
	;; [unrolled: 1-line block ×4, first 2 shown]
	v_cmp_ge_u64_e32 vcc, v[3:4], v[5:6]
	s_or_b64 s[14:15], vcc, s[14:15]
	s_andn2_b64 exec, exec, s[14:15]
	s_cbranch_execnz .LBB147_34
; %bb.35:
	s_or_b64 exec, exec, s[14:15]
	s_or_b64 exec, exec, s[12:13]
                                        ; implicit-def: $vgpr5_vgpr6
	s_and_saveexec_b64 s[12:13], s[2:3]
	s_cbranch_execz .LBB147_30
	s_branch .LBB147_37
.LBB147_36:
	v_mov_b32_e32 v3, 0
	v_mov_b32_e32 v4, 0
	s_or_b64 exec, exec, s[12:13]
                                        ; implicit-def: $vgpr5_vgpr6
	s_and_saveexec_b64 s[12:13], s[2:3]
	s_cbranch_execz .LBB147_30
.LBB147_37:
	s_andn2_b64 vcc, exec, s[10:11]
	s_cbranch_vccnz .LBB147_41
; %bb.38:
	v_mov_b32_e32 v5, 0
	v_mov_b32_e32 v7, s18
	s_mov_b64 s[14:15], 0
	v_mov_b32_e32 v6, 0
	v_mov_b32_e32 v8, s19
	;; [unrolled: 1-line block ×3, first 2 shown]
.LBB147_39:                             ; =>This Inner Loop Header: Depth=1
	v_sub_co_u32_e32 v10, vcc, v7, v5
	v_subb_co_u32_e32 v11, vcc, v8, v6, vcc
	v_lshrrev_b64 v[12:13], 1, v[10:11]
	v_lshrrev_b64 v[10:11], 6, v[10:11]
	v_add_co_u32_e32 v12, vcc, v12, v5
	v_addc_co_u32_e32 v13, vcc, v13, v6, vcc
	v_add_co_u32_e32 v10, vcc, v12, v10
	v_addc_co_u32_e32 v11, vcc, v13, v11, vcc
	v_lshlrev_b64 v[12:13], 1, v[10:11]
	v_add_co_u32_e32 v12, vcc, s16, v12
	v_addc_co_u32_e32 v13, vcc, v9, v13, vcc
	global_load_ushort v12, v[12:13], off
	v_add_co_u32_e32 v13, vcc, 1, v10
	v_addc_co_u32_e32 v14, vcc, 0, v11, vcc
	s_waitcnt vmcnt(0)
	v_cmp_lt_i16_sdwa vcc, v12, v1 src0_sel:DWORD src1_sel:WORD_1
	v_cndmask_b32_e32 v8, v11, v8, vcc
	v_cndmask_b32_e32 v7, v10, v7, vcc
	;; [unrolled: 1-line block ×4, first 2 shown]
	v_cmp_ge_u64_e32 vcc, v[5:6], v[7:8]
	s_or_b64 s[14:15], vcc, s[14:15]
	s_andn2_b64 exec, exec, s[14:15]
	s_cbranch_execnz .LBB147_39
; %bb.40:
	s_or_b64 exec, exec, s[14:15]
	s_or_b64 exec, exec, s[12:13]
                                        ; implicit-def: $vgpr9_vgpr10
	s_and_saveexec_b64 s[12:13], s[4:5]
	s_cbranch_execz .LBB147_31
	s_branch .LBB147_42
.LBB147_41:
	v_mov_b32_e32 v5, 0
	v_mov_b32_e32 v6, 0
	s_or_b64 exec, exec, s[12:13]
                                        ; implicit-def: $vgpr9_vgpr10
	s_and_saveexec_b64 s[12:13], s[4:5]
	s_cbranch_execz .LBB147_31
.LBB147_42:
	s_andn2_b64 vcc, exec, s[10:11]
	s_cbranch_vccnz .LBB147_46
; %bb.43:
	v_mov_b32_e32 v9, 0
	v_mov_b32_e32 v7, s18
	s_mov_b64 s[14:15], 0
	v_mov_b32_e32 v10, 0
	v_mov_b32_e32 v8, s19
	;; [unrolled: 1-line block ×3, first 2 shown]
.LBB147_44:                             ; =>This Inner Loop Header: Depth=1
	v_sub_co_u32_e32 v11, vcc, v7, v9
	v_subb_co_u32_e32 v12, vcc, v8, v10, vcc
	v_lshrrev_b64 v[13:14], 1, v[11:12]
	v_lshrrev_b64 v[11:12], 6, v[11:12]
	v_add_co_u32_e32 v13, vcc, v13, v9
	v_addc_co_u32_e32 v14, vcc, v14, v10, vcc
	v_add_co_u32_e32 v11, vcc, v13, v11
	v_addc_co_u32_e32 v12, vcc, v14, v12, vcc
	v_lshlrev_b64 v[13:14], 1, v[11:12]
	v_add_co_u32_e32 v13, vcc, s16, v13
	v_addc_co_u32_e32 v14, vcc, v1, v14, vcc
	global_load_ushort v13, v[13:14], off
	v_add_co_u32_e32 v14, vcc, 1, v11
	v_addc_co_u32_e32 v15, vcc, 0, v12, vcc
	s_waitcnt vmcnt(0)
	v_cmp_lt_i16_e32 vcc, v13, v2
	v_cndmask_b32_e32 v8, v12, v8, vcc
	v_cndmask_b32_e32 v7, v11, v7, vcc
	;; [unrolled: 1-line block ×4, first 2 shown]
	v_cmp_ge_u64_e32 vcc, v[9:10], v[7:8]
	s_or_b64 s[14:15], vcc, s[14:15]
	s_andn2_b64 exec, exec, s[14:15]
	s_cbranch_execnz .LBB147_44
; %bb.45:
	s_or_b64 exec, exec, s[14:15]
	s_or_b64 exec, exec, s[12:13]
                                        ; implicit-def: $vgpr7_vgpr8
	s_and_saveexec_b64 s[12:13], s[6:7]
	s_cbranch_execnz .LBB147_47
	s_branch .LBB147_52
.LBB147_46:
	v_mov_b32_e32 v9, 0
	v_mov_b32_e32 v10, 0
	s_or_b64 exec, exec, s[12:13]
                                        ; implicit-def: $vgpr7_vgpr8
	s_and_saveexec_b64 s[12:13], s[6:7]
	s_cbranch_execz .LBB147_52
.LBB147_47:
	s_andn2_b64 vcc, exec, s[10:11]
	s_cbranch_vccnz .LBB147_51
; %bb.48:
	v_mov_b32_e32 v7, 0
	v_mov_b32_e32 v11, s18
	s_mov_b64 s[10:11], 0
	v_mov_b32_e32 v8, 0
	v_mov_b32_e32 v12, s19
	;; [unrolled: 1-line block ×3, first 2 shown]
.LBB147_49:                             ; =>This Inner Loop Header: Depth=1
	v_sub_co_u32_e32 v13, vcc, v11, v7
	v_subb_co_u32_e32 v14, vcc, v12, v8, vcc
	v_lshrrev_b64 v[15:16], 1, v[13:14]
	v_lshrrev_b64 v[13:14], 6, v[13:14]
	v_add_co_u32_e32 v15, vcc, v15, v7
	v_addc_co_u32_e32 v16, vcc, v16, v8, vcc
	v_add_co_u32_e32 v13, vcc, v15, v13
	v_addc_co_u32_e32 v14, vcc, v16, v14, vcc
	v_lshlrev_b64 v[15:16], 1, v[13:14]
	v_add_co_u32_e32 v15, vcc, s16, v15
	v_addc_co_u32_e32 v16, vcc, v1, v16, vcc
	global_load_ushort v15, v[15:16], off
	v_add_co_u32_e32 v16, vcc, 1, v13
	v_addc_co_u32_e32 v17, vcc, 0, v14, vcc
	s_waitcnt vmcnt(0)
	v_cmp_lt_i16_sdwa vcc, v15, v2 src0_sel:DWORD src1_sel:WORD_1
	v_cndmask_b32_e32 v12, v14, v12, vcc
	v_cndmask_b32_e32 v11, v13, v11, vcc
	;; [unrolled: 1-line block ×4, first 2 shown]
	v_cmp_ge_u64_e32 vcc, v[7:8], v[11:12]
	s_or_b64 s[10:11], vcc, s[10:11]
	s_andn2_b64 exec, exec, s[10:11]
	s_cbranch_execnz .LBB147_49
; %bb.50:
	s_or_b64 exec, exec, s[10:11]
	s_branch .LBB147_52
.LBB147_51:
	v_mov_b32_e32 v7, 0
	v_mov_b32_e32 v8, 0
.LBB147_52:
	s_or_b64 exec, exec, s[12:13]
	s_lshl_b64 s[8:9], s[8:9], 3
	s_add_u32 s8, s20, s8
	s_addc_u32 s9, s21, s9
	v_lshlrev_b32_e32 v0, 3, v0
	v_mov_b32_e32 v1, s9
	v_add_co_u32_e32 v11, vcc, s8, v0
	v_addc_co_u32_e32 v12, vcc, 0, v1, vcc
	s_and_saveexec_b64 s[8:9], s[0:1]
	s_xor_b64 s[0:1], exec, s[8:9]
	s_cbranch_execz .LBB147_54
; %bb.53:
	flat_store_dwordx2 v[11:12], v[3:4]
.LBB147_54:
	s_or_b64 exec, exec, s[0:1]
	s_and_saveexec_b64 s[0:1], s[2:3]
	s_cbranch_execz .LBB147_56
; %bb.55:
	flat_store_dwordx2 v[11:12], v[5:6] offset:2048
.LBB147_56:
	s_or_b64 exec, exec, s[0:1]
	s_and_saveexec_b64 s[0:1], s[4:5]
	s_cbranch_execz .LBB147_58
; %bb.57:
	v_add_co_u32_e32 v0, vcc, 0x1000, v11
	v_addc_co_u32_e32 v1, vcc, 0, v12, vcc
	flat_store_dwordx2 v[0:1], v[9:10]
.LBB147_58:
	s_or_b64 exec, exec, s[0:1]
.LBB147_59:
	s_and_saveexec_b64 s[0:1], s[6:7]
	s_cbranch_execnz .LBB147_61
; %bb.60:
	s_endpgm
.LBB147_61:
	v_add_co_u32_e32 v0, vcc, 0x1000, v11
	v_addc_co_u32_e32 v1, vcc, 0, v12, vcc
	flat_store_dwordx2 v[0:1], v[7:8] offset:2048
	s_endpgm
	.section	.rodata,"a",@progbits
	.p2align	6, 0x0
	.amdhsa_kernel _ZN7rocprim17ROCPRIM_400000_NS6detail17trampoline_kernelINS0_14default_configENS1_27lower_bound_config_selectorIslEEZNS1_14transform_implILb0ES3_S5_N6thrust23THRUST_200600_302600_NS6detail15normal_iteratorINS8_7pointerIsNS8_11hip_rocprim5par_tENS8_11use_defaultESE_EEEENSA_INSB_IlSD_SE_SE_EEEEZNS1_13binary_searchIS3_S5_PsSG_SI_NS1_21lower_bound_search_opENS9_16wrapped_functionI11custom_lessbEEEE10hipError_tPvRmT1_T2_T3_mmT4_T5_P12ihipStream_tbEUlRKsE_EESP_ST_SU_mSV_SY_bEUlT_E_NS1_11comp_targetILNS1_3genE2ELNS1_11target_archE906ELNS1_3gpuE6ELNS1_3repE0EEENS1_30default_config_static_selectorELNS0_4arch9wavefront6targetE1EEEvSS_
		.amdhsa_group_segment_fixed_size 0
		.amdhsa_private_segment_fixed_size 0
		.amdhsa_kernarg_size 312
		.amdhsa_user_sgpr_count 6
		.amdhsa_user_sgpr_private_segment_buffer 1
		.amdhsa_user_sgpr_dispatch_ptr 0
		.amdhsa_user_sgpr_queue_ptr 0
		.amdhsa_user_sgpr_kernarg_segment_ptr 1
		.amdhsa_user_sgpr_dispatch_id 0
		.amdhsa_user_sgpr_flat_scratch_init 0
		.amdhsa_user_sgpr_private_segment_size 0
		.amdhsa_uses_dynamic_stack 0
		.amdhsa_system_sgpr_private_segment_wavefront_offset 0
		.amdhsa_system_sgpr_workgroup_id_x 1
		.amdhsa_system_sgpr_workgroup_id_y 0
		.amdhsa_system_sgpr_workgroup_id_z 0
		.amdhsa_system_sgpr_workgroup_info 0
		.amdhsa_system_vgpr_workitem_id 0
		.amdhsa_next_free_vgpr 18
		.amdhsa_next_free_sgpr 22
		.amdhsa_reserve_vcc 1
		.amdhsa_reserve_flat_scratch 0
		.amdhsa_float_round_mode_32 0
		.amdhsa_float_round_mode_16_64 0
		.amdhsa_float_denorm_mode_32 3
		.amdhsa_float_denorm_mode_16_64 3
		.amdhsa_dx10_clamp 1
		.amdhsa_ieee_mode 1
		.amdhsa_fp16_overflow 0
		.amdhsa_exception_fp_ieee_invalid_op 0
		.amdhsa_exception_fp_denorm_src 0
		.amdhsa_exception_fp_ieee_div_zero 0
		.amdhsa_exception_fp_ieee_overflow 0
		.amdhsa_exception_fp_ieee_underflow 0
		.amdhsa_exception_fp_ieee_inexact 0
		.amdhsa_exception_int_div_zero 0
	.end_amdhsa_kernel
	.section	.text._ZN7rocprim17ROCPRIM_400000_NS6detail17trampoline_kernelINS0_14default_configENS1_27lower_bound_config_selectorIslEEZNS1_14transform_implILb0ES3_S5_N6thrust23THRUST_200600_302600_NS6detail15normal_iteratorINS8_7pointerIsNS8_11hip_rocprim5par_tENS8_11use_defaultESE_EEEENSA_INSB_IlSD_SE_SE_EEEEZNS1_13binary_searchIS3_S5_PsSG_SI_NS1_21lower_bound_search_opENS9_16wrapped_functionI11custom_lessbEEEE10hipError_tPvRmT1_T2_T3_mmT4_T5_P12ihipStream_tbEUlRKsE_EESP_ST_SU_mSV_SY_bEUlT_E_NS1_11comp_targetILNS1_3genE2ELNS1_11target_archE906ELNS1_3gpuE6ELNS1_3repE0EEENS1_30default_config_static_selectorELNS0_4arch9wavefront6targetE1EEEvSS_,"axG",@progbits,_ZN7rocprim17ROCPRIM_400000_NS6detail17trampoline_kernelINS0_14default_configENS1_27lower_bound_config_selectorIslEEZNS1_14transform_implILb0ES3_S5_N6thrust23THRUST_200600_302600_NS6detail15normal_iteratorINS8_7pointerIsNS8_11hip_rocprim5par_tENS8_11use_defaultESE_EEEENSA_INSB_IlSD_SE_SE_EEEEZNS1_13binary_searchIS3_S5_PsSG_SI_NS1_21lower_bound_search_opENS9_16wrapped_functionI11custom_lessbEEEE10hipError_tPvRmT1_T2_T3_mmT4_T5_P12ihipStream_tbEUlRKsE_EESP_ST_SU_mSV_SY_bEUlT_E_NS1_11comp_targetILNS1_3genE2ELNS1_11target_archE906ELNS1_3gpuE6ELNS1_3repE0EEENS1_30default_config_static_selectorELNS0_4arch9wavefront6targetE1EEEvSS_,comdat
.Lfunc_end147:
	.size	_ZN7rocprim17ROCPRIM_400000_NS6detail17trampoline_kernelINS0_14default_configENS1_27lower_bound_config_selectorIslEEZNS1_14transform_implILb0ES3_S5_N6thrust23THRUST_200600_302600_NS6detail15normal_iteratorINS8_7pointerIsNS8_11hip_rocprim5par_tENS8_11use_defaultESE_EEEENSA_INSB_IlSD_SE_SE_EEEEZNS1_13binary_searchIS3_S5_PsSG_SI_NS1_21lower_bound_search_opENS9_16wrapped_functionI11custom_lessbEEEE10hipError_tPvRmT1_T2_T3_mmT4_T5_P12ihipStream_tbEUlRKsE_EESP_ST_SU_mSV_SY_bEUlT_E_NS1_11comp_targetILNS1_3genE2ELNS1_11target_archE906ELNS1_3gpuE6ELNS1_3repE0EEENS1_30default_config_static_selectorELNS0_4arch9wavefront6targetE1EEEvSS_, .Lfunc_end147-_ZN7rocprim17ROCPRIM_400000_NS6detail17trampoline_kernelINS0_14default_configENS1_27lower_bound_config_selectorIslEEZNS1_14transform_implILb0ES3_S5_N6thrust23THRUST_200600_302600_NS6detail15normal_iteratorINS8_7pointerIsNS8_11hip_rocprim5par_tENS8_11use_defaultESE_EEEENSA_INSB_IlSD_SE_SE_EEEEZNS1_13binary_searchIS3_S5_PsSG_SI_NS1_21lower_bound_search_opENS9_16wrapped_functionI11custom_lessbEEEE10hipError_tPvRmT1_T2_T3_mmT4_T5_P12ihipStream_tbEUlRKsE_EESP_ST_SU_mSV_SY_bEUlT_E_NS1_11comp_targetILNS1_3genE2ELNS1_11target_archE906ELNS1_3gpuE6ELNS1_3repE0EEENS1_30default_config_static_selectorELNS0_4arch9wavefront6targetE1EEEvSS_
                                        ; -- End function
	.set _ZN7rocprim17ROCPRIM_400000_NS6detail17trampoline_kernelINS0_14default_configENS1_27lower_bound_config_selectorIslEEZNS1_14transform_implILb0ES3_S5_N6thrust23THRUST_200600_302600_NS6detail15normal_iteratorINS8_7pointerIsNS8_11hip_rocprim5par_tENS8_11use_defaultESE_EEEENSA_INSB_IlSD_SE_SE_EEEEZNS1_13binary_searchIS3_S5_PsSG_SI_NS1_21lower_bound_search_opENS9_16wrapped_functionI11custom_lessbEEEE10hipError_tPvRmT1_T2_T3_mmT4_T5_P12ihipStream_tbEUlRKsE_EESP_ST_SU_mSV_SY_bEUlT_E_NS1_11comp_targetILNS1_3genE2ELNS1_11target_archE906ELNS1_3gpuE6ELNS1_3repE0EEENS1_30default_config_static_selectorELNS0_4arch9wavefront6targetE1EEEvSS_.num_vgpr, 18
	.set _ZN7rocprim17ROCPRIM_400000_NS6detail17trampoline_kernelINS0_14default_configENS1_27lower_bound_config_selectorIslEEZNS1_14transform_implILb0ES3_S5_N6thrust23THRUST_200600_302600_NS6detail15normal_iteratorINS8_7pointerIsNS8_11hip_rocprim5par_tENS8_11use_defaultESE_EEEENSA_INSB_IlSD_SE_SE_EEEEZNS1_13binary_searchIS3_S5_PsSG_SI_NS1_21lower_bound_search_opENS9_16wrapped_functionI11custom_lessbEEEE10hipError_tPvRmT1_T2_T3_mmT4_T5_P12ihipStream_tbEUlRKsE_EESP_ST_SU_mSV_SY_bEUlT_E_NS1_11comp_targetILNS1_3genE2ELNS1_11target_archE906ELNS1_3gpuE6ELNS1_3repE0EEENS1_30default_config_static_selectorELNS0_4arch9wavefront6targetE1EEEvSS_.num_agpr, 0
	.set _ZN7rocprim17ROCPRIM_400000_NS6detail17trampoline_kernelINS0_14default_configENS1_27lower_bound_config_selectorIslEEZNS1_14transform_implILb0ES3_S5_N6thrust23THRUST_200600_302600_NS6detail15normal_iteratorINS8_7pointerIsNS8_11hip_rocprim5par_tENS8_11use_defaultESE_EEEENSA_INSB_IlSD_SE_SE_EEEEZNS1_13binary_searchIS3_S5_PsSG_SI_NS1_21lower_bound_search_opENS9_16wrapped_functionI11custom_lessbEEEE10hipError_tPvRmT1_T2_T3_mmT4_T5_P12ihipStream_tbEUlRKsE_EESP_ST_SU_mSV_SY_bEUlT_E_NS1_11comp_targetILNS1_3genE2ELNS1_11target_archE906ELNS1_3gpuE6ELNS1_3repE0EEENS1_30default_config_static_selectorELNS0_4arch9wavefront6targetE1EEEvSS_.numbered_sgpr, 22
	.set _ZN7rocprim17ROCPRIM_400000_NS6detail17trampoline_kernelINS0_14default_configENS1_27lower_bound_config_selectorIslEEZNS1_14transform_implILb0ES3_S5_N6thrust23THRUST_200600_302600_NS6detail15normal_iteratorINS8_7pointerIsNS8_11hip_rocprim5par_tENS8_11use_defaultESE_EEEENSA_INSB_IlSD_SE_SE_EEEEZNS1_13binary_searchIS3_S5_PsSG_SI_NS1_21lower_bound_search_opENS9_16wrapped_functionI11custom_lessbEEEE10hipError_tPvRmT1_T2_T3_mmT4_T5_P12ihipStream_tbEUlRKsE_EESP_ST_SU_mSV_SY_bEUlT_E_NS1_11comp_targetILNS1_3genE2ELNS1_11target_archE906ELNS1_3gpuE6ELNS1_3repE0EEENS1_30default_config_static_selectorELNS0_4arch9wavefront6targetE1EEEvSS_.num_named_barrier, 0
	.set _ZN7rocprim17ROCPRIM_400000_NS6detail17trampoline_kernelINS0_14default_configENS1_27lower_bound_config_selectorIslEEZNS1_14transform_implILb0ES3_S5_N6thrust23THRUST_200600_302600_NS6detail15normal_iteratorINS8_7pointerIsNS8_11hip_rocprim5par_tENS8_11use_defaultESE_EEEENSA_INSB_IlSD_SE_SE_EEEEZNS1_13binary_searchIS3_S5_PsSG_SI_NS1_21lower_bound_search_opENS9_16wrapped_functionI11custom_lessbEEEE10hipError_tPvRmT1_T2_T3_mmT4_T5_P12ihipStream_tbEUlRKsE_EESP_ST_SU_mSV_SY_bEUlT_E_NS1_11comp_targetILNS1_3genE2ELNS1_11target_archE906ELNS1_3gpuE6ELNS1_3repE0EEENS1_30default_config_static_selectorELNS0_4arch9wavefront6targetE1EEEvSS_.private_seg_size, 0
	.set _ZN7rocprim17ROCPRIM_400000_NS6detail17trampoline_kernelINS0_14default_configENS1_27lower_bound_config_selectorIslEEZNS1_14transform_implILb0ES3_S5_N6thrust23THRUST_200600_302600_NS6detail15normal_iteratorINS8_7pointerIsNS8_11hip_rocprim5par_tENS8_11use_defaultESE_EEEENSA_INSB_IlSD_SE_SE_EEEEZNS1_13binary_searchIS3_S5_PsSG_SI_NS1_21lower_bound_search_opENS9_16wrapped_functionI11custom_lessbEEEE10hipError_tPvRmT1_T2_T3_mmT4_T5_P12ihipStream_tbEUlRKsE_EESP_ST_SU_mSV_SY_bEUlT_E_NS1_11comp_targetILNS1_3genE2ELNS1_11target_archE906ELNS1_3gpuE6ELNS1_3repE0EEENS1_30default_config_static_selectorELNS0_4arch9wavefront6targetE1EEEvSS_.uses_vcc, 1
	.set _ZN7rocprim17ROCPRIM_400000_NS6detail17trampoline_kernelINS0_14default_configENS1_27lower_bound_config_selectorIslEEZNS1_14transform_implILb0ES3_S5_N6thrust23THRUST_200600_302600_NS6detail15normal_iteratorINS8_7pointerIsNS8_11hip_rocprim5par_tENS8_11use_defaultESE_EEEENSA_INSB_IlSD_SE_SE_EEEEZNS1_13binary_searchIS3_S5_PsSG_SI_NS1_21lower_bound_search_opENS9_16wrapped_functionI11custom_lessbEEEE10hipError_tPvRmT1_T2_T3_mmT4_T5_P12ihipStream_tbEUlRKsE_EESP_ST_SU_mSV_SY_bEUlT_E_NS1_11comp_targetILNS1_3genE2ELNS1_11target_archE906ELNS1_3gpuE6ELNS1_3repE0EEENS1_30default_config_static_selectorELNS0_4arch9wavefront6targetE1EEEvSS_.uses_flat_scratch, 0
	.set _ZN7rocprim17ROCPRIM_400000_NS6detail17trampoline_kernelINS0_14default_configENS1_27lower_bound_config_selectorIslEEZNS1_14transform_implILb0ES3_S5_N6thrust23THRUST_200600_302600_NS6detail15normal_iteratorINS8_7pointerIsNS8_11hip_rocprim5par_tENS8_11use_defaultESE_EEEENSA_INSB_IlSD_SE_SE_EEEEZNS1_13binary_searchIS3_S5_PsSG_SI_NS1_21lower_bound_search_opENS9_16wrapped_functionI11custom_lessbEEEE10hipError_tPvRmT1_T2_T3_mmT4_T5_P12ihipStream_tbEUlRKsE_EESP_ST_SU_mSV_SY_bEUlT_E_NS1_11comp_targetILNS1_3genE2ELNS1_11target_archE906ELNS1_3gpuE6ELNS1_3repE0EEENS1_30default_config_static_selectorELNS0_4arch9wavefront6targetE1EEEvSS_.has_dyn_sized_stack, 0
	.set _ZN7rocprim17ROCPRIM_400000_NS6detail17trampoline_kernelINS0_14default_configENS1_27lower_bound_config_selectorIslEEZNS1_14transform_implILb0ES3_S5_N6thrust23THRUST_200600_302600_NS6detail15normal_iteratorINS8_7pointerIsNS8_11hip_rocprim5par_tENS8_11use_defaultESE_EEEENSA_INSB_IlSD_SE_SE_EEEEZNS1_13binary_searchIS3_S5_PsSG_SI_NS1_21lower_bound_search_opENS9_16wrapped_functionI11custom_lessbEEEE10hipError_tPvRmT1_T2_T3_mmT4_T5_P12ihipStream_tbEUlRKsE_EESP_ST_SU_mSV_SY_bEUlT_E_NS1_11comp_targetILNS1_3genE2ELNS1_11target_archE906ELNS1_3gpuE6ELNS1_3repE0EEENS1_30default_config_static_selectorELNS0_4arch9wavefront6targetE1EEEvSS_.has_recursion, 0
	.set _ZN7rocprim17ROCPRIM_400000_NS6detail17trampoline_kernelINS0_14default_configENS1_27lower_bound_config_selectorIslEEZNS1_14transform_implILb0ES3_S5_N6thrust23THRUST_200600_302600_NS6detail15normal_iteratorINS8_7pointerIsNS8_11hip_rocprim5par_tENS8_11use_defaultESE_EEEENSA_INSB_IlSD_SE_SE_EEEEZNS1_13binary_searchIS3_S5_PsSG_SI_NS1_21lower_bound_search_opENS9_16wrapped_functionI11custom_lessbEEEE10hipError_tPvRmT1_T2_T3_mmT4_T5_P12ihipStream_tbEUlRKsE_EESP_ST_SU_mSV_SY_bEUlT_E_NS1_11comp_targetILNS1_3genE2ELNS1_11target_archE906ELNS1_3gpuE6ELNS1_3repE0EEENS1_30default_config_static_selectorELNS0_4arch9wavefront6targetE1EEEvSS_.has_indirect_call, 0
	.section	.AMDGPU.csdata,"",@progbits
; Kernel info:
; codeLenInByte = 2136
; TotalNumSgprs: 26
; NumVgprs: 18
; ScratchSize: 0
; MemoryBound: 0
; FloatMode: 240
; IeeeMode: 1
; LDSByteSize: 0 bytes/workgroup (compile time only)
; SGPRBlocks: 3
; VGPRBlocks: 4
; NumSGPRsForWavesPerEU: 26
; NumVGPRsForWavesPerEU: 18
; Occupancy: 10
; WaveLimiterHint : 1
; COMPUTE_PGM_RSRC2:SCRATCH_EN: 0
; COMPUTE_PGM_RSRC2:USER_SGPR: 6
; COMPUTE_PGM_RSRC2:TRAP_HANDLER: 0
; COMPUTE_PGM_RSRC2:TGID_X_EN: 1
; COMPUTE_PGM_RSRC2:TGID_Y_EN: 0
; COMPUTE_PGM_RSRC2:TGID_Z_EN: 0
; COMPUTE_PGM_RSRC2:TIDIG_COMP_CNT: 0
	.section	.text._ZN7rocprim17ROCPRIM_400000_NS6detail17trampoline_kernelINS0_14default_configENS1_27lower_bound_config_selectorIslEEZNS1_14transform_implILb0ES3_S5_N6thrust23THRUST_200600_302600_NS6detail15normal_iteratorINS8_7pointerIsNS8_11hip_rocprim5par_tENS8_11use_defaultESE_EEEENSA_INSB_IlSD_SE_SE_EEEEZNS1_13binary_searchIS3_S5_PsSG_SI_NS1_21lower_bound_search_opENS9_16wrapped_functionI11custom_lessbEEEE10hipError_tPvRmT1_T2_T3_mmT4_T5_P12ihipStream_tbEUlRKsE_EESP_ST_SU_mSV_SY_bEUlT_E_NS1_11comp_targetILNS1_3genE10ELNS1_11target_archE1201ELNS1_3gpuE5ELNS1_3repE0EEENS1_30default_config_static_selectorELNS0_4arch9wavefront6targetE1EEEvSS_,"axG",@progbits,_ZN7rocprim17ROCPRIM_400000_NS6detail17trampoline_kernelINS0_14default_configENS1_27lower_bound_config_selectorIslEEZNS1_14transform_implILb0ES3_S5_N6thrust23THRUST_200600_302600_NS6detail15normal_iteratorINS8_7pointerIsNS8_11hip_rocprim5par_tENS8_11use_defaultESE_EEEENSA_INSB_IlSD_SE_SE_EEEEZNS1_13binary_searchIS3_S5_PsSG_SI_NS1_21lower_bound_search_opENS9_16wrapped_functionI11custom_lessbEEEE10hipError_tPvRmT1_T2_T3_mmT4_T5_P12ihipStream_tbEUlRKsE_EESP_ST_SU_mSV_SY_bEUlT_E_NS1_11comp_targetILNS1_3genE10ELNS1_11target_archE1201ELNS1_3gpuE5ELNS1_3repE0EEENS1_30default_config_static_selectorELNS0_4arch9wavefront6targetE1EEEvSS_,comdat
	.protected	_ZN7rocprim17ROCPRIM_400000_NS6detail17trampoline_kernelINS0_14default_configENS1_27lower_bound_config_selectorIslEEZNS1_14transform_implILb0ES3_S5_N6thrust23THRUST_200600_302600_NS6detail15normal_iteratorINS8_7pointerIsNS8_11hip_rocprim5par_tENS8_11use_defaultESE_EEEENSA_INSB_IlSD_SE_SE_EEEEZNS1_13binary_searchIS3_S5_PsSG_SI_NS1_21lower_bound_search_opENS9_16wrapped_functionI11custom_lessbEEEE10hipError_tPvRmT1_T2_T3_mmT4_T5_P12ihipStream_tbEUlRKsE_EESP_ST_SU_mSV_SY_bEUlT_E_NS1_11comp_targetILNS1_3genE10ELNS1_11target_archE1201ELNS1_3gpuE5ELNS1_3repE0EEENS1_30default_config_static_selectorELNS0_4arch9wavefront6targetE1EEEvSS_ ; -- Begin function _ZN7rocprim17ROCPRIM_400000_NS6detail17trampoline_kernelINS0_14default_configENS1_27lower_bound_config_selectorIslEEZNS1_14transform_implILb0ES3_S5_N6thrust23THRUST_200600_302600_NS6detail15normal_iteratorINS8_7pointerIsNS8_11hip_rocprim5par_tENS8_11use_defaultESE_EEEENSA_INSB_IlSD_SE_SE_EEEEZNS1_13binary_searchIS3_S5_PsSG_SI_NS1_21lower_bound_search_opENS9_16wrapped_functionI11custom_lessbEEEE10hipError_tPvRmT1_T2_T3_mmT4_T5_P12ihipStream_tbEUlRKsE_EESP_ST_SU_mSV_SY_bEUlT_E_NS1_11comp_targetILNS1_3genE10ELNS1_11target_archE1201ELNS1_3gpuE5ELNS1_3repE0EEENS1_30default_config_static_selectorELNS0_4arch9wavefront6targetE1EEEvSS_
	.globl	_ZN7rocprim17ROCPRIM_400000_NS6detail17trampoline_kernelINS0_14default_configENS1_27lower_bound_config_selectorIslEEZNS1_14transform_implILb0ES3_S5_N6thrust23THRUST_200600_302600_NS6detail15normal_iteratorINS8_7pointerIsNS8_11hip_rocprim5par_tENS8_11use_defaultESE_EEEENSA_INSB_IlSD_SE_SE_EEEEZNS1_13binary_searchIS3_S5_PsSG_SI_NS1_21lower_bound_search_opENS9_16wrapped_functionI11custom_lessbEEEE10hipError_tPvRmT1_T2_T3_mmT4_T5_P12ihipStream_tbEUlRKsE_EESP_ST_SU_mSV_SY_bEUlT_E_NS1_11comp_targetILNS1_3genE10ELNS1_11target_archE1201ELNS1_3gpuE5ELNS1_3repE0EEENS1_30default_config_static_selectorELNS0_4arch9wavefront6targetE1EEEvSS_
	.p2align	8
	.type	_ZN7rocprim17ROCPRIM_400000_NS6detail17trampoline_kernelINS0_14default_configENS1_27lower_bound_config_selectorIslEEZNS1_14transform_implILb0ES3_S5_N6thrust23THRUST_200600_302600_NS6detail15normal_iteratorINS8_7pointerIsNS8_11hip_rocprim5par_tENS8_11use_defaultESE_EEEENSA_INSB_IlSD_SE_SE_EEEEZNS1_13binary_searchIS3_S5_PsSG_SI_NS1_21lower_bound_search_opENS9_16wrapped_functionI11custom_lessbEEEE10hipError_tPvRmT1_T2_T3_mmT4_T5_P12ihipStream_tbEUlRKsE_EESP_ST_SU_mSV_SY_bEUlT_E_NS1_11comp_targetILNS1_3genE10ELNS1_11target_archE1201ELNS1_3gpuE5ELNS1_3repE0EEENS1_30default_config_static_selectorELNS0_4arch9wavefront6targetE1EEEvSS_,@function
_ZN7rocprim17ROCPRIM_400000_NS6detail17trampoline_kernelINS0_14default_configENS1_27lower_bound_config_selectorIslEEZNS1_14transform_implILb0ES3_S5_N6thrust23THRUST_200600_302600_NS6detail15normal_iteratorINS8_7pointerIsNS8_11hip_rocprim5par_tENS8_11use_defaultESE_EEEENSA_INSB_IlSD_SE_SE_EEEEZNS1_13binary_searchIS3_S5_PsSG_SI_NS1_21lower_bound_search_opENS9_16wrapped_functionI11custom_lessbEEEE10hipError_tPvRmT1_T2_T3_mmT4_T5_P12ihipStream_tbEUlRKsE_EESP_ST_SU_mSV_SY_bEUlT_E_NS1_11comp_targetILNS1_3genE10ELNS1_11target_archE1201ELNS1_3gpuE5ELNS1_3repE0EEENS1_30default_config_static_selectorELNS0_4arch9wavefront6targetE1EEEvSS_: ; @_ZN7rocprim17ROCPRIM_400000_NS6detail17trampoline_kernelINS0_14default_configENS1_27lower_bound_config_selectorIslEEZNS1_14transform_implILb0ES3_S5_N6thrust23THRUST_200600_302600_NS6detail15normal_iteratorINS8_7pointerIsNS8_11hip_rocprim5par_tENS8_11use_defaultESE_EEEENSA_INSB_IlSD_SE_SE_EEEEZNS1_13binary_searchIS3_S5_PsSG_SI_NS1_21lower_bound_search_opENS9_16wrapped_functionI11custom_lessbEEEE10hipError_tPvRmT1_T2_T3_mmT4_T5_P12ihipStream_tbEUlRKsE_EESP_ST_SU_mSV_SY_bEUlT_E_NS1_11comp_targetILNS1_3genE10ELNS1_11target_archE1201ELNS1_3gpuE5ELNS1_3repE0EEENS1_30default_config_static_selectorELNS0_4arch9wavefront6targetE1EEEvSS_
; %bb.0:
	.section	.rodata,"a",@progbits
	.p2align	6, 0x0
	.amdhsa_kernel _ZN7rocprim17ROCPRIM_400000_NS6detail17trampoline_kernelINS0_14default_configENS1_27lower_bound_config_selectorIslEEZNS1_14transform_implILb0ES3_S5_N6thrust23THRUST_200600_302600_NS6detail15normal_iteratorINS8_7pointerIsNS8_11hip_rocprim5par_tENS8_11use_defaultESE_EEEENSA_INSB_IlSD_SE_SE_EEEEZNS1_13binary_searchIS3_S5_PsSG_SI_NS1_21lower_bound_search_opENS9_16wrapped_functionI11custom_lessbEEEE10hipError_tPvRmT1_T2_T3_mmT4_T5_P12ihipStream_tbEUlRKsE_EESP_ST_SU_mSV_SY_bEUlT_E_NS1_11comp_targetILNS1_3genE10ELNS1_11target_archE1201ELNS1_3gpuE5ELNS1_3repE0EEENS1_30default_config_static_selectorELNS0_4arch9wavefront6targetE1EEEvSS_
		.amdhsa_group_segment_fixed_size 0
		.amdhsa_private_segment_fixed_size 0
		.amdhsa_kernarg_size 56
		.amdhsa_user_sgpr_count 6
		.amdhsa_user_sgpr_private_segment_buffer 1
		.amdhsa_user_sgpr_dispatch_ptr 0
		.amdhsa_user_sgpr_queue_ptr 0
		.amdhsa_user_sgpr_kernarg_segment_ptr 1
		.amdhsa_user_sgpr_dispatch_id 0
		.amdhsa_user_sgpr_flat_scratch_init 0
		.amdhsa_user_sgpr_private_segment_size 0
		.amdhsa_uses_dynamic_stack 0
		.amdhsa_system_sgpr_private_segment_wavefront_offset 0
		.amdhsa_system_sgpr_workgroup_id_x 1
		.amdhsa_system_sgpr_workgroup_id_y 0
		.amdhsa_system_sgpr_workgroup_id_z 0
		.amdhsa_system_sgpr_workgroup_info 0
		.amdhsa_system_vgpr_workitem_id 0
		.amdhsa_next_free_vgpr 1
		.amdhsa_next_free_sgpr 0
		.amdhsa_reserve_vcc 0
		.amdhsa_reserve_flat_scratch 0
		.amdhsa_float_round_mode_32 0
		.amdhsa_float_round_mode_16_64 0
		.amdhsa_float_denorm_mode_32 3
		.amdhsa_float_denorm_mode_16_64 3
		.amdhsa_dx10_clamp 1
		.amdhsa_ieee_mode 1
		.amdhsa_fp16_overflow 0
		.amdhsa_exception_fp_ieee_invalid_op 0
		.amdhsa_exception_fp_denorm_src 0
		.amdhsa_exception_fp_ieee_div_zero 0
		.amdhsa_exception_fp_ieee_overflow 0
		.amdhsa_exception_fp_ieee_underflow 0
		.amdhsa_exception_fp_ieee_inexact 0
		.amdhsa_exception_int_div_zero 0
	.end_amdhsa_kernel
	.section	.text._ZN7rocprim17ROCPRIM_400000_NS6detail17trampoline_kernelINS0_14default_configENS1_27lower_bound_config_selectorIslEEZNS1_14transform_implILb0ES3_S5_N6thrust23THRUST_200600_302600_NS6detail15normal_iteratorINS8_7pointerIsNS8_11hip_rocprim5par_tENS8_11use_defaultESE_EEEENSA_INSB_IlSD_SE_SE_EEEEZNS1_13binary_searchIS3_S5_PsSG_SI_NS1_21lower_bound_search_opENS9_16wrapped_functionI11custom_lessbEEEE10hipError_tPvRmT1_T2_T3_mmT4_T5_P12ihipStream_tbEUlRKsE_EESP_ST_SU_mSV_SY_bEUlT_E_NS1_11comp_targetILNS1_3genE10ELNS1_11target_archE1201ELNS1_3gpuE5ELNS1_3repE0EEENS1_30default_config_static_selectorELNS0_4arch9wavefront6targetE1EEEvSS_,"axG",@progbits,_ZN7rocprim17ROCPRIM_400000_NS6detail17trampoline_kernelINS0_14default_configENS1_27lower_bound_config_selectorIslEEZNS1_14transform_implILb0ES3_S5_N6thrust23THRUST_200600_302600_NS6detail15normal_iteratorINS8_7pointerIsNS8_11hip_rocprim5par_tENS8_11use_defaultESE_EEEENSA_INSB_IlSD_SE_SE_EEEEZNS1_13binary_searchIS3_S5_PsSG_SI_NS1_21lower_bound_search_opENS9_16wrapped_functionI11custom_lessbEEEE10hipError_tPvRmT1_T2_T3_mmT4_T5_P12ihipStream_tbEUlRKsE_EESP_ST_SU_mSV_SY_bEUlT_E_NS1_11comp_targetILNS1_3genE10ELNS1_11target_archE1201ELNS1_3gpuE5ELNS1_3repE0EEENS1_30default_config_static_selectorELNS0_4arch9wavefront6targetE1EEEvSS_,comdat
.Lfunc_end148:
	.size	_ZN7rocprim17ROCPRIM_400000_NS6detail17trampoline_kernelINS0_14default_configENS1_27lower_bound_config_selectorIslEEZNS1_14transform_implILb0ES3_S5_N6thrust23THRUST_200600_302600_NS6detail15normal_iteratorINS8_7pointerIsNS8_11hip_rocprim5par_tENS8_11use_defaultESE_EEEENSA_INSB_IlSD_SE_SE_EEEEZNS1_13binary_searchIS3_S5_PsSG_SI_NS1_21lower_bound_search_opENS9_16wrapped_functionI11custom_lessbEEEE10hipError_tPvRmT1_T2_T3_mmT4_T5_P12ihipStream_tbEUlRKsE_EESP_ST_SU_mSV_SY_bEUlT_E_NS1_11comp_targetILNS1_3genE10ELNS1_11target_archE1201ELNS1_3gpuE5ELNS1_3repE0EEENS1_30default_config_static_selectorELNS0_4arch9wavefront6targetE1EEEvSS_, .Lfunc_end148-_ZN7rocprim17ROCPRIM_400000_NS6detail17trampoline_kernelINS0_14default_configENS1_27lower_bound_config_selectorIslEEZNS1_14transform_implILb0ES3_S5_N6thrust23THRUST_200600_302600_NS6detail15normal_iteratorINS8_7pointerIsNS8_11hip_rocprim5par_tENS8_11use_defaultESE_EEEENSA_INSB_IlSD_SE_SE_EEEEZNS1_13binary_searchIS3_S5_PsSG_SI_NS1_21lower_bound_search_opENS9_16wrapped_functionI11custom_lessbEEEE10hipError_tPvRmT1_T2_T3_mmT4_T5_P12ihipStream_tbEUlRKsE_EESP_ST_SU_mSV_SY_bEUlT_E_NS1_11comp_targetILNS1_3genE10ELNS1_11target_archE1201ELNS1_3gpuE5ELNS1_3repE0EEENS1_30default_config_static_selectorELNS0_4arch9wavefront6targetE1EEEvSS_
                                        ; -- End function
	.set _ZN7rocprim17ROCPRIM_400000_NS6detail17trampoline_kernelINS0_14default_configENS1_27lower_bound_config_selectorIslEEZNS1_14transform_implILb0ES3_S5_N6thrust23THRUST_200600_302600_NS6detail15normal_iteratorINS8_7pointerIsNS8_11hip_rocprim5par_tENS8_11use_defaultESE_EEEENSA_INSB_IlSD_SE_SE_EEEEZNS1_13binary_searchIS3_S5_PsSG_SI_NS1_21lower_bound_search_opENS9_16wrapped_functionI11custom_lessbEEEE10hipError_tPvRmT1_T2_T3_mmT4_T5_P12ihipStream_tbEUlRKsE_EESP_ST_SU_mSV_SY_bEUlT_E_NS1_11comp_targetILNS1_3genE10ELNS1_11target_archE1201ELNS1_3gpuE5ELNS1_3repE0EEENS1_30default_config_static_selectorELNS0_4arch9wavefront6targetE1EEEvSS_.num_vgpr, 0
	.set _ZN7rocprim17ROCPRIM_400000_NS6detail17trampoline_kernelINS0_14default_configENS1_27lower_bound_config_selectorIslEEZNS1_14transform_implILb0ES3_S5_N6thrust23THRUST_200600_302600_NS6detail15normal_iteratorINS8_7pointerIsNS8_11hip_rocprim5par_tENS8_11use_defaultESE_EEEENSA_INSB_IlSD_SE_SE_EEEEZNS1_13binary_searchIS3_S5_PsSG_SI_NS1_21lower_bound_search_opENS9_16wrapped_functionI11custom_lessbEEEE10hipError_tPvRmT1_T2_T3_mmT4_T5_P12ihipStream_tbEUlRKsE_EESP_ST_SU_mSV_SY_bEUlT_E_NS1_11comp_targetILNS1_3genE10ELNS1_11target_archE1201ELNS1_3gpuE5ELNS1_3repE0EEENS1_30default_config_static_selectorELNS0_4arch9wavefront6targetE1EEEvSS_.num_agpr, 0
	.set _ZN7rocprim17ROCPRIM_400000_NS6detail17trampoline_kernelINS0_14default_configENS1_27lower_bound_config_selectorIslEEZNS1_14transform_implILb0ES3_S5_N6thrust23THRUST_200600_302600_NS6detail15normal_iteratorINS8_7pointerIsNS8_11hip_rocprim5par_tENS8_11use_defaultESE_EEEENSA_INSB_IlSD_SE_SE_EEEEZNS1_13binary_searchIS3_S5_PsSG_SI_NS1_21lower_bound_search_opENS9_16wrapped_functionI11custom_lessbEEEE10hipError_tPvRmT1_T2_T3_mmT4_T5_P12ihipStream_tbEUlRKsE_EESP_ST_SU_mSV_SY_bEUlT_E_NS1_11comp_targetILNS1_3genE10ELNS1_11target_archE1201ELNS1_3gpuE5ELNS1_3repE0EEENS1_30default_config_static_selectorELNS0_4arch9wavefront6targetE1EEEvSS_.numbered_sgpr, 0
	.set _ZN7rocprim17ROCPRIM_400000_NS6detail17trampoline_kernelINS0_14default_configENS1_27lower_bound_config_selectorIslEEZNS1_14transform_implILb0ES3_S5_N6thrust23THRUST_200600_302600_NS6detail15normal_iteratorINS8_7pointerIsNS8_11hip_rocprim5par_tENS8_11use_defaultESE_EEEENSA_INSB_IlSD_SE_SE_EEEEZNS1_13binary_searchIS3_S5_PsSG_SI_NS1_21lower_bound_search_opENS9_16wrapped_functionI11custom_lessbEEEE10hipError_tPvRmT1_T2_T3_mmT4_T5_P12ihipStream_tbEUlRKsE_EESP_ST_SU_mSV_SY_bEUlT_E_NS1_11comp_targetILNS1_3genE10ELNS1_11target_archE1201ELNS1_3gpuE5ELNS1_3repE0EEENS1_30default_config_static_selectorELNS0_4arch9wavefront6targetE1EEEvSS_.num_named_barrier, 0
	.set _ZN7rocprim17ROCPRIM_400000_NS6detail17trampoline_kernelINS0_14default_configENS1_27lower_bound_config_selectorIslEEZNS1_14transform_implILb0ES3_S5_N6thrust23THRUST_200600_302600_NS6detail15normal_iteratorINS8_7pointerIsNS8_11hip_rocprim5par_tENS8_11use_defaultESE_EEEENSA_INSB_IlSD_SE_SE_EEEEZNS1_13binary_searchIS3_S5_PsSG_SI_NS1_21lower_bound_search_opENS9_16wrapped_functionI11custom_lessbEEEE10hipError_tPvRmT1_T2_T3_mmT4_T5_P12ihipStream_tbEUlRKsE_EESP_ST_SU_mSV_SY_bEUlT_E_NS1_11comp_targetILNS1_3genE10ELNS1_11target_archE1201ELNS1_3gpuE5ELNS1_3repE0EEENS1_30default_config_static_selectorELNS0_4arch9wavefront6targetE1EEEvSS_.private_seg_size, 0
	.set _ZN7rocprim17ROCPRIM_400000_NS6detail17trampoline_kernelINS0_14default_configENS1_27lower_bound_config_selectorIslEEZNS1_14transform_implILb0ES3_S5_N6thrust23THRUST_200600_302600_NS6detail15normal_iteratorINS8_7pointerIsNS8_11hip_rocprim5par_tENS8_11use_defaultESE_EEEENSA_INSB_IlSD_SE_SE_EEEEZNS1_13binary_searchIS3_S5_PsSG_SI_NS1_21lower_bound_search_opENS9_16wrapped_functionI11custom_lessbEEEE10hipError_tPvRmT1_T2_T3_mmT4_T5_P12ihipStream_tbEUlRKsE_EESP_ST_SU_mSV_SY_bEUlT_E_NS1_11comp_targetILNS1_3genE10ELNS1_11target_archE1201ELNS1_3gpuE5ELNS1_3repE0EEENS1_30default_config_static_selectorELNS0_4arch9wavefront6targetE1EEEvSS_.uses_vcc, 0
	.set _ZN7rocprim17ROCPRIM_400000_NS6detail17trampoline_kernelINS0_14default_configENS1_27lower_bound_config_selectorIslEEZNS1_14transform_implILb0ES3_S5_N6thrust23THRUST_200600_302600_NS6detail15normal_iteratorINS8_7pointerIsNS8_11hip_rocprim5par_tENS8_11use_defaultESE_EEEENSA_INSB_IlSD_SE_SE_EEEEZNS1_13binary_searchIS3_S5_PsSG_SI_NS1_21lower_bound_search_opENS9_16wrapped_functionI11custom_lessbEEEE10hipError_tPvRmT1_T2_T3_mmT4_T5_P12ihipStream_tbEUlRKsE_EESP_ST_SU_mSV_SY_bEUlT_E_NS1_11comp_targetILNS1_3genE10ELNS1_11target_archE1201ELNS1_3gpuE5ELNS1_3repE0EEENS1_30default_config_static_selectorELNS0_4arch9wavefront6targetE1EEEvSS_.uses_flat_scratch, 0
	.set _ZN7rocprim17ROCPRIM_400000_NS6detail17trampoline_kernelINS0_14default_configENS1_27lower_bound_config_selectorIslEEZNS1_14transform_implILb0ES3_S5_N6thrust23THRUST_200600_302600_NS6detail15normal_iteratorINS8_7pointerIsNS8_11hip_rocprim5par_tENS8_11use_defaultESE_EEEENSA_INSB_IlSD_SE_SE_EEEEZNS1_13binary_searchIS3_S5_PsSG_SI_NS1_21lower_bound_search_opENS9_16wrapped_functionI11custom_lessbEEEE10hipError_tPvRmT1_T2_T3_mmT4_T5_P12ihipStream_tbEUlRKsE_EESP_ST_SU_mSV_SY_bEUlT_E_NS1_11comp_targetILNS1_3genE10ELNS1_11target_archE1201ELNS1_3gpuE5ELNS1_3repE0EEENS1_30default_config_static_selectorELNS0_4arch9wavefront6targetE1EEEvSS_.has_dyn_sized_stack, 0
	.set _ZN7rocprim17ROCPRIM_400000_NS6detail17trampoline_kernelINS0_14default_configENS1_27lower_bound_config_selectorIslEEZNS1_14transform_implILb0ES3_S5_N6thrust23THRUST_200600_302600_NS6detail15normal_iteratorINS8_7pointerIsNS8_11hip_rocprim5par_tENS8_11use_defaultESE_EEEENSA_INSB_IlSD_SE_SE_EEEEZNS1_13binary_searchIS3_S5_PsSG_SI_NS1_21lower_bound_search_opENS9_16wrapped_functionI11custom_lessbEEEE10hipError_tPvRmT1_T2_T3_mmT4_T5_P12ihipStream_tbEUlRKsE_EESP_ST_SU_mSV_SY_bEUlT_E_NS1_11comp_targetILNS1_3genE10ELNS1_11target_archE1201ELNS1_3gpuE5ELNS1_3repE0EEENS1_30default_config_static_selectorELNS0_4arch9wavefront6targetE1EEEvSS_.has_recursion, 0
	.set _ZN7rocprim17ROCPRIM_400000_NS6detail17trampoline_kernelINS0_14default_configENS1_27lower_bound_config_selectorIslEEZNS1_14transform_implILb0ES3_S5_N6thrust23THRUST_200600_302600_NS6detail15normal_iteratorINS8_7pointerIsNS8_11hip_rocprim5par_tENS8_11use_defaultESE_EEEENSA_INSB_IlSD_SE_SE_EEEEZNS1_13binary_searchIS3_S5_PsSG_SI_NS1_21lower_bound_search_opENS9_16wrapped_functionI11custom_lessbEEEE10hipError_tPvRmT1_T2_T3_mmT4_T5_P12ihipStream_tbEUlRKsE_EESP_ST_SU_mSV_SY_bEUlT_E_NS1_11comp_targetILNS1_3genE10ELNS1_11target_archE1201ELNS1_3gpuE5ELNS1_3repE0EEENS1_30default_config_static_selectorELNS0_4arch9wavefront6targetE1EEEvSS_.has_indirect_call, 0
	.section	.AMDGPU.csdata,"",@progbits
; Kernel info:
; codeLenInByte = 0
; TotalNumSgprs: 4
; NumVgprs: 0
; ScratchSize: 0
; MemoryBound: 0
; FloatMode: 240
; IeeeMode: 1
; LDSByteSize: 0 bytes/workgroup (compile time only)
; SGPRBlocks: 0
; VGPRBlocks: 0
; NumSGPRsForWavesPerEU: 4
; NumVGPRsForWavesPerEU: 1
; Occupancy: 10
; WaveLimiterHint : 0
; COMPUTE_PGM_RSRC2:SCRATCH_EN: 0
; COMPUTE_PGM_RSRC2:USER_SGPR: 6
; COMPUTE_PGM_RSRC2:TRAP_HANDLER: 0
; COMPUTE_PGM_RSRC2:TGID_X_EN: 1
; COMPUTE_PGM_RSRC2:TGID_Y_EN: 0
; COMPUTE_PGM_RSRC2:TGID_Z_EN: 0
; COMPUTE_PGM_RSRC2:TIDIG_COMP_CNT: 0
	.section	.text._ZN7rocprim17ROCPRIM_400000_NS6detail17trampoline_kernelINS0_14default_configENS1_27lower_bound_config_selectorIslEEZNS1_14transform_implILb0ES3_S5_N6thrust23THRUST_200600_302600_NS6detail15normal_iteratorINS8_7pointerIsNS8_11hip_rocprim5par_tENS8_11use_defaultESE_EEEENSA_INSB_IlSD_SE_SE_EEEEZNS1_13binary_searchIS3_S5_PsSG_SI_NS1_21lower_bound_search_opENS9_16wrapped_functionI11custom_lessbEEEE10hipError_tPvRmT1_T2_T3_mmT4_T5_P12ihipStream_tbEUlRKsE_EESP_ST_SU_mSV_SY_bEUlT_E_NS1_11comp_targetILNS1_3genE10ELNS1_11target_archE1200ELNS1_3gpuE4ELNS1_3repE0EEENS1_30default_config_static_selectorELNS0_4arch9wavefront6targetE1EEEvSS_,"axG",@progbits,_ZN7rocprim17ROCPRIM_400000_NS6detail17trampoline_kernelINS0_14default_configENS1_27lower_bound_config_selectorIslEEZNS1_14transform_implILb0ES3_S5_N6thrust23THRUST_200600_302600_NS6detail15normal_iteratorINS8_7pointerIsNS8_11hip_rocprim5par_tENS8_11use_defaultESE_EEEENSA_INSB_IlSD_SE_SE_EEEEZNS1_13binary_searchIS3_S5_PsSG_SI_NS1_21lower_bound_search_opENS9_16wrapped_functionI11custom_lessbEEEE10hipError_tPvRmT1_T2_T3_mmT4_T5_P12ihipStream_tbEUlRKsE_EESP_ST_SU_mSV_SY_bEUlT_E_NS1_11comp_targetILNS1_3genE10ELNS1_11target_archE1200ELNS1_3gpuE4ELNS1_3repE0EEENS1_30default_config_static_selectorELNS0_4arch9wavefront6targetE1EEEvSS_,comdat
	.protected	_ZN7rocprim17ROCPRIM_400000_NS6detail17trampoline_kernelINS0_14default_configENS1_27lower_bound_config_selectorIslEEZNS1_14transform_implILb0ES3_S5_N6thrust23THRUST_200600_302600_NS6detail15normal_iteratorINS8_7pointerIsNS8_11hip_rocprim5par_tENS8_11use_defaultESE_EEEENSA_INSB_IlSD_SE_SE_EEEEZNS1_13binary_searchIS3_S5_PsSG_SI_NS1_21lower_bound_search_opENS9_16wrapped_functionI11custom_lessbEEEE10hipError_tPvRmT1_T2_T3_mmT4_T5_P12ihipStream_tbEUlRKsE_EESP_ST_SU_mSV_SY_bEUlT_E_NS1_11comp_targetILNS1_3genE10ELNS1_11target_archE1200ELNS1_3gpuE4ELNS1_3repE0EEENS1_30default_config_static_selectorELNS0_4arch9wavefront6targetE1EEEvSS_ ; -- Begin function _ZN7rocprim17ROCPRIM_400000_NS6detail17trampoline_kernelINS0_14default_configENS1_27lower_bound_config_selectorIslEEZNS1_14transform_implILb0ES3_S5_N6thrust23THRUST_200600_302600_NS6detail15normal_iteratorINS8_7pointerIsNS8_11hip_rocprim5par_tENS8_11use_defaultESE_EEEENSA_INSB_IlSD_SE_SE_EEEEZNS1_13binary_searchIS3_S5_PsSG_SI_NS1_21lower_bound_search_opENS9_16wrapped_functionI11custom_lessbEEEE10hipError_tPvRmT1_T2_T3_mmT4_T5_P12ihipStream_tbEUlRKsE_EESP_ST_SU_mSV_SY_bEUlT_E_NS1_11comp_targetILNS1_3genE10ELNS1_11target_archE1200ELNS1_3gpuE4ELNS1_3repE0EEENS1_30default_config_static_selectorELNS0_4arch9wavefront6targetE1EEEvSS_
	.globl	_ZN7rocprim17ROCPRIM_400000_NS6detail17trampoline_kernelINS0_14default_configENS1_27lower_bound_config_selectorIslEEZNS1_14transform_implILb0ES3_S5_N6thrust23THRUST_200600_302600_NS6detail15normal_iteratorINS8_7pointerIsNS8_11hip_rocprim5par_tENS8_11use_defaultESE_EEEENSA_INSB_IlSD_SE_SE_EEEEZNS1_13binary_searchIS3_S5_PsSG_SI_NS1_21lower_bound_search_opENS9_16wrapped_functionI11custom_lessbEEEE10hipError_tPvRmT1_T2_T3_mmT4_T5_P12ihipStream_tbEUlRKsE_EESP_ST_SU_mSV_SY_bEUlT_E_NS1_11comp_targetILNS1_3genE10ELNS1_11target_archE1200ELNS1_3gpuE4ELNS1_3repE0EEENS1_30default_config_static_selectorELNS0_4arch9wavefront6targetE1EEEvSS_
	.p2align	8
	.type	_ZN7rocprim17ROCPRIM_400000_NS6detail17trampoline_kernelINS0_14default_configENS1_27lower_bound_config_selectorIslEEZNS1_14transform_implILb0ES3_S5_N6thrust23THRUST_200600_302600_NS6detail15normal_iteratorINS8_7pointerIsNS8_11hip_rocprim5par_tENS8_11use_defaultESE_EEEENSA_INSB_IlSD_SE_SE_EEEEZNS1_13binary_searchIS3_S5_PsSG_SI_NS1_21lower_bound_search_opENS9_16wrapped_functionI11custom_lessbEEEE10hipError_tPvRmT1_T2_T3_mmT4_T5_P12ihipStream_tbEUlRKsE_EESP_ST_SU_mSV_SY_bEUlT_E_NS1_11comp_targetILNS1_3genE10ELNS1_11target_archE1200ELNS1_3gpuE4ELNS1_3repE0EEENS1_30default_config_static_selectorELNS0_4arch9wavefront6targetE1EEEvSS_,@function
_ZN7rocprim17ROCPRIM_400000_NS6detail17trampoline_kernelINS0_14default_configENS1_27lower_bound_config_selectorIslEEZNS1_14transform_implILb0ES3_S5_N6thrust23THRUST_200600_302600_NS6detail15normal_iteratorINS8_7pointerIsNS8_11hip_rocprim5par_tENS8_11use_defaultESE_EEEENSA_INSB_IlSD_SE_SE_EEEEZNS1_13binary_searchIS3_S5_PsSG_SI_NS1_21lower_bound_search_opENS9_16wrapped_functionI11custom_lessbEEEE10hipError_tPvRmT1_T2_T3_mmT4_T5_P12ihipStream_tbEUlRKsE_EESP_ST_SU_mSV_SY_bEUlT_E_NS1_11comp_targetILNS1_3genE10ELNS1_11target_archE1200ELNS1_3gpuE4ELNS1_3repE0EEENS1_30default_config_static_selectorELNS0_4arch9wavefront6targetE1EEEvSS_: ; @_ZN7rocprim17ROCPRIM_400000_NS6detail17trampoline_kernelINS0_14default_configENS1_27lower_bound_config_selectorIslEEZNS1_14transform_implILb0ES3_S5_N6thrust23THRUST_200600_302600_NS6detail15normal_iteratorINS8_7pointerIsNS8_11hip_rocprim5par_tENS8_11use_defaultESE_EEEENSA_INSB_IlSD_SE_SE_EEEEZNS1_13binary_searchIS3_S5_PsSG_SI_NS1_21lower_bound_search_opENS9_16wrapped_functionI11custom_lessbEEEE10hipError_tPvRmT1_T2_T3_mmT4_T5_P12ihipStream_tbEUlRKsE_EESP_ST_SU_mSV_SY_bEUlT_E_NS1_11comp_targetILNS1_3genE10ELNS1_11target_archE1200ELNS1_3gpuE4ELNS1_3repE0EEENS1_30default_config_static_selectorELNS0_4arch9wavefront6targetE1EEEvSS_
; %bb.0:
	.section	.rodata,"a",@progbits
	.p2align	6, 0x0
	.amdhsa_kernel _ZN7rocprim17ROCPRIM_400000_NS6detail17trampoline_kernelINS0_14default_configENS1_27lower_bound_config_selectorIslEEZNS1_14transform_implILb0ES3_S5_N6thrust23THRUST_200600_302600_NS6detail15normal_iteratorINS8_7pointerIsNS8_11hip_rocprim5par_tENS8_11use_defaultESE_EEEENSA_INSB_IlSD_SE_SE_EEEEZNS1_13binary_searchIS3_S5_PsSG_SI_NS1_21lower_bound_search_opENS9_16wrapped_functionI11custom_lessbEEEE10hipError_tPvRmT1_T2_T3_mmT4_T5_P12ihipStream_tbEUlRKsE_EESP_ST_SU_mSV_SY_bEUlT_E_NS1_11comp_targetILNS1_3genE10ELNS1_11target_archE1200ELNS1_3gpuE4ELNS1_3repE0EEENS1_30default_config_static_selectorELNS0_4arch9wavefront6targetE1EEEvSS_
		.amdhsa_group_segment_fixed_size 0
		.amdhsa_private_segment_fixed_size 0
		.amdhsa_kernarg_size 56
		.amdhsa_user_sgpr_count 6
		.amdhsa_user_sgpr_private_segment_buffer 1
		.amdhsa_user_sgpr_dispatch_ptr 0
		.amdhsa_user_sgpr_queue_ptr 0
		.amdhsa_user_sgpr_kernarg_segment_ptr 1
		.amdhsa_user_sgpr_dispatch_id 0
		.amdhsa_user_sgpr_flat_scratch_init 0
		.amdhsa_user_sgpr_private_segment_size 0
		.amdhsa_uses_dynamic_stack 0
		.amdhsa_system_sgpr_private_segment_wavefront_offset 0
		.amdhsa_system_sgpr_workgroup_id_x 1
		.amdhsa_system_sgpr_workgroup_id_y 0
		.amdhsa_system_sgpr_workgroup_id_z 0
		.amdhsa_system_sgpr_workgroup_info 0
		.amdhsa_system_vgpr_workitem_id 0
		.amdhsa_next_free_vgpr 1
		.amdhsa_next_free_sgpr 0
		.amdhsa_reserve_vcc 0
		.amdhsa_reserve_flat_scratch 0
		.amdhsa_float_round_mode_32 0
		.amdhsa_float_round_mode_16_64 0
		.amdhsa_float_denorm_mode_32 3
		.amdhsa_float_denorm_mode_16_64 3
		.amdhsa_dx10_clamp 1
		.amdhsa_ieee_mode 1
		.amdhsa_fp16_overflow 0
		.amdhsa_exception_fp_ieee_invalid_op 0
		.amdhsa_exception_fp_denorm_src 0
		.amdhsa_exception_fp_ieee_div_zero 0
		.amdhsa_exception_fp_ieee_overflow 0
		.amdhsa_exception_fp_ieee_underflow 0
		.amdhsa_exception_fp_ieee_inexact 0
		.amdhsa_exception_int_div_zero 0
	.end_amdhsa_kernel
	.section	.text._ZN7rocprim17ROCPRIM_400000_NS6detail17trampoline_kernelINS0_14default_configENS1_27lower_bound_config_selectorIslEEZNS1_14transform_implILb0ES3_S5_N6thrust23THRUST_200600_302600_NS6detail15normal_iteratorINS8_7pointerIsNS8_11hip_rocprim5par_tENS8_11use_defaultESE_EEEENSA_INSB_IlSD_SE_SE_EEEEZNS1_13binary_searchIS3_S5_PsSG_SI_NS1_21lower_bound_search_opENS9_16wrapped_functionI11custom_lessbEEEE10hipError_tPvRmT1_T2_T3_mmT4_T5_P12ihipStream_tbEUlRKsE_EESP_ST_SU_mSV_SY_bEUlT_E_NS1_11comp_targetILNS1_3genE10ELNS1_11target_archE1200ELNS1_3gpuE4ELNS1_3repE0EEENS1_30default_config_static_selectorELNS0_4arch9wavefront6targetE1EEEvSS_,"axG",@progbits,_ZN7rocprim17ROCPRIM_400000_NS6detail17trampoline_kernelINS0_14default_configENS1_27lower_bound_config_selectorIslEEZNS1_14transform_implILb0ES3_S5_N6thrust23THRUST_200600_302600_NS6detail15normal_iteratorINS8_7pointerIsNS8_11hip_rocprim5par_tENS8_11use_defaultESE_EEEENSA_INSB_IlSD_SE_SE_EEEEZNS1_13binary_searchIS3_S5_PsSG_SI_NS1_21lower_bound_search_opENS9_16wrapped_functionI11custom_lessbEEEE10hipError_tPvRmT1_T2_T3_mmT4_T5_P12ihipStream_tbEUlRKsE_EESP_ST_SU_mSV_SY_bEUlT_E_NS1_11comp_targetILNS1_3genE10ELNS1_11target_archE1200ELNS1_3gpuE4ELNS1_3repE0EEENS1_30default_config_static_selectorELNS0_4arch9wavefront6targetE1EEEvSS_,comdat
.Lfunc_end149:
	.size	_ZN7rocprim17ROCPRIM_400000_NS6detail17trampoline_kernelINS0_14default_configENS1_27lower_bound_config_selectorIslEEZNS1_14transform_implILb0ES3_S5_N6thrust23THRUST_200600_302600_NS6detail15normal_iteratorINS8_7pointerIsNS8_11hip_rocprim5par_tENS8_11use_defaultESE_EEEENSA_INSB_IlSD_SE_SE_EEEEZNS1_13binary_searchIS3_S5_PsSG_SI_NS1_21lower_bound_search_opENS9_16wrapped_functionI11custom_lessbEEEE10hipError_tPvRmT1_T2_T3_mmT4_T5_P12ihipStream_tbEUlRKsE_EESP_ST_SU_mSV_SY_bEUlT_E_NS1_11comp_targetILNS1_3genE10ELNS1_11target_archE1200ELNS1_3gpuE4ELNS1_3repE0EEENS1_30default_config_static_selectorELNS0_4arch9wavefront6targetE1EEEvSS_, .Lfunc_end149-_ZN7rocprim17ROCPRIM_400000_NS6detail17trampoline_kernelINS0_14default_configENS1_27lower_bound_config_selectorIslEEZNS1_14transform_implILb0ES3_S5_N6thrust23THRUST_200600_302600_NS6detail15normal_iteratorINS8_7pointerIsNS8_11hip_rocprim5par_tENS8_11use_defaultESE_EEEENSA_INSB_IlSD_SE_SE_EEEEZNS1_13binary_searchIS3_S5_PsSG_SI_NS1_21lower_bound_search_opENS9_16wrapped_functionI11custom_lessbEEEE10hipError_tPvRmT1_T2_T3_mmT4_T5_P12ihipStream_tbEUlRKsE_EESP_ST_SU_mSV_SY_bEUlT_E_NS1_11comp_targetILNS1_3genE10ELNS1_11target_archE1200ELNS1_3gpuE4ELNS1_3repE0EEENS1_30default_config_static_selectorELNS0_4arch9wavefront6targetE1EEEvSS_
                                        ; -- End function
	.set _ZN7rocprim17ROCPRIM_400000_NS6detail17trampoline_kernelINS0_14default_configENS1_27lower_bound_config_selectorIslEEZNS1_14transform_implILb0ES3_S5_N6thrust23THRUST_200600_302600_NS6detail15normal_iteratorINS8_7pointerIsNS8_11hip_rocprim5par_tENS8_11use_defaultESE_EEEENSA_INSB_IlSD_SE_SE_EEEEZNS1_13binary_searchIS3_S5_PsSG_SI_NS1_21lower_bound_search_opENS9_16wrapped_functionI11custom_lessbEEEE10hipError_tPvRmT1_T2_T3_mmT4_T5_P12ihipStream_tbEUlRKsE_EESP_ST_SU_mSV_SY_bEUlT_E_NS1_11comp_targetILNS1_3genE10ELNS1_11target_archE1200ELNS1_3gpuE4ELNS1_3repE0EEENS1_30default_config_static_selectorELNS0_4arch9wavefront6targetE1EEEvSS_.num_vgpr, 0
	.set _ZN7rocprim17ROCPRIM_400000_NS6detail17trampoline_kernelINS0_14default_configENS1_27lower_bound_config_selectorIslEEZNS1_14transform_implILb0ES3_S5_N6thrust23THRUST_200600_302600_NS6detail15normal_iteratorINS8_7pointerIsNS8_11hip_rocprim5par_tENS8_11use_defaultESE_EEEENSA_INSB_IlSD_SE_SE_EEEEZNS1_13binary_searchIS3_S5_PsSG_SI_NS1_21lower_bound_search_opENS9_16wrapped_functionI11custom_lessbEEEE10hipError_tPvRmT1_T2_T3_mmT4_T5_P12ihipStream_tbEUlRKsE_EESP_ST_SU_mSV_SY_bEUlT_E_NS1_11comp_targetILNS1_3genE10ELNS1_11target_archE1200ELNS1_3gpuE4ELNS1_3repE0EEENS1_30default_config_static_selectorELNS0_4arch9wavefront6targetE1EEEvSS_.num_agpr, 0
	.set _ZN7rocprim17ROCPRIM_400000_NS6detail17trampoline_kernelINS0_14default_configENS1_27lower_bound_config_selectorIslEEZNS1_14transform_implILb0ES3_S5_N6thrust23THRUST_200600_302600_NS6detail15normal_iteratorINS8_7pointerIsNS8_11hip_rocprim5par_tENS8_11use_defaultESE_EEEENSA_INSB_IlSD_SE_SE_EEEEZNS1_13binary_searchIS3_S5_PsSG_SI_NS1_21lower_bound_search_opENS9_16wrapped_functionI11custom_lessbEEEE10hipError_tPvRmT1_T2_T3_mmT4_T5_P12ihipStream_tbEUlRKsE_EESP_ST_SU_mSV_SY_bEUlT_E_NS1_11comp_targetILNS1_3genE10ELNS1_11target_archE1200ELNS1_3gpuE4ELNS1_3repE0EEENS1_30default_config_static_selectorELNS0_4arch9wavefront6targetE1EEEvSS_.numbered_sgpr, 0
	.set _ZN7rocprim17ROCPRIM_400000_NS6detail17trampoline_kernelINS0_14default_configENS1_27lower_bound_config_selectorIslEEZNS1_14transform_implILb0ES3_S5_N6thrust23THRUST_200600_302600_NS6detail15normal_iteratorINS8_7pointerIsNS8_11hip_rocprim5par_tENS8_11use_defaultESE_EEEENSA_INSB_IlSD_SE_SE_EEEEZNS1_13binary_searchIS3_S5_PsSG_SI_NS1_21lower_bound_search_opENS9_16wrapped_functionI11custom_lessbEEEE10hipError_tPvRmT1_T2_T3_mmT4_T5_P12ihipStream_tbEUlRKsE_EESP_ST_SU_mSV_SY_bEUlT_E_NS1_11comp_targetILNS1_3genE10ELNS1_11target_archE1200ELNS1_3gpuE4ELNS1_3repE0EEENS1_30default_config_static_selectorELNS0_4arch9wavefront6targetE1EEEvSS_.num_named_barrier, 0
	.set _ZN7rocprim17ROCPRIM_400000_NS6detail17trampoline_kernelINS0_14default_configENS1_27lower_bound_config_selectorIslEEZNS1_14transform_implILb0ES3_S5_N6thrust23THRUST_200600_302600_NS6detail15normal_iteratorINS8_7pointerIsNS8_11hip_rocprim5par_tENS8_11use_defaultESE_EEEENSA_INSB_IlSD_SE_SE_EEEEZNS1_13binary_searchIS3_S5_PsSG_SI_NS1_21lower_bound_search_opENS9_16wrapped_functionI11custom_lessbEEEE10hipError_tPvRmT1_T2_T3_mmT4_T5_P12ihipStream_tbEUlRKsE_EESP_ST_SU_mSV_SY_bEUlT_E_NS1_11comp_targetILNS1_3genE10ELNS1_11target_archE1200ELNS1_3gpuE4ELNS1_3repE0EEENS1_30default_config_static_selectorELNS0_4arch9wavefront6targetE1EEEvSS_.private_seg_size, 0
	.set _ZN7rocprim17ROCPRIM_400000_NS6detail17trampoline_kernelINS0_14default_configENS1_27lower_bound_config_selectorIslEEZNS1_14transform_implILb0ES3_S5_N6thrust23THRUST_200600_302600_NS6detail15normal_iteratorINS8_7pointerIsNS8_11hip_rocprim5par_tENS8_11use_defaultESE_EEEENSA_INSB_IlSD_SE_SE_EEEEZNS1_13binary_searchIS3_S5_PsSG_SI_NS1_21lower_bound_search_opENS9_16wrapped_functionI11custom_lessbEEEE10hipError_tPvRmT1_T2_T3_mmT4_T5_P12ihipStream_tbEUlRKsE_EESP_ST_SU_mSV_SY_bEUlT_E_NS1_11comp_targetILNS1_3genE10ELNS1_11target_archE1200ELNS1_3gpuE4ELNS1_3repE0EEENS1_30default_config_static_selectorELNS0_4arch9wavefront6targetE1EEEvSS_.uses_vcc, 0
	.set _ZN7rocprim17ROCPRIM_400000_NS6detail17trampoline_kernelINS0_14default_configENS1_27lower_bound_config_selectorIslEEZNS1_14transform_implILb0ES3_S5_N6thrust23THRUST_200600_302600_NS6detail15normal_iteratorINS8_7pointerIsNS8_11hip_rocprim5par_tENS8_11use_defaultESE_EEEENSA_INSB_IlSD_SE_SE_EEEEZNS1_13binary_searchIS3_S5_PsSG_SI_NS1_21lower_bound_search_opENS9_16wrapped_functionI11custom_lessbEEEE10hipError_tPvRmT1_T2_T3_mmT4_T5_P12ihipStream_tbEUlRKsE_EESP_ST_SU_mSV_SY_bEUlT_E_NS1_11comp_targetILNS1_3genE10ELNS1_11target_archE1200ELNS1_3gpuE4ELNS1_3repE0EEENS1_30default_config_static_selectorELNS0_4arch9wavefront6targetE1EEEvSS_.uses_flat_scratch, 0
	.set _ZN7rocprim17ROCPRIM_400000_NS6detail17trampoline_kernelINS0_14default_configENS1_27lower_bound_config_selectorIslEEZNS1_14transform_implILb0ES3_S5_N6thrust23THRUST_200600_302600_NS6detail15normal_iteratorINS8_7pointerIsNS8_11hip_rocprim5par_tENS8_11use_defaultESE_EEEENSA_INSB_IlSD_SE_SE_EEEEZNS1_13binary_searchIS3_S5_PsSG_SI_NS1_21lower_bound_search_opENS9_16wrapped_functionI11custom_lessbEEEE10hipError_tPvRmT1_T2_T3_mmT4_T5_P12ihipStream_tbEUlRKsE_EESP_ST_SU_mSV_SY_bEUlT_E_NS1_11comp_targetILNS1_3genE10ELNS1_11target_archE1200ELNS1_3gpuE4ELNS1_3repE0EEENS1_30default_config_static_selectorELNS0_4arch9wavefront6targetE1EEEvSS_.has_dyn_sized_stack, 0
	.set _ZN7rocprim17ROCPRIM_400000_NS6detail17trampoline_kernelINS0_14default_configENS1_27lower_bound_config_selectorIslEEZNS1_14transform_implILb0ES3_S5_N6thrust23THRUST_200600_302600_NS6detail15normal_iteratorINS8_7pointerIsNS8_11hip_rocprim5par_tENS8_11use_defaultESE_EEEENSA_INSB_IlSD_SE_SE_EEEEZNS1_13binary_searchIS3_S5_PsSG_SI_NS1_21lower_bound_search_opENS9_16wrapped_functionI11custom_lessbEEEE10hipError_tPvRmT1_T2_T3_mmT4_T5_P12ihipStream_tbEUlRKsE_EESP_ST_SU_mSV_SY_bEUlT_E_NS1_11comp_targetILNS1_3genE10ELNS1_11target_archE1200ELNS1_3gpuE4ELNS1_3repE0EEENS1_30default_config_static_selectorELNS0_4arch9wavefront6targetE1EEEvSS_.has_recursion, 0
	.set _ZN7rocprim17ROCPRIM_400000_NS6detail17trampoline_kernelINS0_14default_configENS1_27lower_bound_config_selectorIslEEZNS1_14transform_implILb0ES3_S5_N6thrust23THRUST_200600_302600_NS6detail15normal_iteratorINS8_7pointerIsNS8_11hip_rocprim5par_tENS8_11use_defaultESE_EEEENSA_INSB_IlSD_SE_SE_EEEEZNS1_13binary_searchIS3_S5_PsSG_SI_NS1_21lower_bound_search_opENS9_16wrapped_functionI11custom_lessbEEEE10hipError_tPvRmT1_T2_T3_mmT4_T5_P12ihipStream_tbEUlRKsE_EESP_ST_SU_mSV_SY_bEUlT_E_NS1_11comp_targetILNS1_3genE10ELNS1_11target_archE1200ELNS1_3gpuE4ELNS1_3repE0EEENS1_30default_config_static_selectorELNS0_4arch9wavefront6targetE1EEEvSS_.has_indirect_call, 0
	.section	.AMDGPU.csdata,"",@progbits
; Kernel info:
; codeLenInByte = 0
; TotalNumSgprs: 4
; NumVgprs: 0
; ScratchSize: 0
; MemoryBound: 0
; FloatMode: 240
; IeeeMode: 1
; LDSByteSize: 0 bytes/workgroup (compile time only)
; SGPRBlocks: 0
; VGPRBlocks: 0
; NumSGPRsForWavesPerEU: 4
; NumVGPRsForWavesPerEU: 1
; Occupancy: 10
; WaveLimiterHint : 0
; COMPUTE_PGM_RSRC2:SCRATCH_EN: 0
; COMPUTE_PGM_RSRC2:USER_SGPR: 6
; COMPUTE_PGM_RSRC2:TRAP_HANDLER: 0
; COMPUTE_PGM_RSRC2:TGID_X_EN: 1
; COMPUTE_PGM_RSRC2:TGID_Y_EN: 0
; COMPUTE_PGM_RSRC2:TGID_Z_EN: 0
; COMPUTE_PGM_RSRC2:TIDIG_COMP_CNT: 0
	.section	.text._ZN7rocprim17ROCPRIM_400000_NS6detail17trampoline_kernelINS0_14default_configENS1_27lower_bound_config_selectorIslEEZNS1_14transform_implILb0ES3_S5_N6thrust23THRUST_200600_302600_NS6detail15normal_iteratorINS8_7pointerIsNS8_11hip_rocprim5par_tENS8_11use_defaultESE_EEEENSA_INSB_IlSD_SE_SE_EEEEZNS1_13binary_searchIS3_S5_PsSG_SI_NS1_21lower_bound_search_opENS9_16wrapped_functionI11custom_lessbEEEE10hipError_tPvRmT1_T2_T3_mmT4_T5_P12ihipStream_tbEUlRKsE_EESP_ST_SU_mSV_SY_bEUlT_E_NS1_11comp_targetILNS1_3genE9ELNS1_11target_archE1100ELNS1_3gpuE3ELNS1_3repE0EEENS1_30default_config_static_selectorELNS0_4arch9wavefront6targetE1EEEvSS_,"axG",@progbits,_ZN7rocprim17ROCPRIM_400000_NS6detail17trampoline_kernelINS0_14default_configENS1_27lower_bound_config_selectorIslEEZNS1_14transform_implILb0ES3_S5_N6thrust23THRUST_200600_302600_NS6detail15normal_iteratorINS8_7pointerIsNS8_11hip_rocprim5par_tENS8_11use_defaultESE_EEEENSA_INSB_IlSD_SE_SE_EEEEZNS1_13binary_searchIS3_S5_PsSG_SI_NS1_21lower_bound_search_opENS9_16wrapped_functionI11custom_lessbEEEE10hipError_tPvRmT1_T2_T3_mmT4_T5_P12ihipStream_tbEUlRKsE_EESP_ST_SU_mSV_SY_bEUlT_E_NS1_11comp_targetILNS1_3genE9ELNS1_11target_archE1100ELNS1_3gpuE3ELNS1_3repE0EEENS1_30default_config_static_selectorELNS0_4arch9wavefront6targetE1EEEvSS_,comdat
	.protected	_ZN7rocprim17ROCPRIM_400000_NS6detail17trampoline_kernelINS0_14default_configENS1_27lower_bound_config_selectorIslEEZNS1_14transform_implILb0ES3_S5_N6thrust23THRUST_200600_302600_NS6detail15normal_iteratorINS8_7pointerIsNS8_11hip_rocprim5par_tENS8_11use_defaultESE_EEEENSA_INSB_IlSD_SE_SE_EEEEZNS1_13binary_searchIS3_S5_PsSG_SI_NS1_21lower_bound_search_opENS9_16wrapped_functionI11custom_lessbEEEE10hipError_tPvRmT1_T2_T3_mmT4_T5_P12ihipStream_tbEUlRKsE_EESP_ST_SU_mSV_SY_bEUlT_E_NS1_11comp_targetILNS1_3genE9ELNS1_11target_archE1100ELNS1_3gpuE3ELNS1_3repE0EEENS1_30default_config_static_selectorELNS0_4arch9wavefront6targetE1EEEvSS_ ; -- Begin function _ZN7rocprim17ROCPRIM_400000_NS6detail17trampoline_kernelINS0_14default_configENS1_27lower_bound_config_selectorIslEEZNS1_14transform_implILb0ES3_S5_N6thrust23THRUST_200600_302600_NS6detail15normal_iteratorINS8_7pointerIsNS8_11hip_rocprim5par_tENS8_11use_defaultESE_EEEENSA_INSB_IlSD_SE_SE_EEEEZNS1_13binary_searchIS3_S5_PsSG_SI_NS1_21lower_bound_search_opENS9_16wrapped_functionI11custom_lessbEEEE10hipError_tPvRmT1_T2_T3_mmT4_T5_P12ihipStream_tbEUlRKsE_EESP_ST_SU_mSV_SY_bEUlT_E_NS1_11comp_targetILNS1_3genE9ELNS1_11target_archE1100ELNS1_3gpuE3ELNS1_3repE0EEENS1_30default_config_static_selectorELNS0_4arch9wavefront6targetE1EEEvSS_
	.globl	_ZN7rocprim17ROCPRIM_400000_NS6detail17trampoline_kernelINS0_14default_configENS1_27lower_bound_config_selectorIslEEZNS1_14transform_implILb0ES3_S5_N6thrust23THRUST_200600_302600_NS6detail15normal_iteratorINS8_7pointerIsNS8_11hip_rocprim5par_tENS8_11use_defaultESE_EEEENSA_INSB_IlSD_SE_SE_EEEEZNS1_13binary_searchIS3_S5_PsSG_SI_NS1_21lower_bound_search_opENS9_16wrapped_functionI11custom_lessbEEEE10hipError_tPvRmT1_T2_T3_mmT4_T5_P12ihipStream_tbEUlRKsE_EESP_ST_SU_mSV_SY_bEUlT_E_NS1_11comp_targetILNS1_3genE9ELNS1_11target_archE1100ELNS1_3gpuE3ELNS1_3repE0EEENS1_30default_config_static_selectorELNS0_4arch9wavefront6targetE1EEEvSS_
	.p2align	8
	.type	_ZN7rocprim17ROCPRIM_400000_NS6detail17trampoline_kernelINS0_14default_configENS1_27lower_bound_config_selectorIslEEZNS1_14transform_implILb0ES3_S5_N6thrust23THRUST_200600_302600_NS6detail15normal_iteratorINS8_7pointerIsNS8_11hip_rocprim5par_tENS8_11use_defaultESE_EEEENSA_INSB_IlSD_SE_SE_EEEEZNS1_13binary_searchIS3_S5_PsSG_SI_NS1_21lower_bound_search_opENS9_16wrapped_functionI11custom_lessbEEEE10hipError_tPvRmT1_T2_T3_mmT4_T5_P12ihipStream_tbEUlRKsE_EESP_ST_SU_mSV_SY_bEUlT_E_NS1_11comp_targetILNS1_3genE9ELNS1_11target_archE1100ELNS1_3gpuE3ELNS1_3repE0EEENS1_30default_config_static_selectorELNS0_4arch9wavefront6targetE1EEEvSS_,@function
_ZN7rocprim17ROCPRIM_400000_NS6detail17trampoline_kernelINS0_14default_configENS1_27lower_bound_config_selectorIslEEZNS1_14transform_implILb0ES3_S5_N6thrust23THRUST_200600_302600_NS6detail15normal_iteratorINS8_7pointerIsNS8_11hip_rocprim5par_tENS8_11use_defaultESE_EEEENSA_INSB_IlSD_SE_SE_EEEEZNS1_13binary_searchIS3_S5_PsSG_SI_NS1_21lower_bound_search_opENS9_16wrapped_functionI11custom_lessbEEEE10hipError_tPvRmT1_T2_T3_mmT4_T5_P12ihipStream_tbEUlRKsE_EESP_ST_SU_mSV_SY_bEUlT_E_NS1_11comp_targetILNS1_3genE9ELNS1_11target_archE1100ELNS1_3gpuE3ELNS1_3repE0EEENS1_30default_config_static_selectorELNS0_4arch9wavefront6targetE1EEEvSS_: ; @_ZN7rocprim17ROCPRIM_400000_NS6detail17trampoline_kernelINS0_14default_configENS1_27lower_bound_config_selectorIslEEZNS1_14transform_implILb0ES3_S5_N6thrust23THRUST_200600_302600_NS6detail15normal_iteratorINS8_7pointerIsNS8_11hip_rocprim5par_tENS8_11use_defaultESE_EEEENSA_INSB_IlSD_SE_SE_EEEEZNS1_13binary_searchIS3_S5_PsSG_SI_NS1_21lower_bound_search_opENS9_16wrapped_functionI11custom_lessbEEEE10hipError_tPvRmT1_T2_T3_mmT4_T5_P12ihipStream_tbEUlRKsE_EESP_ST_SU_mSV_SY_bEUlT_E_NS1_11comp_targetILNS1_3genE9ELNS1_11target_archE1100ELNS1_3gpuE3ELNS1_3repE0EEENS1_30default_config_static_selectorELNS0_4arch9wavefront6targetE1EEEvSS_
; %bb.0:
	.section	.rodata,"a",@progbits
	.p2align	6, 0x0
	.amdhsa_kernel _ZN7rocprim17ROCPRIM_400000_NS6detail17trampoline_kernelINS0_14default_configENS1_27lower_bound_config_selectorIslEEZNS1_14transform_implILb0ES3_S5_N6thrust23THRUST_200600_302600_NS6detail15normal_iteratorINS8_7pointerIsNS8_11hip_rocprim5par_tENS8_11use_defaultESE_EEEENSA_INSB_IlSD_SE_SE_EEEEZNS1_13binary_searchIS3_S5_PsSG_SI_NS1_21lower_bound_search_opENS9_16wrapped_functionI11custom_lessbEEEE10hipError_tPvRmT1_T2_T3_mmT4_T5_P12ihipStream_tbEUlRKsE_EESP_ST_SU_mSV_SY_bEUlT_E_NS1_11comp_targetILNS1_3genE9ELNS1_11target_archE1100ELNS1_3gpuE3ELNS1_3repE0EEENS1_30default_config_static_selectorELNS0_4arch9wavefront6targetE1EEEvSS_
		.amdhsa_group_segment_fixed_size 0
		.amdhsa_private_segment_fixed_size 0
		.amdhsa_kernarg_size 56
		.amdhsa_user_sgpr_count 6
		.amdhsa_user_sgpr_private_segment_buffer 1
		.amdhsa_user_sgpr_dispatch_ptr 0
		.amdhsa_user_sgpr_queue_ptr 0
		.amdhsa_user_sgpr_kernarg_segment_ptr 1
		.amdhsa_user_sgpr_dispatch_id 0
		.amdhsa_user_sgpr_flat_scratch_init 0
		.amdhsa_user_sgpr_private_segment_size 0
		.amdhsa_uses_dynamic_stack 0
		.amdhsa_system_sgpr_private_segment_wavefront_offset 0
		.amdhsa_system_sgpr_workgroup_id_x 1
		.amdhsa_system_sgpr_workgroup_id_y 0
		.amdhsa_system_sgpr_workgroup_id_z 0
		.amdhsa_system_sgpr_workgroup_info 0
		.amdhsa_system_vgpr_workitem_id 0
		.amdhsa_next_free_vgpr 1
		.amdhsa_next_free_sgpr 0
		.amdhsa_reserve_vcc 0
		.amdhsa_reserve_flat_scratch 0
		.amdhsa_float_round_mode_32 0
		.amdhsa_float_round_mode_16_64 0
		.amdhsa_float_denorm_mode_32 3
		.amdhsa_float_denorm_mode_16_64 3
		.amdhsa_dx10_clamp 1
		.amdhsa_ieee_mode 1
		.amdhsa_fp16_overflow 0
		.amdhsa_exception_fp_ieee_invalid_op 0
		.amdhsa_exception_fp_denorm_src 0
		.amdhsa_exception_fp_ieee_div_zero 0
		.amdhsa_exception_fp_ieee_overflow 0
		.amdhsa_exception_fp_ieee_underflow 0
		.amdhsa_exception_fp_ieee_inexact 0
		.amdhsa_exception_int_div_zero 0
	.end_amdhsa_kernel
	.section	.text._ZN7rocprim17ROCPRIM_400000_NS6detail17trampoline_kernelINS0_14default_configENS1_27lower_bound_config_selectorIslEEZNS1_14transform_implILb0ES3_S5_N6thrust23THRUST_200600_302600_NS6detail15normal_iteratorINS8_7pointerIsNS8_11hip_rocprim5par_tENS8_11use_defaultESE_EEEENSA_INSB_IlSD_SE_SE_EEEEZNS1_13binary_searchIS3_S5_PsSG_SI_NS1_21lower_bound_search_opENS9_16wrapped_functionI11custom_lessbEEEE10hipError_tPvRmT1_T2_T3_mmT4_T5_P12ihipStream_tbEUlRKsE_EESP_ST_SU_mSV_SY_bEUlT_E_NS1_11comp_targetILNS1_3genE9ELNS1_11target_archE1100ELNS1_3gpuE3ELNS1_3repE0EEENS1_30default_config_static_selectorELNS0_4arch9wavefront6targetE1EEEvSS_,"axG",@progbits,_ZN7rocprim17ROCPRIM_400000_NS6detail17trampoline_kernelINS0_14default_configENS1_27lower_bound_config_selectorIslEEZNS1_14transform_implILb0ES3_S5_N6thrust23THRUST_200600_302600_NS6detail15normal_iteratorINS8_7pointerIsNS8_11hip_rocprim5par_tENS8_11use_defaultESE_EEEENSA_INSB_IlSD_SE_SE_EEEEZNS1_13binary_searchIS3_S5_PsSG_SI_NS1_21lower_bound_search_opENS9_16wrapped_functionI11custom_lessbEEEE10hipError_tPvRmT1_T2_T3_mmT4_T5_P12ihipStream_tbEUlRKsE_EESP_ST_SU_mSV_SY_bEUlT_E_NS1_11comp_targetILNS1_3genE9ELNS1_11target_archE1100ELNS1_3gpuE3ELNS1_3repE0EEENS1_30default_config_static_selectorELNS0_4arch9wavefront6targetE1EEEvSS_,comdat
.Lfunc_end150:
	.size	_ZN7rocprim17ROCPRIM_400000_NS6detail17trampoline_kernelINS0_14default_configENS1_27lower_bound_config_selectorIslEEZNS1_14transform_implILb0ES3_S5_N6thrust23THRUST_200600_302600_NS6detail15normal_iteratorINS8_7pointerIsNS8_11hip_rocprim5par_tENS8_11use_defaultESE_EEEENSA_INSB_IlSD_SE_SE_EEEEZNS1_13binary_searchIS3_S5_PsSG_SI_NS1_21lower_bound_search_opENS9_16wrapped_functionI11custom_lessbEEEE10hipError_tPvRmT1_T2_T3_mmT4_T5_P12ihipStream_tbEUlRKsE_EESP_ST_SU_mSV_SY_bEUlT_E_NS1_11comp_targetILNS1_3genE9ELNS1_11target_archE1100ELNS1_3gpuE3ELNS1_3repE0EEENS1_30default_config_static_selectorELNS0_4arch9wavefront6targetE1EEEvSS_, .Lfunc_end150-_ZN7rocprim17ROCPRIM_400000_NS6detail17trampoline_kernelINS0_14default_configENS1_27lower_bound_config_selectorIslEEZNS1_14transform_implILb0ES3_S5_N6thrust23THRUST_200600_302600_NS6detail15normal_iteratorINS8_7pointerIsNS8_11hip_rocprim5par_tENS8_11use_defaultESE_EEEENSA_INSB_IlSD_SE_SE_EEEEZNS1_13binary_searchIS3_S5_PsSG_SI_NS1_21lower_bound_search_opENS9_16wrapped_functionI11custom_lessbEEEE10hipError_tPvRmT1_T2_T3_mmT4_T5_P12ihipStream_tbEUlRKsE_EESP_ST_SU_mSV_SY_bEUlT_E_NS1_11comp_targetILNS1_3genE9ELNS1_11target_archE1100ELNS1_3gpuE3ELNS1_3repE0EEENS1_30default_config_static_selectorELNS0_4arch9wavefront6targetE1EEEvSS_
                                        ; -- End function
	.set _ZN7rocprim17ROCPRIM_400000_NS6detail17trampoline_kernelINS0_14default_configENS1_27lower_bound_config_selectorIslEEZNS1_14transform_implILb0ES3_S5_N6thrust23THRUST_200600_302600_NS6detail15normal_iteratorINS8_7pointerIsNS8_11hip_rocprim5par_tENS8_11use_defaultESE_EEEENSA_INSB_IlSD_SE_SE_EEEEZNS1_13binary_searchIS3_S5_PsSG_SI_NS1_21lower_bound_search_opENS9_16wrapped_functionI11custom_lessbEEEE10hipError_tPvRmT1_T2_T3_mmT4_T5_P12ihipStream_tbEUlRKsE_EESP_ST_SU_mSV_SY_bEUlT_E_NS1_11comp_targetILNS1_3genE9ELNS1_11target_archE1100ELNS1_3gpuE3ELNS1_3repE0EEENS1_30default_config_static_selectorELNS0_4arch9wavefront6targetE1EEEvSS_.num_vgpr, 0
	.set _ZN7rocprim17ROCPRIM_400000_NS6detail17trampoline_kernelINS0_14default_configENS1_27lower_bound_config_selectorIslEEZNS1_14transform_implILb0ES3_S5_N6thrust23THRUST_200600_302600_NS6detail15normal_iteratorINS8_7pointerIsNS8_11hip_rocprim5par_tENS8_11use_defaultESE_EEEENSA_INSB_IlSD_SE_SE_EEEEZNS1_13binary_searchIS3_S5_PsSG_SI_NS1_21lower_bound_search_opENS9_16wrapped_functionI11custom_lessbEEEE10hipError_tPvRmT1_T2_T3_mmT4_T5_P12ihipStream_tbEUlRKsE_EESP_ST_SU_mSV_SY_bEUlT_E_NS1_11comp_targetILNS1_3genE9ELNS1_11target_archE1100ELNS1_3gpuE3ELNS1_3repE0EEENS1_30default_config_static_selectorELNS0_4arch9wavefront6targetE1EEEvSS_.num_agpr, 0
	.set _ZN7rocprim17ROCPRIM_400000_NS6detail17trampoline_kernelINS0_14default_configENS1_27lower_bound_config_selectorIslEEZNS1_14transform_implILb0ES3_S5_N6thrust23THRUST_200600_302600_NS6detail15normal_iteratorINS8_7pointerIsNS8_11hip_rocprim5par_tENS8_11use_defaultESE_EEEENSA_INSB_IlSD_SE_SE_EEEEZNS1_13binary_searchIS3_S5_PsSG_SI_NS1_21lower_bound_search_opENS9_16wrapped_functionI11custom_lessbEEEE10hipError_tPvRmT1_T2_T3_mmT4_T5_P12ihipStream_tbEUlRKsE_EESP_ST_SU_mSV_SY_bEUlT_E_NS1_11comp_targetILNS1_3genE9ELNS1_11target_archE1100ELNS1_3gpuE3ELNS1_3repE0EEENS1_30default_config_static_selectorELNS0_4arch9wavefront6targetE1EEEvSS_.numbered_sgpr, 0
	.set _ZN7rocprim17ROCPRIM_400000_NS6detail17trampoline_kernelINS0_14default_configENS1_27lower_bound_config_selectorIslEEZNS1_14transform_implILb0ES3_S5_N6thrust23THRUST_200600_302600_NS6detail15normal_iteratorINS8_7pointerIsNS8_11hip_rocprim5par_tENS8_11use_defaultESE_EEEENSA_INSB_IlSD_SE_SE_EEEEZNS1_13binary_searchIS3_S5_PsSG_SI_NS1_21lower_bound_search_opENS9_16wrapped_functionI11custom_lessbEEEE10hipError_tPvRmT1_T2_T3_mmT4_T5_P12ihipStream_tbEUlRKsE_EESP_ST_SU_mSV_SY_bEUlT_E_NS1_11comp_targetILNS1_3genE9ELNS1_11target_archE1100ELNS1_3gpuE3ELNS1_3repE0EEENS1_30default_config_static_selectorELNS0_4arch9wavefront6targetE1EEEvSS_.num_named_barrier, 0
	.set _ZN7rocprim17ROCPRIM_400000_NS6detail17trampoline_kernelINS0_14default_configENS1_27lower_bound_config_selectorIslEEZNS1_14transform_implILb0ES3_S5_N6thrust23THRUST_200600_302600_NS6detail15normal_iteratorINS8_7pointerIsNS8_11hip_rocprim5par_tENS8_11use_defaultESE_EEEENSA_INSB_IlSD_SE_SE_EEEEZNS1_13binary_searchIS3_S5_PsSG_SI_NS1_21lower_bound_search_opENS9_16wrapped_functionI11custom_lessbEEEE10hipError_tPvRmT1_T2_T3_mmT4_T5_P12ihipStream_tbEUlRKsE_EESP_ST_SU_mSV_SY_bEUlT_E_NS1_11comp_targetILNS1_3genE9ELNS1_11target_archE1100ELNS1_3gpuE3ELNS1_3repE0EEENS1_30default_config_static_selectorELNS0_4arch9wavefront6targetE1EEEvSS_.private_seg_size, 0
	.set _ZN7rocprim17ROCPRIM_400000_NS6detail17trampoline_kernelINS0_14default_configENS1_27lower_bound_config_selectorIslEEZNS1_14transform_implILb0ES3_S5_N6thrust23THRUST_200600_302600_NS6detail15normal_iteratorINS8_7pointerIsNS8_11hip_rocprim5par_tENS8_11use_defaultESE_EEEENSA_INSB_IlSD_SE_SE_EEEEZNS1_13binary_searchIS3_S5_PsSG_SI_NS1_21lower_bound_search_opENS9_16wrapped_functionI11custom_lessbEEEE10hipError_tPvRmT1_T2_T3_mmT4_T5_P12ihipStream_tbEUlRKsE_EESP_ST_SU_mSV_SY_bEUlT_E_NS1_11comp_targetILNS1_3genE9ELNS1_11target_archE1100ELNS1_3gpuE3ELNS1_3repE0EEENS1_30default_config_static_selectorELNS0_4arch9wavefront6targetE1EEEvSS_.uses_vcc, 0
	.set _ZN7rocprim17ROCPRIM_400000_NS6detail17trampoline_kernelINS0_14default_configENS1_27lower_bound_config_selectorIslEEZNS1_14transform_implILb0ES3_S5_N6thrust23THRUST_200600_302600_NS6detail15normal_iteratorINS8_7pointerIsNS8_11hip_rocprim5par_tENS8_11use_defaultESE_EEEENSA_INSB_IlSD_SE_SE_EEEEZNS1_13binary_searchIS3_S5_PsSG_SI_NS1_21lower_bound_search_opENS9_16wrapped_functionI11custom_lessbEEEE10hipError_tPvRmT1_T2_T3_mmT4_T5_P12ihipStream_tbEUlRKsE_EESP_ST_SU_mSV_SY_bEUlT_E_NS1_11comp_targetILNS1_3genE9ELNS1_11target_archE1100ELNS1_3gpuE3ELNS1_3repE0EEENS1_30default_config_static_selectorELNS0_4arch9wavefront6targetE1EEEvSS_.uses_flat_scratch, 0
	.set _ZN7rocprim17ROCPRIM_400000_NS6detail17trampoline_kernelINS0_14default_configENS1_27lower_bound_config_selectorIslEEZNS1_14transform_implILb0ES3_S5_N6thrust23THRUST_200600_302600_NS6detail15normal_iteratorINS8_7pointerIsNS8_11hip_rocprim5par_tENS8_11use_defaultESE_EEEENSA_INSB_IlSD_SE_SE_EEEEZNS1_13binary_searchIS3_S5_PsSG_SI_NS1_21lower_bound_search_opENS9_16wrapped_functionI11custom_lessbEEEE10hipError_tPvRmT1_T2_T3_mmT4_T5_P12ihipStream_tbEUlRKsE_EESP_ST_SU_mSV_SY_bEUlT_E_NS1_11comp_targetILNS1_3genE9ELNS1_11target_archE1100ELNS1_3gpuE3ELNS1_3repE0EEENS1_30default_config_static_selectorELNS0_4arch9wavefront6targetE1EEEvSS_.has_dyn_sized_stack, 0
	.set _ZN7rocprim17ROCPRIM_400000_NS6detail17trampoline_kernelINS0_14default_configENS1_27lower_bound_config_selectorIslEEZNS1_14transform_implILb0ES3_S5_N6thrust23THRUST_200600_302600_NS6detail15normal_iteratorINS8_7pointerIsNS8_11hip_rocprim5par_tENS8_11use_defaultESE_EEEENSA_INSB_IlSD_SE_SE_EEEEZNS1_13binary_searchIS3_S5_PsSG_SI_NS1_21lower_bound_search_opENS9_16wrapped_functionI11custom_lessbEEEE10hipError_tPvRmT1_T2_T3_mmT4_T5_P12ihipStream_tbEUlRKsE_EESP_ST_SU_mSV_SY_bEUlT_E_NS1_11comp_targetILNS1_3genE9ELNS1_11target_archE1100ELNS1_3gpuE3ELNS1_3repE0EEENS1_30default_config_static_selectorELNS0_4arch9wavefront6targetE1EEEvSS_.has_recursion, 0
	.set _ZN7rocprim17ROCPRIM_400000_NS6detail17trampoline_kernelINS0_14default_configENS1_27lower_bound_config_selectorIslEEZNS1_14transform_implILb0ES3_S5_N6thrust23THRUST_200600_302600_NS6detail15normal_iteratorINS8_7pointerIsNS8_11hip_rocprim5par_tENS8_11use_defaultESE_EEEENSA_INSB_IlSD_SE_SE_EEEEZNS1_13binary_searchIS3_S5_PsSG_SI_NS1_21lower_bound_search_opENS9_16wrapped_functionI11custom_lessbEEEE10hipError_tPvRmT1_T2_T3_mmT4_T5_P12ihipStream_tbEUlRKsE_EESP_ST_SU_mSV_SY_bEUlT_E_NS1_11comp_targetILNS1_3genE9ELNS1_11target_archE1100ELNS1_3gpuE3ELNS1_3repE0EEENS1_30default_config_static_selectorELNS0_4arch9wavefront6targetE1EEEvSS_.has_indirect_call, 0
	.section	.AMDGPU.csdata,"",@progbits
; Kernel info:
; codeLenInByte = 0
; TotalNumSgprs: 4
; NumVgprs: 0
; ScratchSize: 0
; MemoryBound: 0
; FloatMode: 240
; IeeeMode: 1
; LDSByteSize: 0 bytes/workgroup (compile time only)
; SGPRBlocks: 0
; VGPRBlocks: 0
; NumSGPRsForWavesPerEU: 4
; NumVGPRsForWavesPerEU: 1
; Occupancy: 10
; WaveLimiterHint : 0
; COMPUTE_PGM_RSRC2:SCRATCH_EN: 0
; COMPUTE_PGM_RSRC2:USER_SGPR: 6
; COMPUTE_PGM_RSRC2:TRAP_HANDLER: 0
; COMPUTE_PGM_RSRC2:TGID_X_EN: 1
; COMPUTE_PGM_RSRC2:TGID_Y_EN: 0
; COMPUTE_PGM_RSRC2:TGID_Z_EN: 0
; COMPUTE_PGM_RSRC2:TIDIG_COMP_CNT: 0
	.section	.text._ZN7rocprim17ROCPRIM_400000_NS6detail17trampoline_kernelINS0_14default_configENS1_27lower_bound_config_selectorIslEEZNS1_14transform_implILb0ES3_S5_N6thrust23THRUST_200600_302600_NS6detail15normal_iteratorINS8_7pointerIsNS8_11hip_rocprim5par_tENS8_11use_defaultESE_EEEENSA_INSB_IlSD_SE_SE_EEEEZNS1_13binary_searchIS3_S5_PsSG_SI_NS1_21lower_bound_search_opENS9_16wrapped_functionI11custom_lessbEEEE10hipError_tPvRmT1_T2_T3_mmT4_T5_P12ihipStream_tbEUlRKsE_EESP_ST_SU_mSV_SY_bEUlT_E_NS1_11comp_targetILNS1_3genE8ELNS1_11target_archE1030ELNS1_3gpuE2ELNS1_3repE0EEENS1_30default_config_static_selectorELNS0_4arch9wavefront6targetE1EEEvSS_,"axG",@progbits,_ZN7rocprim17ROCPRIM_400000_NS6detail17trampoline_kernelINS0_14default_configENS1_27lower_bound_config_selectorIslEEZNS1_14transform_implILb0ES3_S5_N6thrust23THRUST_200600_302600_NS6detail15normal_iteratorINS8_7pointerIsNS8_11hip_rocprim5par_tENS8_11use_defaultESE_EEEENSA_INSB_IlSD_SE_SE_EEEEZNS1_13binary_searchIS3_S5_PsSG_SI_NS1_21lower_bound_search_opENS9_16wrapped_functionI11custom_lessbEEEE10hipError_tPvRmT1_T2_T3_mmT4_T5_P12ihipStream_tbEUlRKsE_EESP_ST_SU_mSV_SY_bEUlT_E_NS1_11comp_targetILNS1_3genE8ELNS1_11target_archE1030ELNS1_3gpuE2ELNS1_3repE0EEENS1_30default_config_static_selectorELNS0_4arch9wavefront6targetE1EEEvSS_,comdat
	.protected	_ZN7rocprim17ROCPRIM_400000_NS6detail17trampoline_kernelINS0_14default_configENS1_27lower_bound_config_selectorIslEEZNS1_14transform_implILb0ES3_S5_N6thrust23THRUST_200600_302600_NS6detail15normal_iteratorINS8_7pointerIsNS8_11hip_rocprim5par_tENS8_11use_defaultESE_EEEENSA_INSB_IlSD_SE_SE_EEEEZNS1_13binary_searchIS3_S5_PsSG_SI_NS1_21lower_bound_search_opENS9_16wrapped_functionI11custom_lessbEEEE10hipError_tPvRmT1_T2_T3_mmT4_T5_P12ihipStream_tbEUlRKsE_EESP_ST_SU_mSV_SY_bEUlT_E_NS1_11comp_targetILNS1_3genE8ELNS1_11target_archE1030ELNS1_3gpuE2ELNS1_3repE0EEENS1_30default_config_static_selectorELNS0_4arch9wavefront6targetE1EEEvSS_ ; -- Begin function _ZN7rocprim17ROCPRIM_400000_NS6detail17trampoline_kernelINS0_14default_configENS1_27lower_bound_config_selectorIslEEZNS1_14transform_implILb0ES3_S5_N6thrust23THRUST_200600_302600_NS6detail15normal_iteratorINS8_7pointerIsNS8_11hip_rocprim5par_tENS8_11use_defaultESE_EEEENSA_INSB_IlSD_SE_SE_EEEEZNS1_13binary_searchIS3_S5_PsSG_SI_NS1_21lower_bound_search_opENS9_16wrapped_functionI11custom_lessbEEEE10hipError_tPvRmT1_T2_T3_mmT4_T5_P12ihipStream_tbEUlRKsE_EESP_ST_SU_mSV_SY_bEUlT_E_NS1_11comp_targetILNS1_3genE8ELNS1_11target_archE1030ELNS1_3gpuE2ELNS1_3repE0EEENS1_30default_config_static_selectorELNS0_4arch9wavefront6targetE1EEEvSS_
	.globl	_ZN7rocprim17ROCPRIM_400000_NS6detail17trampoline_kernelINS0_14default_configENS1_27lower_bound_config_selectorIslEEZNS1_14transform_implILb0ES3_S5_N6thrust23THRUST_200600_302600_NS6detail15normal_iteratorINS8_7pointerIsNS8_11hip_rocprim5par_tENS8_11use_defaultESE_EEEENSA_INSB_IlSD_SE_SE_EEEEZNS1_13binary_searchIS3_S5_PsSG_SI_NS1_21lower_bound_search_opENS9_16wrapped_functionI11custom_lessbEEEE10hipError_tPvRmT1_T2_T3_mmT4_T5_P12ihipStream_tbEUlRKsE_EESP_ST_SU_mSV_SY_bEUlT_E_NS1_11comp_targetILNS1_3genE8ELNS1_11target_archE1030ELNS1_3gpuE2ELNS1_3repE0EEENS1_30default_config_static_selectorELNS0_4arch9wavefront6targetE1EEEvSS_
	.p2align	8
	.type	_ZN7rocprim17ROCPRIM_400000_NS6detail17trampoline_kernelINS0_14default_configENS1_27lower_bound_config_selectorIslEEZNS1_14transform_implILb0ES3_S5_N6thrust23THRUST_200600_302600_NS6detail15normal_iteratorINS8_7pointerIsNS8_11hip_rocprim5par_tENS8_11use_defaultESE_EEEENSA_INSB_IlSD_SE_SE_EEEEZNS1_13binary_searchIS3_S5_PsSG_SI_NS1_21lower_bound_search_opENS9_16wrapped_functionI11custom_lessbEEEE10hipError_tPvRmT1_T2_T3_mmT4_T5_P12ihipStream_tbEUlRKsE_EESP_ST_SU_mSV_SY_bEUlT_E_NS1_11comp_targetILNS1_3genE8ELNS1_11target_archE1030ELNS1_3gpuE2ELNS1_3repE0EEENS1_30default_config_static_selectorELNS0_4arch9wavefront6targetE1EEEvSS_,@function
_ZN7rocprim17ROCPRIM_400000_NS6detail17trampoline_kernelINS0_14default_configENS1_27lower_bound_config_selectorIslEEZNS1_14transform_implILb0ES3_S5_N6thrust23THRUST_200600_302600_NS6detail15normal_iteratorINS8_7pointerIsNS8_11hip_rocprim5par_tENS8_11use_defaultESE_EEEENSA_INSB_IlSD_SE_SE_EEEEZNS1_13binary_searchIS3_S5_PsSG_SI_NS1_21lower_bound_search_opENS9_16wrapped_functionI11custom_lessbEEEE10hipError_tPvRmT1_T2_T3_mmT4_T5_P12ihipStream_tbEUlRKsE_EESP_ST_SU_mSV_SY_bEUlT_E_NS1_11comp_targetILNS1_3genE8ELNS1_11target_archE1030ELNS1_3gpuE2ELNS1_3repE0EEENS1_30default_config_static_selectorELNS0_4arch9wavefront6targetE1EEEvSS_: ; @_ZN7rocprim17ROCPRIM_400000_NS6detail17trampoline_kernelINS0_14default_configENS1_27lower_bound_config_selectorIslEEZNS1_14transform_implILb0ES3_S5_N6thrust23THRUST_200600_302600_NS6detail15normal_iteratorINS8_7pointerIsNS8_11hip_rocprim5par_tENS8_11use_defaultESE_EEEENSA_INSB_IlSD_SE_SE_EEEEZNS1_13binary_searchIS3_S5_PsSG_SI_NS1_21lower_bound_search_opENS9_16wrapped_functionI11custom_lessbEEEE10hipError_tPvRmT1_T2_T3_mmT4_T5_P12ihipStream_tbEUlRKsE_EESP_ST_SU_mSV_SY_bEUlT_E_NS1_11comp_targetILNS1_3genE8ELNS1_11target_archE1030ELNS1_3gpuE2ELNS1_3repE0EEENS1_30default_config_static_selectorELNS0_4arch9wavefront6targetE1EEEvSS_
; %bb.0:
	.section	.rodata,"a",@progbits
	.p2align	6, 0x0
	.amdhsa_kernel _ZN7rocprim17ROCPRIM_400000_NS6detail17trampoline_kernelINS0_14default_configENS1_27lower_bound_config_selectorIslEEZNS1_14transform_implILb0ES3_S5_N6thrust23THRUST_200600_302600_NS6detail15normal_iteratorINS8_7pointerIsNS8_11hip_rocprim5par_tENS8_11use_defaultESE_EEEENSA_INSB_IlSD_SE_SE_EEEEZNS1_13binary_searchIS3_S5_PsSG_SI_NS1_21lower_bound_search_opENS9_16wrapped_functionI11custom_lessbEEEE10hipError_tPvRmT1_T2_T3_mmT4_T5_P12ihipStream_tbEUlRKsE_EESP_ST_SU_mSV_SY_bEUlT_E_NS1_11comp_targetILNS1_3genE8ELNS1_11target_archE1030ELNS1_3gpuE2ELNS1_3repE0EEENS1_30default_config_static_selectorELNS0_4arch9wavefront6targetE1EEEvSS_
		.amdhsa_group_segment_fixed_size 0
		.amdhsa_private_segment_fixed_size 0
		.amdhsa_kernarg_size 56
		.amdhsa_user_sgpr_count 6
		.amdhsa_user_sgpr_private_segment_buffer 1
		.amdhsa_user_sgpr_dispatch_ptr 0
		.amdhsa_user_sgpr_queue_ptr 0
		.amdhsa_user_sgpr_kernarg_segment_ptr 1
		.amdhsa_user_sgpr_dispatch_id 0
		.amdhsa_user_sgpr_flat_scratch_init 0
		.amdhsa_user_sgpr_private_segment_size 0
		.amdhsa_uses_dynamic_stack 0
		.amdhsa_system_sgpr_private_segment_wavefront_offset 0
		.amdhsa_system_sgpr_workgroup_id_x 1
		.amdhsa_system_sgpr_workgroup_id_y 0
		.amdhsa_system_sgpr_workgroup_id_z 0
		.amdhsa_system_sgpr_workgroup_info 0
		.amdhsa_system_vgpr_workitem_id 0
		.amdhsa_next_free_vgpr 1
		.amdhsa_next_free_sgpr 0
		.amdhsa_reserve_vcc 0
		.amdhsa_reserve_flat_scratch 0
		.amdhsa_float_round_mode_32 0
		.amdhsa_float_round_mode_16_64 0
		.amdhsa_float_denorm_mode_32 3
		.amdhsa_float_denorm_mode_16_64 3
		.amdhsa_dx10_clamp 1
		.amdhsa_ieee_mode 1
		.amdhsa_fp16_overflow 0
		.amdhsa_exception_fp_ieee_invalid_op 0
		.amdhsa_exception_fp_denorm_src 0
		.amdhsa_exception_fp_ieee_div_zero 0
		.amdhsa_exception_fp_ieee_overflow 0
		.amdhsa_exception_fp_ieee_underflow 0
		.amdhsa_exception_fp_ieee_inexact 0
		.amdhsa_exception_int_div_zero 0
	.end_amdhsa_kernel
	.section	.text._ZN7rocprim17ROCPRIM_400000_NS6detail17trampoline_kernelINS0_14default_configENS1_27lower_bound_config_selectorIslEEZNS1_14transform_implILb0ES3_S5_N6thrust23THRUST_200600_302600_NS6detail15normal_iteratorINS8_7pointerIsNS8_11hip_rocprim5par_tENS8_11use_defaultESE_EEEENSA_INSB_IlSD_SE_SE_EEEEZNS1_13binary_searchIS3_S5_PsSG_SI_NS1_21lower_bound_search_opENS9_16wrapped_functionI11custom_lessbEEEE10hipError_tPvRmT1_T2_T3_mmT4_T5_P12ihipStream_tbEUlRKsE_EESP_ST_SU_mSV_SY_bEUlT_E_NS1_11comp_targetILNS1_3genE8ELNS1_11target_archE1030ELNS1_3gpuE2ELNS1_3repE0EEENS1_30default_config_static_selectorELNS0_4arch9wavefront6targetE1EEEvSS_,"axG",@progbits,_ZN7rocprim17ROCPRIM_400000_NS6detail17trampoline_kernelINS0_14default_configENS1_27lower_bound_config_selectorIslEEZNS1_14transform_implILb0ES3_S5_N6thrust23THRUST_200600_302600_NS6detail15normal_iteratorINS8_7pointerIsNS8_11hip_rocprim5par_tENS8_11use_defaultESE_EEEENSA_INSB_IlSD_SE_SE_EEEEZNS1_13binary_searchIS3_S5_PsSG_SI_NS1_21lower_bound_search_opENS9_16wrapped_functionI11custom_lessbEEEE10hipError_tPvRmT1_T2_T3_mmT4_T5_P12ihipStream_tbEUlRKsE_EESP_ST_SU_mSV_SY_bEUlT_E_NS1_11comp_targetILNS1_3genE8ELNS1_11target_archE1030ELNS1_3gpuE2ELNS1_3repE0EEENS1_30default_config_static_selectorELNS0_4arch9wavefront6targetE1EEEvSS_,comdat
.Lfunc_end151:
	.size	_ZN7rocprim17ROCPRIM_400000_NS6detail17trampoline_kernelINS0_14default_configENS1_27lower_bound_config_selectorIslEEZNS1_14transform_implILb0ES3_S5_N6thrust23THRUST_200600_302600_NS6detail15normal_iteratorINS8_7pointerIsNS8_11hip_rocprim5par_tENS8_11use_defaultESE_EEEENSA_INSB_IlSD_SE_SE_EEEEZNS1_13binary_searchIS3_S5_PsSG_SI_NS1_21lower_bound_search_opENS9_16wrapped_functionI11custom_lessbEEEE10hipError_tPvRmT1_T2_T3_mmT4_T5_P12ihipStream_tbEUlRKsE_EESP_ST_SU_mSV_SY_bEUlT_E_NS1_11comp_targetILNS1_3genE8ELNS1_11target_archE1030ELNS1_3gpuE2ELNS1_3repE0EEENS1_30default_config_static_selectorELNS0_4arch9wavefront6targetE1EEEvSS_, .Lfunc_end151-_ZN7rocprim17ROCPRIM_400000_NS6detail17trampoline_kernelINS0_14default_configENS1_27lower_bound_config_selectorIslEEZNS1_14transform_implILb0ES3_S5_N6thrust23THRUST_200600_302600_NS6detail15normal_iteratorINS8_7pointerIsNS8_11hip_rocprim5par_tENS8_11use_defaultESE_EEEENSA_INSB_IlSD_SE_SE_EEEEZNS1_13binary_searchIS3_S5_PsSG_SI_NS1_21lower_bound_search_opENS9_16wrapped_functionI11custom_lessbEEEE10hipError_tPvRmT1_T2_T3_mmT4_T5_P12ihipStream_tbEUlRKsE_EESP_ST_SU_mSV_SY_bEUlT_E_NS1_11comp_targetILNS1_3genE8ELNS1_11target_archE1030ELNS1_3gpuE2ELNS1_3repE0EEENS1_30default_config_static_selectorELNS0_4arch9wavefront6targetE1EEEvSS_
                                        ; -- End function
	.set _ZN7rocprim17ROCPRIM_400000_NS6detail17trampoline_kernelINS0_14default_configENS1_27lower_bound_config_selectorIslEEZNS1_14transform_implILb0ES3_S5_N6thrust23THRUST_200600_302600_NS6detail15normal_iteratorINS8_7pointerIsNS8_11hip_rocprim5par_tENS8_11use_defaultESE_EEEENSA_INSB_IlSD_SE_SE_EEEEZNS1_13binary_searchIS3_S5_PsSG_SI_NS1_21lower_bound_search_opENS9_16wrapped_functionI11custom_lessbEEEE10hipError_tPvRmT1_T2_T3_mmT4_T5_P12ihipStream_tbEUlRKsE_EESP_ST_SU_mSV_SY_bEUlT_E_NS1_11comp_targetILNS1_3genE8ELNS1_11target_archE1030ELNS1_3gpuE2ELNS1_3repE0EEENS1_30default_config_static_selectorELNS0_4arch9wavefront6targetE1EEEvSS_.num_vgpr, 0
	.set _ZN7rocprim17ROCPRIM_400000_NS6detail17trampoline_kernelINS0_14default_configENS1_27lower_bound_config_selectorIslEEZNS1_14transform_implILb0ES3_S5_N6thrust23THRUST_200600_302600_NS6detail15normal_iteratorINS8_7pointerIsNS8_11hip_rocprim5par_tENS8_11use_defaultESE_EEEENSA_INSB_IlSD_SE_SE_EEEEZNS1_13binary_searchIS3_S5_PsSG_SI_NS1_21lower_bound_search_opENS9_16wrapped_functionI11custom_lessbEEEE10hipError_tPvRmT1_T2_T3_mmT4_T5_P12ihipStream_tbEUlRKsE_EESP_ST_SU_mSV_SY_bEUlT_E_NS1_11comp_targetILNS1_3genE8ELNS1_11target_archE1030ELNS1_3gpuE2ELNS1_3repE0EEENS1_30default_config_static_selectorELNS0_4arch9wavefront6targetE1EEEvSS_.num_agpr, 0
	.set _ZN7rocprim17ROCPRIM_400000_NS6detail17trampoline_kernelINS0_14default_configENS1_27lower_bound_config_selectorIslEEZNS1_14transform_implILb0ES3_S5_N6thrust23THRUST_200600_302600_NS6detail15normal_iteratorINS8_7pointerIsNS8_11hip_rocprim5par_tENS8_11use_defaultESE_EEEENSA_INSB_IlSD_SE_SE_EEEEZNS1_13binary_searchIS3_S5_PsSG_SI_NS1_21lower_bound_search_opENS9_16wrapped_functionI11custom_lessbEEEE10hipError_tPvRmT1_T2_T3_mmT4_T5_P12ihipStream_tbEUlRKsE_EESP_ST_SU_mSV_SY_bEUlT_E_NS1_11comp_targetILNS1_3genE8ELNS1_11target_archE1030ELNS1_3gpuE2ELNS1_3repE0EEENS1_30default_config_static_selectorELNS0_4arch9wavefront6targetE1EEEvSS_.numbered_sgpr, 0
	.set _ZN7rocprim17ROCPRIM_400000_NS6detail17trampoline_kernelINS0_14default_configENS1_27lower_bound_config_selectorIslEEZNS1_14transform_implILb0ES3_S5_N6thrust23THRUST_200600_302600_NS6detail15normal_iteratorINS8_7pointerIsNS8_11hip_rocprim5par_tENS8_11use_defaultESE_EEEENSA_INSB_IlSD_SE_SE_EEEEZNS1_13binary_searchIS3_S5_PsSG_SI_NS1_21lower_bound_search_opENS9_16wrapped_functionI11custom_lessbEEEE10hipError_tPvRmT1_T2_T3_mmT4_T5_P12ihipStream_tbEUlRKsE_EESP_ST_SU_mSV_SY_bEUlT_E_NS1_11comp_targetILNS1_3genE8ELNS1_11target_archE1030ELNS1_3gpuE2ELNS1_3repE0EEENS1_30default_config_static_selectorELNS0_4arch9wavefront6targetE1EEEvSS_.num_named_barrier, 0
	.set _ZN7rocprim17ROCPRIM_400000_NS6detail17trampoline_kernelINS0_14default_configENS1_27lower_bound_config_selectorIslEEZNS1_14transform_implILb0ES3_S5_N6thrust23THRUST_200600_302600_NS6detail15normal_iteratorINS8_7pointerIsNS8_11hip_rocprim5par_tENS8_11use_defaultESE_EEEENSA_INSB_IlSD_SE_SE_EEEEZNS1_13binary_searchIS3_S5_PsSG_SI_NS1_21lower_bound_search_opENS9_16wrapped_functionI11custom_lessbEEEE10hipError_tPvRmT1_T2_T3_mmT4_T5_P12ihipStream_tbEUlRKsE_EESP_ST_SU_mSV_SY_bEUlT_E_NS1_11comp_targetILNS1_3genE8ELNS1_11target_archE1030ELNS1_3gpuE2ELNS1_3repE0EEENS1_30default_config_static_selectorELNS0_4arch9wavefront6targetE1EEEvSS_.private_seg_size, 0
	.set _ZN7rocprim17ROCPRIM_400000_NS6detail17trampoline_kernelINS0_14default_configENS1_27lower_bound_config_selectorIslEEZNS1_14transform_implILb0ES3_S5_N6thrust23THRUST_200600_302600_NS6detail15normal_iteratorINS8_7pointerIsNS8_11hip_rocprim5par_tENS8_11use_defaultESE_EEEENSA_INSB_IlSD_SE_SE_EEEEZNS1_13binary_searchIS3_S5_PsSG_SI_NS1_21lower_bound_search_opENS9_16wrapped_functionI11custom_lessbEEEE10hipError_tPvRmT1_T2_T3_mmT4_T5_P12ihipStream_tbEUlRKsE_EESP_ST_SU_mSV_SY_bEUlT_E_NS1_11comp_targetILNS1_3genE8ELNS1_11target_archE1030ELNS1_3gpuE2ELNS1_3repE0EEENS1_30default_config_static_selectorELNS0_4arch9wavefront6targetE1EEEvSS_.uses_vcc, 0
	.set _ZN7rocprim17ROCPRIM_400000_NS6detail17trampoline_kernelINS0_14default_configENS1_27lower_bound_config_selectorIslEEZNS1_14transform_implILb0ES3_S5_N6thrust23THRUST_200600_302600_NS6detail15normal_iteratorINS8_7pointerIsNS8_11hip_rocprim5par_tENS8_11use_defaultESE_EEEENSA_INSB_IlSD_SE_SE_EEEEZNS1_13binary_searchIS3_S5_PsSG_SI_NS1_21lower_bound_search_opENS9_16wrapped_functionI11custom_lessbEEEE10hipError_tPvRmT1_T2_T3_mmT4_T5_P12ihipStream_tbEUlRKsE_EESP_ST_SU_mSV_SY_bEUlT_E_NS1_11comp_targetILNS1_3genE8ELNS1_11target_archE1030ELNS1_3gpuE2ELNS1_3repE0EEENS1_30default_config_static_selectorELNS0_4arch9wavefront6targetE1EEEvSS_.uses_flat_scratch, 0
	.set _ZN7rocprim17ROCPRIM_400000_NS6detail17trampoline_kernelINS0_14default_configENS1_27lower_bound_config_selectorIslEEZNS1_14transform_implILb0ES3_S5_N6thrust23THRUST_200600_302600_NS6detail15normal_iteratorINS8_7pointerIsNS8_11hip_rocprim5par_tENS8_11use_defaultESE_EEEENSA_INSB_IlSD_SE_SE_EEEEZNS1_13binary_searchIS3_S5_PsSG_SI_NS1_21lower_bound_search_opENS9_16wrapped_functionI11custom_lessbEEEE10hipError_tPvRmT1_T2_T3_mmT4_T5_P12ihipStream_tbEUlRKsE_EESP_ST_SU_mSV_SY_bEUlT_E_NS1_11comp_targetILNS1_3genE8ELNS1_11target_archE1030ELNS1_3gpuE2ELNS1_3repE0EEENS1_30default_config_static_selectorELNS0_4arch9wavefront6targetE1EEEvSS_.has_dyn_sized_stack, 0
	.set _ZN7rocprim17ROCPRIM_400000_NS6detail17trampoline_kernelINS0_14default_configENS1_27lower_bound_config_selectorIslEEZNS1_14transform_implILb0ES3_S5_N6thrust23THRUST_200600_302600_NS6detail15normal_iteratorINS8_7pointerIsNS8_11hip_rocprim5par_tENS8_11use_defaultESE_EEEENSA_INSB_IlSD_SE_SE_EEEEZNS1_13binary_searchIS3_S5_PsSG_SI_NS1_21lower_bound_search_opENS9_16wrapped_functionI11custom_lessbEEEE10hipError_tPvRmT1_T2_T3_mmT4_T5_P12ihipStream_tbEUlRKsE_EESP_ST_SU_mSV_SY_bEUlT_E_NS1_11comp_targetILNS1_3genE8ELNS1_11target_archE1030ELNS1_3gpuE2ELNS1_3repE0EEENS1_30default_config_static_selectorELNS0_4arch9wavefront6targetE1EEEvSS_.has_recursion, 0
	.set _ZN7rocprim17ROCPRIM_400000_NS6detail17trampoline_kernelINS0_14default_configENS1_27lower_bound_config_selectorIslEEZNS1_14transform_implILb0ES3_S5_N6thrust23THRUST_200600_302600_NS6detail15normal_iteratorINS8_7pointerIsNS8_11hip_rocprim5par_tENS8_11use_defaultESE_EEEENSA_INSB_IlSD_SE_SE_EEEEZNS1_13binary_searchIS3_S5_PsSG_SI_NS1_21lower_bound_search_opENS9_16wrapped_functionI11custom_lessbEEEE10hipError_tPvRmT1_T2_T3_mmT4_T5_P12ihipStream_tbEUlRKsE_EESP_ST_SU_mSV_SY_bEUlT_E_NS1_11comp_targetILNS1_3genE8ELNS1_11target_archE1030ELNS1_3gpuE2ELNS1_3repE0EEENS1_30default_config_static_selectorELNS0_4arch9wavefront6targetE1EEEvSS_.has_indirect_call, 0
	.section	.AMDGPU.csdata,"",@progbits
; Kernel info:
; codeLenInByte = 0
; TotalNumSgprs: 4
; NumVgprs: 0
; ScratchSize: 0
; MemoryBound: 0
; FloatMode: 240
; IeeeMode: 1
; LDSByteSize: 0 bytes/workgroup (compile time only)
; SGPRBlocks: 0
; VGPRBlocks: 0
; NumSGPRsForWavesPerEU: 4
; NumVGPRsForWavesPerEU: 1
; Occupancy: 10
; WaveLimiterHint : 0
; COMPUTE_PGM_RSRC2:SCRATCH_EN: 0
; COMPUTE_PGM_RSRC2:USER_SGPR: 6
; COMPUTE_PGM_RSRC2:TRAP_HANDLER: 0
; COMPUTE_PGM_RSRC2:TGID_X_EN: 1
; COMPUTE_PGM_RSRC2:TGID_Y_EN: 0
; COMPUTE_PGM_RSRC2:TGID_Z_EN: 0
; COMPUTE_PGM_RSRC2:TIDIG_COMP_CNT: 0
	.section	.text._ZN7rocprim17ROCPRIM_400000_NS6detail17trampoline_kernelINS0_14default_configENS1_27lower_bound_config_selectorIslEEZNS1_14transform_implILb0ES3_S5_N6thrust23THRUST_200600_302600_NS6detail15normal_iteratorINS8_7pointerIsNS8_11hip_rocprim5par_tENS8_11use_defaultESE_EEEENSA_INSB_IlSD_SE_SE_EEEEZNS1_13binary_searchIS3_S5_PsSG_SI_NS1_21lower_bound_search_opENS9_16wrapped_functionINS8_6system6detail7generic6detail18binary_search_lessEbEEEE10hipError_tPvRmT1_T2_T3_mmT4_T5_P12ihipStream_tbEUlRKsE_EEST_SX_SY_mSZ_S12_bEUlT_E_NS1_11comp_targetILNS1_3genE0ELNS1_11target_archE4294967295ELNS1_3gpuE0ELNS1_3repE0EEENS1_30default_config_static_selectorELNS0_4arch9wavefront6targetE1EEEvSW_,"axG",@progbits,_ZN7rocprim17ROCPRIM_400000_NS6detail17trampoline_kernelINS0_14default_configENS1_27lower_bound_config_selectorIslEEZNS1_14transform_implILb0ES3_S5_N6thrust23THRUST_200600_302600_NS6detail15normal_iteratorINS8_7pointerIsNS8_11hip_rocprim5par_tENS8_11use_defaultESE_EEEENSA_INSB_IlSD_SE_SE_EEEEZNS1_13binary_searchIS3_S5_PsSG_SI_NS1_21lower_bound_search_opENS9_16wrapped_functionINS8_6system6detail7generic6detail18binary_search_lessEbEEEE10hipError_tPvRmT1_T2_T3_mmT4_T5_P12ihipStream_tbEUlRKsE_EEST_SX_SY_mSZ_S12_bEUlT_E_NS1_11comp_targetILNS1_3genE0ELNS1_11target_archE4294967295ELNS1_3gpuE0ELNS1_3repE0EEENS1_30default_config_static_selectorELNS0_4arch9wavefront6targetE1EEEvSW_,comdat
	.protected	_ZN7rocprim17ROCPRIM_400000_NS6detail17trampoline_kernelINS0_14default_configENS1_27lower_bound_config_selectorIslEEZNS1_14transform_implILb0ES3_S5_N6thrust23THRUST_200600_302600_NS6detail15normal_iteratorINS8_7pointerIsNS8_11hip_rocprim5par_tENS8_11use_defaultESE_EEEENSA_INSB_IlSD_SE_SE_EEEEZNS1_13binary_searchIS3_S5_PsSG_SI_NS1_21lower_bound_search_opENS9_16wrapped_functionINS8_6system6detail7generic6detail18binary_search_lessEbEEEE10hipError_tPvRmT1_T2_T3_mmT4_T5_P12ihipStream_tbEUlRKsE_EEST_SX_SY_mSZ_S12_bEUlT_E_NS1_11comp_targetILNS1_3genE0ELNS1_11target_archE4294967295ELNS1_3gpuE0ELNS1_3repE0EEENS1_30default_config_static_selectorELNS0_4arch9wavefront6targetE1EEEvSW_ ; -- Begin function _ZN7rocprim17ROCPRIM_400000_NS6detail17trampoline_kernelINS0_14default_configENS1_27lower_bound_config_selectorIslEEZNS1_14transform_implILb0ES3_S5_N6thrust23THRUST_200600_302600_NS6detail15normal_iteratorINS8_7pointerIsNS8_11hip_rocprim5par_tENS8_11use_defaultESE_EEEENSA_INSB_IlSD_SE_SE_EEEEZNS1_13binary_searchIS3_S5_PsSG_SI_NS1_21lower_bound_search_opENS9_16wrapped_functionINS8_6system6detail7generic6detail18binary_search_lessEbEEEE10hipError_tPvRmT1_T2_T3_mmT4_T5_P12ihipStream_tbEUlRKsE_EEST_SX_SY_mSZ_S12_bEUlT_E_NS1_11comp_targetILNS1_3genE0ELNS1_11target_archE4294967295ELNS1_3gpuE0ELNS1_3repE0EEENS1_30default_config_static_selectorELNS0_4arch9wavefront6targetE1EEEvSW_
	.globl	_ZN7rocprim17ROCPRIM_400000_NS6detail17trampoline_kernelINS0_14default_configENS1_27lower_bound_config_selectorIslEEZNS1_14transform_implILb0ES3_S5_N6thrust23THRUST_200600_302600_NS6detail15normal_iteratorINS8_7pointerIsNS8_11hip_rocprim5par_tENS8_11use_defaultESE_EEEENSA_INSB_IlSD_SE_SE_EEEEZNS1_13binary_searchIS3_S5_PsSG_SI_NS1_21lower_bound_search_opENS9_16wrapped_functionINS8_6system6detail7generic6detail18binary_search_lessEbEEEE10hipError_tPvRmT1_T2_T3_mmT4_T5_P12ihipStream_tbEUlRKsE_EEST_SX_SY_mSZ_S12_bEUlT_E_NS1_11comp_targetILNS1_3genE0ELNS1_11target_archE4294967295ELNS1_3gpuE0ELNS1_3repE0EEENS1_30default_config_static_selectorELNS0_4arch9wavefront6targetE1EEEvSW_
	.p2align	8
	.type	_ZN7rocprim17ROCPRIM_400000_NS6detail17trampoline_kernelINS0_14default_configENS1_27lower_bound_config_selectorIslEEZNS1_14transform_implILb0ES3_S5_N6thrust23THRUST_200600_302600_NS6detail15normal_iteratorINS8_7pointerIsNS8_11hip_rocprim5par_tENS8_11use_defaultESE_EEEENSA_INSB_IlSD_SE_SE_EEEEZNS1_13binary_searchIS3_S5_PsSG_SI_NS1_21lower_bound_search_opENS9_16wrapped_functionINS8_6system6detail7generic6detail18binary_search_lessEbEEEE10hipError_tPvRmT1_T2_T3_mmT4_T5_P12ihipStream_tbEUlRKsE_EEST_SX_SY_mSZ_S12_bEUlT_E_NS1_11comp_targetILNS1_3genE0ELNS1_11target_archE4294967295ELNS1_3gpuE0ELNS1_3repE0EEENS1_30default_config_static_selectorELNS0_4arch9wavefront6targetE1EEEvSW_,@function
_ZN7rocprim17ROCPRIM_400000_NS6detail17trampoline_kernelINS0_14default_configENS1_27lower_bound_config_selectorIslEEZNS1_14transform_implILb0ES3_S5_N6thrust23THRUST_200600_302600_NS6detail15normal_iteratorINS8_7pointerIsNS8_11hip_rocprim5par_tENS8_11use_defaultESE_EEEENSA_INSB_IlSD_SE_SE_EEEEZNS1_13binary_searchIS3_S5_PsSG_SI_NS1_21lower_bound_search_opENS9_16wrapped_functionINS8_6system6detail7generic6detail18binary_search_lessEbEEEE10hipError_tPvRmT1_T2_T3_mmT4_T5_P12ihipStream_tbEUlRKsE_EEST_SX_SY_mSZ_S12_bEUlT_E_NS1_11comp_targetILNS1_3genE0ELNS1_11target_archE4294967295ELNS1_3gpuE0ELNS1_3repE0EEENS1_30default_config_static_selectorELNS0_4arch9wavefront6targetE1EEEvSW_: ; @_ZN7rocprim17ROCPRIM_400000_NS6detail17trampoline_kernelINS0_14default_configENS1_27lower_bound_config_selectorIslEEZNS1_14transform_implILb0ES3_S5_N6thrust23THRUST_200600_302600_NS6detail15normal_iteratorINS8_7pointerIsNS8_11hip_rocprim5par_tENS8_11use_defaultESE_EEEENSA_INSB_IlSD_SE_SE_EEEEZNS1_13binary_searchIS3_S5_PsSG_SI_NS1_21lower_bound_search_opENS9_16wrapped_functionINS8_6system6detail7generic6detail18binary_search_lessEbEEEE10hipError_tPvRmT1_T2_T3_mmT4_T5_P12ihipStream_tbEUlRKsE_EEST_SX_SY_mSZ_S12_bEUlT_E_NS1_11comp_targetILNS1_3genE0ELNS1_11target_archE4294967295ELNS1_3gpuE0ELNS1_3repE0EEENS1_30default_config_static_selectorELNS0_4arch9wavefront6targetE1EEEvSW_
; %bb.0:
	.section	.rodata,"a",@progbits
	.p2align	6, 0x0
	.amdhsa_kernel _ZN7rocprim17ROCPRIM_400000_NS6detail17trampoline_kernelINS0_14default_configENS1_27lower_bound_config_selectorIslEEZNS1_14transform_implILb0ES3_S5_N6thrust23THRUST_200600_302600_NS6detail15normal_iteratorINS8_7pointerIsNS8_11hip_rocprim5par_tENS8_11use_defaultESE_EEEENSA_INSB_IlSD_SE_SE_EEEEZNS1_13binary_searchIS3_S5_PsSG_SI_NS1_21lower_bound_search_opENS9_16wrapped_functionINS8_6system6detail7generic6detail18binary_search_lessEbEEEE10hipError_tPvRmT1_T2_T3_mmT4_T5_P12ihipStream_tbEUlRKsE_EEST_SX_SY_mSZ_S12_bEUlT_E_NS1_11comp_targetILNS1_3genE0ELNS1_11target_archE4294967295ELNS1_3gpuE0ELNS1_3repE0EEENS1_30default_config_static_selectorELNS0_4arch9wavefront6targetE1EEEvSW_
		.amdhsa_group_segment_fixed_size 0
		.amdhsa_private_segment_fixed_size 0
		.amdhsa_kernarg_size 56
		.amdhsa_user_sgpr_count 6
		.amdhsa_user_sgpr_private_segment_buffer 1
		.amdhsa_user_sgpr_dispatch_ptr 0
		.amdhsa_user_sgpr_queue_ptr 0
		.amdhsa_user_sgpr_kernarg_segment_ptr 1
		.amdhsa_user_sgpr_dispatch_id 0
		.amdhsa_user_sgpr_flat_scratch_init 0
		.amdhsa_user_sgpr_private_segment_size 0
		.amdhsa_uses_dynamic_stack 0
		.amdhsa_system_sgpr_private_segment_wavefront_offset 0
		.amdhsa_system_sgpr_workgroup_id_x 1
		.amdhsa_system_sgpr_workgroup_id_y 0
		.amdhsa_system_sgpr_workgroup_id_z 0
		.amdhsa_system_sgpr_workgroup_info 0
		.amdhsa_system_vgpr_workitem_id 0
		.amdhsa_next_free_vgpr 1
		.amdhsa_next_free_sgpr 0
		.amdhsa_reserve_vcc 0
		.amdhsa_reserve_flat_scratch 0
		.amdhsa_float_round_mode_32 0
		.amdhsa_float_round_mode_16_64 0
		.amdhsa_float_denorm_mode_32 3
		.amdhsa_float_denorm_mode_16_64 3
		.amdhsa_dx10_clamp 1
		.amdhsa_ieee_mode 1
		.amdhsa_fp16_overflow 0
		.amdhsa_exception_fp_ieee_invalid_op 0
		.amdhsa_exception_fp_denorm_src 0
		.amdhsa_exception_fp_ieee_div_zero 0
		.amdhsa_exception_fp_ieee_overflow 0
		.amdhsa_exception_fp_ieee_underflow 0
		.amdhsa_exception_fp_ieee_inexact 0
		.amdhsa_exception_int_div_zero 0
	.end_amdhsa_kernel
	.section	.text._ZN7rocprim17ROCPRIM_400000_NS6detail17trampoline_kernelINS0_14default_configENS1_27lower_bound_config_selectorIslEEZNS1_14transform_implILb0ES3_S5_N6thrust23THRUST_200600_302600_NS6detail15normal_iteratorINS8_7pointerIsNS8_11hip_rocprim5par_tENS8_11use_defaultESE_EEEENSA_INSB_IlSD_SE_SE_EEEEZNS1_13binary_searchIS3_S5_PsSG_SI_NS1_21lower_bound_search_opENS9_16wrapped_functionINS8_6system6detail7generic6detail18binary_search_lessEbEEEE10hipError_tPvRmT1_T2_T3_mmT4_T5_P12ihipStream_tbEUlRKsE_EEST_SX_SY_mSZ_S12_bEUlT_E_NS1_11comp_targetILNS1_3genE0ELNS1_11target_archE4294967295ELNS1_3gpuE0ELNS1_3repE0EEENS1_30default_config_static_selectorELNS0_4arch9wavefront6targetE1EEEvSW_,"axG",@progbits,_ZN7rocprim17ROCPRIM_400000_NS6detail17trampoline_kernelINS0_14default_configENS1_27lower_bound_config_selectorIslEEZNS1_14transform_implILb0ES3_S5_N6thrust23THRUST_200600_302600_NS6detail15normal_iteratorINS8_7pointerIsNS8_11hip_rocprim5par_tENS8_11use_defaultESE_EEEENSA_INSB_IlSD_SE_SE_EEEEZNS1_13binary_searchIS3_S5_PsSG_SI_NS1_21lower_bound_search_opENS9_16wrapped_functionINS8_6system6detail7generic6detail18binary_search_lessEbEEEE10hipError_tPvRmT1_T2_T3_mmT4_T5_P12ihipStream_tbEUlRKsE_EEST_SX_SY_mSZ_S12_bEUlT_E_NS1_11comp_targetILNS1_3genE0ELNS1_11target_archE4294967295ELNS1_3gpuE0ELNS1_3repE0EEENS1_30default_config_static_selectorELNS0_4arch9wavefront6targetE1EEEvSW_,comdat
.Lfunc_end152:
	.size	_ZN7rocprim17ROCPRIM_400000_NS6detail17trampoline_kernelINS0_14default_configENS1_27lower_bound_config_selectorIslEEZNS1_14transform_implILb0ES3_S5_N6thrust23THRUST_200600_302600_NS6detail15normal_iteratorINS8_7pointerIsNS8_11hip_rocprim5par_tENS8_11use_defaultESE_EEEENSA_INSB_IlSD_SE_SE_EEEEZNS1_13binary_searchIS3_S5_PsSG_SI_NS1_21lower_bound_search_opENS9_16wrapped_functionINS8_6system6detail7generic6detail18binary_search_lessEbEEEE10hipError_tPvRmT1_T2_T3_mmT4_T5_P12ihipStream_tbEUlRKsE_EEST_SX_SY_mSZ_S12_bEUlT_E_NS1_11comp_targetILNS1_3genE0ELNS1_11target_archE4294967295ELNS1_3gpuE0ELNS1_3repE0EEENS1_30default_config_static_selectorELNS0_4arch9wavefront6targetE1EEEvSW_, .Lfunc_end152-_ZN7rocprim17ROCPRIM_400000_NS6detail17trampoline_kernelINS0_14default_configENS1_27lower_bound_config_selectorIslEEZNS1_14transform_implILb0ES3_S5_N6thrust23THRUST_200600_302600_NS6detail15normal_iteratorINS8_7pointerIsNS8_11hip_rocprim5par_tENS8_11use_defaultESE_EEEENSA_INSB_IlSD_SE_SE_EEEEZNS1_13binary_searchIS3_S5_PsSG_SI_NS1_21lower_bound_search_opENS9_16wrapped_functionINS8_6system6detail7generic6detail18binary_search_lessEbEEEE10hipError_tPvRmT1_T2_T3_mmT4_T5_P12ihipStream_tbEUlRKsE_EEST_SX_SY_mSZ_S12_bEUlT_E_NS1_11comp_targetILNS1_3genE0ELNS1_11target_archE4294967295ELNS1_3gpuE0ELNS1_3repE0EEENS1_30default_config_static_selectorELNS0_4arch9wavefront6targetE1EEEvSW_
                                        ; -- End function
	.set _ZN7rocprim17ROCPRIM_400000_NS6detail17trampoline_kernelINS0_14default_configENS1_27lower_bound_config_selectorIslEEZNS1_14transform_implILb0ES3_S5_N6thrust23THRUST_200600_302600_NS6detail15normal_iteratorINS8_7pointerIsNS8_11hip_rocprim5par_tENS8_11use_defaultESE_EEEENSA_INSB_IlSD_SE_SE_EEEEZNS1_13binary_searchIS3_S5_PsSG_SI_NS1_21lower_bound_search_opENS9_16wrapped_functionINS8_6system6detail7generic6detail18binary_search_lessEbEEEE10hipError_tPvRmT1_T2_T3_mmT4_T5_P12ihipStream_tbEUlRKsE_EEST_SX_SY_mSZ_S12_bEUlT_E_NS1_11comp_targetILNS1_3genE0ELNS1_11target_archE4294967295ELNS1_3gpuE0ELNS1_3repE0EEENS1_30default_config_static_selectorELNS0_4arch9wavefront6targetE1EEEvSW_.num_vgpr, 0
	.set _ZN7rocprim17ROCPRIM_400000_NS6detail17trampoline_kernelINS0_14default_configENS1_27lower_bound_config_selectorIslEEZNS1_14transform_implILb0ES3_S5_N6thrust23THRUST_200600_302600_NS6detail15normal_iteratorINS8_7pointerIsNS8_11hip_rocprim5par_tENS8_11use_defaultESE_EEEENSA_INSB_IlSD_SE_SE_EEEEZNS1_13binary_searchIS3_S5_PsSG_SI_NS1_21lower_bound_search_opENS9_16wrapped_functionINS8_6system6detail7generic6detail18binary_search_lessEbEEEE10hipError_tPvRmT1_T2_T3_mmT4_T5_P12ihipStream_tbEUlRKsE_EEST_SX_SY_mSZ_S12_bEUlT_E_NS1_11comp_targetILNS1_3genE0ELNS1_11target_archE4294967295ELNS1_3gpuE0ELNS1_3repE0EEENS1_30default_config_static_selectorELNS0_4arch9wavefront6targetE1EEEvSW_.num_agpr, 0
	.set _ZN7rocprim17ROCPRIM_400000_NS6detail17trampoline_kernelINS0_14default_configENS1_27lower_bound_config_selectorIslEEZNS1_14transform_implILb0ES3_S5_N6thrust23THRUST_200600_302600_NS6detail15normal_iteratorINS8_7pointerIsNS8_11hip_rocprim5par_tENS8_11use_defaultESE_EEEENSA_INSB_IlSD_SE_SE_EEEEZNS1_13binary_searchIS3_S5_PsSG_SI_NS1_21lower_bound_search_opENS9_16wrapped_functionINS8_6system6detail7generic6detail18binary_search_lessEbEEEE10hipError_tPvRmT1_T2_T3_mmT4_T5_P12ihipStream_tbEUlRKsE_EEST_SX_SY_mSZ_S12_bEUlT_E_NS1_11comp_targetILNS1_3genE0ELNS1_11target_archE4294967295ELNS1_3gpuE0ELNS1_3repE0EEENS1_30default_config_static_selectorELNS0_4arch9wavefront6targetE1EEEvSW_.numbered_sgpr, 0
	.set _ZN7rocprim17ROCPRIM_400000_NS6detail17trampoline_kernelINS0_14default_configENS1_27lower_bound_config_selectorIslEEZNS1_14transform_implILb0ES3_S5_N6thrust23THRUST_200600_302600_NS6detail15normal_iteratorINS8_7pointerIsNS8_11hip_rocprim5par_tENS8_11use_defaultESE_EEEENSA_INSB_IlSD_SE_SE_EEEEZNS1_13binary_searchIS3_S5_PsSG_SI_NS1_21lower_bound_search_opENS9_16wrapped_functionINS8_6system6detail7generic6detail18binary_search_lessEbEEEE10hipError_tPvRmT1_T2_T3_mmT4_T5_P12ihipStream_tbEUlRKsE_EEST_SX_SY_mSZ_S12_bEUlT_E_NS1_11comp_targetILNS1_3genE0ELNS1_11target_archE4294967295ELNS1_3gpuE0ELNS1_3repE0EEENS1_30default_config_static_selectorELNS0_4arch9wavefront6targetE1EEEvSW_.num_named_barrier, 0
	.set _ZN7rocprim17ROCPRIM_400000_NS6detail17trampoline_kernelINS0_14default_configENS1_27lower_bound_config_selectorIslEEZNS1_14transform_implILb0ES3_S5_N6thrust23THRUST_200600_302600_NS6detail15normal_iteratorINS8_7pointerIsNS8_11hip_rocprim5par_tENS8_11use_defaultESE_EEEENSA_INSB_IlSD_SE_SE_EEEEZNS1_13binary_searchIS3_S5_PsSG_SI_NS1_21lower_bound_search_opENS9_16wrapped_functionINS8_6system6detail7generic6detail18binary_search_lessEbEEEE10hipError_tPvRmT1_T2_T3_mmT4_T5_P12ihipStream_tbEUlRKsE_EEST_SX_SY_mSZ_S12_bEUlT_E_NS1_11comp_targetILNS1_3genE0ELNS1_11target_archE4294967295ELNS1_3gpuE0ELNS1_3repE0EEENS1_30default_config_static_selectorELNS0_4arch9wavefront6targetE1EEEvSW_.private_seg_size, 0
	.set _ZN7rocprim17ROCPRIM_400000_NS6detail17trampoline_kernelINS0_14default_configENS1_27lower_bound_config_selectorIslEEZNS1_14transform_implILb0ES3_S5_N6thrust23THRUST_200600_302600_NS6detail15normal_iteratorINS8_7pointerIsNS8_11hip_rocprim5par_tENS8_11use_defaultESE_EEEENSA_INSB_IlSD_SE_SE_EEEEZNS1_13binary_searchIS3_S5_PsSG_SI_NS1_21lower_bound_search_opENS9_16wrapped_functionINS8_6system6detail7generic6detail18binary_search_lessEbEEEE10hipError_tPvRmT1_T2_T3_mmT4_T5_P12ihipStream_tbEUlRKsE_EEST_SX_SY_mSZ_S12_bEUlT_E_NS1_11comp_targetILNS1_3genE0ELNS1_11target_archE4294967295ELNS1_3gpuE0ELNS1_3repE0EEENS1_30default_config_static_selectorELNS0_4arch9wavefront6targetE1EEEvSW_.uses_vcc, 0
	.set _ZN7rocprim17ROCPRIM_400000_NS6detail17trampoline_kernelINS0_14default_configENS1_27lower_bound_config_selectorIslEEZNS1_14transform_implILb0ES3_S5_N6thrust23THRUST_200600_302600_NS6detail15normal_iteratorINS8_7pointerIsNS8_11hip_rocprim5par_tENS8_11use_defaultESE_EEEENSA_INSB_IlSD_SE_SE_EEEEZNS1_13binary_searchIS3_S5_PsSG_SI_NS1_21lower_bound_search_opENS9_16wrapped_functionINS8_6system6detail7generic6detail18binary_search_lessEbEEEE10hipError_tPvRmT1_T2_T3_mmT4_T5_P12ihipStream_tbEUlRKsE_EEST_SX_SY_mSZ_S12_bEUlT_E_NS1_11comp_targetILNS1_3genE0ELNS1_11target_archE4294967295ELNS1_3gpuE0ELNS1_3repE0EEENS1_30default_config_static_selectorELNS0_4arch9wavefront6targetE1EEEvSW_.uses_flat_scratch, 0
	.set _ZN7rocprim17ROCPRIM_400000_NS6detail17trampoline_kernelINS0_14default_configENS1_27lower_bound_config_selectorIslEEZNS1_14transform_implILb0ES3_S5_N6thrust23THRUST_200600_302600_NS6detail15normal_iteratorINS8_7pointerIsNS8_11hip_rocprim5par_tENS8_11use_defaultESE_EEEENSA_INSB_IlSD_SE_SE_EEEEZNS1_13binary_searchIS3_S5_PsSG_SI_NS1_21lower_bound_search_opENS9_16wrapped_functionINS8_6system6detail7generic6detail18binary_search_lessEbEEEE10hipError_tPvRmT1_T2_T3_mmT4_T5_P12ihipStream_tbEUlRKsE_EEST_SX_SY_mSZ_S12_bEUlT_E_NS1_11comp_targetILNS1_3genE0ELNS1_11target_archE4294967295ELNS1_3gpuE0ELNS1_3repE0EEENS1_30default_config_static_selectorELNS0_4arch9wavefront6targetE1EEEvSW_.has_dyn_sized_stack, 0
	.set _ZN7rocprim17ROCPRIM_400000_NS6detail17trampoline_kernelINS0_14default_configENS1_27lower_bound_config_selectorIslEEZNS1_14transform_implILb0ES3_S5_N6thrust23THRUST_200600_302600_NS6detail15normal_iteratorINS8_7pointerIsNS8_11hip_rocprim5par_tENS8_11use_defaultESE_EEEENSA_INSB_IlSD_SE_SE_EEEEZNS1_13binary_searchIS3_S5_PsSG_SI_NS1_21lower_bound_search_opENS9_16wrapped_functionINS8_6system6detail7generic6detail18binary_search_lessEbEEEE10hipError_tPvRmT1_T2_T3_mmT4_T5_P12ihipStream_tbEUlRKsE_EEST_SX_SY_mSZ_S12_bEUlT_E_NS1_11comp_targetILNS1_3genE0ELNS1_11target_archE4294967295ELNS1_3gpuE0ELNS1_3repE0EEENS1_30default_config_static_selectorELNS0_4arch9wavefront6targetE1EEEvSW_.has_recursion, 0
	.set _ZN7rocprim17ROCPRIM_400000_NS6detail17trampoline_kernelINS0_14default_configENS1_27lower_bound_config_selectorIslEEZNS1_14transform_implILb0ES3_S5_N6thrust23THRUST_200600_302600_NS6detail15normal_iteratorINS8_7pointerIsNS8_11hip_rocprim5par_tENS8_11use_defaultESE_EEEENSA_INSB_IlSD_SE_SE_EEEEZNS1_13binary_searchIS3_S5_PsSG_SI_NS1_21lower_bound_search_opENS9_16wrapped_functionINS8_6system6detail7generic6detail18binary_search_lessEbEEEE10hipError_tPvRmT1_T2_T3_mmT4_T5_P12ihipStream_tbEUlRKsE_EEST_SX_SY_mSZ_S12_bEUlT_E_NS1_11comp_targetILNS1_3genE0ELNS1_11target_archE4294967295ELNS1_3gpuE0ELNS1_3repE0EEENS1_30default_config_static_selectorELNS0_4arch9wavefront6targetE1EEEvSW_.has_indirect_call, 0
	.section	.AMDGPU.csdata,"",@progbits
; Kernel info:
; codeLenInByte = 0
; TotalNumSgprs: 4
; NumVgprs: 0
; ScratchSize: 0
; MemoryBound: 0
; FloatMode: 240
; IeeeMode: 1
; LDSByteSize: 0 bytes/workgroup (compile time only)
; SGPRBlocks: 0
; VGPRBlocks: 0
; NumSGPRsForWavesPerEU: 4
; NumVGPRsForWavesPerEU: 1
; Occupancy: 10
; WaveLimiterHint : 0
; COMPUTE_PGM_RSRC2:SCRATCH_EN: 0
; COMPUTE_PGM_RSRC2:USER_SGPR: 6
; COMPUTE_PGM_RSRC2:TRAP_HANDLER: 0
; COMPUTE_PGM_RSRC2:TGID_X_EN: 1
; COMPUTE_PGM_RSRC2:TGID_Y_EN: 0
; COMPUTE_PGM_RSRC2:TGID_Z_EN: 0
; COMPUTE_PGM_RSRC2:TIDIG_COMP_CNT: 0
	.section	.text._ZN7rocprim17ROCPRIM_400000_NS6detail17trampoline_kernelINS0_14default_configENS1_27lower_bound_config_selectorIslEEZNS1_14transform_implILb0ES3_S5_N6thrust23THRUST_200600_302600_NS6detail15normal_iteratorINS8_7pointerIsNS8_11hip_rocprim5par_tENS8_11use_defaultESE_EEEENSA_INSB_IlSD_SE_SE_EEEEZNS1_13binary_searchIS3_S5_PsSG_SI_NS1_21lower_bound_search_opENS9_16wrapped_functionINS8_6system6detail7generic6detail18binary_search_lessEbEEEE10hipError_tPvRmT1_T2_T3_mmT4_T5_P12ihipStream_tbEUlRKsE_EEST_SX_SY_mSZ_S12_bEUlT_E_NS1_11comp_targetILNS1_3genE5ELNS1_11target_archE942ELNS1_3gpuE9ELNS1_3repE0EEENS1_30default_config_static_selectorELNS0_4arch9wavefront6targetE1EEEvSW_,"axG",@progbits,_ZN7rocprim17ROCPRIM_400000_NS6detail17trampoline_kernelINS0_14default_configENS1_27lower_bound_config_selectorIslEEZNS1_14transform_implILb0ES3_S5_N6thrust23THRUST_200600_302600_NS6detail15normal_iteratorINS8_7pointerIsNS8_11hip_rocprim5par_tENS8_11use_defaultESE_EEEENSA_INSB_IlSD_SE_SE_EEEEZNS1_13binary_searchIS3_S5_PsSG_SI_NS1_21lower_bound_search_opENS9_16wrapped_functionINS8_6system6detail7generic6detail18binary_search_lessEbEEEE10hipError_tPvRmT1_T2_T3_mmT4_T5_P12ihipStream_tbEUlRKsE_EEST_SX_SY_mSZ_S12_bEUlT_E_NS1_11comp_targetILNS1_3genE5ELNS1_11target_archE942ELNS1_3gpuE9ELNS1_3repE0EEENS1_30default_config_static_selectorELNS0_4arch9wavefront6targetE1EEEvSW_,comdat
	.protected	_ZN7rocprim17ROCPRIM_400000_NS6detail17trampoline_kernelINS0_14default_configENS1_27lower_bound_config_selectorIslEEZNS1_14transform_implILb0ES3_S5_N6thrust23THRUST_200600_302600_NS6detail15normal_iteratorINS8_7pointerIsNS8_11hip_rocprim5par_tENS8_11use_defaultESE_EEEENSA_INSB_IlSD_SE_SE_EEEEZNS1_13binary_searchIS3_S5_PsSG_SI_NS1_21lower_bound_search_opENS9_16wrapped_functionINS8_6system6detail7generic6detail18binary_search_lessEbEEEE10hipError_tPvRmT1_T2_T3_mmT4_T5_P12ihipStream_tbEUlRKsE_EEST_SX_SY_mSZ_S12_bEUlT_E_NS1_11comp_targetILNS1_3genE5ELNS1_11target_archE942ELNS1_3gpuE9ELNS1_3repE0EEENS1_30default_config_static_selectorELNS0_4arch9wavefront6targetE1EEEvSW_ ; -- Begin function _ZN7rocprim17ROCPRIM_400000_NS6detail17trampoline_kernelINS0_14default_configENS1_27lower_bound_config_selectorIslEEZNS1_14transform_implILb0ES3_S5_N6thrust23THRUST_200600_302600_NS6detail15normal_iteratorINS8_7pointerIsNS8_11hip_rocprim5par_tENS8_11use_defaultESE_EEEENSA_INSB_IlSD_SE_SE_EEEEZNS1_13binary_searchIS3_S5_PsSG_SI_NS1_21lower_bound_search_opENS9_16wrapped_functionINS8_6system6detail7generic6detail18binary_search_lessEbEEEE10hipError_tPvRmT1_T2_T3_mmT4_T5_P12ihipStream_tbEUlRKsE_EEST_SX_SY_mSZ_S12_bEUlT_E_NS1_11comp_targetILNS1_3genE5ELNS1_11target_archE942ELNS1_3gpuE9ELNS1_3repE0EEENS1_30default_config_static_selectorELNS0_4arch9wavefront6targetE1EEEvSW_
	.globl	_ZN7rocprim17ROCPRIM_400000_NS6detail17trampoline_kernelINS0_14default_configENS1_27lower_bound_config_selectorIslEEZNS1_14transform_implILb0ES3_S5_N6thrust23THRUST_200600_302600_NS6detail15normal_iteratorINS8_7pointerIsNS8_11hip_rocprim5par_tENS8_11use_defaultESE_EEEENSA_INSB_IlSD_SE_SE_EEEEZNS1_13binary_searchIS3_S5_PsSG_SI_NS1_21lower_bound_search_opENS9_16wrapped_functionINS8_6system6detail7generic6detail18binary_search_lessEbEEEE10hipError_tPvRmT1_T2_T3_mmT4_T5_P12ihipStream_tbEUlRKsE_EEST_SX_SY_mSZ_S12_bEUlT_E_NS1_11comp_targetILNS1_3genE5ELNS1_11target_archE942ELNS1_3gpuE9ELNS1_3repE0EEENS1_30default_config_static_selectorELNS0_4arch9wavefront6targetE1EEEvSW_
	.p2align	8
	.type	_ZN7rocprim17ROCPRIM_400000_NS6detail17trampoline_kernelINS0_14default_configENS1_27lower_bound_config_selectorIslEEZNS1_14transform_implILb0ES3_S5_N6thrust23THRUST_200600_302600_NS6detail15normal_iteratorINS8_7pointerIsNS8_11hip_rocprim5par_tENS8_11use_defaultESE_EEEENSA_INSB_IlSD_SE_SE_EEEEZNS1_13binary_searchIS3_S5_PsSG_SI_NS1_21lower_bound_search_opENS9_16wrapped_functionINS8_6system6detail7generic6detail18binary_search_lessEbEEEE10hipError_tPvRmT1_T2_T3_mmT4_T5_P12ihipStream_tbEUlRKsE_EEST_SX_SY_mSZ_S12_bEUlT_E_NS1_11comp_targetILNS1_3genE5ELNS1_11target_archE942ELNS1_3gpuE9ELNS1_3repE0EEENS1_30default_config_static_selectorELNS0_4arch9wavefront6targetE1EEEvSW_,@function
_ZN7rocprim17ROCPRIM_400000_NS6detail17trampoline_kernelINS0_14default_configENS1_27lower_bound_config_selectorIslEEZNS1_14transform_implILb0ES3_S5_N6thrust23THRUST_200600_302600_NS6detail15normal_iteratorINS8_7pointerIsNS8_11hip_rocprim5par_tENS8_11use_defaultESE_EEEENSA_INSB_IlSD_SE_SE_EEEEZNS1_13binary_searchIS3_S5_PsSG_SI_NS1_21lower_bound_search_opENS9_16wrapped_functionINS8_6system6detail7generic6detail18binary_search_lessEbEEEE10hipError_tPvRmT1_T2_T3_mmT4_T5_P12ihipStream_tbEUlRKsE_EEST_SX_SY_mSZ_S12_bEUlT_E_NS1_11comp_targetILNS1_3genE5ELNS1_11target_archE942ELNS1_3gpuE9ELNS1_3repE0EEENS1_30default_config_static_selectorELNS0_4arch9wavefront6targetE1EEEvSW_: ; @_ZN7rocprim17ROCPRIM_400000_NS6detail17trampoline_kernelINS0_14default_configENS1_27lower_bound_config_selectorIslEEZNS1_14transform_implILb0ES3_S5_N6thrust23THRUST_200600_302600_NS6detail15normal_iteratorINS8_7pointerIsNS8_11hip_rocprim5par_tENS8_11use_defaultESE_EEEENSA_INSB_IlSD_SE_SE_EEEEZNS1_13binary_searchIS3_S5_PsSG_SI_NS1_21lower_bound_search_opENS9_16wrapped_functionINS8_6system6detail7generic6detail18binary_search_lessEbEEEE10hipError_tPvRmT1_T2_T3_mmT4_T5_P12ihipStream_tbEUlRKsE_EEST_SX_SY_mSZ_S12_bEUlT_E_NS1_11comp_targetILNS1_3genE5ELNS1_11target_archE942ELNS1_3gpuE9ELNS1_3repE0EEENS1_30default_config_static_selectorELNS0_4arch9wavefront6targetE1EEEvSW_
; %bb.0:
	.section	.rodata,"a",@progbits
	.p2align	6, 0x0
	.amdhsa_kernel _ZN7rocprim17ROCPRIM_400000_NS6detail17trampoline_kernelINS0_14default_configENS1_27lower_bound_config_selectorIslEEZNS1_14transform_implILb0ES3_S5_N6thrust23THRUST_200600_302600_NS6detail15normal_iteratorINS8_7pointerIsNS8_11hip_rocprim5par_tENS8_11use_defaultESE_EEEENSA_INSB_IlSD_SE_SE_EEEEZNS1_13binary_searchIS3_S5_PsSG_SI_NS1_21lower_bound_search_opENS9_16wrapped_functionINS8_6system6detail7generic6detail18binary_search_lessEbEEEE10hipError_tPvRmT1_T2_T3_mmT4_T5_P12ihipStream_tbEUlRKsE_EEST_SX_SY_mSZ_S12_bEUlT_E_NS1_11comp_targetILNS1_3genE5ELNS1_11target_archE942ELNS1_3gpuE9ELNS1_3repE0EEENS1_30default_config_static_selectorELNS0_4arch9wavefront6targetE1EEEvSW_
		.amdhsa_group_segment_fixed_size 0
		.amdhsa_private_segment_fixed_size 0
		.amdhsa_kernarg_size 56
		.amdhsa_user_sgpr_count 6
		.amdhsa_user_sgpr_private_segment_buffer 1
		.amdhsa_user_sgpr_dispatch_ptr 0
		.amdhsa_user_sgpr_queue_ptr 0
		.amdhsa_user_sgpr_kernarg_segment_ptr 1
		.amdhsa_user_sgpr_dispatch_id 0
		.amdhsa_user_sgpr_flat_scratch_init 0
		.amdhsa_user_sgpr_private_segment_size 0
		.amdhsa_uses_dynamic_stack 0
		.amdhsa_system_sgpr_private_segment_wavefront_offset 0
		.amdhsa_system_sgpr_workgroup_id_x 1
		.amdhsa_system_sgpr_workgroup_id_y 0
		.amdhsa_system_sgpr_workgroup_id_z 0
		.amdhsa_system_sgpr_workgroup_info 0
		.amdhsa_system_vgpr_workitem_id 0
		.amdhsa_next_free_vgpr 1
		.amdhsa_next_free_sgpr 0
		.amdhsa_reserve_vcc 0
		.amdhsa_reserve_flat_scratch 0
		.amdhsa_float_round_mode_32 0
		.amdhsa_float_round_mode_16_64 0
		.amdhsa_float_denorm_mode_32 3
		.amdhsa_float_denorm_mode_16_64 3
		.amdhsa_dx10_clamp 1
		.amdhsa_ieee_mode 1
		.amdhsa_fp16_overflow 0
		.amdhsa_exception_fp_ieee_invalid_op 0
		.amdhsa_exception_fp_denorm_src 0
		.amdhsa_exception_fp_ieee_div_zero 0
		.amdhsa_exception_fp_ieee_overflow 0
		.amdhsa_exception_fp_ieee_underflow 0
		.amdhsa_exception_fp_ieee_inexact 0
		.amdhsa_exception_int_div_zero 0
	.end_amdhsa_kernel
	.section	.text._ZN7rocprim17ROCPRIM_400000_NS6detail17trampoline_kernelINS0_14default_configENS1_27lower_bound_config_selectorIslEEZNS1_14transform_implILb0ES3_S5_N6thrust23THRUST_200600_302600_NS6detail15normal_iteratorINS8_7pointerIsNS8_11hip_rocprim5par_tENS8_11use_defaultESE_EEEENSA_INSB_IlSD_SE_SE_EEEEZNS1_13binary_searchIS3_S5_PsSG_SI_NS1_21lower_bound_search_opENS9_16wrapped_functionINS8_6system6detail7generic6detail18binary_search_lessEbEEEE10hipError_tPvRmT1_T2_T3_mmT4_T5_P12ihipStream_tbEUlRKsE_EEST_SX_SY_mSZ_S12_bEUlT_E_NS1_11comp_targetILNS1_3genE5ELNS1_11target_archE942ELNS1_3gpuE9ELNS1_3repE0EEENS1_30default_config_static_selectorELNS0_4arch9wavefront6targetE1EEEvSW_,"axG",@progbits,_ZN7rocprim17ROCPRIM_400000_NS6detail17trampoline_kernelINS0_14default_configENS1_27lower_bound_config_selectorIslEEZNS1_14transform_implILb0ES3_S5_N6thrust23THRUST_200600_302600_NS6detail15normal_iteratorINS8_7pointerIsNS8_11hip_rocprim5par_tENS8_11use_defaultESE_EEEENSA_INSB_IlSD_SE_SE_EEEEZNS1_13binary_searchIS3_S5_PsSG_SI_NS1_21lower_bound_search_opENS9_16wrapped_functionINS8_6system6detail7generic6detail18binary_search_lessEbEEEE10hipError_tPvRmT1_T2_T3_mmT4_T5_P12ihipStream_tbEUlRKsE_EEST_SX_SY_mSZ_S12_bEUlT_E_NS1_11comp_targetILNS1_3genE5ELNS1_11target_archE942ELNS1_3gpuE9ELNS1_3repE0EEENS1_30default_config_static_selectorELNS0_4arch9wavefront6targetE1EEEvSW_,comdat
.Lfunc_end153:
	.size	_ZN7rocprim17ROCPRIM_400000_NS6detail17trampoline_kernelINS0_14default_configENS1_27lower_bound_config_selectorIslEEZNS1_14transform_implILb0ES3_S5_N6thrust23THRUST_200600_302600_NS6detail15normal_iteratorINS8_7pointerIsNS8_11hip_rocprim5par_tENS8_11use_defaultESE_EEEENSA_INSB_IlSD_SE_SE_EEEEZNS1_13binary_searchIS3_S5_PsSG_SI_NS1_21lower_bound_search_opENS9_16wrapped_functionINS8_6system6detail7generic6detail18binary_search_lessEbEEEE10hipError_tPvRmT1_T2_T3_mmT4_T5_P12ihipStream_tbEUlRKsE_EEST_SX_SY_mSZ_S12_bEUlT_E_NS1_11comp_targetILNS1_3genE5ELNS1_11target_archE942ELNS1_3gpuE9ELNS1_3repE0EEENS1_30default_config_static_selectorELNS0_4arch9wavefront6targetE1EEEvSW_, .Lfunc_end153-_ZN7rocprim17ROCPRIM_400000_NS6detail17trampoline_kernelINS0_14default_configENS1_27lower_bound_config_selectorIslEEZNS1_14transform_implILb0ES3_S5_N6thrust23THRUST_200600_302600_NS6detail15normal_iteratorINS8_7pointerIsNS8_11hip_rocprim5par_tENS8_11use_defaultESE_EEEENSA_INSB_IlSD_SE_SE_EEEEZNS1_13binary_searchIS3_S5_PsSG_SI_NS1_21lower_bound_search_opENS9_16wrapped_functionINS8_6system6detail7generic6detail18binary_search_lessEbEEEE10hipError_tPvRmT1_T2_T3_mmT4_T5_P12ihipStream_tbEUlRKsE_EEST_SX_SY_mSZ_S12_bEUlT_E_NS1_11comp_targetILNS1_3genE5ELNS1_11target_archE942ELNS1_3gpuE9ELNS1_3repE0EEENS1_30default_config_static_selectorELNS0_4arch9wavefront6targetE1EEEvSW_
                                        ; -- End function
	.set _ZN7rocprim17ROCPRIM_400000_NS6detail17trampoline_kernelINS0_14default_configENS1_27lower_bound_config_selectorIslEEZNS1_14transform_implILb0ES3_S5_N6thrust23THRUST_200600_302600_NS6detail15normal_iteratorINS8_7pointerIsNS8_11hip_rocprim5par_tENS8_11use_defaultESE_EEEENSA_INSB_IlSD_SE_SE_EEEEZNS1_13binary_searchIS3_S5_PsSG_SI_NS1_21lower_bound_search_opENS9_16wrapped_functionINS8_6system6detail7generic6detail18binary_search_lessEbEEEE10hipError_tPvRmT1_T2_T3_mmT4_T5_P12ihipStream_tbEUlRKsE_EEST_SX_SY_mSZ_S12_bEUlT_E_NS1_11comp_targetILNS1_3genE5ELNS1_11target_archE942ELNS1_3gpuE9ELNS1_3repE0EEENS1_30default_config_static_selectorELNS0_4arch9wavefront6targetE1EEEvSW_.num_vgpr, 0
	.set _ZN7rocprim17ROCPRIM_400000_NS6detail17trampoline_kernelINS0_14default_configENS1_27lower_bound_config_selectorIslEEZNS1_14transform_implILb0ES3_S5_N6thrust23THRUST_200600_302600_NS6detail15normal_iteratorINS8_7pointerIsNS8_11hip_rocprim5par_tENS8_11use_defaultESE_EEEENSA_INSB_IlSD_SE_SE_EEEEZNS1_13binary_searchIS3_S5_PsSG_SI_NS1_21lower_bound_search_opENS9_16wrapped_functionINS8_6system6detail7generic6detail18binary_search_lessEbEEEE10hipError_tPvRmT1_T2_T3_mmT4_T5_P12ihipStream_tbEUlRKsE_EEST_SX_SY_mSZ_S12_bEUlT_E_NS1_11comp_targetILNS1_3genE5ELNS1_11target_archE942ELNS1_3gpuE9ELNS1_3repE0EEENS1_30default_config_static_selectorELNS0_4arch9wavefront6targetE1EEEvSW_.num_agpr, 0
	.set _ZN7rocprim17ROCPRIM_400000_NS6detail17trampoline_kernelINS0_14default_configENS1_27lower_bound_config_selectorIslEEZNS1_14transform_implILb0ES3_S5_N6thrust23THRUST_200600_302600_NS6detail15normal_iteratorINS8_7pointerIsNS8_11hip_rocprim5par_tENS8_11use_defaultESE_EEEENSA_INSB_IlSD_SE_SE_EEEEZNS1_13binary_searchIS3_S5_PsSG_SI_NS1_21lower_bound_search_opENS9_16wrapped_functionINS8_6system6detail7generic6detail18binary_search_lessEbEEEE10hipError_tPvRmT1_T2_T3_mmT4_T5_P12ihipStream_tbEUlRKsE_EEST_SX_SY_mSZ_S12_bEUlT_E_NS1_11comp_targetILNS1_3genE5ELNS1_11target_archE942ELNS1_3gpuE9ELNS1_3repE0EEENS1_30default_config_static_selectorELNS0_4arch9wavefront6targetE1EEEvSW_.numbered_sgpr, 0
	.set _ZN7rocprim17ROCPRIM_400000_NS6detail17trampoline_kernelINS0_14default_configENS1_27lower_bound_config_selectorIslEEZNS1_14transform_implILb0ES3_S5_N6thrust23THRUST_200600_302600_NS6detail15normal_iteratorINS8_7pointerIsNS8_11hip_rocprim5par_tENS8_11use_defaultESE_EEEENSA_INSB_IlSD_SE_SE_EEEEZNS1_13binary_searchIS3_S5_PsSG_SI_NS1_21lower_bound_search_opENS9_16wrapped_functionINS8_6system6detail7generic6detail18binary_search_lessEbEEEE10hipError_tPvRmT1_T2_T3_mmT4_T5_P12ihipStream_tbEUlRKsE_EEST_SX_SY_mSZ_S12_bEUlT_E_NS1_11comp_targetILNS1_3genE5ELNS1_11target_archE942ELNS1_3gpuE9ELNS1_3repE0EEENS1_30default_config_static_selectorELNS0_4arch9wavefront6targetE1EEEvSW_.num_named_barrier, 0
	.set _ZN7rocprim17ROCPRIM_400000_NS6detail17trampoline_kernelINS0_14default_configENS1_27lower_bound_config_selectorIslEEZNS1_14transform_implILb0ES3_S5_N6thrust23THRUST_200600_302600_NS6detail15normal_iteratorINS8_7pointerIsNS8_11hip_rocprim5par_tENS8_11use_defaultESE_EEEENSA_INSB_IlSD_SE_SE_EEEEZNS1_13binary_searchIS3_S5_PsSG_SI_NS1_21lower_bound_search_opENS9_16wrapped_functionINS8_6system6detail7generic6detail18binary_search_lessEbEEEE10hipError_tPvRmT1_T2_T3_mmT4_T5_P12ihipStream_tbEUlRKsE_EEST_SX_SY_mSZ_S12_bEUlT_E_NS1_11comp_targetILNS1_3genE5ELNS1_11target_archE942ELNS1_3gpuE9ELNS1_3repE0EEENS1_30default_config_static_selectorELNS0_4arch9wavefront6targetE1EEEvSW_.private_seg_size, 0
	.set _ZN7rocprim17ROCPRIM_400000_NS6detail17trampoline_kernelINS0_14default_configENS1_27lower_bound_config_selectorIslEEZNS1_14transform_implILb0ES3_S5_N6thrust23THRUST_200600_302600_NS6detail15normal_iteratorINS8_7pointerIsNS8_11hip_rocprim5par_tENS8_11use_defaultESE_EEEENSA_INSB_IlSD_SE_SE_EEEEZNS1_13binary_searchIS3_S5_PsSG_SI_NS1_21lower_bound_search_opENS9_16wrapped_functionINS8_6system6detail7generic6detail18binary_search_lessEbEEEE10hipError_tPvRmT1_T2_T3_mmT4_T5_P12ihipStream_tbEUlRKsE_EEST_SX_SY_mSZ_S12_bEUlT_E_NS1_11comp_targetILNS1_3genE5ELNS1_11target_archE942ELNS1_3gpuE9ELNS1_3repE0EEENS1_30default_config_static_selectorELNS0_4arch9wavefront6targetE1EEEvSW_.uses_vcc, 0
	.set _ZN7rocprim17ROCPRIM_400000_NS6detail17trampoline_kernelINS0_14default_configENS1_27lower_bound_config_selectorIslEEZNS1_14transform_implILb0ES3_S5_N6thrust23THRUST_200600_302600_NS6detail15normal_iteratorINS8_7pointerIsNS8_11hip_rocprim5par_tENS8_11use_defaultESE_EEEENSA_INSB_IlSD_SE_SE_EEEEZNS1_13binary_searchIS3_S5_PsSG_SI_NS1_21lower_bound_search_opENS9_16wrapped_functionINS8_6system6detail7generic6detail18binary_search_lessEbEEEE10hipError_tPvRmT1_T2_T3_mmT4_T5_P12ihipStream_tbEUlRKsE_EEST_SX_SY_mSZ_S12_bEUlT_E_NS1_11comp_targetILNS1_3genE5ELNS1_11target_archE942ELNS1_3gpuE9ELNS1_3repE0EEENS1_30default_config_static_selectorELNS0_4arch9wavefront6targetE1EEEvSW_.uses_flat_scratch, 0
	.set _ZN7rocprim17ROCPRIM_400000_NS6detail17trampoline_kernelINS0_14default_configENS1_27lower_bound_config_selectorIslEEZNS1_14transform_implILb0ES3_S5_N6thrust23THRUST_200600_302600_NS6detail15normal_iteratorINS8_7pointerIsNS8_11hip_rocprim5par_tENS8_11use_defaultESE_EEEENSA_INSB_IlSD_SE_SE_EEEEZNS1_13binary_searchIS3_S5_PsSG_SI_NS1_21lower_bound_search_opENS9_16wrapped_functionINS8_6system6detail7generic6detail18binary_search_lessEbEEEE10hipError_tPvRmT1_T2_T3_mmT4_T5_P12ihipStream_tbEUlRKsE_EEST_SX_SY_mSZ_S12_bEUlT_E_NS1_11comp_targetILNS1_3genE5ELNS1_11target_archE942ELNS1_3gpuE9ELNS1_3repE0EEENS1_30default_config_static_selectorELNS0_4arch9wavefront6targetE1EEEvSW_.has_dyn_sized_stack, 0
	.set _ZN7rocprim17ROCPRIM_400000_NS6detail17trampoline_kernelINS0_14default_configENS1_27lower_bound_config_selectorIslEEZNS1_14transform_implILb0ES3_S5_N6thrust23THRUST_200600_302600_NS6detail15normal_iteratorINS8_7pointerIsNS8_11hip_rocprim5par_tENS8_11use_defaultESE_EEEENSA_INSB_IlSD_SE_SE_EEEEZNS1_13binary_searchIS3_S5_PsSG_SI_NS1_21lower_bound_search_opENS9_16wrapped_functionINS8_6system6detail7generic6detail18binary_search_lessEbEEEE10hipError_tPvRmT1_T2_T3_mmT4_T5_P12ihipStream_tbEUlRKsE_EEST_SX_SY_mSZ_S12_bEUlT_E_NS1_11comp_targetILNS1_3genE5ELNS1_11target_archE942ELNS1_3gpuE9ELNS1_3repE0EEENS1_30default_config_static_selectorELNS0_4arch9wavefront6targetE1EEEvSW_.has_recursion, 0
	.set _ZN7rocprim17ROCPRIM_400000_NS6detail17trampoline_kernelINS0_14default_configENS1_27lower_bound_config_selectorIslEEZNS1_14transform_implILb0ES3_S5_N6thrust23THRUST_200600_302600_NS6detail15normal_iteratorINS8_7pointerIsNS8_11hip_rocprim5par_tENS8_11use_defaultESE_EEEENSA_INSB_IlSD_SE_SE_EEEEZNS1_13binary_searchIS3_S5_PsSG_SI_NS1_21lower_bound_search_opENS9_16wrapped_functionINS8_6system6detail7generic6detail18binary_search_lessEbEEEE10hipError_tPvRmT1_T2_T3_mmT4_T5_P12ihipStream_tbEUlRKsE_EEST_SX_SY_mSZ_S12_bEUlT_E_NS1_11comp_targetILNS1_3genE5ELNS1_11target_archE942ELNS1_3gpuE9ELNS1_3repE0EEENS1_30default_config_static_selectorELNS0_4arch9wavefront6targetE1EEEvSW_.has_indirect_call, 0
	.section	.AMDGPU.csdata,"",@progbits
; Kernel info:
; codeLenInByte = 0
; TotalNumSgprs: 4
; NumVgprs: 0
; ScratchSize: 0
; MemoryBound: 0
; FloatMode: 240
; IeeeMode: 1
; LDSByteSize: 0 bytes/workgroup (compile time only)
; SGPRBlocks: 0
; VGPRBlocks: 0
; NumSGPRsForWavesPerEU: 4
; NumVGPRsForWavesPerEU: 1
; Occupancy: 10
; WaveLimiterHint : 0
; COMPUTE_PGM_RSRC2:SCRATCH_EN: 0
; COMPUTE_PGM_RSRC2:USER_SGPR: 6
; COMPUTE_PGM_RSRC2:TRAP_HANDLER: 0
; COMPUTE_PGM_RSRC2:TGID_X_EN: 1
; COMPUTE_PGM_RSRC2:TGID_Y_EN: 0
; COMPUTE_PGM_RSRC2:TGID_Z_EN: 0
; COMPUTE_PGM_RSRC2:TIDIG_COMP_CNT: 0
	.section	.text._ZN7rocprim17ROCPRIM_400000_NS6detail17trampoline_kernelINS0_14default_configENS1_27lower_bound_config_selectorIslEEZNS1_14transform_implILb0ES3_S5_N6thrust23THRUST_200600_302600_NS6detail15normal_iteratorINS8_7pointerIsNS8_11hip_rocprim5par_tENS8_11use_defaultESE_EEEENSA_INSB_IlSD_SE_SE_EEEEZNS1_13binary_searchIS3_S5_PsSG_SI_NS1_21lower_bound_search_opENS9_16wrapped_functionINS8_6system6detail7generic6detail18binary_search_lessEbEEEE10hipError_tPvRmT1_T2_T3_mmT4_T5_P12ihipStream_tbEUlRKsE_EEST_SX_SY_mSZ_S12_bEUlT_E_NS1_11comp_targetILNS1_3genE4ELNS1_11target_archE910ELNS1_3gpuE8ELNS1_3repE0EEENS1_30default_config_static_selectorELNS0_4arch9wavefront6targetE1EEEvSW_,"axG",@progbits,_ZN7rocprim17ROCPRIM_400000_NS6detail17trampoline_kernelINS0_14default_configENS1_27lower_bound_config_selectorIslEEZNS1_14transform_implILb0ES3_S5_N6thrust23THRUST_200600_302600_NS6detail15normal_iteratorINS8_7pointerIsNS8_11hip_rocprim5par_tENS8_11use_defaultESE_EEEENSA_INSB_IlSD_SE_SE_EEEEZNS1_13binary_searchIS3_S5_PsSG_SI_NS1_21lower_bound_search_opENS9_16wrapped_functionINS8_6system6detail7generic6detail18binary_search_lessEbEEEE10hipError_tPvRmT1_T2_T3_mmT4_T5_P12ihipStream_tbEUlRKsE_EEST_SX_SY_mSZ_S12_bEUlT_E_NS1_11comp_targetILNS1_3genE4ELNS1_11target_archE910ELNS1_3gpuE8ELNS1_3repE0EEENS1_30default_config_static_selectorELNS0_4arch9wavefront6targetE1EEEvSW_,comdat
	.protected	_ZN7rocprim17ROCPRIM_400000_NS6detail17trampoline_kernelINS0_14default_configENS1_27lower_bound_config_selectorIslEEZNS1_14transform_implILb0ES3_S5_N6thrust23THRUST_200600_302600_NS6detail15normal_iteratorINS8_7pointerIsNS8_11hip_rocprim5par_tENS8_11use_defaultESE_EEEENSA_INSB_IlSD_SE_SE_EEEEZNS1_13binary_searchIS3_S5_PsSG_SI_NS1_21lower_bound_search_opENS9_16wrapped_functionINS8_6system6detail7generic6detail18binary_search_lessEbEEEE10hipError_tPvRmT1_T2_T3_mmT4_T5_P12ihipStream_tbEUlRKsE_EEST_SX_SY_mSZ_S12_bEUlT_E_NS1_11comp_targetILNS1_3genE4ELNS1_11target_archE910ELNS1_3gpuE8ELNS1_3repE0EEENS1_30default_config_static_selectorELNS0_4arch9wavefront6targetE1EEEvSW_ ; -- Begin function _ZN7rocprim17ROCPRIM_400000_NS6detail17trampoline_kernelINS0_14default_configENS1_27lower_bound_config_selectorIslEEZNS1_14transform_implILb0ES3_S5_N6thrust23THRUST_200600_302600_NS6detail15normal_iteratorINS8_7pointerIsNS8_11hip_rocprim5par_tENS8_11use_defaultESE_EEEENSA_INSB_IlSD_SE_SE_EEEEZNS1_13binary_searchIS3_S5_PsSG_SI_NS1_21lower_bound_search_opENS9_16wrapped_functionINS8_6system6detail7generic6detail18binary_search_lessEbEEEE10hipError_tPvRmT1_T2_T3_mmT4_T5_P12ihipStream_tbEUlRKsE_EEST_SX_SY_mSZ_S12_bEUlT_E_NS1_11comp_targetILNS1_3genE4ELNS1_11target_archE910ELNS1_3gpuE8ELNS1_3repE0EEENS1_30default_config_static_selectorELNS0_4arch9wavefront6targetE1EEEvSW_
	.globl	_ZN7rocprim17ROCPRIM_400000_NS6detail17trampoline_kernelINS0_14default_configENS1_27lower_bound_config_selectorIslEEZNS1_14transform_implILb0ES3_S5_N6thrust23THRUST_200600_302600_NS6detail15normal_iteratorINS8_7pointerIsNS8_11hip_rocprim5par_tENS8_11use_defaultESE_EEEENSA_INSB_IlSD_SE_SE_EEEEZNS1_13binary_searchIS3_S5_PsSG_SI_NS1_21lower_bound_search_opENS9_16wrapped_functionINS8_6system6detail7generic6detail18binary_search_lessEbEEEE10hipError_tPvRmT1_T2_T3_mmT4_T5_P12ihipStream_tbEUlRKsE_EEST_SX_SY_mSZ_S12_bEUlT_E_NS1_11comp_targetILNS1_3genE4ELNS1_11target_archE910ELNS1_3gpuE8ELNS1_3repE0EEENS1_30default_config_static_selectorELNS0_4arch9wavefront6targetE1EEEvSW_
	.p2align	8
	.type	_ZN7rocprim17ROCPRIM_400000_NS6detail17trampoline_kernelINS0_14default_configENS1_27lower_bound_config_selectorIslEEZNS1_14transform_implILb0ES3_S5_N6thrust23THRUST_200600_302600_NS6detail15normal_iteratorINS8_7pointerIsNS8_11hip_rocprim5par_tENS8_11use_defaultESE_EEEENSA_INSB_IlSD_SE_SE_EEEEZNS1_13binary_searchIS3_S5_PsSG_SI_NS1_21lower_bound_search_opENS9_16wrapped_functionINS8_6system6detail7generic6detail18binary_search_lessEbEEEE10hipError_tPvRmT1_T2_T3_mmT4_T5_P12ihipStream_tbEUlRKsE_EEST_SX_SY_mSZ_S12_bEUlT_E_NS1_11comp_targetILNS1_3genE4ELNS1_11target_archE910ELNS1_3gpuE8ELNS1_3repE0EEENS1_30default_config_static_selectorELNS0_4arch9wavefront6targetE1EEEvSW_,@function
_ZN7rocprim17ROCPRIM_400000_NS6detail17trampoline_kernelINS0_14default_configENS1_27lower_bound_config_selectorIslEEZNS1_14transform_implILb0ES3_S5_N6thrust23THRUST_200600_302600_NS6detail15normal_iteratorINS8_7pointerIsNS8_11hip_rocprim5par_tENS8_11use_defaultESE_EEEENSA_INSB_IlSD_SE_SE_EEEEZNS1_13binary_searchIS3_S5_PsSG_SI_NS1_21lower_bound_search_opENS9_16wrapped_functionINS8_6system6detail7generic6detail18binary_search_lessEbEEEE10hipError_tPvRmT1_T2_T3_mmT4_T5_P12ihipStream_tbEUlRKsE_EEST_SX_SY_mSZ_S12_bEUlT_E_NS1_11comp_targetILNS1_3genE4ELNS1_11target_archE910ELNS1_3gpuE8ELNS1_3repE0EEENS1_30default_config_static_selectorELNS0_4arch9wavefront6targetE1EEEvSW_: ; @_ZN7rocprim17ROCPRIM_400000_NS6detail17trampoline_kernelINS0_14default_configENS1_27lower_bound_config_selectorIslEEZNS1_14transform_implILb0ES3_S5_N6thrust23THRUST_200600_302600_NS6detail15normal_iteratorINS8_7pointerIsNS8_11hip_rocprim5par_tENS8_11use_defaultESE_EEEENSA_INSB_IlSD_SE_SE_EEEEZNS1_13binary_searchIS3_S5_PsSG_SI_NS1_21lower_bound_search_opENS9_16wrapped_functionINS8_6system6detail7generic6detail18binary_search_lessEbEEEE10hipError_tPvRmT1_T2_T3_mmT4_T5_P12ihipStream_tbEUlRKsE_EEST_SX_SY_mSZ_S12_bEUlT_E_NS1_11comp_targetILNS1_3genE4ELNS1_11target_archE910ELNS1_3gpuE8ELNS1_3repE0EEENS1_30default_config_static_selectorELNS0_4arch9wavefront6targetE1EEEvSW_
; %bb.0:
	.section	.rodata,"a",@progbits
	.p2align	6, 0x0
	.amdhsa_kernel _ZN7rocprim17ROCPRIM_400000_NS6detail17trampoline_kernelINS0_14default_configENS1_27lower_bound_config_selectorIslEEZNS1_14transform_implILb0ES3_S5_N6thrust23THRUST_200600_302600_NS6detail15normal_iteratorINS8_7pointerIsNS8_11hip_rocprim5par_tENS8_11use_defaultESE_EEEENSA_INSB_IlSD_SE_SE_EEEEZNS1_13binary_searchIS3_S5_PsSG_SI_NS1_21lower_bound_search_opENS9_16wrapped_functionINS8_6system6detail7generic6detail18binary_search_lessEbEEEE10hipError_tPvRmT1_T2_T3_mmT4_T5_P12ihipStream_tbEUlRKsE_EEST_SX_SY_mSZ_S12_bEUlT_E_NS1_11comp_targetILNS1_3genE4ELNS1_11target_archE910ELNS1_3gpuE8ELNS1_3repE0EEENS1_30default_config_static_selectorELNS0_4arch9wavefront6targetE1EEEvSW_
		.amdhsa_group_segment_fixed_size 0
		.amdhsa_private_segment_fixed_size 0
		.amdhsa_kernarg_size 56
		.amdhsa_user_sgpr_count 6
		.amdhsa_user_sgpr_private_segment_buffer 1
		.amdhsa_user_sgpr_dispatch_ptr 0
		.amdhsa_user_sgpr_queue_ptr 0
		.amdhsa_user_sgpr_kernarg_segment_ptr 1
		.amdhsa_user_sgpr_dispatch_id 0
		.amdhsa_user_sgpr_flat_scratch_init 0
		.amdhsa_user_sgpr_private_segment_size 0
		.amdhsa_uses_dynamic_stack 0
		.amdhsa_system_sgpr_private_segment_wavefront_offset 0
		.amdhsa_system_sgpr_workgroup_id_x 1
		.amdhsa_system_sgpr_workgroup_id_y 0
		.amdhsa_system_sgpr_workgroup_id_z 0
		.amdhsa_system_sgpr_workgroup_info 0
		.amdhsa_system_vgpr_workitem_id 0
		.amdhsa_next_free_vgpr 1
		.amdhsa_next_free_sgpr 0
		.amdhsa_reserve_vcc 0
		.amdhsa_reserve_flat_scratch 0
		.amdhsa_float_round_mode_32 0
		.amdhsa_float_round_mode_16_64 0
		.amdhsa_float_denorm_mode_32 3
		.amdhsa_float_denorm_mode_16_64 3
		.amdhsa_dx10_clamp 1
		.amdhsa_ieee_mode 1
		.amdhsa_fp16_overflow 0
		.amdhsa_exception_fp_ieee_invalid_op 0
		.amdhsa_exception_fp_denorm_src 0
		.amdhsa_exception_fp_ieee_div_zero 0
		.amdhsa_exception_fp_ieee_overflow 0
		.amdhsa_exception_fp_ieee_underflow 0
		.amdhsa_exception_fp_ieee_inexact 0
		.amdhsa_exception_int_div_zero 0
	.end_amdhsa_kernel
	.section	.text._ZN7rocprim17ROCPRIM_400000_NS6detail17trampoline_kernelINS0_14default_configENS1_27lower_bound_config_selectorIslEEZNS1_14transform_implILb0ES3_S5_N6thrust23THRUST_200600_302600_NS6detail15normal_iteratorINS8_7pointerIsNS8_11hip_rocprim5par_tENS8_11use_defaultESE_EEEENSA_INSB_IlSD_SE_SE_EEEEZNS1_13binary_searchIS3_S5_PsSG_SI_NS1_21lower_bound_search_opENS9_16wrapped_functionINS8_6system6detail7generic6detail18binary_search_lessEbEEEE10hipError_tPvRmT1_T2_T3_mmT4_T5_P12ihipStream_tbEUlRKsE_EEST_SX_SY_mSZ_S12_bEUlT_E_NS1_11comp_targetILNS1_3genE4ELNS1_11target_archE910ELNS1_3gpuE8ELNS1_3repE0EEENS1_30default_config_static_selectorELNS0_4arch9wavefront6targetE1EEEvSW_,"axG",@progbits,_ZN7rocprim17ROCPRIM_400000_NS6detail17trampoline_kernelINS0_14default_configENS1_27lower_bound_config_selectorIslEEZNS1_14transform_implILb0ES3_S5_N6thrust23THRUST_200600_302600_NS6detail15normal_iteratorINS8_7pointerIsNS8_11hip_rocprim5par_tENS8_11use_defaultESE_EEEENSA_INSB_IlSD_SE_SE_EEEEZNS1_13binary_searchIS3_S5_PsSG_SI_NS1_21lower_bound_search_opENS9_16wrapped_functionINS8_6system6detail7generic6detail18binary_search_lessEbEEEE10hipError_tPvRmT1_T2_T3_mmT4_T5_P12ihipStream_tbEUlRKsE_EEST_SX_SY_mSZ_S12_bEUlT_E_NS1_11comp_targetILNS1_3genE4ELNS1_11target_archE910ELNS1_3gpuE8ELNS1_3repE0EEENS1_30default_config_static_selectorELNS0_4arch9wavefront6targetE1EEEvSW_,comdat
.Lfunc_end154:
	.size	_ZN7rocprim17ROCPRIM_400000_NS6detail17trampoline_kernelINS0_14default_configENS1_27lower_bound_config_selectorIslEEZNS1_14transform_implILb0ES3_S5_N6thrust23THRUST_200600_302600_NS6detail15normal_iteratorINS8_7pointerIsNS8_11hip_rocprim5par_tENS8_11use_defaultESE_EEEENSA_INSB_IlSD_SE_SE_EEEEZNS1_13binary_searchIS3_S5_PsSG_SI_NS1_21lower_bound_search_opENS9_16wrapped_functionINS8_6system6detail7generic6detail18binary_search_lessEbEEEE10hipError_tPvRmT1_T2_T3_mmT4_T5_P12ihipStream_tbEUlRKsE_EEST_SX_SY_mSZ_S12_bEUlT_E_NS1_11comp_targetILNS1_3genE4ELNS1_11target_archE910ELNS1_3gpuE8ELNS1_3repE0EEENS1_30default_config_static_selectorELNS0_4arch9wavefront6targetE1EEEvSW_, .Lfunc_end154-_ZN7rocprim17ROCPRIM_400000_NS6detail17trampoline_kernelINS0_14default_configENS1_27lower_bound_config_selectorIslEEZNS1_14transform_implILb0ES3_S5_N6thrust23THRUST_200600_302600_NS6detail15normal_iteratorINS8_7pointerIsNS8_11hip_rocprim5par_tENS8_11use_defaultESE_EEEENSA_INSB_IlSD_SE_SE_EEEEZNS1_13binary_searchIS3_S5_PsSG_SI_NS1_21lower_bound_search_opENS9_16wrapped_functionINS8_6system6detail7generic6detail18binary_search_lessEbEEEE10hipError_tPvRmT1_T2_T3_mmT4_T5_P12ihipStream_tbEUlRKsE_EEST_SX_SY_mSZ_S12_bEUlT_E_NS1_11comp_targetILNS1_3genE4ELNS1_11target_archE910ELNS1_3gpuE8ELNS1_3repE0EEENS1_30default_config_static_selectorELNS0_4arch9wavefront6targetE1EEEvSW_
                                        ; -- End function
	.set _ZN7rocprim17ROCPRIM_400000_NS6detail17trampoline_kernelINS0_14default_configENS1_27lower_bound_config_selectorIslEEZNS1_14transform_implILb0ES3_S5_N6thrust23THRUST_200600_302600_NS6detail15normal_iteratorINS8_7pointerIsNS8_11hip_rocprim5par_tENS8_11use_defaultESE_EEEENSA_INSB_IlSD_SE_SE_EEEEZNS1_13binary_searchIS3_S5_PsSG_SI_NS1_21lower_bound_search_opENS9_16wrapped_functionINS8_6system6detail7generic6detail18binary_search_lessEbEEEE10hipError_tPvRmT1_T2_T3_mmT4_T5_P12ihipStream_tbEUlRKsE_EEST_SX_SY_mSZ_S12_bEUlT_E_NS1_11comp_targetILNS1_3genE4ELNS1_11target_archE910ELNS1_3gpuE8ELNS1_3repE0EEENS1_30default_config_static_selectorELNS0_4arch9wavefront6targetE1EEEvSW_.num_vgpr, 0
	.set _ZN7rocprim17ROCPRIM_400000_NS6detail17trampoline_kernelINS0_14default_configENS1_27lower_bound_config_selectorIslEEZNS1_14transform_implILb0ES3_S5_N6thrust23THRUST_200600_302600_NS6detail15normal_iteratorINS8_7pointerIsNS8_11hip_rocprim5par_tENS8_11use_defaultESE_EEEENSA_INSB_IlSD_SE_SE_EEEEZNS1_13binary_searchIS3_S5_PsSG_SI_NS1_21lower_bound_search_opENS9_16wrapped_functionINS8_6system6detail7generic6detail18binary_search_lessEbEEEE10hipError_tPvRmT1_T2_T3_mmT4_T5_P12ihipStream_tbEUlRKsE_EEST_SX_SY_mSZ_S12_bEUlT_E_NS1_11comp_targetILNS1_3genE4ELNS1_11target_archE910ELNS1_3gpuE8ELNS1_3repE0EEENS1_30default_config_static_selectorELNS0_4arch9wavefront6targetE1EEEvSW_.num_agpr, 0
	.set _ZN7rocprim17ROCPRIM_400000_NS6detail17trampoline_kernelINS0_14default_configENS1_27lower_bound_config_selectorIslEEZNS1_14transform_implILb0ES3_S5_N6thrust23THRUST_200600_302600_NS6detail15normal_iteratorINS8_7pointerIsNS8_11hip_rocprim5par_tENS8_11use_defaultESE_EEEENSA_INSB_IlSD_SE_SE_EEEEZNS1_13binary_searchIS3_S5_PsSG_SI_NS1_21lower_bound_search_opENS9_16wrapped_functionINS8_6system6detail7generic6detail18binary_search_lessEbEEEE10hipError_tPvRmT1_T2_T3_mmT4_T5_P12ihipStream_tbEUlRKsE_EEST_SX_SY_mSZ_S12_bEUlT_E_NS1_11comp_targetILNS1_3genE4ELNS1_11target_archE910ELNS1_3gpuE8ELNS1_3repE0EEENS1_30default_config_static_selectorELNS0_4arch9wavefront6targetE1EEEvSW_.numbered_sgpr, 0
	.set _ZN7rocprim17ROCPRIM_400000_NS6detail17trampoline_kernelINS0_14default_configENS1_27lower_bound_config_selectorIslEEZNS1_14transform_implILb0ES3_S5_N6thrust23THRUST_200600_302600_NS6detail15normal_iteratorINS8_7pointerIsNS8_11hip_rocprim5par_tENS8_11use_defaultESE_EEEENSA_INSB_IlSD_SE_SE_EEEEZNS1_13binary_searchIS3_S5_PsSG_SI_NS1_21lower_bound_search_opENS9_16wrapped_functionINS8_6system6detail7generic6detail18binary_search_lessEbEEEE10hipError_tPvRmT1_T2_T3_mmT4_T5_P12ihipStream_tbEUlRKsE_EEST_SX_SY_mSZ_S12_bEUlT_E_NS1_11comp_targetILNS1_3genE4ELNS1_11target_archE910ELNS1_3gpuE8ELNS1_3repE0EEENS1_30default_config_static_selectorELNS0_4arch9wavefront6targetE1EEEvSW_.num_named_barrier, 0
	.set _ZN7rocprim17ROCPRIM_400000_NS6detail17trampoline_kernelINS0_14default_configENS1_27lower_bound_config_selectorIslEEZNS1_14transform_implILb0ES3_S5_N6thrust23THRUST_200600_302600_NS6detail15normal_iteratorINS8_7pointerIsNS8_11hip_rocprim5par_tENS8_11use_defaultESE_EEEENSA_INSB_IlSD_SE_SE_EEEEZNS1_13binary_searchIS3_S5_PsSG_SI_NS1_21lower_bound_search_opENS9_16wrapped_functionINS8_6system6detail7generic6detail18binary_search_lessEbEEEE10hipError_tPvRmT1_T2_T3_mmT4_T5_P12ihipStream_tbEUlRKsE_EEST_SX_SY_mSZ_S12_bEUlT_E_NS1_11comp_targetILNS1_3genE4ELNS1_11target_archE910ELNS1_3gpuE8ELNS1_3repE0EEENS1_30default_config_static_selectorELNS0_4arch9wavefront6targetE1EEEvSW_.private_seg_size, 0
	.set _ZN7rocprim17ROCPRIM_400000_NS6detail17trampoline_kernelINS0_14default_configENS1_27lower_bound_config_selectorIslEEZNS1_14transform_implILb0ES3_S5_N6thrust23THRUST_200600_302600_NS6detail15normal_iteratorINS8_7pointerIsNS8_11hip_rocprim5par_tENS8_11use_defaultESE_EEEENSA_INSB_IlSD_SE_SE_EEEEZNS1_13binary_searchIS3_S5_PsSG_SI_NS1_21lower_bound_search_opENS9_16wrapped_functionINS8_6system6detail7generic6detail18binary_search_lessEbEEEE10hipError_tPvRmT1_T2_T3_mmT4_T5_P12ihipStream_tbEUlRKsE_EEST_SX_SY_mSZ_S12_bEUlT_E_NS1_11comp_targetILNS1_3genE4ELNS1_11target_archE910ELNS1_3gpuE8ELNS1_3repE0EEENS1_30default_config_static_selectorELNS0_4arch9wavefront6targetE1EEEvSW_.uses_vcc, 0
	.set _ZN7rocprim17ROCPRIM_400000_NS6detail17trampoline_kernelINS0_14default_configENS1_27lower_bound_config_selectorIslEEZNS1_14transform_implILb0ES3_S5_N6thrust23THRUST_200600_302600_NS6detail15normal_iteratorINS8_7pointerIsNS8_11hip_rocprim5par_tENS8_11use_defaultESE_EEEENSA_INSB_IlSD_SE_SE_EEEEZNS1_13binary_searchIS3_S5_PsSG_SI_NS1_21lower_bound_search_opENS9_16wrapped_functionINS8_6system6detail7generic6detail18binary_search_lessEbEEEE10hipError_tPvRmT1_T2_T3_mmT4_T5_P12ihipStream_tbEUlRKsE_EEST_SX_SY_mSZ_S12_bEUlT_E_NS1_11comp_targetILNS1_3genE4ELNS1_11target_archE910ELNS1_3gpuE8ELNS1_3repE0EEENS1_30default_config_static_selectorELNS0_4arch9wavefront6targetE1EEEvSW_.uses_flat_scratch, 0
	.set _ZN7rocprim17ROCPRIM_400000_NS6detail17trampoline_kernelINS0_14default_configENS1_27lower_bound_config_selectorIslEEZNS1_14transform_implILb0ES3_S5_N6thrust23THRUST_200600_302600_NS6detail15normal_iteratorINS8_7pointerIsNS8_11hip_rocprim5par_tENS8_11use_defaultESE_EEEENSA_INSB_IlSD_SE_SE_EEEEZNS1_13binary_searchIS3_S5_PsSG_SI_NS1_21lower_bound_search_opENS9_16wrapped_functionINS8_6system6detail7generic6detail18binary_search_lessEbEEEE10hipError_tPvRmT1_T2_T3_mmT4_T5_P12ihipStream_tbEUlRKsE_EEST_SX_SY_mSZ_S12_bEUlT_E_NS1_11comp_targetILNS1_3genE4ELNS1_11target_archE910ELNS1_3gpuE8ELNS1_3repE0EEENS1_30default_config_static_selectorELNS0_4arch9wavefront6targetE1EEEvSW_.has_dyn_sized_stack, 0
	.set _ZN7rocprim17ROCPRIM_400000_NS6detail17trampoline_kernelINS0_14default_configENS1_27lower_bound_config_selectorIslEEZNS1_14transform_implILb0ES3_S5_N6thrust23THRUST_200600_302600_NS6detail15normal_iteratorINS8_7pointerIsNS8_11hip_rocprim5par_tENS8_11use_defaultESE_EEEENSA_INSB_IlSD_SE_SE_EEEEZNS1_13binary_searchIS3_S5_PsSG_SI_NS1_21lower_bound_search_opENS9_16wrapped_functionINS8_6system6detail7generic6detail18binary_search_lessEbEEEE10hipError_tPvRmT1_T2_T3_mmT4_T5_P12ihipStream_tbEUlRKsE_EEST_SX_SY_mSZ_S12_bEUlT_E_NS1_11comp_targetILNS1_3genE4ELNS1_11target_archE910ELNS1_3gpuE8ELNS1_3repE0EEENS1_30default_config_static_selectorELNS0_4arch9wavefront6targetE1EEEvSW_.has_recursion, 0
	.set _ZN7rocprim17ROCPRIM_400000_NS6detail17trampoline_kernelINS0_14default_configENS1_27lower_bound_config_selectorIslEEZNS1_14transform_implILb0ES3_S5_N6thrust23THRUST_200600_302600_NS6detail15normal_iteratorINS8_7pointerIsNS8_11hip_rocprim5par_tENS8_11use_defaultESE_EEEENSA_INSB_IlSD_SE_SE_EEEEZNS1_13binary_searchIS3_S5_PsSG_SI_NS1_21lower_bound_search_opENS9_16wrapped_functionINS8_6system6detail7generic6detail18binary_search_lessEbEEEE10hipError_tPvRmT1_T2_T3_mmT4_T5_P12ihipStream_tbEUlRKsE_EEST_SX_SY_mSZ_S12_bEUlT_E_NS1_11comp_targetILNS1_3genE4ELNS1_11target_archE910ELNS1_3gpuE8ELNS1_3repE0EEENS1_30default_config_static_selectorELNS0_4arch9wavefront6targetE1EEEvSW_.has_indirect_call, 0
	.section	.AMDGPU.csdata,"",@progbits
; Kernel info:
; codeLenInByte = 0
; TotalNumSgprs: 4
; NumVgprs: 0
; ScratchSize: 0
; MemoryBound: 0
; FloatMode: 240
; IeeeMode: 1
; LDSByteSize: 0 bytes/workgroup (compile time only)
; SGPRBlocks: 0
; VGPRBlocks: 0
; NumSGPRsForWavesPerEU: 4
; NumVGPRsForWavesPerEU: 1
; Occupancy: 10
; WaveLimiterHint : 0
; COMPUTE_PGM_RSRC2:SCRATCH_EN: 0
; COMPUTE_PGM_RSRC2:USER_SGPR: 6
; COMPUTE_PGM_RSRC2:TRAP_HANDLER: 0
; COMPUTE_PGM_RSRC2:TGID_X_EN: 1
; COMPUTE_PGM_RSRC2:TGID_Y_EN: 0
; COMPUTE_PGM_RSRC2:TGID_Z_EN: 0
; COMPUTE_PGM_RSRC2:TIDIG_COMP_CNT: 0
	.section	.text._ZN7rocprim17ROCPRIM_400000_NS6detail17trampoline_kernelINS0_14default_configENS1_27lower_bound_config_selectorIslEEZNS1_14transform_implILb0ES3_S5_N6thrust23THRUST_200600_302600_NS6detail15normal_iteratorINS8_7pointerIsNS8_11hip_rocprim5par_tENS8_11use_defaultESE_EEEENSA_INSB_IlSD_SE_SE_EEEEZNS1_13binary_searchIS3_S5_PsSG_SI_NS1_21lower_bound_search_opENS9_16wrapped_functionINS8_6system6detail7generic6detail18binary_search_lessEbEEEE10hipError_tPvRmT1_T2_T3_mmT4_T5_P12ihipStream_tbEUlRKsE_EEST_SX_SY_mSZ_S12_bEUlT_E_NS1_11comp_targetILNS1_3genE3ELNS1_11target_archE908ELNS1_3gpuE7ELNS1_3repE0EEENS1_30default_config_static_selectorELNS0_4arch9wavefront6targetE1EEEvSW_,"axG",@progbits,_ZN7rocprim17ROCPRIM_400000_NS6detail17trampoline_kernelINS0_14default_configENS1_27lower_bound_config_selectorIslEEZNS1_14transform_implILb0ES3_S5_N6thrust23THRUST_200600_302600_NS6detail15normal_iteratorINS8_7pointerIsNS8_11hip_rocprim5par_tENS8_11use_defaultESE_EEEENSA_INSB_IlSD_SE_SE_EEEEZNS1_13binary_searchIS3_S5_PsSG_SI_NS1_21lower_bound_search_opENS9_16wrapped_functionINS8_6system6detail7generic6detail18binary_search_lessEbEEEE10hipError_tPvRmT1_T2_T3_mmT4_T5_P12ihipStream_tbEUlRKsE_EEST_SX_SY_mSZ_S12_bEUlT_E_NS1_11comp_targetILNS1_3genE3ELNS1_11target_archE908ELNS1_3gpuE7ELNS1_3repE0EEENS1_30default_config_static_selectorELNS0_4arch9wavefront6targetE1EEEvSW_,comdat
	.protected	_ZN7rocprim17ROCPRIM_400000_NS6detail17trampoline_kernelINS0_14default_configENS1_27lower_bound_config_selectorIslEEZNS1_14transform_implILb0ES3_S5_N6thrust23THRUST_200600_302600_NS6detail15normal_iteratorINS8_7pointerIsNS8_11hip_rocprim5par_tENS8_11use_defaultESE_EEEENSA_INSB_IlSD_SE_SE_EEEEZNS1_13binary_searchIS3_S5_PsSG_SI_NS1_21lower_bound_search_opENS9_16wrapped_functionINS8_6system6detail7generic6detail18binary_search_lessEbEEEE10hipError_tPvRmT1_T2_T3_mmT4_T5_P12ihipStream_tbEUlRKsE_EEST_SX_SY_mSZ_S12_bEUlT_E_NS1_11comp_targetILNS1_3genE3ELNS1_11target_archE908ELNS1_3gpuE7ELNS1_3repE0EEENS1_30default_config_static_selectorELNS0_4arch9wavefront6targetE1EEEvSW_ ; -- Begin function _ZN7rocprim17ROCPRIM_400000_NS6detail17trampoline_kernelINS0_14default_configENS1_27lower_bound_config_selectorIslEEZNS1_14transform_implILb0ES3_S5_N6thrust23THRUST_200600_302600_NS6detail15normal_iteratorINS8_7pointerIsNS8_11hip_rocprim5par_tENS8_11use_defaultESE_EEEENSA_INSB_IlSD_SE_SE_EEEEZNS1_13binary_searchIS3_S5_PsSG_SI_NS1_21lower_bound_search_opENS9_16wrapped_functionINS8_6system6detail7generic6detail18binary_search_lessEbEEEE10hipError_tPvRmT1_T2_T3_mmT4_T5_P12ihipStream_tbEUlRKsE_EEST_SX_SY_mSZ_S12_bEUlT_E_NS1_11comp_targetILNS1_3genE3ELNS1_11target_archE908ELNS1_3gpuE7ELNS1_3repE0EEENS1_30default_config_static_selectorELNS0_4arch9wavefront6targetE1EEEvSW_
	.globl	_ZN7rocprim17ROCPRIM_400000_NS6detail17trampoline_kernelINS0_14default_configENS1_27lower_bound_config_selectorIslEEZNS1_14transform_implILb0ES3_S5_N6thrust23THRUST_200600_302600_NS6detail15normal_iteratorINS8_7pointerIsNS8_11hip_rocprim5par_tENS8_11use_defaultESE_EEEENSA_INSB_IlSD_SE_SE_EEEEZNS1_13binary_searchIS3_S5_PsSG_SI_NS1_21lower_bound_search_opENS9_16wrapped_functionINS8_6system6detail7generic6detail18binary_search_lessEbEEEE10hipError_tPvRmT1_T2_T3_mmT4_T5_P12ihipStream_tbEUlRKsE_EEST_SX_SY_mSZ_S12_bEUlT_E_NS1_11comp_targetILNS1_3genE3ELNS1_11target_archE908ELNS1_3gpuE7ELNS1_3repE0EEENS1_30default_config_static_selectorELNS0_4arch9wavefront6targetE1EEEvSW_
	.p2align	8
	.type	_ZN7rocprim17ROCPRIM_400000_NS6detail17trampoline_kernelINS0_14default_configENS1_27lower_bound_config_selectorIslEEZNS1_14transform_implILb0ES3_S5_N6thrust23THRUST_200600_302600_NS6detail15normal_iteratorINS8_7pointerIsNS8_11hip_rocprim5par_tENS8_11use_defaultESE_EEEENSA_INSB_IlSD_SE_SE_EEEEZNS1_13binary_searchIS3_S5_PsSG_SI_NS1_21lower_bound_search_opENS9_16wrapped_functionINS8_6system6detail7generic6detail18binary_search_lessEbEEEE10hipError_tPvRmT1_T2_T3_mmT4_T5_P12ihipStream_tbEUlRKsE_EEST_SX_SY_mSZ_S12_bEUlT_E_NS1_11comp_targetILNS1_3genE3ELNS1_11target_archE908ELNS1_3gpuE7ELNS1_3repE0EEENS1_30default_config_static_selectorELNS0_4arch9wavefront6targetE1EEEvSW_,@function
_ZN7rocprim17ROCPRIM_400000_NS6detail17trampoline_kernelINS0_14default_configENS1_27lower_bound_config_selectorIslEEZNS1_14transform_implILb0ES3_S5_N6thrust23THRUST_200600_302600_NS6detail15normal_iteratorINS8_7pointerIsNS8_11hip_rocprim5par_tENS8_11use_defaultESE_EEEENSA_INSB_IlSD_SE_SE_EEEEZNS1_13binary_searchIS3_S5_PsSG_SI_NS1_21lower_bound_search_opENS9_16wrapped_functionINS8_6system6detail7generic6detail18binary_search_lessEbEEEE10hipError_tPvRmT1_T2_T3_mmT4_T5_P12ihipStream_tbEUlRKsE_EEST_SX_SY_mSZ_S12_bEUlT_E_NS1_11comp_targetILNS1_3genE3ELNS1_11target_archE908ELNS1_3gpuE7ELNS1_3repE0EEENS1_30default_config_static_selectorELNS0_4arch9wavefront6targetE1EEEvSW_: ; @_ZN7rocprim17ROCPRIM_400000_NS6detail17trampoline_kernelINS0_14default_configENS1_27lower_bound_config_selectorIslEEZNS1_14transform_implILb0ES3_S5_N6thrust23THRUST_200600_302600_NS6detail15normal_iteratorINS8_7pointerIsNS8_11hip_rocprim5par_tENS8_11use_defaultESE_EEEENSA_INSB_IlSD_SE_SE_EEEEZNS1_13binary_searchIS3_S5_PsSG_SI_NS1_21lower_bound_search_opENS9_16wrapped_functionINS8_6system6detail7generic6detail18binary_search_lessEbEEEE10hipError_tPvRmT1_T2_T3_mmT4_T5_P12ihipStream_tbEUlRKsE_EEST_SX_SY_mSZ_S12_bEUlT_E_NS1_11comp_targetILNS1_3genE3ELNS1_11target_archE908ELNS1_3gpuE7ELNS1_3repE0EEENS1_30default_config_static_selectorELNS0_4arch9wavefront6targetE1EEEvSW_
; %bb.0:
	.section	.rodata,"a",@progbits
	.p2align	6, 0x0
	.amdhsa_kernel _ZN7rocprim17ROCPRIM_400000_NS6detail17trampoline_kernelINS0_14default_configENS1_27lower_bound_config_selectorIslEEZNS1_14transform_implILb0ES3_S5_N6thrust23THRUST_200600_302600_NS6detail15normal_iteratorINS8_7pointerIsNS8_11hip_rocprim5par_tENS8_11use_defaultESE_EEEENSA_INSB_IlSD_SE_SE_EEEEZNS1_13binary_searchIS3_S5_PsSG_SI_NS1_21lower_bound_search_opENS9_16wrapped_functionINS8_6system6detail7generic6detail18binary_search_lessEbEEEE10hipError_tPvRmT1_T2_T3_mmT4_T5_P12ihipStream_tbEUlRKsE_EEST_SX_SY_mSZ_S12_bEUlT_E_NS1_11comp_targetILNS1_3genE3ELNS1_11target_archE908ELNS1_3gpuE7ELNS1_3repE0EEENS1_30default_config_static_selectorELNS0_4arch9wavefront6targetE1EEEvSW_
		.amdhsa_group_segment_fixed_size 0
		.amdhsa_private_segment_fixed_size 0
		.amdhsa_kernarg_size 56
		.amdhsa_user_sgpr_count 6
		.amdhsa_user_sgpr_private_segment_buffer 1
		.amdhsa_user_sgpr_dispatch_ptr 0
		.amdhsa_user_sgpr_queue_ptr 0
		.amdhsa_user_sgpr_kernarg_segment_ptr 1
		.amdhsa_user_sgpr_dispatch_id 0
		.amdhsa_user_sgpr_flat_scratch_init 0
		.amdhsa_user_sgpr_private_segment_size 0
		.amdhsa_uses_dynamic_stack 0
		.amdhsa_system_sgpr_private_segment_wavefront_offset 0
		.amdhsa_system_sgpr_workgroup_id_x 1
		.amdhsa_system_sgpr_workgroup_id_y 0
		.amdhsa_system_sgpr_workgroup_id_z 0
		.amdhsa_system_sgpr_workgroup_info 0
		.amdhsa_system_vgpr_workitem_id 0
		.amdhsa_next_free_vgpr 1
		.amdhsa_next_free_sgpr 0
		.amdhsa_reserve_vcc 0
		.amdhsa_reserve_flat_scratch 0
		.amdhsa_float_round_mode_32 0
		.amdhsa_float_round_mode_16_64 0
		.amdhsa_float_denorm_mode_32 3
		.amdhsa_float_denorm_mode_16_64 3
		.amdhsa_dx10_clamp 1
		.amdhsa_ieee_mode 1
		.amdhsa_fp16_overflow 0
		.amdhsa_exception_fp_ieee_invalid_op 0
		.amdhsa_exception_fp_denorm_src 0
		.amdhsa_exception_fp_ieee_div_zero 0
		.amdhsa_exception_fp_ieee_overflow 0
		.amdhsa_exception_fp_ieee_underflow 0
		.amdhsa_exception_fp_ieee_inexact 0
		.amdhsa_exception_int_div_zero 0
	.end_amdhsa_kernel
	.section	.text._ZN7rocprim17ROCPRIM_400000_NS6detail17trampoline_kernelINS0_14default_configENS1_27lower_bound_config_selectorIslEEZNS1_14transform_implILb0ES3_S5_N6thrust23THRUST_200600_302600_NS6detail15normal_iteratorINS8_7pointerIsNS8_11hip_rocprim5par_tENS8_11use_defaultESE_EEEENSA_INSB_IlSD_SE_SE_EEEEZNS1_13binary_searchIS3_S5_PsSG_SI_NS1_21lower_bound_search_opENS9_16wrapped_functionINS8_6system6detail7generic6detail18binary_search_lessEbEEEE10hipError_tPvRmT1_T2_T3_mmT4_T5_P12ihipStream_tbEUlRKsE_EEST_SX_SY_mSZ_S12_bEUlT_E_NS1_11comp_targetILNS1_3genE3ELNS1_11target_archE908ELNS1_3gpuE7ELNS1_3repE0EEENS1_30default_config_static_selectorELNS0_4arch9wavefront6targetE1EEEvSW_,"axG",@progbits,_ZN7rocprim17ROCPRIM_400000_NS6detail17trampoline_kernelINS0_14default_configENS1_27lower_bound_config_selectorIslEEZNS1_14transform_implILb0ES3_S5_N6thrust23THRUST_200600_302600_NS6detail15normal_iteratorINS8_7pointerIsNS8_11hip_rocprim5par_tENS8_11use_defaultESE_EEEENSA_INSB_IlSD_SE_SE_EEEEZNS1_13binary_searchIS3_S5_PsSG_SI_NS1_21lower_bound_search_opENS9_16wrapped_functionINS8_6system6detail7generic6detail18binary_search_lessEbEEEE10hipError_tPvRmT1_T2_T3_mmT4_T5_P12ihipStream_tbEUlRKsE_EEST_SX_SY_mSZ_S12_bEUlT_E_NS1_11comp_targetILNS1_3genE3ELNS1_11target_archE908ELNS1_3gpuE7ELNS1_3repE0EEENS1_30default_config_static_selectorELNS0_4arch9wavefront6targetE1EEEvSW_,comdat
.Lfunc_end155:
	.size	_ZN7rocprim17ROCPRIM_400000_NS6detail17trampoline_kernelINS0_14default_configENS1_27lower_bound_config_selectorIslEEZNS1_14transform_implILb0ES3_S5_N6thrust23THRUST_200600_302600_NS6detail15normal_iteratorINS8_7pointerIsNS8_11hip_rocprim5par_tENS8_11use_defaultESE_EEEENSA_INSB_IlSD_SE_SE_EEEEZNS1_13binary_searchIS3_S5_PsSG_SI_NS1_21lower_bound_search_opENS9_16wrapped_functionINS8_6system6detail7generic6detail18binary_search_lessEbEEEE10hipError_tPvRmT1_T2_T3_mmT4_T5_P12ihipStream_tbEUlRKsE_EEST_SX_SY_mSZ_S12_bEUlT_E_NS1_11comp_targetILNS1_3genE3ELNS1_11target_archE908ELNS1_3gpuE7ELNS1_3repE0EEENS1_30default_config_static_selectorELNS0_4arch9wavefront6targetE1EEEvSW_, .Lfunc_end155-_ZN7rocprim17ROCPRIM_400000_NS6detail17trampoline_kernelINS0_14default_configENS1_27lower_bound_config_selectorIslEEZNS1_14transform_implILb0ES3_S5_N6thrust23THRUST_200600_302600_NS6detail15normal_iteratorINS8_7pointerIsNS8_11hip_rocprim5par_tENS8_11use_defaultESE_EEEENSA_INSB_IlSD_SE_SE_EEEEZNS1_13binary_searchIS3_S5_PsSG_SI_NS1_21lower_bound_search_opENS9_16wrapped_functionINS8_6system6detail7generic6detail18binary_search_lessEbEEEE10hipError_tPvRmT1_T2_T3_mmT4_T5_P12ihipStream_tbEUlRKsE_EEST_SX_SY_mSZ_S12_bEUlT_E_NS1_11comp_targetILNS1_3genE3ELNS1_11target_archE908ELNS1_3gpuE7ELNS1_3repE0EEENS1_30default_config_static_selectorELNS0_4arch9wavefront6targetE1EEEvSW_
                                        ; -- End function
	.set _ZN7rocprim17ROCPRIM_400000_NS6detail17trampoline_kernelINS0_14default_configENS1_27lower_bound_config_selectorIslEEZNS1_14transform_implILb0ES3_S5_N6thrust23THRUST_200600_302600_NS6detail15normal_iteratorINS8_7pointerIsNS8_11hip_rocprim5par_tENS8_11use_defaultESE_EEEENSA_INSB_IlSD_SE_SE_EEEEZNS1_13binary_searchIS3_S5_PsSG_SI_NS1_21lower_bound_search_opENS9_16wrapped_functionINS8_6system6detail7generic6detail18binary_search_lessEbEEEE10hipError_tPvRmT1_T2_T3_mmT4_T5_P12ihipStream_tbEUlRKsE_EEST_SX_SY_mSZ_S12_bEUlT_E_NS1_11comp_targetILNS1_3genE3ELNS1_11target_archE908ELNS1_3gpuE7ELNS1_3repE0EEENS1_30default_config_static_selectorELNS0_4arch9wavefront6targetE1EEEvSW_.num_vgpr, 0
	.set _ZN7rocprim17ROCPRIM_400000_NS6detail17trampoline_kernelINS0_14default_configENS1_27lower_bound_config_selectorIslEEZNS1_14transform_implILb0ES3_S5_N6thrust23THRUST_200600_302600_NS6detail15normal_iteratorINS8_7pointerIsNS8_11hip_rocprim5par_tENS8_11use_defaultESE_EEEENSA_INSB_IlSD_SE_SE_EEEEZNS1_13binary_searchIS3_S5_PsSG_SI_NS1_21lower_bound_search_opENS9_16wrapped_functionINS8_6system6detail7generic6detail18binary_search_lessEbEEEE10hipError_tPvRmT1_T2_T3_mmT4_T5_P12ihipStream_tbEUlRKsE_EEST_SX_SY_mSZ_S12_bEUlT_E_NS1_11comp_targetILNS1_3genE3ELNS1_11target_archE908ELNS1_3gpuE7ELNS1_3repE0EEENS1_30default_config_static_selectorELNS0_4arch9wavefront6targetE1EEEvSW_.num_agpr, 0
	.set _ZN7rocprim17ROCPRIM_400000_NS6detail17trampoline_kernelINS0_14default_configENS1_27lower_bound_config_selectorIslEEZNS1_14transform_implILb0ES3_S5_N6thrust23THRUST_200600_302600_NS6detail15normal_iteratorINS8_7pointerIsNS8_11hip_rocprim5par_tENS8_11use_defaultESE_EEEENSA_INSB_IlSD_SE_SE_EEEEZNS1_13binary_searchIS3_S5_PsSG_SI_NS1_21lower_bound_search_opENS9_16wrapped_functionINS8_6system6detail7generic6detail18binary_search_lessEbEEEE10hipError_tPvRmT1_T2_T3_mmT4_T5_P12ihipStream_tbEUlRKsE_EEST_SX_SY_mSZ_S12_bEUlT_E_NS1_11comp_targetILNS1_3genE3ELNS1_11target_archE908ELNS1_3gpuE7ELNS1_3repE0EEENS1_30default_config_static_selectorELNS0_4arch9wavefront6targetE1EEEvSW_.numbered_sgpr, 0
	.set _ZN7rocprim17ROCPRIM_400000_NS6detail17trampoline_kernelINS0_14default_configENS1_27lower_bound_config_selectorIslEEZNS1_14transform_implILb0ES3_S5_N6thrust23THRUST_200600_302600_NS6detail15normal_iteratorINS8_7pointerIsNS8_11hip_rocprim5par_tENS8_11use_defaultESE_EEEENSA_INSB_IlSD_SE_SE_EEEEZNS1_13binary_searchIS3_S5_PsSG_SI_NS1_21lower_bound_search_opENS9_16wrapped_functionINS8_6system6detail7generic6detail18binary_search_lessEbEEEE10hipError_tPvRmT1_T2_T3_mmT4_T5_P12ihipStream_tbEUlRKsE_EEST_SX_SY_mSZ_S12_bEUlT_E_NS1_11comp_targetILNS1_3genE3ELNS1_11target_archE908ELNS1_3gpuE7ELNS1_3repE0EEENS1_30default_config_static_selectorELNS0_4arch9wavefront6targetE1EEEvSW_.num_named_barrier, 0
	.set _ZN7rocprim17ROCPRIM_400000_NS6detail17trampoline_kernelINS0_14default_configENS1_27lower_bound_config_selectorIslEEZNS1_14transform_implILb0ES3_S5_N6thrust23THRUST_200600_302600_NS6detail15normal_iteratorINS8_7pointerIsNS8_11hip_rocprim5par_tENS8_11use_defaultESE_EEEENSA_INSB_IlSD_SE_SE_EEEEZNS1_13binary_searchIS3_S5_PsSG_SI_NS1_21lower_bound_search_opENS9_16wrapped_functionINS8_6system6detail7generic6detail18binary_search_lessEbEEEE10hipError_tPvRmT1_T2_T3_mmT4_T5_P12ihipStream_tbEUlRKsE_EEST_SX_SY_mSZ_S12_bEUlT_E_NS1_11comp_targetILNS1_3genE3ELNS1_11target_archE908ELNS1_3gpuE7ELNS1_3repE0EEENS1_30default_config_static_selectorELNS0_4arch9wavefront6targetE1EEEvSW_.private_seg_size, 0
	.set _ZN7rocprim17ROCPRIM_400000_NS6detail17trampoline_kernelINS0_14default_configENS1_27lower_bound_config_selectorIslEEZNS1_14transform_implILb0ES3_S5_N6thrust23THRUST_200600_302600_NS6detail15normal_iteratorINS8_7pointerIsNS8_11hip_rocprim5par_tENS8_11use_defaultESE_EEEENSA_INSB_IlSD_SE_SE_EEEEZNS1_13binary_searchIS3_S5_PsSG_SI_NS1_21lower_bound_search_opENS9_16wrapped_functionINS8_6system6detail7generic6detail18binary_search_lessEbEEEE10hipError_tPvRmT1_T2_T3_mmT4_T5_P12ihipStream_tbEUlRKsE_EEST_SX_SY_mSZ_S12_bEUlT_E_NS1_11comp_targetILNS1_3genE3ELNS1_11target_archE908ELNS1_3gpuE7ELNS1_3repE0EEENS1_30default_config_static_selectorELNS0_4arch9wavefront6targetE1EEEvSW_.uses_vcc, 0
	.set _ZN7rocprim17ROCPRIM_400000_NS6detail17trampoline_kernelINS0_14default_configENS1_27lower_bound_config_selectorIslEEZNS1_14transform_implILb0ES3_S5_N6thrust23THRUST_200600_302600_NS6detail15normal_iteratorINS8_7pointerIsNS8_11hip_rocprim5par_tENS8_11use_defaultESE_EEEENSA_INSB_IlSD_SE_SE_EEEEZNS1_13binary_searchIS3_S5_PsSG_SI_NS1_21lower_bound_search_opENS9_16wrapped_functionINS8_6system6detail7generic6detail18binary_search_lessEbEEEE10hipError_tPvRmT1_T2_T3_mmT4_T5_P12ihipStream_tbEUlRKsE_EEST_SX_SY_mSZ_S12_bEUlT_E_NS1_11comp_targetILNS1_3genE3ELNS1_11target_archE908ELNS1_3gpuE7ELNS1_3repE0EEENS1_30default_config_static_selectorELNS0_4arch9wavefront6targetE1EEEvSW_.uses_flat_scratch, 0
	.set _ZN7rocprim17ROCPRIM_400000_NS6detail17trampoline_kernelINS0_14default_configENS1_27lower_bound_config_selectorIslEEZNS1_14transform_implILb0ES3_S5_N6thrust23THRUST_200600_302600_NS6detail15normal_iteratorINS8_7pointerIsNS8_11hip_rocprim5par_tENS8_11use_defaultESE_EEEENSA_INSB_IlSD_SE_SE_EEEEZNS1_13binary_searchIS3_S5_PsSG_SI_NS1_21lower_bound_search_opENS9_16wrapped_functionINS8_6system6detail7generic6detail18binary_search_lessEbEEEE10hipError_tPvRmT1_T2_T3_mmT4_T5_P12ihipStream_tbEUlRKsE_EEST_SX_SY_mSZ_S12_bEUlT_E_NS1_11comp_targetILNS1_3genE3ELNS1_11target_archE908ELNS1_3gpuE7ELNS1_3repE0EEENS1_30default_config_static_selectorELNS0_4arch9wavefront6targetE1EEEvSW_.has_dyn_sized_stack, 0
	.set _ZN7rocprim17ROCPRIM_400000_NS6detail17trampoline_kernelINS0_14default_configENS1_27lower_bound_config_selectorIslEEZNS1_14transform_implILb0ES3_S5_N6thrust23THRUST_200600_302600_NS6detail15normal_iteratorINS8_7pointerIsNS8_11hip_rocprim5par_tENS8_11use_defaultESE_EEEENSA_INSB_IlSD_SE_SE_EEEEZNS1_13binary_searchIS3_S5_PsSG_SI_NS1_21lower_bound_search_opENS9_16wrapped_functionINS8_6system6detail7generic6detail18binary_search_lessEbEEEE10hipError_tPvRmT1_T2_T3_mmT4_T5_P12ihipStream_tbEUlRKsE_EEST_SX_SY_mSZ_S12_bEUlT_E_NS1_11comp_targetILNS1_3genE3ELNS1_11target_archE908ELNS1_3gpuE7ELNS1_3repE0EEENS1_30default_config_static_selectorELNS0_4arch9wavefront6targetE1EEEvSW_.has_recursion, 0
	.set _ZN7rocprim17ROCPRIM_400000_NS6detail17trampoline_kernelINS0_14default_configENS1_27lower_bound_config_selectorIslEEZNS1_14transform_implILb0ES3_S5_N6thrust23THRUST_200600_302600_NS6detail15normal_iteratorINS8_7pointerIsNS8_11hip_rocprim5par_tENS8_11use_defaultESE_EEEENSA_INSB_IlSD_SE_SE_EEEEZNS1_13binary_searchIS3_S5_PsSG_SI_NS1_21lower_bound_search_opENS9_16wrapped_functionINS8_6system6detail7generic6detail18binary_search_lessEbEEEE10hipError_tPvRmT1_T2_T3_mmT4_T5_P12ihipStream_tbEUlRKsE_EEST_SX_SY_mSZ_S12_bEUlT_E_NS1_11comp_targetILNS1_3genE3ELNS1_11target_archE908ELNS1_3gpuE7ELNS1_3repE0EEENS1_30default_config_static_selectorELNS0_4arch9wavefront6targetE1EEEvSW_.has_indirect_call, 0
	.section	.AMDGPU.csdata,"",@progbits
; Kernel info:
; codeLenInByte = 0
; TotalNumSgprs: 4
; NumVgprs: 0
; ScratchSize: 0
; MemoryBound: 0
; FloatMode: 240
; IeeeMode: 1
; LDSByteSize: 0 bytes/workgroup (compile time only)
; SGPRBlocks: 0
; VGPRBlocks: 0
; NumSGPRsForWavesPerEU: 4
; NumVGPRsForWavesPerEU: 1
; Occupancy: 10
; WaveLimiterHint : 0
; COMPUTE_PGM_RSRC2:SCRATCH_EN: 0
; COMPUTE_PGM_RSRC2:USER_SGPR: 6
; COMPUTE_PGM_RSRC2:TRAP_HANDLER: 0
; COMPUTE_PGM_RSRC2:TGID_X_EN: 1
; COMPUTE_PGM_RSRC2:TGID_Y_EN: 0
; COMPUTE_PGM_RSRC2:TGID_Z_EN: 0
; COMPUTE_PGM_RSRC2:TIDIG_COMP_CNT: 0
	.section	.text._ZN7rocprim17ROCPRIM_400000_NS6detail17trampoline_kernelINS0_14default_configENS1_27lower_bound_config_selectorIslEEZNS1_14transform_implILb0ES3_S5_N6thrust23THRUST_200600_302600_NS6detail15normal_iteratorINS8_7pointerIsNS8_11hip_rocprim5par_tENS8_11use_defaultESE_EEEENSA_INSB_IlSD_SE_SE_EEEEZNS1_13binary_searchIS3_S5_PsSG_SI_NS1_21lower_bound_search_opENS9_16wrapped_functionINS8_6system6detail7generic6detail18binary_search_lessEbEEEE10hipError_tPvRmT1_T2_T3_mmT4_T5_P12ihipStream_tbEUlRKsE_EEST_SX_SY_mSZ_S12_bEUlT_E_NS1_11comp_targetILNS1_3genE2ELNS1_11target_archE906ELNS1_3gpuE6ELNS1_3repE0EEENS1_30default_config_static_selectorELNS0_4arch9wavefront6targetE1EEEvSW_,"axG",@progbits,_ZN7rocprim17ROCPRIM_400000_NS6detail17trampoline_kernelINS0_14default_configENS1_27lower_bound_config_selectorIslEEZNS1_14transform_implILb0ES3_S5_N6thrust23THRUST_200600_302600_NS6detail15normal_iteratorINS8_7pointerIsNS8_11hip_rocprim5par_tENS8_11use_defaultESE_EEEENSA_INSB_IlSD_SE_SE_EEEEZNS1_13binary_searchIS3_S5_PsSG_SI_NS1_21lower_bound_search_opENS9_16wrapped_functionINS8_6system6detail7generic6detail18binary_search_lessEbEEEE10hipError_tPvRmT1_T2_T3_mmT4_T5_P12ihipStream_tbEUlRKsE_EEST_SX_SY_mSZ_S12_bEUlT_E_NS1_11comp_targetILNS1_3genE2ELNS1_11target_archE906ELNS1_3gpuE6ELNS1_3repE0EEENS1_30default_config_static_selectorELNS0_4arch9wavefront6targetE1EEEvSW_,comdat
	.protected	_ZN7rocprim17ROCPRIM_400000_NS6detail17trampoline_kernelINS0_14default_configENS1_27lower_bound_config_selectorIslEEZNS1_14transform_implILb0ES3_S5_N6thrust23THRUST_200600_302600_NS6detail15normal_iteratorINS8_7pointerIsNS8_11hip_rocprim5par_tENS8_11use_defaultESE_EEEENSA_INSB_IlSD_SE_SE_EEEEZNS1_13binary_searchIS3_S5_PsSG_SI_NS1_21lower_bound_search_opENS9_16wrapped_functionINS8_6system6detail7generic6detail18binary_search_lessEbEEEE10hipError_tPvRmT1_T2_T3_mmT4_T5_P12ihipStream_tbEUlRKsE_EEST_SX_SY_mSZ_S12_bEUlT_E_NS1_11comp_targetILNS1_3genE2ELNS1_11target_archE906ELNS1_3gpuE6ELNS1_3repE0EEENS1_30default_config_static_selectorELNS0_4arch9wavefront6targetE1EEEvSW_ ; -- Begin function _ZN7rocprim17ROCPRIM_400000_NS6detail17trampoline_kernelINS0_14default_configENS1_27lower_bound_config_selectorIslEEZNS1_14transform_implILb0ES3_S5_N6thrust23THRUST_200600_302600_NS6detail15normal_iteratorINS8_7pointerIsNS8_11hip_rocprim5par_tENS8_11use_defaultESE_EEEENSA_INSB_IlSD_SE_SE_EEEEZNS1_13binary_searchIS3_S5_PsSG_SI_NS1_21lower_bound_search_opENS9_16wrapped_functionINS8_6system6detail7generic6detail18binary_search_lessEbEEEE10hipError_tPvRmT1_T2_T3_mmT4_T5_P12ihipStream_tbEUlRKsE_EEST_SX_SY_mSZ_S12_bEUlT_E_NS1_11comp_targetILNS1_3genE2ELNS1_11target_archE906ELNS1_3gpuE6ELNS1_3repE0EEENS1_30default_config_static_selectorELNS0_4arch9wavefront6targetE1EEEvSW_
	.globl	_ZN7rocprim17ROCPRIM_400000_NS6detail17trampoline_kernelINS0_14default_configENS1_27lower_bound_config_selectorIslEEZNS1_14transform_implILb0ES3_S5_N6thrust23THRUST_200600_302600_NS6detail15normal_iteratorINS8_7pointerIsNS8_11hip_rocprim5par_tENS8_11use_defaultESE_EEEENSA_INSB_IlSD_SE_SE_EEEEZNS1_13binary_searchIS3_S5_PsSG_SI_NS1_21lower_bound_search_opENS9_16wrapped_functionINS8_6system6detail7generic6detail18binary_search_lessEbEEEE10hipError_tPvRmT1_T2_T3_mmT4_T5_P12ihipStream_tbEUlRKsE_EEST_SX_SY_mSZ_S12_bEUlT_E_NS1_11comp_targetILNS1_3genE2ELNS1_11target_archE906ELNS1_3gpuE6ELNS1_3repE0EEENS1_30default_config_static_selectorELNS0_4arch9wavefront6targetE1EEEvSW_
	.p2align	8
	.type	_ZN7rocprim17ROCPRIM_400000_NS6detail17trampoline_kernelINS0_14default_configENS1_27lower_bound_config_selectorIslEEZNS1_14transform_implILb0ES3_S5_N6thrust23THRUST_200600_302600_NS6detail15normal_iteratorINS8_7pointerIsNS8_11hip_rocprim5par_tENS8_11use_defaultESE_EEEENSA_INSB_IlSD_SE_SE_EEEEZNS1_13binary_searchIS3_S5_PsSG_SI_NS1_21lower_bound_search_opENS9_16wrapped_functionINS8_6system6detail7generic6detail18binary_search_lessEbEEEE10hipError_tPvRmT1_T2_T3_mmT4_T5_P12ihipStream_tbEUlRKsE_EEST_SX_SY_mSZ_S12_bEUlT_E_NS1_11comp_targetILNS1_3genE2ELNS1_11target_archE906ELNS1_3gpuE6ELNS1_3repE0EEENS1_30default_config_static_selectorELNS0_4arch9wavefront6targetE1EEEvSW_,@function
_ZN7rocprim17ROCPRIM_400000_NS6detail17trampoline_kernelINS0_14default_configENS1_27lower_bound_config_selectorIslEEZNS1_14transform_implILb0ES3_S5_N6thrust23THRUST_200600_302600_NS6detail15normal_iteratorINS8_7pointerIsNS8_11hip_rocprim5par_tENS8_11use_defaultESE_EEEENSA_INSB_IlSD_SE_SE_EEEEZNS1_13binary_searchIS3_S5_PsSG_SI_NS1_21lower_bound_search_opENS9_16wrapped_functionINS8_6system6detail7generic6detail18binary_search_lessEbEEEE10hipError_tPvRmT1_T2_T3_mmT4_T5_P12ihipStream_tbEUlRKsE_EEST_SX_SY_mSZ_S12_bEUlT_E_NS1_11comp_targetILNS1_3genE2ELNS1_11target_archE906ELNS1_3gpuE6ELNS1_3repE0EEENS1_30default_config_static_selectorELNS0_4arch9wavefront6targetE1EEEvSW_: ; @_ZN7rocprim17ROCPRIM_400000_NS6detail17trampoline_kernelINS0_14default_configENS1_27lower_bound_config_selectorIslEEZNS1_14transform_implILb0ES3_S5_N6thrust23THRUST_200600_302600_NS6detail15normal_iteratorINS8_7pointerIsNS8_11hip_rocprim5par_tENS8_11use_defaultESE_EEEENSA_INSB_IlSD_SE_SE_EEEEZNS1_13binary_searchIS3_S5_PsSG_SI_NS1_21lower_bound_search_opENS9_16wrapped_functionINS8_6system6detail7generic6detail18binary_search_lessEbEEEE10hipError_tPvRmT1_T2_T3_mmT4_T5_P12ihipStream_tbEUlRKsE_EEST_SX_SY_mSZ_S12_bEUlT_E_NS1_11comp_targetILNS1_3genE2ELNS1_11target_archE906ELNS1_3gpuE6ELNS1_3repE0EEENS1_30default_config_static_selectorELNS0_4arch9wavefront6targetE1EEEvSW_
; %bb.0:
	s_load_dwordx8 s[8:15], s[4:5], 0x0
	s_load_dwordx4 s[16:19], s[4:5], 0x20
	s_load_dword s2, s[4:5], 0x38
	s_waitcnt lgkmcnt(0)
	s_lshl_b64 s[0:1], s[10:11], 1
	s_add_u32 s3, s8, s0
	s_addc_u32 s4, s9, s1
	s_lshl_b64 s[0:1], s[10:11], 3
	s_add_u32 s20, s14, s0
	s_addc_u32 s21, s15, s1
	s_lshl_b32 s8, s6, 10
	s_mov_b32 s9, 0
	s_add_i32 s2, s2, -1
	s_lshl_b64 s[0:1], s[8:9], 1
	s_add_u32 s13, s3, s0
	s_addc_u32 s14, s4, s1
	s_cmp_lg_u32 s6, s2
	s_cbranch_scc0 .LBB156_14
; %bb.1:
	v_lshlrev_b32_e32 v1, 1, v0
	v_mov_b32_e32 v2, s14
	v_add_co_u32_e32 v1, vcc, s13, v1
	v_addc_co_u32_e32 v2, vcc, 0, v2, vcc
	flat_load_ushort v7, v[1:2] offset:512
	flat_load_ushort v9, v[1:2] offset:1024
	;; [unrolled: 1-line block ×3, first 2 shown]
	s_cmp_lg_u64 s[18:19], 0
	s_cselect_b64 s[2:3], -1, 0
	s_cmp_eq_u64 s[18:19], 0
	s_mov_b64 s[0:1], 0
	s_cbranch_scc1 .LBB156_15
; %bb.2:
	flat_load_ushort v5, v[1:2]
	v_mov_b32_e32 v1, 0
	v_mov_b32_e32 v3, s18
	;; [unrolled: 1-line block ×5, first 2 shown]
.LBB156_3:                              ; =>This Inner Loop Header: Depth=1
	v_sub_co_u32_e32 v12, vcc, v3, v1
	v_subb_co_u32_e32 v13, vcc, v4, v2, vcc
	v_lshrrev_b64 v[14:15], 1, v[12:13]
	v_lshrrev_b64 v[12:13], 6, v[12:13]
	v_add_co_u32_e32 v8, vcc, v14, v1
	v_addc_co_u32_e32 v10, vcc, v15, v2, vcc
	v_add_co_u32_e32 v12, vcc, v8, v12
	v_addc_co_u32_e32 v13, vcc, v10, v13, vcc
	v_lshlrev_b64 v[14:15], 1, v[12:13]
	v_add_co_u32_e32 v14, vcc, s16, v14
	v_addc_co_u32_e32 v15, vcc, v6, v15, vcc
	global_load_ushort v8, v[14:15], off
	v_add_co_u32_e32 v10, vcc, 1, v12
	v_addc_co_u32_e32 v14, vcc, 0, v13, vcc
	s_waitcnt vmcnt(0) lgkmcnt(0)
	v_cmp_lt_i16_e32 vcc, v8, v5
	v_cndmask_b32_e32 v4, v13, v4, vcc
	v_cndmask_b32_e32 v3, v12, v3, vcc
	;; [unrolled: 1-line block ×4, first 2 shown]
	v_cmp_ge_u64_e32 vcc, v[1:2], v[3:4]
	s_or_b64 s[0:1], vcc, s[0:1]
	s_andn2_b64 exec, exec, s[0:1]
	s_cbranch_execnz .LBB156_3
; %bb.4:
	s_or_b64 exec, exec, s[0:1]
	v_cndmask_b32_e64 v3, 0, 1, s[2:3]
	v_cmp_ne_u32_e64 s[0:1], 1, v3
	s_andn2_b64 vcc, exec, s[2:3]
	s_cbranch_vccnz .LBB156_16
.LBB156_5:
	v_mov_b32_e32 v3, 0
	v_mov_b32_e32 v5, s18
	s_mov_b64 s[2:3], 0
	v_mov_b32_e32 v4, 0
	v_mov_b32_e32 v6, s19
	;; [unrolled: 1-line block ×3, first 2 shown]
.LBB156_6:                              ; =>This Inner Loop Header: Depth=1
	v_sub_co_u32_e32 v12, vcc, v5, v3
	v_subb_co_u32_e32 v13, vcc, v6, v4, vcc
	v_lshrrev_b64 v[14:15], 1, v[12:13]
	v_lshrrev_b64 v[12:13], 6, v[12:13]
	v_add_co_u32_e32 v10, vcc, v14, v3
	v_addc_co_u32_e32 v14, vcc, v15, v4, vcc
	v_add_co_u32_e32 v12, vcc, v10, v12
	v_addc_co_u32_e32 v13, vcc, v14, v13, vcc
	v_lshlrev_b64 v[14:15], 1, v[12:13]
	v_add_co_u32_e32 v14, vcc, s16, v14
	v_addc_co_u32_e32 v15, vcc, v8, v15, vcc
	global_load_ushort v10, v[14:15], off
	v_add_co_u32_e32 v14, vcc, 1, v12
	v_addc_co_u32_e32 v15, vcc, 0, v13, vcc
	s_waitcnt vmcnt(0) lgkmcnt(0)
	v_cmp_lt_i16_e32 vcc, v10, v7
	v_cndmask_b32_e32 v6, v13, v6, vcc
	v_cndmask_b32_e32 v5, v12, v5, vcc
	;; [unrolled: 1-line block ×4, first 2 shown]
	v_cmp_ge_u64_e32 vcc, v[3:4], v[5:6]
	s_or_b64 s[2:3], vcc, s[2:3]
	s_andn2_b64 exec, exec, s[2:3]
	s_cbranch_execnz .LBB156_6
; %bb.7:
	s_or_b64 exec, exec, s[2:3]
	s_and_b64 vcc, exec, s[0:1]
	s_cbranch_vccnz .LBB156_17
.LBB156_8:
	v_mov_b32_e32 v5, 0
	s_waitcnt vmcnt(0) lgkmcnt(0)
	v_mov_b32_e32 v7, s18
	s_mov_b64 s[2:3], 0
	v_mov_b32_e32 v6, 0
	v_mov_b32_e32 v8, s19
	;; [unrolled: 1-line block ×3, first 2 shown]
.LBB156_9:                              ; =>This Inner Loop Header: Depth=1
	v_sub_co_u32_e32 v12, vcc, v7, v5
	v_subb_co_u32_e32 v13, vcc, v8, v6, vcc
	v_lshrrev_b64 v[14:15], 1, v[12:13]
	v_lshrrev_b64 v[12:13], 6, v[12:13]
	v_add_co_u32_e32 v14, vcc, v14, v5
	v_addc_co_u32_e32 v15, vcc, v15, v6, vcc
	v_add_co_u32_e32 v12, vcc, v14, v12
	v_addc_co_u32_e32 v13, vcc, v15, v13, vcc
	v_lshlrev_b64 v[14:15], 1, v[12:13]
	v_add_co_u32_e32 v14, vcc, s16, v14
	v_addc_co_u32_e32 v15, vcc, v10, v15, vcc
	global_load_ushort v14, v[14:15], off
	v_add_co_u32_e32 v15, vcc, 1, v12
	v_addc_co_u32_e32 v16, vcc, 0, v13, vcc
	s_waitcnt vmcnt(0)
	v_cmp_lt_i16_e32 vcc, v14, v9
	v_cndmask_b32_e32 v8, v13, v8, vcc
	v_cndmask_b32_e32 v7, v12, v7, vcc
	;; [unrolled: 1-line block ×4, first 2 shown]
	v_cmp_ge_u64_e32 vcc, v[5:6], v[7:8]
	s_or_b64 s[2:3], vcc, s[2:3]
	s_andn2_b64 exec, exec, s[2:3]
	s_cbranch_execnz .LBB156_9
; %bb.10:
	s_or_b64 exec, exec, s[2:3]
	s_and_b64 vcc, exec, s[0:1]
	s_cbranch_vccnz .LBB156_18
.LBB156_11:
	s_waitcnt vmcnt(0) lgkmcnt(0)
	v_mov_b32_e32 v7, 0
	v_mov_b32_e32 v9, s18
	s_mov_b64 s[0:1], 0
	v_mov_b32_e32 v8, 0
	v_mov_b32_e32 v10, s19
	;; [unrolled: 1-line block ×3, first 2 shown]
.LBB156_12:                             ; =>This Inner Loop Header: Depth=1
	v_sub_co_u32_e32 v13, vcc, v9, v7
	v_subb_co_u32_e32 v14, vcc, v10, v8, vcc
	v_lshrrev_b64 v[15:16], 1, v[13:14]
	v_lshrrev_b64 v[13:14], 6, v[13:14]
	v_add_co_u32_e32 v15, vcc, v15, v7
	v_addc_co_u32_e32 v16, vcc, v16, v8, vcc
	v_add_co_u32_e32 v13, vcc, v15, v13
	v_addc_co_u32_e32 v14, vcc, v16, v14, vcc
	v_lshlrev_b64 v[15:16], 1, v[13:14]
	v_add_co_u32_e32 v15, vcc, s16, v15
	v_addc_co_u32_e32 v16, vcc, v12, v16, vcc
	global_load_ushort v15, v[15:16], off
	v_add_co_u32_e32 v16, vcc, 1, v13
	v_addc_co_u32_e32 v17, vcc, 0, v14, vcc
	s_waitcnt vmcnt(0)
	v_cmp_lt_i16_e32 vcc, v15, v11
	v_cndmask_b32_e32 v10, v14, v10, vcc
	v_cndmask_b32_e32 v9, v13, v9, vcc
	;; [unrolled: 1-line block ×4, first 2 shown]
	v_cmp_ge_u64_e32 vcc, v[7:8], v[9:10]
	s_or_b64 s[0:1], vcc, s[0:1]
	s_andn2_b64 exec, exec, s[0:1]
	s_cbranch_execnz .LBB156_12
; %bb.13:
	s_or_b64 exec, exec, s[0:1]
	s_branch .LBB156_19
.LBB156_14:
	s_mov_b64 s[6:7], 0
                                        ; implicit-def: $vgpr7_vgpr8
                                        ; implicit-def: $vgpr11_vgpr12
	s_cbranch_execnz .LBB156_20
	s_branch .LBB156_59
.LBB156_15:
	v_mov_b32_e32 v1, 0
	v_mov_b32_e32 v2, 0
	v_cndmask_b32_e64 v3, 0, 1, s[2:3]
	v_cmp_ne_u32_e64 s[0:1], 1, v3
	s_andn2_b64 vcc, exec, s[2:3]
	s_cbranch_vccz .LBB156_5
.LBB156_16:
	v_mov_b32_e32 v3, 0
	v_mov_b32_e32 v4, 0
	s_and_b64 vcc, exec, s[0:1]
	s_cbranch_vccz .LBB156_8
.LBB156_17:
	v_mov_b32_e32 v5, 0
	v_mov_b32_e32 v6, 0
	s_and_b64 vcc, exec, s[0:1]
	s_cbranch_vccz .LBB156_11
.LBB156_18:
	s_waitcnt vmcnt(0) lgkmcnt(0)
	v_mov_b32_e32 v7, 0
	v_mov_b32_e32 v8, 0
.LBB156_19:
	s_lshl_b64 s[0:1], s[8:9], 3
	s_add_u32 s0, s20, s0
	s_addc_u32 s1, s21, s1
	v_lshlrev_b32_e32 v9, 3, v0
	v_mov_b32_e32 v10, s1
	v_add_co_u32_e32 v11, vcc, s0, v9
	v_addc_co_u32_e32 v12, vcc, 0, v10, vcc
	flat_store_dwordx2 v[11:12], v[1:2]
	flat_store_dwordx2 v[11:12], v[3:4] offset:2048
	v_add_co_u32_e32 v1, vcc, 0x1000, v11
	v_addc_co_u32_e32 v2, vcc, 0, v12, vcc
	flat_store_dwordx2 v[1:2], v[5:6]
	s_mov_b64 s[6:7], -1
	s_branch .LBB156_59
.LBB156_20:
	s_sub_i32 s10, s12, s8
	v_mov_b32_e32 v1, 0
	v_cmp_gt_u32_e64 s[0:1], s10, v0
	v_mov_b32_e32 v2, v1
	s_and_saveexec_b64 s[2:3], s[0:1]
	s_cbranch_execz .LBB156_22
; %bb.21:
	v_lshlrev_b32_e32 v2, 1, v0
	v_mov_b32_e32 v3, s14
	v_add_co_u32_e32 v2, vcc, s13, v2
	v_addc_co_u32_e32 v3, vcc, 0, v3, vcc
	flat_load_ushort v2, v[2:3]
	v_mov_b32_e32 v3, v1
	s_waitcnt vmcnt(0) lgkmcnt(0)
	v_and_b32_e32 v2, 0xffff, v2
	v_mov_b32_e32 v1, v2
	v_mov_b32_e32 v2, v3
.LBB156_22:
	s_or_b64 exec, exec, s[2:3]
	v_or_b32_e32 v3, 0x100, v0
	v_cmp_gt_u32_e64 s[2:3], s10, v3
	s_and_saveexec_b64 s[4:5], s[2:3]
	s_cbranch_execz .LBB156_24
; %bb.23:
	v_lshlrev_b32_e32 v3, 1, v0
	v_mov_b32_e32 v4, s14
	v_add_co_u32_e32 v3, vcc, s13, v3
	v_addc_co_u32_e32 v4, vcc, 0, v4, vcc
	flat_load_ushort v3, v[3:4] offset:512
	s_mov_b32 s6, 0x5040100
	s_waitcnt vmcnt(0) lgkmcnt(0)
	v_perm_b32 v1, v3, v1, s6
.LBB156_24:
	s_or_b64 exec, exec, s[4:5]
	v_or_b32_e32 v3, 0x200, v0
	v_cmp_gt_u32_e64 s[4:5], s10, v3
	s_and_saveexec_b64 s[6:7], s[4:5]
	s_cbranch_execz .LBB156_26
; %bb.25:
	v_lshlrev_b32_e32 v3, 1, v0
	v_mov_b32_e32 v4, s14
	v_add_co_u32_e32 v3, vcc, s13, v3
	v_addc_co_u32_e32 v4, vcc, 0, v4, vcc
	flat_load_ushort v3, v[3:4] offset:1024
	s_mov_b32 s11, 0xffff
	s_waitcnt vmcnt(0) lgkmcnt(0)
	v_bfi_b32 v2, s11, v3, v2
.LBB156_26:
	s_or_b64 exec, exec, s[6:7]
	v_or_b32_e32 v3, 0x300, v0
	v_cmp_gt_u32_e64 s[6:7], s10, v3
	s_and_saveexec_b64 s[10:11], s[6:7]
	s_cbranch_execz .LBB156_28
; %bb.27:
	v_lshlrev_b32_e32 v3, 1, v0
	v_mov_b32_e32 v4, s14
	v_add_co_u32_e32 v3, vcc, s13, v3
	v_addc_co_u32_e32 v4, vcc, 0, v4, vcc
	flat_load_ushort v3, v[3:4] offset:1536
	s_mov_b32 s12, 0x5040100
	s_waitcnt vmcnt(0) lgkmcnt(0)
	v_perm_b32 v2, v3, v2, s12
.LBB156_28:
	s_or_b64 exec, exec, s[10:11]
	s_cmp_lg_u64 s[18:19], 0
	s_cselect_b64 s[10:11], -1, 0
                                        ; implicit-def: $vgpr3_vgpr4
	s_and_saveexec_b64 s[12:13], s[0:1]
	s_cbranch_execnz .LBB156_32
; %bb.29:
	s_or_b64 exec, exec, s[12:13]
                                        ; implicit-def: $vgpr5_vgpr6
	s_and_saveexec_b64 s[12:13], s[2:3]
	s_cbranch_execnz .LBB156_37
.LBB156_30:
	s_or_b64 exec, exec, s[12:13]
                                        ; implicit-def: $vgpr9_vgpr10
	s_and_saveexec_b64 s[12:13], s[4:5]
	s_cbranch_execnz .LBB156_42
.LBB156_31:
	s_or_b64 exec, exec, s[12:13]
                                        ; implicit-def: $vgpr7_vgpr8
	s_and_saveexec_b64 s[12:13], s[6:7]
	s_cbranch_execnz .LBB156_47
	s_branch .LBB156_52
.LBB156_32:
	s_andn2_b64 vcc, exec, s[10:11]
	s_cbranch_vccnz .LBB156_36
; %bb.33:
	v_mov_b32_e32 v3, 0
	v_mov_b32_e32 v5, s18
	s_mov_b64 s[14:15], 0
	v_mov_b32_e32 v4, 0
	v_mov_b32_e32 v6, s19
	;; [unrolled: 1-line block ×3, first 2 shown]
.LBB156_34:                             ; =>This Inner Loop Header: Depth=1
	v_sub_co_u32_e32 v8, vcc, v5, v3
	v_subb_co_u32_e32 v9, vcc, v6, v4, vcc
	v_lshrrev_b64 v[10:11], 1, v[8:9]
	v_lshrrev_b64 v[8:9], 6, v[8:9]
	v_add_co_u32_e32 v10, vcc, v10, v3
	v_addc_co_u32_e32 v11, vcc, v11, v4, vcc
	v_add_co_u32_e32 v8, vcc, v10, v8
	v_addc_co_u32_e32 v9, vcc, v11, v9, vcc
	v_lshlrev_b64 v[10:11], 1, v[8:9]
	v_add_co_u32_e32 v10, vcc, s16, v10
	v_addc_co_u32_e32 v11, vcc, v7, v11, vcc
	global_load_ushort v10, v[10:11], off
	v_add_co_u32_e32 v11, vcc, 1, v8
	v_addc_co_u32_e32 v12, vcc, 0, v9, vcc
	s_waitcnt vmcnt(0)
	v_cmp_lt_i16_e32 vcc, v10, v1
	v_cndmask_b32_e32 v6, v9, v6, vcc
	v_cndmask_b32_e32 v5, v8, v5, vcc
	;; [unrolled: 1-line block ×4, first 2 shown]
	v_cmp_ge_u64_e32 vcc, v[3:4], v[5:6]
	s_or_b64 s[14:15], vcc, s[14:15]
	s_andn2_b64 exec, exec, s[14:15]
	s_cbranch_execnz .LBB156_34
; %bb.35:
	s_or_b64 exec, exec, s[14:15]
	s_or_b64 exec, exec, s[12:13]
                                        ; implicit-def: $vgpr5_vgpr6
	s_and_saveexec_b64 s[12:13], s[2:3]
	s_cbranch_execz .LBB156_30
	s_branch .LBB156_37
.LBB156_36:
	v_mov_b32_e32 v3, 0
	v_mov_b32_e32 v4, 0
	s_or_b64 exec, exec, s[12:13]
                                        ; implicit-def: $vgpr5_vgpr6
	s_and_saveexec_b64 s[12:13], s[2:3]
	s_cbranch_execz .LBB156_30
.LBB156_37:
	s_andn2_b64 vcc, exec, s[10:11]
	s_cbranch_vccnz .LBB156_41
; %bb.38:
	v_mov_b32_e32 v5, 0
	v_mov_b32_e32 v7, s18
	s_mov_b64 s[14:15], 0
	v_mov_b32_e32 v6, 0
	v_mov_b32_e32 v8, s19
	;; [unrolled: 1-line block ×3, first 2 shown]
.LBB156_39:                             ; =>This Inner Loop Header: Depth=1
	v_sub_co_u32_e32 v10, vcc, v7, v5
	v_subb_co_u32_e32 v11, vcc, v8, v6, vcc
	v_lshrrev_b64 v[12:13], 1, v[10:11]
	v_lshrrev_b64 v[10:11], 6, v[10:11]
	v_add_co_u32_e32 v12, vcc, v12, v5
	v_addc_co_u32_e32 v13, vcc, v13, v6, vcc
	v_add_co_u32_e32 v10, vcc, v12, v10
	v_addc_co_u32_e32 v11, vcc, v13, v11, vcc
	v_lshlrev_b64 v[12:13], 1, v[10:11]
	v_add_co_u32_e32 v12, vcc, s16, v12
	v_addc_co_u32_e32 v13, vcc, v9, v13, vcc
	global_load_ushort v12, v[12:13], off
	v_add_co_u32_e32 v13, vcc, 1, v10
	v_addc_co_u32_e32 v14, vcc, 0, v11, vcc
	s_waitcnt vmcnt(0)
	v_cmp_lt_i16_sdwa vcc, v12, v1 src0_sel:DWORD src1_sel:WORD_1
	v_cndmask_b32_e32 v8, v11, v8, vcc
	v_cndmask_b32_e32 v7, v10, v7, vcc
	;; [unrolled: 1-line block ×4, first 2 shown]
	v_cmp_ge_u64_e32 vcc, v[5:6], v[7:8]
	s_or_b64 s[14:15], vcc, s[14:15]
	s_andn2_b64 exec, exec, s[14:15]
	s_cbranch_execnz .LBB156_39
; %bb.40:
	s_or_b64 exec, exec, s[14:15]
	s_or_b64 exec, exec, s[12:13]
                                        ; implicit-def: $vgpr9_vgpr10
	s_and_saveexec_b64 s[12:13], s[4:5]
	s_cbranch_execz .LBB156_31
	s_branch .LBB156_42
.LBB156_41:
	v_mov_b32_e32 v5, 0
	v_mov_b32_e32 v6, 0
	s_or_b64 exec, exec, s[12:13]
                                        ; implicit-def: $vgpr9_vgpr10
	s_and_saveexec_b64 s[12:13], s[4:5]
	s_cbranch_execz .LBB156_31
.LBB156_42:
	s_andn2_b64 vcc, exec, s[10:11]
	s_cbranch_vccnz .LBB156_46
; %bb.43:
	v_mov_b32_e32 v9, 0
	v_mov_b32_e32 v7, s18
	s_mov_b64 s[14:15], 0
	v_mov_b32_e32 v10, 0
	v_mov_b32_e32 v8, s19
	v_mov_b32_e32 v1, s17
.LBB156_44:                             ; =>This Inner Loop Header: Depth=1
	v_sub_co_u32_e32 v11, vcc, v7, v9
	v_subb_co_u32_e32 v12, vcc, v8, v10, vcc
	v_lshrrev_b64 v[13:14], 1, v[11:12]
	v_lshrrev_b64 v[11:12], 6, v[11:12]
	v_add_co_u32_e32 v13, vcc, v13, v9
	v_addc_co_u32_e32 v14, vcc, v14, v10, vcc
	v_add_co_u32_e32 v11, vcc, v13, v11
	v_addc_co_u32_e32 v12, vcc, v14, v12, vcc
	v_lshlrev_b64 v[13:14], 1, v[11:12]
	v_add_co_u32_e32 v13, vcc, s16, v13
	v_addc_co_u32_e32 v14, vcc, v1, v14, vcc
	global_load_ushort v13, v[13:14], off
	v_add_co_u32_e32 v14, vcc, 1, v11
	v_addc_co_u32_e32 v15, vcc, 0, v12, vcc
	s_waitcnt vmcnt(0)
	v_cmp_lt_i16_e32 vcc, v13, v2
	v_cndmask_b32_e32 v8, v12, v8, vcc
	v_cndmask_b32_e32 v7, v11, v7, vcc
	;; [unrolled: 1-line block ×4, first 2 shown]
	v_cmp_ge_u64_e32 vcc, v[9:10], v[7:8]
	s_or_b64 s[14:15], vcc, s[14:15]
	s_andn2_b64 exec, exec, s[14:15]
	s_cbranch_execnz .LBB156_44
; %bb.45:
	s_or_b64 exec, exec, s[14:15]
	s_or_b64 exec, exec, s[12:13]
                                        ; implicit-def: $vgpr7_vgpr8
	s_and_saveexec_b64 s[12:13], s[6:7]
	s_cbranch_execnz .LBB156_47
	s_branch .LBB156_52
.LBB156_46:
	v_mov_b32_e32 v9, 0
	v_mov_b32_e32 v10, 0
	s_or_b64 exec, exec, s[12:13]
                                        ; implicit-def: $vgpr7_vgpr8
	s_and_saveexec_b64 s[12:13], s[6:7]
	s_cbranch_execz .LBB156_52
.LBB156_47:
	s_andn2_b64 vcc, exec, s[10:11]
	s_cbranch_vccnz .LBB156_51
; %bb.48:
	v_mov_b32_e32 v7, 0
	v_mov_b32_e32 v11, s18
	s_mov_b64 s[10:11], 0
	v_mov_b32_e32 v8, 0
	v_mov_b32_e32 v12, s19
	;; [unrolled: 1-line block ×3, first 2 shown]
.LBB156_49:                             ; =>This Inner Loop Header: Depth=1
	v_sub_co_u32_e32 v13, vcc, v11, v7
	v_subb_co_u32_e32 v14, vcc, v12, v8, vcc
	v_lshrrev_b64 v[15:16], 1, v[13:14]
	v_lshrrev_b64 v[13:14], 6, v[13:14]
	v_add_co_u32_e32 v15, vcc, v15, v7
	v_addc_co_u32_e32 v16, vcc, v16, v8, vcc
	v_add_co_u32_e32 v13, vcc, v15, v13
	v_addc_co_u32_e32 v14, vcc, v16, v14, vcc
	v_lshlrev_b64 v[15:16], 1, v[13:14]
	v_add_co_u32_e32 v15, vcc, s16, v15
	v_addc_co_u32_e32 v16, vcc, v1, v16, vcc
	global_load_ushort v15, v[15:16], off
	v_add_co_u32_e32 v16, vcc, 1, v13
	v_addc_co_u32_e32 v17, vcc, 0, v14, vcc
	s_waitcnt vmcnt(0)
	v_cmp_lt_i16_sdwa vcc, v15, v2 src0_sel:DWORD src1_sel:WORD_1
	v_cndmask_b32_e32 v12, v14, v12, vcc
	v_cndmask_b32_e32 v11, v13, v11, vcc
	;; [unrolled: 1-line block ×4, first 2 shown]
	v_cmp_ge_u64_e32 vcc, v[7:8], v[11:12]
	s_or_b64 s[10:11], vcc, s[10:11]
	s_andn2_b64 exec, exec, s[10:11]
	s_cbranch_execnz .LBB156_49
; %bb.50:
	s_or_b64 exec, exec, s[10:11]
	s_branch .LBB156_52
.LBB156_51:
	v_mov_b32_e32 v7, 0
	v_mov_b32_e32 v8, 0
.LBB156_52:
	s_or_b64 exec, exec, s[12:13]
	s_lshl_b64 s[8:9], s[8:9], 3
	s_add_u32 s8, s20, s8
	s_addc_u32 s9, s21, s9
	v_lshlrev_b32_e32 v0, 3, v0
	v_mov_b32_e32 v1, s9
	v_add_co_u32_e32 v11, vcc, s8, v0
	v_addc_co_u32_e32 v12, vcc, 0, v1, vcc
	s_and_saveexec_b64 s[8:9], s[0:1]
	s_xor_b64 s[0:1], exec, s[8:9]
	s_cbranch_execz .LBB156_54
; %bb.53:
	flat_store_dwordx2 v[11:12], v[3:4]
.LBB156_54:
	s_or_b64 exec, exec, s[0:1]
	s_and_saveexec_b64 s[0:1], s[2:3]
	s_cbranch_execz .LBB156_56
; %bb.55:
	flat_store_dwordx2 v[11:12], v[5:6] offset:2048
.LBB156_56:
	s_or_b64 exec, exec, s[0:1]
	s_and_saveexec_b64 s[0:1], s[4:5]
	s_cbranch_execz .LBB156_58
; %bb.57:
	v_add_co_u32_e32 v0, vcc, 0x1000, v11
	v_addc_co_u32_e32 v1, vcc, 0, v12, vcc
	flat_store_dwordx2 v[0:1], v[9:10]
.LBB156_58:
	s_or_b64 exec, exec, s[0:1]
.LBB156_59:
	s_and_saveexec_b64 s[0:1], s[6:7]
	s_cbranch_execnz .LBB156_61
; %bb.60:
	s_endpgm
.LBB156_61:
	v_add_co_u32_e32 v0, vcc, 0x1000, v11
	v_addc_co_u32_e32 v1, vcc, 0, v12, vcc
	flat_store_dwordx2 v[0:1], v[7:8] offset:2048
	s_endpgm
	.section	.rodata,"a",@progbits
	.p2align	6, 0x0
	.amdhsa_kernel _ZN7rocprim17ROCPRIM_400000_NS6detail17trampoline_kernelINS0_14default_configENS1_27lower_bound_config_selectorIslEEZNS1_14transform_implILb0ES3_S5_N6thrust23THRUST_200600_302600_NS6detail15normal_iteratorINS8_7pointerIsNS8_11hip_rocprim5par_tENS8_11use_defaultESE_EEEENSA_INSB_IlSD_SE_SE_EEEEZNS1_13binary_searchIS3_S5_PsSG_SI_NS1_21lower_bound_search_opENS9_16wrapped_functionINS8_6system6detail7generic6detail18binary_search_lessEbEEEE10hipError_tPvRmT1_T2_T3_mmT4_T5_P12ihipStream_tbEUlRKsE_EEST_SX_SY_mSZ_S12_bEUlT_E_NS1_11comp_targetILNS1_3genE2ELNS1_11target_archE906ELNS1_3gpuE6ELNS1_3repE0EEENS1_30default_config_static_selectorELNS0_4arch9wavefront6targetE1EEEvSW_
		.amdhsa_group_segment_fixed_size 0
		.amdhsa_private_segment_fixed_size 0
		.amdhsa_kernarg_size 312
		.amdhsa_user_sgpr_count 6
		.amdhsa_user_sgpr_private_segment_buffer 1
		.amdhsa_user_sgpr_dispatch_ptr 0
		.amdhsa_user_sgpr_queue_ptr 0
		.amdhsa_user_sgpr_kernarg_segment_ptr 1
		.amdhsa_user_sgpr_dispatch_id 0
		.amdhsa_user_sgpr_flat_scratch_init 0
		.amdhsa_user_sgpr_private_segment_size 0
		.amdhsa_uses_dynamic_stack 0
		.amdhsa_system_sgpr_private_segment_wavefront_offset 0
		.amdhsa_system_sgpr_workgroup_id_x 1
		.amdhsa_system_sgpr_workgroup_id_y 0
		.amdhsa_system_sgpr_workgroup_id_z 0
		.amdhsa_system_sgpr_workgroup_info 0
		.amdhsa_system_vgpr_workitem_id 0
		.amdhsa_next_free_vgpr 18
		.amdhsa_next_free_sgpr 22
		.amdhsa_reserve_vcc 1
		.amdhsa_reserve_flat_scratch 0
		.amdhsa_float_round_mode_32 0
		.amdhsa_float_round_mode_16_64 0
		.amdhsa_float_denorm_mode_32 3
		.amdhsa_float_denorm_mode_16_64 3
		.amdhsa_dx10_clamp 1
		.amdhsa_ieee_mode 1
		.amdhsa_fp16_overflow 0
		.amdhsa_exception_fp_ieee_invalid_op 0
		.amdhsa_exception_fp_denorm_src 0
		.amdhsa_exception_fp_ieee_div_zero 0
		.amdhsa_exception_fp_ieee_overflow 0
		.amdhsa_exception_fp_ieee_underflow 0
		.amdhsa_exception_fp_ieee_inexact 0
		.amdhsa_exception_int_div_zero 0
	.end_amdhsa_kernel
	.section	.text._ZN7rocprim17ROCPRIM_400000_NS6detail17trampoline_kernelINS0_14default_configENS1_27lower_bound_config_selectorIslEEZNS1_14transform_implILb0ES3_S5_N6thrust23THRUST_200600_302600_NS6detail15normal_iteratorINS8_7pointerIsNS8_11hip_rocprim5par_tENS8_11use_defaultESE_EEEENSA_INSB_IlSD_SE_SE_EEEEZNS1_13binary_searchIS3_S5_PsSG_SI_NS1_21lower_bound_search_opENS9_16wrapped_functionINS8_6system6detail7generic6detail18binary_search_lessEbEEEE10hipError_tPvRmT1_T2_T3_mmT4_T5_P12ihipStream_tbEUlRKsE_EEST_SX_SY_mSZ_S12_bEUlT_E_NS1_11comp_targetILNS1_3genE2ELNS1_11target_archE906ELNS1_3gpuE6ELNS1_3repE0EEENS1_30default_config_static_selectorELNS0_4arch9wavefront6targetE1EEEvSW_,"axG",@progbits,_ZN7rocprim17ROCPRIM_400000_NS6detail17trampoline_kernelINS0_14default_configENS1_27lower_bound_config_selectorIslEEZNS1_14transform_implILb0ES3_S5_N6thrust23THRUST_200600_302600_NS6detail15normal_iteratorINS8_7pointerIsNS8_11hip_rocprim5par_tENS8_11use_defaultESE_EEEENSA_INSB_IlSD_SE_SE_EEEEZNS1_13binary_searchIS3_S5_PsSG_SI_NS1_21lower_bound_search_opENS9_16wrapped_functionINS8_6system6detail7generic6detail18binary_search_lessEbEEEE10hipError_tPvRmT1_T2_T3_mmT4_T5_P12ihipStream_tbEUlRKsE_EEST_SX_SY_mSZ_S12_bEUlT_E_NS1_11comp_targetILNS1_3genE2ELNS1_11target_archE906ELNS1_3gpuE6ELNS1_3repE0EEENS1_30default_config_static_selectorELNS0_4arch9wavefront6targetE1EEEvSW_,comdat
.Lfunc_end156:
	.size	_ZN7rocprim17ROCPRIM_400000_NS6detail17trampoline_kernelINS0_14default_configENS1_27lower_bound_config_selectorIslEEZNS1_14transform_implILb0ES3_S5_N6thrust23THRUST_200600_302600_NS6detail15normal_iteratorINS8_7pointerIsNS8_11hip_rocprim5par_tENS8_11use_defaultESE_EEEENSA_INSB_IlSD_SE_SE_EEEEZNS1_13binary_searchIS3_S5_PsSG_SI_NS1_21lower_bound_search_opENS9_16wrapped_functionINS8_6system6detail7generic6detail18binary_search_lessEbEEEE10hipError_tPvRmT1_T2_T3_mmT4_T5_P12ihipStream_tbEUlRKsE_EEST_SX_SY_mSZ_S12_bEUlT_E_NS1_11comp_targetILNS1_3genE2ELNS1_11target_archE906ELNS1_3gpuE6ELNS1_3repE0EEENS1_30default_config_static_selectorELNS0_4arch9wavefront6targetE1EEEvSW_, .Lfunc_end156-_ZN7rocprim17ROCPRIM_400000_NS6detail17trampoline_kernelINS0_14default_configENS1_27lower_bound_config_selectorIslEEZNS1_14transform_implILb0ES3_S5_N6thrust23THRUST_200600_302600_NS6detail15normal_iteratorINS8_7pointerIsNS8_11hip_rocprim5par_tENS8_11use_defaultESE_EEEENSA_INSB_IlSD_SE_SE_EEEEZNS1_13binary_searchIS3_S5_PsSG_SI_NS1_21lower_bound_search_opENS9_16wrapped_functionINS8_6system6detail7generic6detail18binary_search_lessEbEEEE10hipError_tPvRmT1_T2_T3_mmT4_T5_P12ihipStream_tbEUlRKsE_EEST_SX_SY_mSZ_S12_bEUlT_E_NS1_11comp_targetILNS1_3genE2ELNS1_11target_archE906ELNS1_3gpuE6ELNS1_3repE0EEENS1_30default_config_static_selectorELNS0_4arch9wavefront6targetE1EEEvSW_
                                        ; -- End function
	.set _ZN7rocprim17ROCPRIM_400000_NS6detail17trampoline_kernelINS0_14default_configENS1_27lower_bound_config_selectorIslEEZNS1_14transform_implILb0ES3_S5_N6thrust23THRUST_200600_302600_NS6detail15normal_iteratorINS8_7pointerIsNS8_11hip_rocprim5par_tENS8_11use_defaultESE_EEEENSA_INSB_IlSD_SE_SE_EEEEZNS1_13binary_searchIS3_S5_PsSG_SI_NS1_21lower_bound_search_opENS9_16wrapped_functionINS8_6system6detail7generic6detail18binary_search_lessEbEEEE10hipError_tPvRmT1_T2_T3_mmT4_T5_P12ihipStream_tbEUlRKsE_EEST_SX_SY_mSZ_S12_bEUlT_E_NS1_11comp_targetILNS1_3genE2ELNS1_11target_archE906ELNS1_3gpuE6ELNS1_3repE0EEENS1_30default_config_static_selectorELNS0_4arch9wavefront6targetE1EEEvSW_.num_vgpr, 18
	.set _ZN7rocprim17ROCPRIM_400000_NS6detail17trampoline_kernelINS0_14default_configENS1_27lower_bound_config_selectorIslEEZNS1_14transform_implILb0ES3_S5_N6thrust23THRUST_200600_302600_NS6detail15normal_iteratorINS8_7pointerIsNS8_11hip_rocprim5par_tENS8_11use_defaultESE_EEEENSA_INSB_IlSD_SE_SE_EEEEZNS1_13binary_searchIS3_S5_PsSG_SI_NS1_21lower_bound_search_opENS9_16wrapped_functionINS8_6system6detail7generic6detail18binary_search_lessEbEEEE10hipError_tPvRmT1_T2_T3_mmT4_T5_P12ihipStream_tbEUlRKsE_EEST_SX_SY_mSZ_S12_bEUlT_E_NS1_11comp_targetILNS1_3genE2ELNS1_11target_archE906ELNS1_3gpuE6ELNS1_3repE0EEENS1_30default_config_static_selectorELNS0_4arch9wavefront6targetE1EEEvSW_.num_agpr, 0
	.set _ZN7rocprim17ROCPRIM_400000_NS6detail17trampoline_kernelINS0_14default_configENS1_27lower_bound_config_selectorIslEEZNS1_14transform_implILb0ES3_S5_N6thrust23THRUST_200600_302600_NS6detail15normal_iteratorINS8_7pointerIsNS8_11hip_rocprim5par_tENS8_11use_defaultESE_EEEENSA_INSB_IlSD_SE_SE_EEEEZNS1_13binary_searchIS3_S5_PsSG_SI_NS1_21lower_bound_search_opENS9_16wrapped_functionINS8_6system6detail7generic6detail18binary_search_lessEbEEEE10hipError_tPvRmT1_T2_T3_mmT4_T5_P12ihipStream_tbEUlRKsE_EEST_SX_SY_mSZ_S12_bEUlT_E_NS1_11comp_targetILNS1_3genE2ELNS1_11target_archE906ELNS1_3gpuE6ELNS1_3repE0EEENS1_30default_config_static_selectorELNS0_4arch9wavefront6targetE1EEEvSW_.numbered_sgpr, 22
	.set _ZN7rocprim17ROCPRIM_400000_NS6detail17trampoline_kernelINS0_14default_configENS1_27lower_bound_config_selectorIslEEZNS1_14transform_implILb0ES3_S5_N6thrust23THRUST_200600_302600_NS6detail15normal_iteratorINS8_7pointerIsNS8_11hip_rocprim5par_tENS8_11use_defaultESE_EEEENSA_INSB_IlSD_SE_SE_EEEEZNS1_13binary_searchIS3_S5_PsSG_SI_NS1_21lower_bound_search_opENS9_16wrapped_functionINS8_6system6detail7generic6detail18binary_search_lessEbEEEE10hipError_tPvRmT1_T2_T3_mmT4_T5_P12ihipStream_tbEUlRKsE_EEST_SX_SY_mSZ_S12_bEUlT_E_NS1_11comp_targetILNS1_3genE2ELNS1_11target_archE906ELNS1_3gpuE6ELNS1_3repE0EEENS1_30default_config_static_selectorELNS0_4arch9wavefront6targetE1EEEvSW_.num_named_barrier, 0
	.set _ZN7rocprim17ROCPRIM_400000_NS6detail17trampoline_kernelINS0_14default_configENS1_27lower_bound_config_selectorIslEEZNS1_14transform_implILb0ES3_S5_N6thrust23THRUST_200600_302600_NS6detail15normal_iteratorINS8_7pointerIsNS8_11hip_rocprim5par_tENS8_11use_defaultESE_EEEENSA_INSB_IlSD_SE_SE_EEEEZNS1_13binary_searchIS3_S5_PsSG_SI_NS1_21lower_bound_search_opENS9_16wrapped_functionINS8_6system6detail7generic6detail18binary_search_lessEbEEEE10hipError_tPvRmT1_T2_T3_mmT4_T5_P12ihipStream_tbEUlRKsE_EEST_SX_SY_mSZ_S12_bEUlT_E_NS1_11comp_targetILNS1_3genE2ELNS1_11target_archE906ELNS1_3gpuE6ELNS1_3repE0EEENS1_30default_config_static_selectorELNS0_4arch9wavefront6targetE1EEEvSW_.private_seg_size, 0
	.set _ZN7rocprim17ROCPRIM_400000_NS6detail17trampoline_kernelINS0_14default_configENS1_27lower_bound_config_selectorIslEEZNS1_14transform_implILb0ES3_S5_N6thrust23THRUST_200600_302600_NS6detail15normal_iteratorINS8_7pointerIsNS8_11hip_rocprim5par_tENS8_11use_defaultESE_EEEENSA_INSB_IlSD_SE_SE_EEEEZNS1_13binary_searchIS3_S5_PsSG_SI_NS1_21lower_bound_search_opENS9_16wrapped_functionINS8_6system6detail7generic6detail18binary_search_lessEbEEEE10hipError_tPvRmT1_T2_T3_mmT4_T5_P12ihipStream_tbEUlRKsE_EEST_SX_SY_mSZ_S12_bEUlT_E_NS1_11comp_targetILNS1_3genE2ELNS1_11target_archE906ELNS1_3gpuE6ELNS1_3repE0EEENS1_30default_config_static_selectorELNS0_4arch9wavefront6targetE1EEEvSW_.uses_vcc, 1
	.set _ZN7rocprim17ROCPRIM_400000_NS6detail17trampoline_kernelINS0_14default_configENS1_27lower_bound_config_selectorIslEEZNS1_14transform_implILb0ES3_S5_N6thrust23THRUST_200600_302600_NS6detail15normal_iteratorINS8_7pointerIsNS8_11hip_rocprim5par_tENS8_11use_defaultESE_EEEENSA_INSB_IlSD_SE_SE_EEEEZNS1_13binary_searchIS3_S5_PsSG_SI_NS1_21lower_bound_search_opENS9_16wrapped_functionINS8_6system6detail7generic6detail18binary_search_lessEbEEEE10hipError_tPvRmT1_T2_T3_mmT4_T5_P12ihipStream_tbEUlRKsE_EEST_SX_SY_mSZ_S12_bEUlT_E_NS1_11comp_targetILNS1_3genE2ELNS1_11target_archE906ELNS1_3gpuE6ELNS1_3repE0EEENS1_30default_config_static_selectorELNS0_4arch9wavefront6targetE1EEEvSW_.uses_flat_scratch, 0
	.set _ZN7rocprim17ROCPRIM_400000_NS6detail17trampoline_kernelINS0_14default_configENS1_27lower_bound_config_selectorIslEEZNS1_14transform_implILb0ES3_S5_N6thrust23THRUST_200600_302600_NS6detail15normal_iteratorINS8_7pointerIsNS8_11hip_rocprim5par_tENS8_11use_defaultESE_EEEENSA_INSB_IlSD_SE_SE_EEEEZNS1_13binary_searchIS3_S5_PsSG_SI_NS1_21lower_bound_search_opENS9_16wrapped_functionINS8_6system6detail7generic6detail18binary_search_lessEbEEEE10hipError_tPvRmT1_T2_T3_mmT4_T5_P12ihipStream_tbEUlRKsE_EEST_SX_SY_mSZ_S12_bEUlT_E_NS1_11comp_targetILNS1_3genE2ELNS1_11target_archE906ELNS1_3gpuE6ELNS1_3repE0EEENS1_30default_config_static_selectorELNS0_4arch9wavefront6targetE1EEEvSW_.has_dyn_sized_stack, 0
	.set _ZN7rocprim17ROCPRIM_400000_NS6detail17trampoline_kernelINS0_14default_configENS1_27lower_bound_config_selectorIslEEZNS1_14transform_implILb0ES3_S5_N6thrust23THRUST_200600_302600_NS6detail15normal_iteratorINS8_7pointerIsNS8_11hip_rocprim5par_tENS8_11use_defaultESE_EEEENSA_INSB_IlSD_SE_SE_EEEEZNS1_13binary_searchIS3_S5_PsSG_SI_NS1_21lower_bound_search_opENS9_16wrapped_functionINS8_6system6detail7generic6detail18binary_search_lessEbEEEE10hipError_tPvRmT1_T2_T3_mmT4_T5_P12ihipStream_tbEUlRKsE_EEST_SX_SY_mSZ_S12_bEUlT_E_NS1_11comp_targetILNS1_3genE2ELNS1_11target_archE906ELNS1_3gpuE6ELNS1_3repE0EEENS1_30default_config_static_selectorELNS0_4arch9wavefront6targetE1EEEvSW_.has_recursion, 0
	.set _ZN7rocprim17ROCPRIM_400000_NS6detail17trampoline_kernelINS0_14default_configENS1_27lower_bound_config_selectorIslEEZNS1_14transform_implILb0ES3_S5_N6thrust23THRUST_200600_302600_NS6detail15normal_iteratorINS8_7pointerIsNS8_11hip_rocprim5par_tENS8_11use_defaultESE_EEEENSA_INSB_IlSD_SE_SE_EEEEZNS1_13binary_searchIS3_S5_PsSG_SI_NS1_21lower_bound_search_opENS9_16wrapped_functionINS8_6system6detail7generic6detail18binary_search_lessEbEEEE10hipError_tPvRmT1_T2_T3_mmT4_T5_P12ihipStream_tbEUlRKsE_EEST_SX_SY_mSZ_S12_bEUlT_E_NS1_11comp_targetILNS1_3genE2ELNS1_11target_archE906ELNS1_3gpuE6ELNS1_3repE0EEENS1_30default_config_static_selectorELNS0_4arch9wavefront6targetE1EEEvSW_.has_indirect_call, 0
	.section	.AMDGPU.csdata,"",@progbits
; Kernel info:
; codeLenInByte = 2136
; TotalNumSgprs: 26
; NumVgprs: 18
; ScratchSize: 0
; MemoryBound: 0
; FloatMode: 240
; IeeeMode: 1
; LDSByteSize: 0 bytes/workgroup (compile time only)
; SGPRBlocks: 3
; VGPRBlocks: 4
; NumSGPRsForWavesPerEU: 26
; NumVGPRsForWavesPerEU: 18
; Occupancy: 10
; WaveLimiterHint : 1
; COMPUTE_PGM_RSRC2:SCRATCH_EN: 0
; COMPUTE_PGM_RSRC2:USER_SGPR: 6
; COMPUTE_PGM_RSRC2:TRAP_HANDLER: 0
; COMPUTE_PGM_RSRC2:TGID_X_EN: 1
; COMPUTE_PGM_RSRC2:TGID_Y_EN: 0
; COMPUTE_PGM_RSRC2:TGID_Z_EN: 0
; COMPUTE_PGM_RSRC2:TIDIG_COMP_CNT: 0
	.section	.text._ZN7rocprim17ROCPRIM_400000_NS6detail17trampoline_kernelINS0_14default_configENS1_27lower_bound_config_selectorIslEEZNS1_14transform_implILb0ES3_S5_N6thrust23THRUST_200600_302600_NS6detail15normal_iteratorINS8_7pointerIsNS8_11hip_rocprim5par_tENS8_11use_defaultESE_EEEENSA_INSB_IlSD_SE_SE_EEEEZNS1_13binary_searchIS3_S5_PsSG_SI_NS1_21lower_bound_search_opENS9_16wrapped_functionINS8_6system6detail7generic6detail18binary_search_lessEbEEEE10hipError_tPvRmT1_T2_T3_mmT4_T5_P12ihipStream_tbEUlRKsE_EEST_SX_SY_mSZ_S12_bEUlT_E_NS1_11comp_targetILNS1_3genE10ELNS1_11target_archE1201ELNS1_3gpuE5ELNS1_3repE0EEENS1_30default_config_static_selectorELNS0_4arch9wavefront6targetE1EEEvSW_,"axG",@progbits,_ZN7rocprim17ROCPRIM_400000_NS6detail17trampoline_kernelINS0_14default_configENS1_27lower_bound_config_selectorIslEEZNS1_14transform_implILb0ES3_S5_N6thrust23THRUST_200600_302600_NS6detail15normal_iteratorINS8_7pointerIsNS8_11hip_rocprim5par_tENS8_11use_defaultESE_EEEENSA_INSB_IlSD_SE_SE_EEEEZNS1_13binary_searchIS3_S5_PsSG_SI_NS1_21lower_bound_search_opENS9_16wrapped_functionINS8_6system6detail7generic6detail18binary_search_lessEbEEEE10hipError_tPvRmT1_T2_T3_mmT4_T5_P12ihipStream_tbEUlRKsE_EEST_SX_SY_mSZ_S12_bEUlT_E_NS1_11comp_targetILNS1_3genE10ELNS1_11target_archE1201ELNS1_3gpuE5ELNS1_3repE0EEENS1_30default_config_static_selectorELNS0_4arch9wavefront6targetE1EEEvSW_,comdat
	.protected	_ZN7rocprim17ROCPRIM_400000_NS6detail17trampoline_kernelINS0_14default_configENS1_27lower_bound_config_selectorIslEEZNS1_14transform_implILb0ES3_S5_N6thrust23THRUST_200600_302600_NS6detail15normal_iteratorINS8_7pointerIsNS8_11hip_rocprim5par_tENS8_11use_defaultESE_EEEENSA_INSB_IlSD_SE_SE_EEEEZNS1_13binary_searchIS3_S5_PsSG_SI_NS1_21lower_bound_search_opENS9_16wrapped_functionINS8_6system6detail7generic6detail18binary_search_lessEbEEEE10hipError_tPvRmT1_T2_T3_mmT4_T5_P12ihipStream_tbEUlRKsE_EEST_SX_SY_mSZ_S12_bEUlT_E_NS1_11comp_targetILNS1_3genE10ELNS1_11target_archE1201ELNS1_3gpuE5ELNS1_3repE0EEENS1_30default_config_static_selectorELNS0_4arch9wavefront6targetE1EEEvSW_ ; -- Begin function _ZN7rocprim17ROCPRIM_400000_NS6detail17trampoline_kernelINS0_14default_configENS1_27lower_bound_config_selectorIslEEZNS1_14transform_implILb0ES3_S5_N6thrust23THRUST_200600_302600_NS6detail15normal_iteratorINS8_7pointerIsNS8_11hip_rocprim5par_tENS8_11use_defaultESE_EEEENSA_INSB_IlSD_SE_SE_EEEEZNS1_13binary_searchIS3_S5_PsSG_SI_NS1_21lower_bound_search_opENS9_16wrapped_functionINS8_6system6detail7generic6detail18binary_search_lessEbEEEE10hipError_tPvRmT1_T2_T3_mmT4_T5_P12ihipStream_tbEUlRKsE_EEST_SX_SY_mSZ_S12_bEUlT_E_NS1_11comp_targetILNS1_3genE10ELNS1_11target_archE1201ELNS1_3gpuE5ELNS1_3repE0EEENS1_30default_config_static_selectorELNS0_4arch9wavefront6targetE1EEEvSW_
	.globl	_ZN7rocprim17ROCPRIM_400000_NS6detail17trampoline_kernelINS0_14default_configENS1_27lower_bound_config_selectorIslEEZNS1_14transform_implILb0ES3_S5_N6thrust23THRUST_200600_302600_NS6detail15normal_iteratorINS8_7pointerIsNS8_11hip_rocprim5par_tENS8_11use_defaultESE_EEEENSA_INSB_IlSD_SE_SE_EEEEZNS1_13binary_searchIS3_S5_PsSG_SI_NS1_21lower_bound_search_opENS9_16wrapped_functionINS8_6system6detail7generic6detail18binary_search_lessEbEEEE10hipError_tPvRmT1_T2_T3_mmT4_T5_P12ihipStream_tbEUlRKsE_EEST_SX_SY_mSZ_S12_bEUlT_E_NS1_11comp_targetILNS1_3genE10ELNS1_11target_archE1201ELNS1_3gpuE5ELNS1_3repE0EEENS1_30default_config_static_selectorELNS0_4arch9wavefront6targetE1EEEvSW_
	.p2align	8
	.type	_ZN7rocprim17ROCPRIM_400000_NS6detail17trampoline_kernelINS0_14default_configENS1_27lower_bound_config_selectorIslEEZNS1_14transform_implILb0ES3_S5_N6thrust23THRUST_200600_302600_NS6detail15normal_iteratorINS8_7pointerIsNS8_11hip_rocprim5par_tENS8_11use_defaultESE_EEEENSA_INSB_IlSD_SE_SE_EEEEZNS1_13binary_searchIS3_S5_PsSG_SI_NS1_21lower_bound_search_opENS9_16wrapped_functionINS8_6system6detail7generic6detail18binary_search_lessEbEEEE10hipError_tPvRmT1_T2_T3_mmT4_T5_P12ihipStream_tbEUlRKsE_EEST_SX_SY_mSZ_S12_bEUlT_E_NS1_11comp_targetILNS1_3genE10ELNS1_11target_archE1201ELNS1_3gpuE5ELNS1_3repE0EEENS1_30default_config_static_selectorELNS0_4arch9wavefront6targetE1EEEvSW_,@function
_ZN7rocprim17ROCPRIM_400000_NS6detail17trampoline_kernelINS0_14default_configENS1_27lower_bound_config_selectorIslEEZNS1_14transform_implILb0ES3_S5_N6thrust23THRUST_200600_302600_NS6detail15normal_iteratorINS8_7pointerIsNS8_11hip_rocprim5par_tENS8_11use_defaultESE_EEEENSA_INSB_IlSD_SE_SE_EEEEZNS1_13binary_searchIS3_S5_PsSG_SI_NS1_21lower_bound_search_opENS9_16wrapped_functionINS8_6system6detail7generic6detail18binary_search_lessEbEEEE10hipError_tPvRmT1_T2_T3_mmT4_T5_P12ihipStream_tbEUlRKsE_EEST_SX_SY_mSZ_S12_bEUlT_E_NS1_11comp_targetILNS1_3genE10ELNS1_11target_archE1201ELNS1_3gpuE5ELNS1_3repE0EEENS1_30default_config_static_selectorELNS0_4arch9wavefront6targetE1EEEvSW_: ; @_ZN7rocprim17ROCPRIM_400000_NS6detail17trampoline_kernelINS0_14default_configENS1_27lower_bound_config_selectorIslEEZNS1_14transform_implILb0ES3_S5_N6thrust23THRUST_200600_302600_NS6detail15normal_iteratorINS8_7pointerIsNS8_11hip_rocprim5par_tENS8_11use_defaultESE_EEEENSA_INSB_IlSD_SE_SE_EEEEZNS1_13binary_searchIS3_S5_PsSG_SI_NS1_21lower_bound_search_opENS9_16wrapped_functionINS8_6system6detail7generic6detail18binary_search_lessEbEEEE10hipError_tPvRmT1_T2_T3_mmT4_T5_P12ihipStream_tbEUlRKsE_EEST_SX_SY_mSZ_S12_bEUlT_E_NS1_11comp_targetILNS1_3genE10ELNS1_11target_archE1201ELNS1_3gpuE5ELNS1_3repE0EEENS1_30default_config_static_selectorELNS0_4arch9wavefront6targetE1EEEvSW_
; %bb.0:
	.section	.rodata,"a",@progbits
	.p2align	6, 0x0
	.amdhsa_kernel _ZN7rocprim17ROCPRIM_400000_NS6detail17trampoline_kernelINS0_14default_configENS1_27lower_bound_config_selectorIslEEZNS1_14transform_implILb0ES3_S5_N6thrust23THRUST_200600_302600_NS6detail15normal_iteratorINS8_7pointerIsNS8_11hip_rocprim5par_tENS8_11use_defaultESE_EEEENSA_INSB_IlSD_SE_SE_EEEEZNS1_13binary_searchIS3_S5_PsSG_SI_NS1_21lower_bound_search_opENS9_16wrapped_functionINS8_6system6detail7generic6detail18binary_search_lessEbEEEE10hipError_tPvRmT1_T2_T3_mmT4_T5_P12ihipStream_tbEUlRKsE_EEST_SX_SY_mSZ_S12_bEUlT_E_NS1_11comp_targetILNS1_3genE10ELNS1_11target_archE1201ELNS1_3gpuE5ELNS1_3repE0EEENS1_30default_config_static_selectorELNS0_4arch9wavefront6targetE1EEEvSW_
		.amdhsa_group_segment_fixed_size 0
		.amdhsa_private_segment_fixed_size 0
		.amdhsa_kernarg_size 56
		.amdhsa_user_sgpr_count 6
		.amdhsa_user_sgpr_private_segment_buffer 1
		.amdhsa_user_sgpr_dispatch_ptr 0
		.amdhsa_user_sgpr_queue_ptr 0
		.amdhsa_user_sgpr_kernarg_segment_ptr 1
		.amdhsa_user_sgpr_dispatch_id 0
		.amdhsa_user_sgpr_flat_scratch_init 0
		.amdhsa_user_sgpr_private_segment_size 0
		.amdhsa_uses_dynamic_stack 0
		.amdhsa_system_sgpr_private_segment_wavefront_offset 0
		.amdhsa_system_sgpr_workgroup_id_x 1
		.amdhsa_system_sgpr_workgroup_id_y 0
		.amdhsa_system_sgpr_workgroup_id_z 0
		.amdhsa_system_sgpr_workgroup_info 0
		.amdhsa_system_vgpr_workitem_id 0
		.amdhsa_next_free_vgpr 1
		.amdhsa_next_free_sgpr 0
		.amdhsa_reserve_vcc 0
		.amdhsa_reserve_flat_scratch 0
		.amdhsa_float_round_mode_32 0
		.amdhsa_float_round_mode_16_64 0
		.amdhsa_float_denorm_mode_32 3
		.amdhsa_float_denorm_mode_16_64 3
		.amdhsa_dx10_clamp 1
		.amdhsa_ieee_mode 1
		.amdhsa_fp16_overflow 0
		.amdhsa_exception_fp_ieee_invalid_op 0
		.amdhsa_exception_fp_denorm_src 0
		.amdhsa_exception_fp_ieee_div_zero 0
		.amdhsa_exception_fp_ieee_overflow 0
		.amdhsa_exception_fp_ieee_underflow 0
		.amdhsa_exception_fp_ieee_inexact 0
		.amdhsa_exception_int_div_zero 0
	.end_amdhsa_kernel
	.section	.text._ZN7rocprim17ROCPRIM_400000_NS6detail17trampoline_kernelINS0_14default_configENS1_27lower_bound_config_selectorIslEEZNS1_14transform_implILb0ES3_S5_N6thrust23THRUST_200600_302600_NS6detail15normal_iteratorINS8_7pointerIsNS8_11hip_rocprim5par_tENS8_11use_defaultESE_EEEENSA_INSB_IlSD_SE_SE_EEEEZNS1_13binary_searchIS3_S5_PsSG_SI_NS1_21lower_bound_search_opENS9_16wrapped_functionINS8_6system6detail7generic6detail18binary_search_lessEbEEEE10hipError_tPvRmT1_T2_T3_mmT4_T5_P12ihipStream_tbEUlRKsE_EEST_SX_SY_mSZ_S12_bEUlT_E_NS1_11comp_targetILNS1_3genE10ELNS1_11target_archE1201ELNS1_3gpuE5ELNS1_3repE0EEENS1_30default_config_static_selectorELNS0_4arch9wavefront6targetE1EEEvSW_,"axG",@progbits,_ZN7rocprim17ROCPRIM_400000_NS6detail17trampoline_kernelINS0_14default_configENS1_27lower_bound_config_selectorIslEEZNS1_14transform_implILb0ES3_S5_N6thrust23THRUST_200600_302600_NS6detail15normal_iteratorINS8_7pointerIsNS8_11hip_rocprim5par_tENS8_11use_defaultESE_EEEENSA_INSB_IlSD_SE_SE_EEEEZNS1_13binary_searchIS3_S5_PsSG_SI_NS1_21lower_bound_search_opENS9_16wrapped_functionINS8_6system6detail7generic6detail18binary_search_lessEbEEEE10hipError_tPvRmT1_T2_T3_mmT4_T5_P12ihipStream_tbEUlRKsE_EEST_SX_SY_mSZ_S12_bEUlT_E_NS1_11comp_targetILNS1_3genE10ELNS1_11target_archE1201ELNS1_3gpuE5ELNS1_3repE0EEENS1_30default_config_static_selectorELNS0_4arch9wavefront6targetE1EEEvSW_,comdat
.Lfunc_end157:
	.size	_ZN7rocprim17ROCPRIM_400000_NS6detail17trampoline_kernelINS0_14default_configENS1_27lower_bound_config_selectorIslEEZNS1_14transform_implILb0ES3_S5_N6thrust23THRUST_200600_302600_NS6detail15normal_iteratorINS8_7pointerIsNS8_11hip_rocprim5par_tENS8_11use_defaultESE_EEEENSA_INSB_IlSD_SE_SE_EEEEZNS1_13binary_searchIS3_S5_PsSG_SI_NS1_21lower_bound_search_opENS9_16wrapped_functionINS8_6system6detail7generic6detail18binary_search_lessEbEEEE10hipError_tPvRmT1_T2_T3_mmT4_T5_P12ihipStream_tbEUlRKsE_EEST_SX_SY_mSZ_S12_bEUlT_E_NS1_11comp_targetILNS1_3genE10ELNS1_11target_archE1201ELNS1_3gpuE5ELNS1_3repE0EEENS1_30default_config_static_selectorELNS0_4arch9wavefront6targetE1EEEvSW_, .Lfunc_end157-_ZN7rocprim17ROCPRIM_400000_NS6detail17trampoline_kernelINS0_14default_configENS1_27lower_bound_config_selectorIslEEZNS1_14transform_implILb0ES3_S5_N6thrust23THRUST_200600_302600_NS6detail15normal_iteratorINS8_7pointerIsNS8_11hip_rocprim5par_tENS8_11use_defaultESE_EEEENSA_INSB_IlSD_SE_SE_EEEEZNS1_13binary_searchIS3_S5_PsSG_SI_NS1_21lower_bound_search_opENS9_16wrapped_functionINS8_6system6detail7generic6detail18binary_search_lessEbEEEE10hipError_tPvRmT1_T2_T3_mmT4_T5_P12ihipStream_tbEUlRKsE_EEST_SX_SY_mSZ_S12_bEUlT_E_NS1_11comp_targetILNS1_3genE10ELNS1_11target_archE1201ELNS1_3gpuE5ELNS1_3repE0EEENS1_30default_config_static_selectorELNS0_4arch9wavefront6targetE1EEEvSW_
                                        ; -- End function
	.set _ZN7rocprim17ROCPRIM_400000_NS6detail17trampoline_kernelINS0_14default_configENS1_27lower_bound_config_selectorIslEEZNS1_14transform_implILb0ES3_S5_N6thrust23THRUST_200600_302600_NS6detail15normal_iteratorINS8_7pointerIsNS8_11hip_rocprim5par_tENS8_11use_defaultESE_EEEENSA_INSB_IlSD_SE_SE_EEEEZNS1_13binary_searchIS3_S5_PsSG_SI_NS1_21lower_bound_search_opENS9_16wrapped_functionINS8_6system6detail7generic6detail18binary_search_lessEbEEEE10hipError_tPvRmT1_T2_T3_mmT4_T5_P12ihipStream_tbEUlRKsE_EEST_SX_SY_mSZ_S12_bEUlT_E_NS1_11comp_targetILNS1_3genE10ELNS1_11target_archE1201ELNS1_3gpuE5ELNS1_3repE0EEENS1_30default_config_static_selectorELNS0_4arch9wavefront6targetE1EEEvSW_.num_vgpr, 0
	.set _ZN7rocprim17ROCPRIM_400000_NS6detail17trampoline_kernelINS0_14default_configENS1_27lower_bound_config_selectorIslEEZNS1_14transform_implILb0ES3_S5_N6thrust23THRUST_200600_302600_NS6detail15normal_iteratorINS8_7pointerIsNS8_11hip_rocprim5par_tENS8_11use_defaultESE_EEEENSA_INSB_IlSD_SE_SE_EEEEZNS1_13binary_searchIS3_S5_PsSG_SI_NS1_21lower_bound_search_opENS9_16wrapped_functionINS8_6system6detail7generic6detail18binary_search_lessEbEEEE10hipError_tPvRmT1_T2_T3_mmT4_T5_P12ihipStream_tbEUlRKsE_EEST_SX_SY_mSZ_S12_bEUlT_E_NS1_11comp_targetILNS1_3genE10ELNS1_11target_archE1201ELNS1_3gpuE5ELNS1_3repE0EEENS1_30default_config_static_selectorELNS0_4arch9wavefront6targetE1EEEvSW_.num_agpr, 0
	.set _ZN7rocprim17ROCPRIM_400000_NS6detail17trampoline_kernelINS0_14default_configENS1_27lower_bound_config_selectorIslEEZNS1_14transform_implILb0ES3_S5_N6thrust23THRUST_200600_302600_NS6detail15normal_iteratorINS8_7pointerIsNS8_11hip_rocprim5par_tENS8_11use_defaultESE_EEEENSA_INSB_IlSD_SE_SE_EEEEZNS1_13binary_searchIS3_S5_PsSG_SI_NS1_21lower_bound_search_opENS9_16wrapped_functionINS8_6system6detail7generic6detail18binary_search_lessEbEEEE10hipError_tPvRmT1_T2_T3_mmT4_T5_P12ihipStream_tbEUlRKsE_EEST_SX_SY_mSZ_S12_bEUlT_E_NS1_11comp_targetILNS1_3genE10ELNS1_11target_archE1201ELNS1_3gpuE5ELNS1_3repE0EEENS1_30default_config_static_selectorELNS0_4arch9wavefront6targetE1EEEvSW_.numbered_sgpr, 0
	.set _ZN7rocprim17ROCPRIM_400000_NS6detail17trampoline_kernelINS0_14default_configENS1_27lower_bound_config_selectorIslEEZNS1_14transform_implILb0ES3_S5_N6thrust23THRUST_200600_302600_NS6detail15normal_iteratorINS8_7pointerIsNS8_11hip_rocprim5par_tENS8_11use_defaultESE_EEEENSA_INSB_IlSD_SE_SE_EEEEZNS1_13binary_searchIS3_S5_PsSG_SI_NS1_21lower_bound_search_opENS9_16wrapped_functionINS8_6system6detail7generic6detail18binary_search_lessEbEEEE10hipError_tPvRmT1_T2_T3_mmT4_T5_P12ihipStream_tbEUlRKsE_EEST_SX_SY_mSZ_S12_bEUlT_E_NS1_11comp_targetILNS1_3genE10ELNS1_11target_archE1201ELNS1_3gpuE5ELNS1_3repE0EEENS1_30default_config_static_selectorELNS0_4arch9wavefront6targetE1EEEvSW_.num_named_barrier, 0
	.set _ZN7rocprim17ROCPRIM_400000_NS6detail17trampoline_kernelINS0_14default_configENS1_27lower_bound_config_selectorIslEEZNS1_14transform_implILb0ES3_S5_N6thrust23THRUST_200600_302600_NS6detail15normal_iteratorINS8_7pointerIsNS8_11hip_rocprim5par_tENS8_11use_defaultESE_EEEENSA_INSB_IlSD_SE_SE_EEEEZNS1_13binary_searchIS3_S5_PsSG_SI_NS1_21lower_bound_search_opENS9_16wrapped_functionINS8_6system6detail7generic6detail18binary_search_lessEbEEEE10hipError_tPvRmT1_T2_T3_mmT4_T5_P12ihipStream_tbEUlRKsE_EEST_SX_SY_mSZ_S12_bEUlT_E_NS1_11comp_targetILNS1_3genE10ELNS1_11target_archE1201ELNS1_3gpuE5ELNS1_3repE0EEENS1_30default_config_static_selectorELNS0_4arch9wavefront6targetE1EEEvSW_.private_seg_size, 0
	.set _ZN7rocprim17ROCPRIM_400000_NS6detail17trampoline_kernelINS0_14default_configENS1_27lower_bound_config_selectorIslEEZNS1_14transform_implILb0ES3_S5_N6thrust23THRUST_200600_302600_NS6detail15normal_iteratorINS8_7pointerIsNS8_11hip_rocprim5par_tENS8_11use_defaultESE_EEEENSA_INSB_IlSD_SE_SE_EEEEZNS1_13binary_searchIS3_S5_PsSG_SI_NS1_21lower_bound_search_opENS9_16wrapped_functionINS8_6system6detail7generic6detail18binary_search_lessEbEEEE10hipError_tPvRmT1_T2_T3_mmT4_T5_P12ihipStream_tbEUlRKsE_EEST_SX_SY_mSZ_S12_bEUlT_E_NS1_11comp_targetILNS1_3genE10ELNS1_11target_archE1201ELNS1_3gpuE5ELNS1_3repE0EEENS1_30default_config_static_selectorELNS0_4arch9wavefront6targetE1EEEvSW_.uses_vcc, 0
	.set _ZN7rocprim17ROCPRIM_400000_NS6detail17trampoline_kernelINS0_14default_configENS1_27lower_bound_config_selectorIslEEZNS1_14transform_implILb0ES3_S5_N6thrust23THRUST_200600_302600_NS6detail15normal_iteratorINS8_7pointerIsNS8_11hip_rocprim5par_tENS8_11use_defaultESE_EEEENSA_INSB_IlSD_SE_SE_EEEEZNS1_13binary_searchIS3_S5_PsSG_SI_NS1_21lower_bound_search_opENS9_16wrapped_functionINS8_6system6detail7generic6detail18binary_search_lessEbEEEE10hipError_tPvRmT1_T2_T3_mmT4_T5_P12ihipStream_tbEUlRKsE_EEST_SX_SY_mSZ_S12_bEUlT_E_NS1_11comp_targetILNS1_3genE10ELNS1_11target_archE1201ELNS1_3gpuE5ELNS1_3repE0EEENS1_30default_config_static_selectorELNS0_4arch9wavefront6targetE1EEEvSW_.uses_flat_scratch, 0
	.set _ZN7rocprim17ROCPRIM_400000_NS6detail17trampoline_kernelINS0_14default_configENS1_27lower_bound_config_selectorIslEEZNS1_14transform_implILb0ES3_S5_N6thrust23THRUST_200600_302600_NS6detail15normal_iteratorINS8_7pointerIsNS8_11hip_rocprim5par_tENS8_11use_defaultESE_EEEENSA_INSB_IlSD_SE_SE_EEEEZNS1_13binary_searchIS3_S5_PsSG_SI_NS1_21lower_bound_search_opENS9_16wrapped_functionINS8_6system6detail7generic6detail18binary_search_lessEbEEEE10hipError_tPvRmT1_T2_T3_mmT4_T5_P12ihipStream_tbEUlRKsE_EEST_SX_SY_mSZ_S12_bEUlT_E_NS1_11comp_targetILNS1_3genE10ELNS1_11target_archE1201ELNS1_3gpuE5ELNS1_3repE0EEENS1_30default_config_static_selectorELNS0_4arch9wavefront6targetE1EEEvSW_.has_dyn_sized_stack, 0
	.set _ZN7rocprim17ROCPRIM_400000_NS6detail17trampoline_kernelINS0_14default_configENS1_27lower_bound_config_selectorIslEEZNS1_14transform_implILb0ES3_S5_N6thrust23THRUST_200600_302600_NS6detail15normal_iteratorINS8_7pointerIsNS8_11hip_rocprim5par_tENS8_11use_defaultESE_EEEENSA_INSB_IlSD_SE_SE_EEEEZNS1_13binary_searchIS3_S5_PsSG_SI_NS1_21lower_bound_search_opENS9_16wrapped_functionINS8_6system6detail7generic6detail18binary_search_lessEbEEEE10hipError_tPvRmT1_T2_T3_mmT4_T5_P12ihipStream_tbEUlRKsE_EEST_SX_SY_mSZ_S12_bEUlT_E_NS1_11comp_targetILNS1_3genE10ELNS1_11target_archE1201ELNS1_3gpuE5ELNS1_3repE0EEENS1_30default_config_static_selectorELNS0_4arch9wavefront6targetE1EEEvSW_.has_recursion, 0
	.set _ZN7rocprim17ROCPRIM_400000_NS6detail17trampoline_kernelINS0_14default_configENS1_27lower_bound_config_selectorIslEEZNS1_14transform_implILb0ES3_S5_N6thrust23THRUST_200600_302600_NS6detail15normal_iteratorINS8_7pointerIsNS8_11hip_rocprim5par_tENS8_11use_defaultESE_EEEENSA_INSB_IlSD_SE_SE_EEEEZNS1_13binary_searchIS3_S5_PsSG_SI_NS1_21lower_bound_search_opENS9_16wrapped_functionINS8_6system6detail7generic6detail18binary_search_lessEbEEEE10hipError_tPvRmT1_T2_T3_mmT4_T5_P12ihipStream_tbEUlRKsE_EEST_SX_SY_mSZ_S12_bEUlT_E_NS1_11comp_targetILNS1_3genE10ELNS1_11target_archE1201ELNS1_3gpuE5ELNS1_3repE0EEENS1_30default_config_static_selectorELNS0_4arch9wavefront6targetE1EEEvSW_.has_indirect_call, 0
	.section	.AMDGPU.csdata,"",@progbits
; Kernel info:
; codeLenInByte = 0
; TotalNumSgprs: 4
; NumVgprs: 0
; ScratchSize: 0
; MemoryBound: 0
; FloatMode: 240
; IeeeMode: 1
; LDSByteSize: 0 bytes/workgroup (compile time only)
; SGPRBlocks: 0
; VGPRBlocks: 0
; NumSGPRsForWavesPerEU: 4
; NumVGPRsForWavesPerEU: 1
; Occupancy: 10
; WaveLimiterHint : 0
; COMPUTE_PGM_RSRC2:SCRATCH_EN: 0
; COMPUTE_PGM_RSRC2:USER_SGPR: 6
; COMPUTE_PGM_RSRC2:TRAP_HANDLER: 0
; COMPUTE_PGM_RSRC2:TGID_X_EN: 1
; COMPUTE_PGM_RSRC2:TGID_Y_EN: 0
; COMPUTE_PGM_RSRC2:TGID_Z_EN: 0
; COMPUTE_PGM_RSRC2:TIDIG_COMP_CNT: 0
	.section	.text._ZN7rocprim17ROCPRIM_400000_NS6detail17trampoline_kernelINS0_14default_configENS1_27lower_bound_config_selectorIslEEZNS1_14transform_implILb0ES3_S5_N6thrust23THRUST_200600_302600_NS6detail15normal_iteratorINS8_7pointerIsNS8_11hip_rocprim5par_tENS8_11use_defaultESE_EEEENSA_INSB_IlSD_SE_SE_EEEEZNS1_13binary_searchIS3_S5_PsSG_SI_NS1_21lower_bound_search_opENS9_16wrapped_functionINS8_6system6detail7generic6detail18binary_search_lessEbEEEE10hipError_tPvRmT1_T2_T3_mmT4_T5_P12ihipStream_tbEUlRKsE_EEST_SX_SY_mSZ_S12_bEUlT_E_NS1_11comp_targetILNS1_3genE10ELNS1_11target_archE1200ELNS1_3gpuE4ELNS1_3repE0EEENS1_30default_config_static_selectorELNS0_4arch9wavefront6targetE1EEEvSW_,"axG",@progbits,_ZN7rocprim17ROCPRIM_400000_NS6detail17trampoline_kernelINS0_14default_configENS1_27lower_bound_config_selectorIslEEZNS1_14transform_implILb0ES3_S5_N6thrust23THRUST_200600_302600_NS6detail15normal_iteratorINS8_7pointerIsNS8_11hip_rocprim5par_tENS8_11use_defaultESE_EEEENSA_INSB_IlSD_SE_SE_EEEEZNS1_13binary_searchIS3_S5_PsSG_SI_NS1_21lower_bound_search_opENS9_16wrapped_functionINS8_6system6detail7generic6detail18binary_search_lessEbEEEE10hipError_tPvRmT1_T2_T3_mmT4_T5_P12ihipStream_tbEUlRKsE_EEST_SX_SY_mSZ_S12_bEUlT_E_NS1_11comp_targetILNS1_3genE10ELNS1_11target_archE1200ELNS1_3gpuE4ELNS1_3repE0EEENS1_30default_config_static_selectorELNS0_4arch9wavefront6targetE1EEEvSW_,comdat
	.protected	_ZN7rocprim17ROCPRIM_400000_NS6detail17trampoline_kernelINS0_14default_configENS1_27lower_bound_config_selectorIslEEZNS1_14transform_implILb0ES3_S5_N6thrust23THRUST_200600_302600_NS6detail15normal_iteratorINS8_7pointerIsNS8_11hip_rocprim5par_tENS8_11use_defaultESE_EEEENSA_INSB_IlSD_SE_SE_EEEEZNS1_13binary_searchIS3_S5_PsSG_SI_NS1_21lower_bound_search_opENS9_16wrapped_functionINS8_6system6detail7generic6detail18binary_search_lessEbEEEE10hipError_tPvRmT1_T2_T3_mmT4_T5_P12ihipStream_tbEUlRKsE_EEST_SX_SY_mSZ_S12_bEUlT_E_NS1_11comp_targetILNS1_3genE10ELNS1_11target_archE1200ELNS1_3gpuE4ELNS1_3repE0EEENS1_30default_config_static_selectorELNS0_4arch9wavefront6targetE1EEEvSW_ ; -- Begin function _ZN7rocprim17ROCPRIM_400000_NS6detail17trampoline_kernelINS0_14default_configENS1_27lower_bound_config_selectorIslEEZNS1_14transform_implILb0ES3_S5_N6thrust23THRUST_200600_302600_NS6detail15normal_iteratorINS8_7pointerIsNS8_11hip_rocprim5par_tENS8_11use_defaultESE_EEEENSA_INSB_IlSD_SE_SE_EEEEZNS1_13binary_searchIS3_S5_PsSG_SI_NS1_21lower_bound_search_opENS9_16wrapped_functionINS8_6system6detail7generic6detail18binary_search_lessEbEEEE10hipError_tPvRmT1_T2_T3_mmT4_T5_P12ihipStream_tbEUlRKsE_EEST_SX_SY_mSZ_S12_bEUlT_E_NS1_11comp_targetILNS1_3genE10ELNS1_11target_archE1200ELNS1_3gpuE4ELNS1_3repE0EEENS1_30default_config_static_selectorELNS0_4arch9wavefront6targetE1EEEvSW_
	.globl	_ZN7rocprim17ROCPRIM_400000_NS6detail17trampoline_kernelINS0_14default_configENS1_27lower_bound_config_selectorIslEEZNS1_14transform_implILb0ES3_S5_N6thrust23THRUST_200600_302600_NS6detail15normal_iteratorINS8_7pointerIsNS8_11hip_rocprim5par_tENS8_11use_defaultESE_EEEENSA_INSB_IlSD_SE_SE_EEEEZNS1_13binary_searchIS3_S5_PsSG_SI_NS1_21lower_bound_search_opENS9_16wrapped_functionINS8_6system6detail7generic6detail18binary_search_lessEbEEEE10hipError_tPvRmT1_T2_T3_mmT4_T5_P12ihipStream_tbEUlRKsE_EEST_SX_SY_mSZ_S12_bEUlT_E_NS1_11comp_targetILNS1_3genE10ELNS1_11target_archE1200ELNS1_3gpuE4ELNS1_3repE0EEENS1_30default_config_static_selectorELNS0_4arch9wavefront6targetE1EEEvSW_
	.p2align	8
	.type	_ZN7rocprim17ROCPRIM_400000_NS6detail17trampoline_kernelINS0_14default_configENS1_27lower_bound_config_selectorIslEEZNS1_14transform_implILb0ES3_S5_N6thrust23THRUST_200600_302600_NS6detail15normal_iteratorINS8_7pointerIsNS8_11hip_rocprim5par_tENS8_11use_defaultESE_EEEENSA_INSB_IlSD_SE_SE_EEEEZNS1_13binary_searchIS3_S5_PsSG_SI_NS1_21lower_bound_search_opENS9_16wrapped_functionINS8_6system6detail7generic6detail18binary_search_lessEbEEEE10hipError_tPvRmT1_T2_T3_mmT4_T5_P12ihipStream_tbEUlRKsE_EEST_SX_SY_mSZ_S12_bEUlT_E_NS1_11comp_targetILNS1_3genE10ELNS1_11target_archE1200ELNS1_3gpuE4ELNS1_3repE0EEENS1_30default_config_static_selectorELNS0_4arch9wavefront6targetE1EEEvSW_,@function
_ZN7rocprim17ROCPRIM_400000_NS6detail17trampoline_kernelINS0_14default_configENS1_27lower_bound_config_selectorIslEEZNS1_14transform_implILb0ES3_S5_N6thrust23THRUST_200600_302600_NS6detail15normal_iteratorINS8_7pointerIsNS8_11hip_rocprim5par_tENS8_11use_defaultESE_EEEENSA_INSB_IlSD_SE_SE_EEEEZNS1_13binary_searchIS3_S5_PsSG_SI_NS1_21lower_bound_search_opENS9_16wrapped_functionINS8_6system6detail7generic6detail18binary_search_lessEbEEEE10hipError_tPvRmT1_T2_T3_mmT4_T5_P12ihipStream_tbEUlRKsE_EEST_SX_SY_mSZ_S12_bEUlT_E_NS1_11comp_targetILNS1_3genE10ELNS1_11target_archE1200ELNS1_3gpuE4ELNS1_3repE0EEENS1_30default_config_static_selectorELNS0_4arch9wavefront6targetE1EEEvSW_: ; @_ZN7rocprim17ROCPRIM_400000_NS6detail17trampoline_kernelINS0_14default_configENS1_27lower_bound_config_selectorIslEEZNS1_14transform_implILb0ES3_S5_N6thrust23THRUST_200600_302600_NS6detail15normal_iteratorINS8_7pointerIsNS8_11hip_rocprim5par_tENS8_11use_defaultESE_EEEENSA_INSB_IlSD_SE_SE_EEEEZNS1_13binary_searchIS3_S5_PsSG_SI_NS1_21lower_bound_search_opENS9_16wrapped_functionINS8_6system6detail7generic6detail18binary_search_lessEbEEEE10hipError_tPvRmT1_T2_T3_mmT4_T5_P12ihipStream_tbEUlRKsE_EEST_SX_SY_mSZ_S12_bEUlT_E_NS1_11comp_targetILNS1_3genE10ELNS1_11target_archE1200ELNS1_3gpuE4ELNS1_3repE0EEENS1_30default_config_static_selectorELNS0_4arch9wavefront6targetE1EEEvSW_
; %bb.0:
	.section	.rodata,"a",@progbits
	.p2align	6, 0x0
	.amdhsa_kernel _ZN7rocprim17ROCPRIM_400000_NS6detail17trampoline_kernelINS0_14default_configENS1_27lower_bound_config_selectorIslEEZNS1_14transform_implILb0ES3_S5_N6thrust23THRUST_200600_302600_NS6detail15normal_iteratorINS8_7pointerIsNS8_11hip_rocprim5par_tENS8_11use_defaultESE_EEEENSA_INSB_IlSD_SE_SE_EEEEZNS1_13binary_searchIS3_S5_PsSG_SI_NS1_21lower_bound_search_opENS9_16wrapped_functionINS8_6system6detail7generic6detail18binary_search_lessEbEEEE10hipError_tPvRmT1_T2_T3_mmT4_T5_P12ihipStream_tbEUlRKsE_EEST_SX_SY_mSZ_S12_bEUlT_E_NS1_11comp_targetILNS1_3genE10ELNS1_11target_archE1200ELNS1_3gpuE4ELNS1_3repE0EEENS1_30default_config_static_selectorELNS0_4arch9wavefront6targetE1EEEvSW_
		.amdhsa_group_segment_fixed_size 0
		.amdhsa_private_segment_fixed_size 0
		.amdhsa_kernarg_size 56
		.amdhsa_user_sgpr_count 6
		.amdhsa_user_sgpr_private_segment_buffer 1
		.amdhsa_user_sgpr_dispatch_ptr 0
		.amdhsa_user_sgpr_queue_ptr 0
		.amdhsa_user_sgpr_kernarg_segment_ptr 1
		.amdhsa_user_sgpr_dispatch_id 0
		.amdhsa_user_sgpr_flat_scratch_init 0
		.amdhsa_user_sgpr_private_segment_size 0
		.amdhsa_uses_dynamic_stack 0
		.amdhsa_system_sgpr_private_segment_wavefront_offset 0
		.amdhsa_system_sgpr_workgroup_id_x 1
		.amdhsa_system_sgpr_workgroup_id_y 0
		.amdhsa_system_sgpr_workgroup_id_z 0
		.amdhsa_system_sgpr_workgroup_info 0
		.amdhsa_system_vgpr_workitem_id 0
		.amdhsa_next_free_vgpr 1
		.amdhsa_next_free_sgpr 0
		.amdhsa_reserve_vcc 0
		.amdhsa_reserve_flat_scratch 0
		.amdhsa_float_round_mode_32 0
		.amdhsa_float_round_mode_16_64 0
		.amdhsa_float_denorm_mode_32 3
		.amdhsa_float_denorm_mode_16_64 3
		.amdhsa_dx10_clamp 1
		.amdhsa_ieee_mode 1
		.amdhsa_fp16_overflow 0
		.amdhsa_exception_fp_ieee_invalid_op 0
		.amdhsa_exception_fp_denorm_src 0
		.amdhsa_exception_fp_ieee_div_zero 0
		.amdhsa_exception_fp_ieee_overflow 0
		.amdhsa_exception_fp_ieee_underflow 0
		.amdhsa_exception_fp_ieee_inexact 0
		.amdhsa_exception_int_div_zero 0
	.end_amdhsa_kernel
	.section	.text._ZN7rocprim17ROCPRIM_400000_NS6detail17trampoline_kernelINS0_14default_configENS1_27lower_bound_config_selectorIslEEZNS1_14transform_implILb0ES3_S5_N6thrust23THRUST_200600_302600_NS6detail15normal_iteratorINS8_7pointerIsNS8_11hip_rocprim5par_tENS8_11use_defaultESE_EEEENSA_INSB_IlSD_SE_SE_EEEEZNS1_13binary_searchIS3_S5_PsSG_SI_NS1_21lower_bound_search_opENS9_16wrapped_functionINS8_6system6detail7generic6detail18binary_search_lessEbEEEE10hipError_tPvRmT1_T2_T3_mmT4_T5_P12ihipStream_tbEUlRKsE_EEST_SX_SY_mSZ_S12_bEUlT_E_NS1_11comp_targetILNS1_3genE10ELNS1_11target_archE1200ELNS1_3gpuE4ELNS1_3repE0EEENS1_30default_config_static_selectorELNS0_4arch9wavefront6targetE1EEEvSW_,"axG",@progbits,_ZN7rocprim17ROCPRIM_400000_NS6detail17trampoline_kernelINS0_14default_configENS1_27lower_bound_config_selectorIslEEZNS1_14transform_implILb0ES3_S5_N6thrust23THRUST_200600_302600_NS6detail15normal_iteratorINS8_7pointerIsNS8_11hip_rocprim5par_tENS8_11use_defaultESE_EEEENSA_INSB_IlSD_SE_SE_EEEEZNS1_13binary_searchIS3_S5_PsSG_SI_NS1_21lower_bound_search_opENS9_16wrapped_functionINS8_6system6detail7generic6detail18binary_search_lessEbEEEE10hipError_tPvRmT1_T2_T3_mmT4_T5_P12ihipStream_tbEUlRKsE_EEST_SX_SY_mSZ_S12_bEUlT_E_NS1_11comp_targetILNS1_3genE10ELNS1_11target_archE1200ELNS1_3gpuE4ELNS1_3repE0EEENS1_30default_config_static_selectorELNS0_4arch9wavefront6targetE1EEEvSW_,comdat
.Lfunc_end158:
	.size	_ZN7rocprim17ROCPRIM_400000_NS6detail17trampoline_kernelINS0_14default_configENS1_27lower_bound_config_selectorIslEEZNS1_14transform_implILb0ES3_S5_N6thrust23THRUST_200600_302600_NS6detail15normal_iteratorINS8_7pointerIsNS8_11hip_rocprim5par_tENS8_11use_defaultESE_EEEENSA_INSB_IlSD_SE_SE_EEEEZNS1_13binary_searchIS3_S5_PsSG_SI_NS1_21lower_bound_search_opENS9_16wrapped_functionINS8_6system6detail7generic6detail18binary_search_lessEbEEEE10hipError_tPvRmT1_T2_T3_mmT4_T5_P12ihipStream_tbEUlRKsE_EEST_SX_SY_mSZ_S12_bEUlT_E_NS1_11comp_targetILNS1_3genE10ELNS1_11target_archE1200ELNS1_3gpuE4ELNS1_3repE0EEENS1_30default_config_static_selectorELNS0_4arch9wavefront6targetE1EEEvSW_, .Lfunc_end158-_ZN7rocprim17ROCPRIM_400000_NS6detail17trampoline_kernelINS0_14default_configENS1_27lower_bound_config_selectorIslEEZNS1_14transform_implILb0ES3_S5_N6thrust23THRUST_200600_302600_NS6detail15normal_iteratorINS8_7pointerIsNS8_11hip_rocprim5par_tENS8_11use_defaultESE_EEEENSA_INSB_IlSD_SE_SE_EEEEZNS1_13binary_searchIS3_S5_PsSG_SI_NS1_21lower_bound_search_opENS9_16wrapped_functionINS8_6system6detail7generic6detail18binary_search_lessEbEEEE10hipError_tPvRmT1_T2_T3_mmT4_T5_P12ihipStream_tbEUlRKsE_EEST_SX_SY_mSZ_S12_bEUlT_E_NS1_11comp_targetILNS1_3genE10ELNS1_11target_archE1200ELNS1_3gpuE4ELNS1_3repE0EEENS1_30default_config_static_selectorELNS0_4arch9wavefront6targetE1EEEvSW_
                                        ; -- End function
	.set _ZN7rocprim17ROCPRIM_400000_NS6detail17trampoline_kernelINS0_14default_configENS1_27lower_bound_config_selectorIslEEZNS1_14transform_implILb0ES3_S5_N6thrust23THRUST_200600_302600_NS6detail15normal_iteratorINS8_7pointerIsNS8_11hip_rocprim5par_tENS8_11use_defaultESE_EEEENSA_INSB_IlSD_SE_SE_EEEEZNS1_13binary_searchIS3_S5_PsSG_SI_NS1_21lower_bound_search_opENS9_16wrapped_functionINS8_6system6detail7generic6detail18binary_search_lessEbEEEE10hipError_tPvRmT1_T2_T3_mmT4_T5_P12ihipStream_tbEUlRKsE_EEST_SX_SY_mSZ_S12_bEUlT_E_NS1_11comp_targetILNS1_3genE10ELNS1_11target_archE1200ELNS1_3gpuE4ELNS1_3repE0EEENS1_30default_config_static_selectorELNS0_4arch9wavefront6targetE1EEEvSW_.num_vgpr, 0
	.set _ZN7rocprim17ROCPRIM_400000_NS6detail17trampoline_kernelINS0_14default_configENS1_27lower_bound_config_selectorIslEEZNS1_14transform_implILb0ES3_S5_N6thrust23THRUST_200600_302600_NS6detail15normal_iteratorINS8_7pointerIsNS8_11hip_rocprim5par_tENS8_11use_defaultESE_EEEENSA_INSB_IlSD_SE_SE_EEEEZNS1_13binary_searchIS3_S5_PsSG_SI_NS1_21lower_bound_search_opENS9_16wrapped_functionINS8_6system6detail7generic6detail18binary_search_lessEbEEEE10hipError_tPvRmT1_T2_T3_mmT4_T5_P12ihipStream_tbEUlRKsE_EEST_SX_SY_mSZ_S12_bEUlT_E_NS1_11comp_targetILNS1_3genE10ELNS1_11target_archE1200ELNS1_3gpuE4ELNS1_3repE0EEENS1_30default_config_static_selectorELNS0_4arch9wavefront6targetE1EEEvSW_.num_agpr, 0
	.set _ZN7rocprim17ROCPRIM_400000_NS6detail17trampoline_kernelINS0_14default_configENS1_27lower_bound_config_selectorIslEEZNS1_14transform_implILb0ES3_S5_N6thrust23THRUST_200600_302600_NS6detail15normal_iteratorINS8_7pointerIsNS8_11hip_rocprim5par_tENS8_11use_defaultESE_EEEENSA_INSB_IlSD_SE_SE_EEEEZNS1_13binary_searchIS3_S5_PsSG_SI_NS1_21lower_bound_search_opENS9_16wrapped_functionINS8_6system6detail7generic6detail18binary_search_lessEbEEEE10hipError_tPvRmT1_T2_T3_mmT4_T5_P12ihipStream_tbEUlRKsE_EEST_SX_SY_mSZ_S12_bEUlT_E_NS1_11comp_targetILNS1_3genE10ELNS1_11target_archE1200ELNS1_3gpuE4ELNS1_3repE0EEENS1_30default_config_static_selectorELNS0_4arch9wavefront6targetE1EEEvSW_.numbered_sgpr, 0
	.set _ZN7rocprim17ROCPRIM_400000_NS6detail17trampoline_kernelINS0_14default_configENS1_27lower_bound_config_selectorIslEEZNS1_14transform_implILb0ES3_S5_N6thrust23THRUST_200600_302600_NS6detail15normal_iteratorINS8_7pointerIsNS8_11hip_rocprim5par_tENS8_11use_defaultESE_EEEENSA_INSB_IlSD_SE_SE_EEEEZNS1_13binary_searchIS3_S5_PsSG_SI_NS1_21lower_bound_search_opENS9_16wrapped_functionINS8_6system6detail7generic6detail18binary_search_lessEbEEEE10hipError_tPvRmT1_T2_T3_mmT4_T5_P12ihipStream_tbEUlRKsE_EEST_SX_SY_mSZ_S12_bEUlT_E_NS1_11comp_targetILNS1_3genE10ELNS1_11target_archE1200ELNS1_3gpuE4ELNS1_3repE0EEENS1_30default_config_static_selectorELNS0_4arch9wavefront6targetE1EEEvSW_.num_named_barrier, 0
	.set _ZN7rocprim17ROCPRIM_400000_NS6detail17trampoline_kernelINS0_14default_configENS1_27lower_bound_config_selectorIslEEZNS1_14transform_implILb0ES3_S5_N6thrust23THRUST_200600_302600_NS6detail15normal_iteratorINS8_7pointerIsNS8_11hip_rocprim5par_tENS8_11use_defaultESE_EEEENSA_INSB_IlSD_SE_SE_EEEEZNS1_13binary_searchIS3_S5_PsSG_SI_NS1_21lower_bound_search_opENS9_16wrapped_functionINS8_6system6detail7generic6detail18binary_search_lessEbEEEE10hipError_tPvRmT1_T2_T3_mmT4_T5_P12ihipStream_tbEUlRKsE_EEST_SX_SY_mSZ_S12_bEUlT_E_NS1_11comp_targetILNS1_3genE10ELNS1_11target_archE1200ELNS1_3gpuE4ELNS1_3repE0EEENS1_30default_config_static_selectorELNS0_4arch9wavefront6targetE1EEEvSW_.private_seg_size, 0
	.set _ZN7rocprim17ROCPRIM_400000_NS6detail17trampoline_kernelINS0_14default_configENS1_27lower_bound_config_selectorIslEEZNS1_14transform_implILb0ES3_S5_N6thrust23THRUST_200600_302600_NS6detail15normal_iteratorINS8_7pointerIsNS8_11hip_rocprim5par_tENS8_11use_defaultESE_EEEENSA_INSB_IlSD_SE_SE_EEEEZNS1_13binary_searchIS3_S5_PsSG_SI_NS1_21lower_bound_search_opENS9_16wrapped_functionINS8_6system6detail7generic6detail18binary_search_lessEbEEEE10hipError_tPvRmT1_T2_T3_mmT4_T5_P12ihipStream_tbEUlRKsE_EEST_SX_SY_mSZ_S12_bEUlT_E_NS1_11comp_targetILNS1_3genE10ELNS1_11target_archE1200ELNS1_3gpuE4ELNS1_3repE0EEENS1_30default_config_static_selectorELNS0_4arch9wavefront6targetE1EEEvSW_.uses_vcc, 0
	.set _ZN7rocprim17ROCPRIM_400000_NS6detail17trampoline_kernelINS0_14default_configENS1_27lower_bound_config_selectorIslEEZNS1_14transform_implILb0ES3_S5_N6thrust23THRUST_200600_302600_NS6detail15normal_iteratorINS8_7pointerIsNS8_11hip_rocprim5par_tENS8_11use_defaultESE_EEEENSA_INSB_IlSD_SE_SE_EEEEZNS1_13binary_searchIS3_S5_PsSG_SI_NS1_21lower_bound_search_opENS9_16wrapped_functionINS8_6system6detail7generic6detail18binary_search_lessEbEEEE10hipError_tPvRmT1_T2_T3_mmT4_T5_P12ihipStream_tbEUlRKsE_EEST_SX_SY_mSZ_S12_bEUlT_E_NS1_11comp_targetILNS1_3genE10ELNS1_11target_archE1200ELNS1_3gpuE4ELNS1_3repE0EEENS1_30default_config_static_selectorELNS0_4arch9wavefront6targetE1EEEvSW_.uses_flat_scratch, 0
	.set _ZN7rocprim17ROCPRIM_400000_NS6detail17trampoline_kernelINS0_14default_configENS1_27lower_bound_config_selectorIslEEZNS1_14transform_implILb0ES3_S5_N6thrust23THRUST_200600_302600_NS6detail15normal_iteratorINS8_7pointerIsNS8_11hip_rocprim5par_tENS8_11use_defaultESE_EEEENSA_INSB_IlSD_SE_SE_EEEEZNS1_13binary_searchIS3_S5_PsSG_SI_NS1_21lower_bound_search_opENS9_16wrapped_functionINS8_6system6detail7generic6detail18binary_search_lessEbEEEE10hipError_tPvRmT1_T2_T3_mmT4_T5_P12ihipStream_tbEUlRKsE_EEST_SX_SY_mSZ_S12_bEUlT_E_NS1_11comp_targetILNS1_3genE10ELNS1_11target_archE1200ELNS1_3gpuE4ELNS1_3repE0EEENS1_30default_config_static_selectorELNS0_4arch9wavefront6targetE1EEEvSW_.has_dyn_sized_stack, 0
	.set _ZN7rocprim17ROCPRIM_400000_NS6detail17trampoline_kernelINS0_14default_configENS1_27lower_bound_config_selectorIslEEZNS1_14transform_implILb0ES3_S5_N6thrust23THRUST_200600_302600_NS6detail15normal_iteratorINS8_7pointerIsNS8_11hip_rocprim5par_tENS8_11use_defaultESE_EEEENSA_INSB_IlSD_SE_SE_EEEEZNS1_13binary_searchIS3_S5_PsSG_SI_NS1_21lower_bound_search_opENS9_16wrapped_functionINS8_6system6detail7generic6detail18binary_search_lessEbEEEE10hipError_tPvRmT1_T2_T3_mmT4_T5_P12ihipStream_tbEUlRKsE_EEST_SX_SY_mSZ_S12_bEUlT_E_NS1_11comp_targetILNS1_3genE10ELNS1_11target_archE1200ELNS1_3gpuE4ELNS1_3repE0EEENS1_30default_config_static_selectorELNS0_4arch9wavefront6targetE1EEEvSW_.has_recursion, 0
	.set _ZN7rocprim17ROCPRIM_400000_NS6detail17trampoline_kernelINS0_14default_configENS1_27lower_bound_config_selectorIslEEZNS1_14transform_implILb0ES3_S5_N6thrust23THRUST_200600_302600_NS6detail15normal_iteratorINS8_7pointerIsNS8_11hip_rocprim5par_tENS8_11use_defaultESE_EEEENSA_INSB_IlSD_SE_SE_EEEEZNS1_13binary_searchIS3_S5_PsSG_SI_NS1_21lower_bound_search_opENS9_16wrapped_functionINS8_6system6detail7generic6detail18binary_search_lessEbEEEE10hipError_tPvRmT1_T2_T3_mmT4_T5_P12ihipStream_tbEUlRKsE_EEST_SX_SY_mSZ_S12_bEUlT_E_NS1_11comp_targetILNS1_3genE10ELNS1_11target_archE1200ELNS1_3gpuE4ELNS1_3repE0EEENS1_30default_config_static_selectorELNS0_4arch9wavefront6targetE1EEEvSW_.has_indirect_call, 0
	.section	.AMDGPU.csdata,"",@progbits
; Kernel info:
; codeLenInByte = 0
; TotalNumSgprs: 4
; NumVgprs: 0
; ScratchSize: 0
; MemoryBound: 0
; FloatMode: 240
; IeeeMode: 1
; LDSByteSize: 0 bytes/workgroup (compile time only)
; SGPRBlocks: 0
; VGPRBlocks: 0
; NumSGPRsForWavesPerEU: 4
; NumVGPRsForWavesPerEU: 1
; Occupancy: 10
; WaveLimiterHint : 0
; COMPUTE_PGM_RSRC2:SCRATCH_EN: 0
; COMPUTE_PGM_RSRC2:USER_SGPR: 6
; COMPUTE_PGM_RSRC2:TRAP_HANDLER: 0
; COMPUTE_PGM_RSRC2:TGID_X_EN: 1
; COMPUTE_PGM_RSRC2:TGID_Y_EN: 0
; COMPUTE_PGM_RSRC2:TGID_Z_EN: 0
; COMPUTE_PGM_RSRC2:TIDIG_COMP_CNT: 0
	.section	.text._ZN7rocprim17ROCPRIM_400000_NS6detail17trampoline_kernelINS0_14default_configENS1_27lower_bound_config_selectorIslEEZNS1_14transform_implILb0ES3_S5_N6thrust23THRUST_200600_302600_NS6detail15normal_iteratorINS8_7pointerIsNS8_11hip_rocprim5par_tENS8_11use_defaultESE_EEEENSA_INSB_IlSD_SE_SE_EEEEZNS1_13binary_searchIS3_S5_PsSG_SI_NS1_21lower_bound_search_opENS9_16wrapped_functionINS8_6system6detail7generic6detail18binary_search_lessEbEEEE10hipError_tPvRmT1_T2_T3_mmT4_T5_P12ihipStream_tbEUlRKsE_EEST_SX_SY_mSZ_S12_bEUlT_E_NS1_11comp_targetILNS1_3genE9ELNS1_11target_archE1100ELNS1_3gpuE3ELNS1_3repE0EEENS1_30default_config_static_selectorELNS0_4arch9wavefront6targetE1EEEvSW_,"axG",@progbits,_ZN7rocprim17ROCPRIM_400000_NS6detail17trampoline_kernelINS0_14default_configENS1_27lower_bound_config_selectorIslEEZNS1_14transform_implILb0ES3_S5_N6thrust23THRUST_200600_302600_NS6detail15normal_iteratorINS8_7pointerIsNS8_11hip_rocprim5par_tENS8_11use_defaultESE_EEEENSA_INSB_IlSD_SE_SE_EEEEZNS1_13binary_searchIS3_S5_PsSG_SI_NS1_21lower_bound_search_opENS9_16wrapped_functionINS8_6system6detail7generic6detail18binary_search_lessEbEEEE10hipError_tPvRmT1_T2_T3_mmT4_T5_P12ihipStream_tbEUlRKsE_EEST_SX_SY_mSZ_S12_bEUlT_E_NS1_11comp_targetILNS1_3genE9ELNS1_11target_archE1100ELNS1_3gpuE3ELNS1_3repE0EEENS1_30default_config_static_selectorELNS0_4arch9wavefront6targetE1EEEvSW_,comdat
	.protected	_ZN7rocprim17ROCPRIM_400000_NS6detail17trampoline_kernelINS0_14default_configENS1_27lower_bound_config_selectorIslEEZNS1_14transform_implILb0ES3_S5_N6thrust23THRUST_200600_302600_NS6detail15normal_iteratorINS8_7pointerIsNS8_11hip_rocprim5par_tENS8_11use_defaultESE_EEEENSA_INSB_IlSD_SE_SE_EEEEZNS1_13binary_searchIS3_S5_PsSG_SI_NS1_21lower_bound_search_opENS9_16wrapped_functionINS8_6system6detail7generic6detail18binary_search_lessEbEEEE10hipError_tPvRmT1_T2_T3_mmT4_T5_P12ihipStream_tbEUlRKsE_EEST_SX_SY_mSZ_S12_bEUlT_E_NS1_11comp_targetILNS1_3genE9ELNS1_11target_archE1100ELNS1_3gpuE3ELNS1_3repE0EEENS1_30default_config_static_selectorELNS0_4arch9wavefront6targetE1EEEvSW_ ; -- Begin function _ZN7rocprim17ROCPRIM_400000_NS6detail17trampoline_kernelINS0_14default_configENS1_27lower_bound_config_selectorIslEEZNS1_14transform_implILb0ES3_S5_N6thrust23THRUST_200600_302600_NS6detail15normal_iteratorINS8_7pointerIsNS8_11hip_rocprim5par_tENS8_11use_defaultESE_EEEENSA_INSB_IlSD_SE_SE_EEEEZNS1_13binary_searchIS3_S5_PsSG_SI_NS1_21lower_bound_search_opENS9_16wrapped_functionINS8_6system6detail7generic6detail18binary_search_lessEbEEEE10hipError_tPvRmT1_T2_T3_mmT4_T5_P12ihipStream_tbEUlRKsE_EEST_SX_SY_mSZ_S12_bEUlT_E_NS1_11comp_targetILNS1_3genE9ELNS1_11target_archE1100ELNS1_3gpuE3ELNS1_3repE0EEENS1_30default_config_static_selectorELNS0_4arch9wavefront6targetE1EEEvSW_
	.globl	_ZN7rocprim17ROCPRIM_400000_NS6detail17trampoline_kernelINS0_14default_configENS1_27lower_bound_config_selectorIslEEZNS1_14transform_implILb0ES3_S5_N6thrust23THRUST_200600_302600_NS6detail15normal_iteratorINS8_7pointerIsNS8_11hip_rocprim5par_tENS8_11use_defaultESE_EEEENSA_INSB_IlSD_SE_SE_EEEEZNS1_13binary_searchIS3_S5_PsSG_SI_NS1_21lower_bound_search_opENS9_16wrapped_functionINS8_6system6detail7generic6detail18binary_search_lessEbEEEE10hipError_tPvRmT1_T2_T3_mmT4_T5_P12ihipStream_tbEUlRKsE_EEST_SX_SY_mSZ_S12_bEUlT_E_NS1_11comp_targetILNS1_3genE9ELNS1_11target_archE1100ELNS1_3gpuE3ELNS1_3repE0EEENS1_30default_config_static_selectorELNS0_4arch9wavefront6targetE1EEEvSW_
	.p2align	8
	.type	_ZN7rocprim17ROCPRIM_400000_NS6detail17trampoline_kernelINS0_14default_configENS1_27lower_bound_config_selectorIslEEZNS1_14transform_implILb0ES3_S5_N6thrust23THRUST_200600_302600_NS6detail15normal_iteratorINS8_7pointerIsNS8_11hip_rocprim5par_tENS8_11use_defaultESE_EEEENSA_INSB_IlSD_SE_SE_EEEEZNS1_13binary_searchIS3_S5_PsSG_SI_NS1_21lower_bound_search_opENS9_16wrapped_functionINS8_6system6detail7generic6detail18binary_search_lessEbEEEE10hipError_tPvRmT1_T2_T3_mmT4_T5_P12ihipStream_tbEUlRKsE_EEST_SX_SY_mSZ_S12_bEUlT_E_NS1_11comp_targetILNS1_3genE9ELNS1_11target_archE1100ELNS1_3gpuE3ELNS1_3repE0EEENS1_30default_config_static_selectorELNS0_4arch9wavefront6targetE1EEEvSW_,@function
_ZN7rocprim17ROCPRIM_400000_NS6detail17trampoline_kernelINS0_14default_configENS1_27lower_bound_config_selectorIslEEZNS1_14transform_implILb0ES3_S5_N6thrust23THRUST_200600_302600_NS6detail15normal_iteratorINS8_7pointerIsNS8_11hip_rocprim5par_tENS8_11use_defaultESE_EEEENSA_INSB_IlSD_SE_SE_EEEEZNS1_13binary_searchIS3_S5_PsSG_SI_NS1_21lower_bound_search_opENS9_16wrapped_functionINS8_6system6detail7generic6detail18binary_search_lessEbEEEE10hipError_tPvRmT1_T2_T3_mmT4_T5_P12ihipStream_tbEUlRKsE_EEST_SX_SY_mSZ_S12_bEUlT_E_NS1_11comp_targetILNS1_3genE9ELNS1_11target_archE1100ELNS1_3gpuE3ELNS1_3repE0EEENS1_30default_config_static_selectorELNS0_4arch9wavefront6targetE1EEEvSW_: ; @_ZN7rocprim17ROCPRIM_400000_NS6detail17trampoline_kernelINS0_14default_configENS1_27lower_bound_config_selectorIslEEZNS1_14transform_implILb0ES3_S5_N6thrust23THRUST_200600_302600_NS6detail15normal_iteratorINS8_7pointerIsNS8_11hip_rocprim5par_tENS8_11use_defaultESE_EEEENSA_INSB_IlSD_SE_SE_EEEEZNS1_13binary_searchIS3_S5_PsSG_SI_NS1_21lower_bound_search_opENS9_16wrapped_functionINS8_6system6detail7generic6detail18binary_search_lessEbEEEE10hipError_tPvRmT1_T2_T3_mmT4_T5_P12ihipStream_tbEUlRKsE_EEST_SX_SY_mSZ_S12_bEUlT_E_NS1_11comp_targetILNS1_3genE9ELNS1_11target_archE1100ELNS1_3gpuE3ELNS1_3repE0EEENS1_30default_config_static_selectorELNS0_4arch9wavefront6targetE1EEEvSW_
; %bb.0:
	.section	.rodata,"a",@progbits
	.p2align	6, 0x0
	.amdhsa_kernel _ZN7rocprim17ROCPRIM_400000_NS6detail17trampoline_kernelINS0_14default_configENS1_27lower_bound_config_selectorIslEEZNS1_14transform_implILb0ES3_S5_N6thrust23THRUST_200600_302600_NS6detail15normal_iteratorINS8_7pointerIsNS8_11hip_rocprim5par_tENS8_11use_defaultESE_EEEENSA_INSB_IlSD_SE_SE_EEEEZNS1_13binary_searchIS3_S5_PsSG_SI_NS1_21lower_bound_search_opENS9_16wrapped_functionINS8_6system6detail7generic6detail18binary_search_lessEbEEEE10hipError_tPvRmT1_T2_T3_mmT4_T5_P12ihipStream_tbEUlRKsE_EEST_SX_SY_mSZ_S12_bEUlT_E_NS1_11comp_targetILNS1_3genE9ELNS1_11target_archE1100ELNS1_3gpuE3ELNS1_3repE0EEENS1_30default_config_static_selectorELNS0_4arch9wavefront6targetE1EEEvSW_
		.amdhsa_group_segment_fixed_size 0
		.amdhsa_private_segment_fixed_size 0
		.amdhsa_kernarg_size 56
		.amdhsa_user_sgpr_count 6
		.amdhsa_user_sgpr_private_segment_buffer 1
		.amdhsa_user_sgpr_dispatch_ptr 0
		.amdhsa_user_sgpr_queue_ptr 0
		.amdhsa_user_sgpr_kernarg_segment_ptr 1
		.amdhsa_user_sgpr_dispatch_id 0
		.amdhsa_user_sgpr_flat_scratch_init 0
		.amdhsa_user_sgpr_private_segment_size 0
		.amdhsa_uses_dynamic_stack 0
		.amdhsa_system_sgpr_private_segment_wavefront_offset 0
		.amdhsa_system_sgpr_workgroup_id_x 1
		.amdhsa_system_sgpr_workgroup_id_y 0
		.amdhsa_system_sgpr_workgroup_id_z 0
		.amdhsa_system_sgpr_workgroup_info 0
		.amdhsa_system_vgpr_workitem_id 0
		.amdhsa_next_free_vgpr 1
		.amdhsa_next_free_sgpr 0
		.amdhsa_reserve_vcc 0
		.amdhsa_reserve_flat_scratch 0
		.amdhsa_float_round_mode_32 0
		.amdhsa_float_round_mode_16_64 0
		.amdhsa_float_denorm_mode_32 3
		.amdhsa_float_denorm_mode_16_64 3
		.amdhsa_dx10_clamp 1
		.amdhsa_ieee_mode 1
		.amdhsa_fp16_overflow 0
		.amdhsa_exception_fp_ieee_invalid_op 0
		.amdhsa_exception_fp_denorm_src 0
		.amdhsa_exception_fp_ieee_div_zero 0
		.amdhsa_exception_fp_ieee_overflow 0
		.amdhsa_exception_fp_ieee_underflow 0
		.amdhsa_exception_fp_ieee_inexact 0
		.amdhsa_exception_int_div_zero 0
	.end_amdhsa_kernel
	.section	.text._ZN7rocprim17ROCPRIM_400000_NS6detail17trampoline_kernelINS0_14default_configENS1_27lower_bound_config_selectorIslEEZNS1_14transform_implILb0ES3_S5_N6thrust23THRUST_200600_302600_NS6detail15normal_iteratorINS8_7pointerIsNS8_11hip_rocprim5par_tENS8_11use_defaultESE_EEEENSA_INSB_IlSD_SE_SE_EEEEZNS1_13binary_searchIS3_S5_PsSG_SI_NS1_21lower_bound_search_opENS9_16wrapped_functionINS8_6system6detail7generic6detail18binary_search_lessEbEEEE10hipError_tPvRmT1_T2_T3_mmT4_T5_P12ihipStream_tbEUlRKsE_EEST_SX_SY_mSZ_S12_bEUlT_E_NS1_11comp_targetILNS1_3genE9ELNS1_11target_archE1100ELNS1_3gpuE3ELNS1_3repE0EEENS1_30default_config_static_selectorELNS0_4arch9wavefront6targetE1EEEvSW_,"axG",@progbits,_ZN7rocprim17ROCPRIM_400000_NS6detail17trampoline_kernelINS0_14default_configENS1_27lower_bound_config_selectorIslEEZNS1_14transform_implILb0ES3_S5_N6thrust23THRUST_200600_302600_NS6detail15normal_iteratorINS8_7pointerIsNS8_11hip_rocprim5par_tENS8_11use_defaultESE_EEEENSA_INSB_IlSD_SE_SE_EEEEZNS1_13binary_searchIS3_S5_PsSG_SI_NS1_21lower_bound_search_opENS9_16wrapped_functionINS8_6system6detail7generic6detail18binary_search_lessEbEEEE10hipError_tPvRmT1_T2_T3_mmT4_T5_P12ihipStream_tbEUlRKsE_EEST_SX_SY_mSZ_S12_bEUlT_E_NS1_11comp_targetILNS1_3genE9ELNS1_11target_archE1100ELNS1_3gpuE3ELNS1_3repE0EEENS1_30default_config_static_selectorELNS0_4arch9wavefront6targetE1EEEvSW_,comdat
.Lfunc_end159:
	.size	_ZN7rocprim17ROCPRIM_400000_NS6detail17trampoline_kernelINS0_14default_configENS1_27lower_bound_config_selectorIslEEZNS1_14transform_implILb0ES3_S5_N6thrust23THRUST_200600_302600_NS6detail15normal_iteratorINS8_7pointerIsNS8_11hip_rocprim5par_tENS8_11use_defaultESE_EEEENSA_INSB_IlSD_SE_SE_EEEEZNS1_13binary_searchIS3_S5_PsSG_SI_NS1_21lower_bound_search_opENS9_16wrapped_functionINS8_6system6detail7generic6detail18binary_search_lessEbEEEE10hipError_tPvRmT1_T2_T3_mmT4_T5_P12ihipStream_tbEUlRKsE_EEST_SX_SY_mSZ_S12_bEUlT_E_NS1_11comp_targetILNS1_3genE9ELNS1_11target_archE1100ELNS1_3gpuE3ELNS1_3repE0EEENS1_30default_config_static_selectorELNS0_4arch9wavefront6targetE1EEEvSW_, .Lfunc_end159-_ZN7rocprim17ROCPRIM_400000_NS6detail17trampoline_kernelINS0_14default_configENS1_27lower_bound_config_selectorIslEEZNS1_14transform_implILb0ES3_S5_N6thrust23THRUST_200600_302600_NS6detail15normal_iteratorINS8_7pointerIsNS8_11hip_rocprim5par_tENS8_11use_defaultESE_EEEENSA_INSB_IlSD_SE_SE_EEEEZNS1_13binary_searchIS3_S5_PsSG_SI_NS1_21lower_bound_search_opENS9_16wrapped_functionINS8_6system6detail7generic6detail18binary_search_lessEbEEEE10hipError_tPvRmT1_T2_T3_mmT4_T5_P12ihipStream_tbEUlRKsE_EEST_SX_SY_mSZ_S12_bEUlT_E_NS1_11comp_targetILNS1_3genE9ELNS1_11target_archE1100ELNS1_3gpuE3ELNS1_3repE0EEENS1_30default_config_static_selectorELNS0_4arch9wavefront6targetE1EEEvSW_
                                        ; -- End function
	.set _ZN7rocprim17ROCPRIM_400000_NS6detail17trampoline_kernelINS0_14default_configENS1_27lower_bound_config_selectorIslEEZNS1_14transform_implILb0ES3_S5_N6thrust23THRUST_200600_302600_NS6detail15normal_iteratorINS8_7pointerIsNS8_11hip_rocprim5par_tENS8_11use_defaultESE_EEEENSA_INSB_IlSD_SE_SE_EEEEZNS1_13binary_searchIS3_S5_PsSG_SI_NS1_21lower_bound_search_opENS9_16wrapped_functionINS8_6system6detail7generic6detail18binary_search_lessEbEEEE10hipError_tPvRmT1_T2_T3_mmT4_T5_P12ihipStream_tbEUlRKsE_EEST_SX_SY_mSZ_S12_bEUlT_E_NS1_11comp_targetILNS1_3genE9ELNS1_11target_archE1100ELNS1_3gpuE3ELNS1_3repE0EEENS1_30default_config_static_selectorELNS0_4arch9wavefront6targetE1EEEvSW_.num_vgpr, 0
	.set _ZN7rocprim17ROCPRIM_400000_NS6detail17trampoline_kernelINS0_14default_configENS1_27lower_bound_config_selectorIslEEZNS1_14transform_implILb0ES3_S5_N6thrust23THRUST_200600_302600_NS6detail15normal_iteratorINS8_7pointerIsNS8_11hip_rocprim5par_tENS8_11use_defaultESE_EEEENSA_INSB_IlSD_SE_SE_EEEEZNS1_13binary_searchIS3_S5_PsSG_SI_NS1_21lower_bound_search_opENS9_16wrapped_functionINS8_6system6detail7generic6detail18binary_search_lessEbEEEE10hipError_tPvRmT1_T2_T3_mmT4_T5_P12ihipStream_tbEUlRKsE_EEST_SX_SY_mSZ_S12_bEUlT_E_NS1_11comp_targetILNS1_3genE9ELNS1_11target_archE1100ELNS1_3gpuE3ELNS1_3repE0EEENS1_30default_config_static_selectorELNS0_4arch9wavefront6targetE1EEEvSW_.num_agpr, 0
	.set _ZN7rocprim17ROCPRIM_400000_NS6detail17trampoline_kernelINS0_14default_configENS1_27lower_bound_config_selectorIslEEZNS1_14transform_implILb0ES3_S5_N6thrust23THRUST_200600_302600_NS6detail15normal_iteratorINS8_7pointerIsNS8_11hip_rocprim5par_tENS8_11use_defaultESE_EEEENSA_INSB_IlSD_SE_SE_EEEEZNS1_13binary_searchIS3_S5_PsSG_SI_NS1_21lower_bound_search_opENS9_16wrapped_functionINS8_6system6detail7generic6detail18binary_search_lessEbEEEE10hipError_tPvRmT1_T2_T3_mmT4_T5_P12ihipStream_tbEUlRKsE_EEST_SX_SY_mSZ_S12_bEUlT_E_NS1_11comp_targetILNS1_3genE9ELNS1_11target_archE1100ELNS1_3gpuE3ELNS1_3repE0EEENS1_30default_config_static_selectorELNS0_4arch9wavefront6targetE1EEEvSW_.numbered_sgpr, 0
	.set _ZN7rocprim17ROCPRIM_400000_NS6detail17trampoline_kernelINS0_14default_configENS1_27lower_bound_config_selectorIslEEZNS1_14transform_implILb0ES3_S5_N6thrust23THRUST_200600_302600_NS6detail15normal_iteratorINS8_7pointerIsNS8_11hip_rocprim5par_tENS8_11use_defaultESE_EEEENSA_INSB_IlSD_SE_SE_EEEEZNS1_13binary_searchIS3_S5_PsSG_SI_NS1_21lower_bound_search_opENS9_16wrapped_functionINS8_6system6detail7generic6detail18binary_search_lessEbEEEE10hipError_tPvRmT1_T2_T3_mmT4_T5_P12ihipStream_tbEUlRKsE_EEST_SX_SY_mSZ_S12_bEUlT_E_NS1_11comp_targetILNS1_3genE9ELNS1_11target_archE1100ELNS1_3gpuE3ELNS1_3repE0EEENS1_30default_config_static_selectorELNS0_4arch9wavefront6targetE1EEEvSW_.num_named_barrier, 0
	.set _ZN7rocprim17ROCPRIM_400000_NS6detail17trampoline_kernelINS0_14default_configENS1_27lower_bound_config_selectorIslEEZNS1_14transform_implILb0ES3_S5_N6thrust23THRUST_200600_302600_NS6detail15normal_iteratorINS8_7pointerIsNS8_11hip_rocprim5par_tENS8_11use_defaultESE_EEEENSA_INSB_IlSD_SE_SE_EEEEZNS1_13binary_searchIS3_S5_PsSG_SI_NS1_21lower_bound_search_opENS9_16wrapped_functionINS8_6system6detail7generic6detail18binary_search_lessEbEEEE10hipError_tPvRmT1_T2_T3_mmT4_T5_P12ihipStream_tbEUlRKsE_EEST_SX_SY_mSZ_S12_bEUlT_E_NS1_11comp_targetILNS1_3genE9ELNS1_11target_archE1100ELNS1_3gpuE3ELNS1_3repE0EEENS1_30default_config_static_selectorELNS0_4arch9wavefront6targetE1EEEvSW_.private_seg_size, 0
	.set _ZN7rocprim17ROCPRIM_400000_NS6detail17trampoline_kernelINS0_14default_configENS1_27lower_bound_config_selectorIslEEZNS1_14transform_implILb0ES3_S5_N6thrust23THRUST_200600_302600_NS6detail15normal_iteratorINS8_7pointerIsNS8_11hip_rocprim5par_tENS8_11use_defaultESE_EEEENSA_INSB_IlSD_SE_SE_EEEEZNS1_13binary_searchIS3_S5_PsSG_SI_NS1_21lower_bound_search_opENS9_16wrapped_functionINS8_6system6detail7generic6detail18binary_search_lessEbEEEE10hipError_tPvRmT1_T2_T3_mmT4_T5_P12ihipStream_tbEUlRKsE_EEST_SX_SY_mSZ_S12_bEUlT_E_NS1_11comp_targetILNS1_3genE9ELNS1_11target_archE1100ELNS1_3gpuE3ELNS1_3repE0EEENS1_30default_config_static_selectorELNS0_4arch9wavefront6targetE1EEEvSW_.uses_vcc, 0
	.set _ZN7rocprim17ROCPRIM_400000_NS6detail17trampoline_kernelINS0_14default_configENS1_27lower_bound_config_selectorIslEEZNS1_14transform_implILb0ES3_S5_N6thrust23THRUST_200600_302600_NS6detail15normal_iteratorINS8_7pointerIsNS8_11hip_rocprim5par_tENS8_11use_defaultESE_EEEENSA_INSB_IlSD_SE_SE_EEEEZNS1_13binary_searchIS3_S5_PsSG_SI_NS1_21lower_bound_search_opENS9_16wrapped_functionINS8_6system6detail7generic6detail18binary_search_lessEbEEEE10hipError_tPvRmT1_T2_T3_mmT4_T5_P12ihipStream_tbEUlRKsE_EEST_SX_SY_mSZ_S12_bEUlT_E_NS1_11comp_targetILNS1_3genE9ELNS1_11target_archE1100ELNS1_3gpuE3ELNS1_3repE0EEENS1_30default_config_static_selectorELNS0_4arch9wavefront6targetE1EEEvSW_.uses_flat_scratch, 0
	.set _ZN7rocprim17ROCPRIM_400000_NS6detail17trampoline_kernelINS0_14default_configENS1_27lower_bound_config_selectorIslEEZNS1_14transform_implILb0ES3_S5_N6thrust23THRUST_200600_302600_NS6detail15normal_iteratorINS8_7pointerIsNS8_11hip_rocprim5par_tENS8_11use_defaultESE_EEEENSA_INSB_IlSD_SE_SE_EEEEZNS1_13binary_searchIS3_S5_PsSG_SI_NS1_21lower_bound_search_opENS9_16wrapped_functionINS8_6system6detail7generic6detail18binary_search_lessEbEEEE10hipError_tPvRmT1_T2_T3_mmT4_T5_P12ihipStream_tbEUlRKsE_EEST_SX_SY_mSZ_S12_bEUlT_E_NS1_11comp_targetILNS1_3genE9ELNS1_11target_archE1100ELNS1_3gpuE3ELNS1_3repE0EEENS1_30default_config_static_selectorELNS0_4arch9wavefront6targetE1EEEvSW_.has_dyn_sized_stack, 0
	.set _ZN7rocprim17ROCPRIM_400000_NS6detail17trampoline_kernelINS0_14default_configENS1_27lower_bound_config_selectorIslEEZNS1_14transform_implILb0ES3_S5_N6thrust23THRUST_200600_302600_NS6detail15normal_iteratorINS8_7pointerIsNS8_11hip_rocprim5par_tENS8_11use_defaultESE_EEEENSA_INSB_IlSD_SE_SE_EEEEZNS1_13binary_searchIS3_S5_PsSG_SI_NS1_21lower_bound_search_opENS9_16wrapped_functionINS8_6system6detail7generic6detail18binary_search_lessEbEEEE10hipError_tPvRmT1_T2_T3_mmT4_T5_P12ihipStream_tbEUlRKsE_EEST_SX_SY_mSZ_S12_bEUlT_E_NS1_11comp_targetILNS1_3genE9ELNS1_11target_archE1100ELNS1_3gpuE3ELNS1_3repE0EEENS1_30default_config_static_selectorELNS0_4arch9wavefront6targetE1EEEvSW_.has_recursion, 0
	.set _ZN7rocprim17ROCPRIM_400000_NS6detail17trampoline_kernelINS0_14default_configENS1_27lower_bound_config_selectorIslEEZNS1_14transform_implILb0ES3_S5_N6thrust23THRUST_200600_302600_NS6detail15normal_iteratorINS8_7pointerIsNS8_11hip_rocprim5par_tENS8_11use_defaultESE_EEEENSA_INSB_IlSD_SE_SE_EEEEZNS1_13binary_searchIS3_S5_PsSG_SI_NS1_21lower_bound_search_opENS9_16wrapped_functionINS8_6system6detail7generic6detail18binary_search_lessEbEEEE10hipError_tPvRmT1_T2_T3_mmT4_T5_P12ihipStream_tbEUlRKsE_EEST_SX_SY_mSZ_S12_bEUlT_E_NS1_11comp_targetILNS1_3genE9ELNS1_11target_archE1100ELNS1_3gpuE3ELNS1_3repE0EEENS1_30default_config_static_selectorELNS0_4arch9wavefront6targetE1EEEvSW_.has_indirect_call, 0
	.section	.AMDGPU.csdata,"",@progbits
; Kernel info:
; codeLenInByte = 0
; TotalNumSgprs: 4
; NumVgprs: 0
; ScratchSize: 0
; MemoryBound: 0
; FloatMode: 240
; IeeeMode: 1
; LDSByteSize: 0 bytes/workgroup (compile time only)
; SGPRBlocks: 0
; VGPRBlocks: 0
; NumSGPRsForWavesPerEU: 4
; NumVGPRsForWavesPerEU: 1
; Occupancy: 10
; WaveLimiterHint : 0
; COMPUTE_PGM_RSRC2:SCRATCH_EN: 0
; COMPUTE_PGM_RSRC2:USER_SGPR: 6
; COMPUTE_PGM_RSRC2:TRAP_HANDLER: 0
; COMPUTE_PGM_RSRC2:TGID_X_EN: 1
; COMPUTE_PGM_RSRC2:TGID_Y_EN: 0
; COMPUTE_PGM_RSRC2:TGID_Z_EN: 0
; COMPUTE_PGM_RSRC2:TIDIG_COMP_CNT: 0
	.section	.text._ZN7rocprim17ROCPRIM_400000_NS6detail17trampoline_kernelINS0_14default_configENS1_27lower_bound_config_selectorIslEEZNS1_14transform_implILb0ES3_S5_N6thrust23THRUST_200600_302600_NS6detail15normal_iteratorINS8_7pointerIsNS8_11hip_rocprim5par_tENS8_11use_defaultESE_EEEENSA_INSB_IlSD_SE_SE_EEEEZNS1_13binary_searchIS3_S5_PsSG_SI_NS1_21lower_bound_search_opENS9_16wrapped_functionINS8_6system6detail7generic6detail18binary_search_lessEbEEEE10hipError_tPvRmT1_T2_T3_mmT4_T5_P12ihipStream_tbEUlRKsE_EEST_SX_SY_mSZ_S12_bEUlT_E_NS1_11comp_targetILNS1_3genE8ELNS1_11target_archE1030ELNS1_3gpuE2ELNS1_3repE0EEENS1_30default_config_static_selectorELNS0_4arch9wavefront6targetE1EEEvSW_,"axG",@progbits,_ZN7rocprim17ROCPRIM_400000_NS6detail17trampoline_kernelINS0_14default_configENS1_27lower_bound_config_selectorIslEEZNS1_14transform_implILb0ES3_S5_N6thrust23THRUST_200600_302600_NS6detail15normal_iteratorINS8_7pointerIsNS8_11hip_rocprim5par_tENS8_11use_defaultESE_EEEENSA_INSB_IlSD_SE_SE_EEEEZNS1_13binary_searchIS3_S5_PsSG_SI_NS1_21lower_bound_search_opENS9_16wrapped_functionINS8_6system6detail7generic6detail18binary_search_lessEbEEEE10hipError_tPvRmT1_T2_T3_mmT4_T5_P12ihipStream_tbEUlRKsE_EEST_SX_SY_mSZ_S12_bEUlT_E_NS1_11comp_targetILNS1_3genE8ELNS1_11target_archE1030ELNS1_3gpuE2ELNS1_3repE0EEENS1_30default_config_static_selectorELNS0_4arch9wavefront6targetE1EEEvSW_,comdat
	.protected	_ZN7rocprim17ROCPRIM_400000_NS6detail17trampoline_kernelINS0_14default_configENS1_27lower_bound_config_selectorIslEEZNS1_14transform_implILb0ES3_S5_N6thrust23THRUST_200600_302600_NS6detail15normal_iteratorINS8_7pointerIsNS8_11hip_rocprim5par_tENS8_11use_defaultESE_EEEENSA_INSB_IlSD_SE_SE_EEEEZNS1_13binary_searchIS3_S5_PsSG_SI_NS1_21lower_bound_search_opENS9_16wrapped_functionINS8_6system6detail7generic6detail18binary_search_lessEbEEEE10hipError_tPvRmT1_T2_T3_mmT4_T5_P12ihipStream_tbEUlRKsE_EEST_SX_SY_mSZ_S12_bEUlT_E_NS1_11comp_targetILNS1_3genE8ELNS1_11target_archE1030ELNS1_3gpuE2ELNS1_3repE0EEENS1_30default_config_static_selectorELNS0_4arch9wavefront6targetE1EEEvSW_ ; -- Begin function _ZN7rocprim17ROCPRIM_400000_NS6detail17trampoline_kernelINS0_14default_configENS1_27lower_bound_config_selectorIslEEZNS1_14transform_implILb0ES3_S5_N6thrust23THRUST_200600_302600_NS6detail15normal_iteratorINS8_7pointerIsNS8_11hip_rocprim5par_tENS8_11use_defaultESE_EEEENSA_INSB_IlSD_SE_SE_EEEEZNS1_13binary_searchIS3_S5_PsSG_SI_NS1_21lower_bound_search_opENS9_16wrapped_functionINS8_6system6detail7generic6detail18binary_search_lessEbEEEE10hipError_tPvRmT1_T2_T3_mmT4_T5_P12ihipStream_tbEUlRKsE_EEST_SX_SY_mSZ_S12_bEUlT_E_NS1_11comp_targetILNS1_3genE8ELNS1_11target_archE1030ELNS1_3gpuE2ELNS1_3repE0EEENS1_30default_config_static_selectorELNS0_4arch9wavefront6targetE1EEEvSW_
	.globl	_ZN7rocprim17ROCPRIM_400000_NS6detail17trampoline_kernelINS0_14default_configENS1_27lower_bound_config_selectorIslEEZNS1_14transform_implILb0ES3_S5_N6thrust23THRUST_200600_302600_NS6detail15normal_iteratorINS8_7pointerIsNS8_11hip_rocprim5par_tENS8_11use_defaultESE_EEEENSA_INSB_IlSD_SE_SE_EEEEZNS1_13binary_searchIS3_S5_PsSG_SI_NS1_21lower_bound_search_opENS9_16wrapped_functionINS8_6system6detail7generic6detail18binary_search_lessEbEEEE10hipError_tPvRmT1_T2_T3_mmT4_T5_P12ihipStream_tbEUlRKsE_EEST_SX_SY_mSZ_S12_bEUlT_E_NS1_11comp_targetILNS1_3genE8ELNS1_11target_archE1030ELNS1_3gpuE2ELNS1_3repE0EEENS1_30default_config_static_selectorELNS0_4arch9wavefront6targetE1EEEvSW_
	.p2align	8
	.type	_ZN7rocprim17ROCPRIM_400000_NS6detail17trampoline_kernelINS0_14default_configENS1_27lower_bound_config_selectorIslEEZNS1_14transform_implILb0ES3_S5_N6thrust23THRUST_200600_302600_NS6detail15normal_iteratorINS8_7pointerIsNS8_11hip_rocprim5par_tENS8_11use_defaultESE_EEEENSA_INSB_IlSD_SE_SE_EEEEZNS1_13binary_searchIS3_S5_PsSG_SI_NS1_21lower_bound_search_opENS9_16wrapped_functionINS8_6system6detail7generic6detail18binary_search_lessEbEEEE10hipError_tPvRmT1_T2_T3_mmT4_T5_P12ihipStream_tbEUlRKsE_EEST_SX_SY_mSZ_S12_bEUlT_E_NS1_11comp_targetILNS1_3genE8ELNS1_11target_archE1030ELNS1_3gpuE2ELNS1_3repE0EEENS1_30default_config_static_selectorELNS0_4arch9wavefront6targetE1EEEvSW_,@function
_ZN7rocprim17ROCPRIM_400000_NS6detail17trampoline_kernelINS0_14default_configENS1_27lower_bound_config_selectorIslEEZNS1_14transform_implILb0ES3_S5_N6thrust23THRUST_200600_302600_NS6detail15normal_iteratorINS8_7pointerIsNS8_11hip_rocprim5par_tENS8_11use_defaultESE_EEEENSA_INSB_IlSD_SE_SE_EEEEZNS1_13binary_searchIS3_S5_PsSG_SI_NS1_21lower_bound_search_opENS9_16wrapped_functionINS8_6system6detail7generic6detail18binary_search_lessEbEEEE10hipError_tPvRmT1_T2_T3_mmT4_T5_P12ihipStream_tbEUlRKsE_EEST_SX_SY_mSZ_S12_bEUlT_E_NS1_11comp_targetILNS1_3genE8ELNS1_11target_archE1030ELNS1_3gpuE2ELNS1_3repE0EEENS1_30default_config_static_selectorELNS0_4arch9wavefront6targetE1EEEvSW_: ; @_ZN7rocprim17ROCPRIM_400000_NS6detail17trampoline_kernelINS0_14default_configENS1_27lower_bound_config_selectorIslEEZNS1_14transform_implILb0ES3_S5_N6thrust23THRUST_200600_302600_NS6detail15normal_iteratorINS8_7pointerIsNS8_11hip_rocprim5par_tENS8_11use_defaultESE_EEEENSA_INSB_IlSD_SE_SE_EEEEZNS1_13binary_searchIS3_S5_PsSG_SI_NS1_21lower_bound_search_opENS9_16wrapped_functionINS8_6system6detail7generic6detail18binary_search_lessEbEEEE10hipError_tPvRmT1_T2_T3_mmT4_T5_P12ihipStream_tbEUlRKsE_EEST_SX_SY_mSZ_S12_bEUlT_E_NS1_11comp_targetILNS1_3genE8ELNS1_11target_archE1030ELNS1_3gpuE2ELNS1_3repE0EEENS1_30default_config_static_selectorELNS0_4arch9wavefront6targetE1EEEvSW_
; %bb.0:
	.section	.rodata,"a",@progbits
	.p2align	6, 0x0
	.amdhsa_kernel _ZN7rocprim17ROCPRIM_400000_NS6detail17trampoline_kernelINS0_14default_configENS1_27lower_bound_config_selectorIslEEZNS1_14transform_implILb0ES3_S5_N6thrust23THRUST_200600_302600_NS6detail15normal_iteratorINS8_7pointerIsNS8_11hip_rocprim5par_tENS8_11use_defaultESE_EEEENSA_INSB_IlSD_SE_SE_EEEEZNS1_13binary_searchIS3_S5_PsSG_SI_NS1_21lower_bound_search_opENS9_16wrapped_functionINS8_6system6detail7generic6detail18binary_search_lessEbEEEE10hipError_tPvRmT1_T2_T3_mmT4_T5_P12ihipStream_tbEUlRKsE_EEST_SX_SY_mSZ_S12_bEUlT_E_NS1_11comp_targetILNS1_3genE8ELNS1_11target_archE1030ELNS1_3gpuE2ELNS1_3repE0EEENS1_30default_config_static_selectorELNS0_4arch9wavefront6targetE1EEEvSW_
		.amdhsa_group_segment_fixed_size 0
		.amdhsa_private_segment_fixed_size 0
		.amdhsa_kernarg_size 56
		.amdhsa_user_sgpr_count 6
		.amdhsa_user_sgpr_private_segment_buffer 1
		.amdhsa_user_sgpr_dispatch_ptr 0
		.amdhsa_user_sgpr_queue_ptr 0
		.amdhsa_user_sgpr_kernarg_segment_ptr 1
		.amdhsa_user_sgpr_dispatch_id 0
		.amdhsa_user_sgpr_flat_scratch_init 0
		.amdhsa_user_sgpr_private_segment_size 0
		.amdhsa_uses_dynamic_stack 0
		.amdhsa_system_sgpr_private_segment_wavefront_offset 0
		.amdhsa_system_sgpr_workgroup_id_x 1
		.amdhsa_system_sgpr_workgroup_id_y 0
		.amdhsa_system_sgpr_workgroup_id_z 0
		.amdhsa_system_sgpr_workgroup_info 0
		.amdhsa_system_vgpr_workitem_id 0
		.amdhsa_next_free_vgpr 1
		.amdhsa_next_free_sgpr 0
		.amdhsa_reserve_vcc 0
		.amdhsa_reserve_flat_scratch 0
		.amdhsa_float_round_mode_32 0
		.amdhsa_float_round_mode_16_64 0
		.amdhsa_float_denorm_mode_32 3
		.amdhsa_float_denorm_mode_16_64 3
		.amdhsa_dx10_clamp 1
		.amdhsa_ieee_mode 1
		.amdhsa_fp16_overflow 0
		.amdhsa_exception_fp_ieee_invalid_op 0
		.amdhsa_exception_fp_denorm_src 0
		.amdhsa_exception_fp_ieee_div_zero 0
		.amdhsa_exception_fp_ieee_overflow 0
		.amdhsa_exception_fp_ieee_underflow 0
		.amdhsa_exception_fp_ieee_inexact 0
		.amdhsa_exception_int_div_zero 0
	.end_amdhsa_kernel
	.section	.text._ZN7rocprim17ROCPRIM_400000_NS6detail17trampoline_kernelINS0_14default_configENS1_27lower_bound_config_selectorIslEEZNS1_14transform_implILb0ES3_S5_N6thrust23THRUST_200600_302600_NS6detail15normal_iteratorINS8_7pointerIsNS8_11hip_rocprim5par_tENS8_11use_defaultESE_EEEENSA_INSB_IlSD_SE_SE_EEEEZNS1_13binary_searchIS3_S5_PsSG_SI_NS1_21lower_bound_search_opENS9_16wrapped_functionINS8_6system6detail7generic6detail18binary_search_lessEbEEEE10hipError_tPvRmT1_T2_T3_mmT4_T5_P12ihipStream_tbEUlRKsE_EEST_SX_SY_mSZ_S12_bEUlT_E_NS1_11comp_targetILNS1_3genE8ELNS1_11target_archE1030ELNS1_3gpuE2ELNS1_3repE0EEENS1_30default_config_static_selectorELNS0_4arch9wavefront6targetE1EEEvSW_,"axG",@progbits,_ZN7rocprim17ROCPRIM_400000_NS6detail17trampoline_kernelINS0_14default_configENS1_27lower_bound_config_selectorIslEEZNS1_14transform_implILb0ES3_S5_N6thrust23THRUST_200600_302600_NS6detail15normal_iteratorINS8_7pointerIsNS8_11hip_rocprim5par_tENS8_11use_defaultESE_EEEENSA_INSB_IlSD_SE_SE_EEEEZNS1_13binary_searchIS3_S5_PsSG_SI_NS1_21lower_bound_search_opENS9_16wrapped_functionINS8_6system6detail7generic6detail18binary_search_lessEbEEEE10hipError_tPvRmT1_T2_T3_mmT4_T5_P12ihipStream_tbEUlRKsE_EEST_SX_SY_mSZ_S12_bEUlT_E_NS1_11comp_targetILNS1_3genE8ELNS1_11target_archE1030ELNS1_3gpuE2ELNS1_3repE0EEENS1_30default_config_static_selectorELNS0_4arch9wavefront6targetE1EEEvSW_,comdat
.Lfunc_end160:
	.size	_ZN7rocprim17ROCPRIM_400000_NS6detail17trampoline_kernelINS0_14default_configENS1_27lower_bound_config_selectorIslEEZNS1_14transform_implILb0ES3_S5_N6thrust23THRUST_200600_302600_NS6detail15normal_iteratorINS8_7pointerIsNS8_11hip_rocprim5par_tENS8_11use_defaultESE_EEEENSA_INSB_IlSD_SE_SE_EEEEZNS1_13binary_searchIS3_S5_PsSG_SI_NS1_21lower_bound_search_opENS9_16wrapped_functionINS8_6system6detail7generic6detail18binary_search_lessEbEEEE10hipError_tPvRmT1_T2_T3_mmT4_T5_P12ihipStream_tbEUlRKsE_EEST_SX_SY_mSZ_S12_bEUlT_E_NS1_11comp_targetILNS1_3genE8ELNS1_11target_archE1030ELNS1_3gpuE2ELNS1_3repE0EEENS1_30default_config_static_selectorELNS0_4arch9wavefront6targetE1EEEvSW_, .Lfunc_end160-_ZN7rocprim17ROCPRIM_400000_NS6detail17trampoline_kernelINS0_14default_configENS1_27lower_bound_config_selectorIslEEZNS1_14transform_implILb0ES3_S5_N6thrust23THRUST_200600_302600_NS6detail15normal_iteratorINS8_7pointerIsNS8_11hip_rocprim5par_tENS8_11use_defaultESE_EEEENSA_INSB_IlSD_SE_SE_EEEEZNS1_13binary_searchIS3_S5_PsSG_SI_NS1_21lower_bound_search_opENS9_16wrapped_functionINS8_6system6detail7generic6detail18binary_search_lessEbEEEE10hipError_tPvRmT1_T2_T3_mmT4_T5_P12ihipStream_tbEUlRKsE_EEST_SX_SY_mSZ_S12_bEUlT_E_NS1_11comp_targetILNS1_3genE8ELNS1_11target_archE1030ELNS1_3gpuE2ELNS1_3repE0EEENS1_30default_config_static_selectorELNS0_4arch9wavefront6targetE1EEEvSW_
                                        ; -- End function
	.set _ZN7rocprim17ROCPRIM_400000_NS6detail17trampoline_kernelINS0_14default_configENS1_27lower_bound_config_selectorIslEEZNS1_14transform_implILb0ES3_S5_N6thrust23THRUST_200600_302600_NS6detail15normal_iteratorINS8_7pointerIsNS8_11hip_rocprim5par_tENS8_11use_defaultESE_EEEENSA_INSB_IlSD_SE_SE_EEEEZNS1_13binary_searchIS3_S5_PsSG_SI_NS1_21lower_bound_search_opENS9_16wrapped_functionINS8_6system6detail7generic6detail18binary_search_lessEbEEEE10hipError_tPvRmT1_T2_T3_mmT4_T5_P12ihipStream_tbEUlRKsE_EEST_SX_SY_mSZ_S12_bEUlT_E_NS1_11comp_targetILNS1_3genE8ELNS1_11target_archE1030ELNS1_3gpuE2ELNS1_3repE0EEENS1_30default_config_static_selectorELNS0_4arch9wavefront6targetE1EEEvSW_.num_vgpr, 0
	.set _ZN7rocprim17ROCPRIM_400000_NS6detail17trampoline_kernelINS0_14default_configENS1_27lower_bound_config_selectorIslEEZNS1_14transform_implILb0ES3_S5_N6thrust23THRUST_200600_302600_NS6detail15normal_iteratorINS8_7pointerIsNS8_11hip_rocprim5par_tENS8_11use_defaultESE_EEEENSA_INSB_IlSD_SE_SE_EEEEZNS1_13binary_searchIS3_S5_PsSG_SI_NS1_21lower_bound_search_opENS9_16wrapped_functionINS8_6system6detail7generic6detail18binary_search_lessEbEEEE10hipError_tPvRmT1_T2_T3_mmT4_T5_P12ihipStream_tbEUlRKsE_EEST_SX_SY_mSZ_S12_bEUlT_E_NS1_11comp_targetILNS1_3genE8ELNS1_11target_archE1030ELNS1_3gpuE2ELNS1_3repE0EEENS1_30default_config_static_selectorELNS0_4arch9wavefront6targetE1EEEvSW_.num_agpr, 0
	.set _ZN7rocprim17ROCPRIM_400000_NS6detail17trampoline_kernelINS0_14default_configENS1_27lower_bound_config_selectorIslEEZNS1_14transform_implILb0ES3_S5_N6thrust23THRUST_200600_302600_NS6detail15normal_iteratorINS8_7pointerIsNS8_11hip_rocprim5par_tENS8_11use_defaultESE_EEEENSA_INSB_IlSD_SE_SE_EEEEZNS1_13binary_searchIS3_S5_PsSG_SI_NS1_21lower_bound_search_opENS9_16wrapped_functionINS8_6system6detail7generic6detail18binary_search_lessEbEEEE10hipError_tPvRmT1_T2_T3_mmT4_T5_P12ihipStream_tbEUlRKsE_EEST_SX_SY_mSZ_S12_bEUlT_E_NS1_11comp_targetILNS1_3genE8ELNS1_11target_archE1030ELNS1_3gpuE2ELNS1_3repE0EEENS1_30default_config_static_selectorELNS0_4arch9wavefront6targetE1EEEvSW_.numbered_sgpr, 0
	.set _ZN7rocprim17ROCPRIM_400000_NS6detail17trampoline_kernelINS0_14default_configENS1_27lower_bound_config_selectorIslEEZNS1_14transform_implILb0ES3_S5_N6thrust23THRUST_200600_302600_NS6detail15normal_iteratorINS8_7pointerIsNS8_11hip_rocprim5par_tENS8_11use_defaultESE_EEEENSA_INSB_IlSD_SE_SE_EEEEZNS1_13binary_searchIS3_S5_PsSG_SI_NS1_21lower_bound_search_opENS9_16wrapped_functionINS8_6system6detail7generic6detail18binary_search_lessEbEEEE10hipError_tPvRmT1_T2_T3_mmT4_T5_P12ihipStream_tbEUlRKsE_EEST_SX_SY_mSZ_S12_bEUlT_E_NS1_11comp_targetILNS1_3genE8ELNS1_11target_archE1030ELNS1_3gpuE2ELNS1_3repE0EEENS1_30default_config_static_selectorELNS0_4arch9wavefront6targetE1EEEvSW_.num_named_barrier, 0
	.set _ZN7rocprim17ROCPRIM_400000_NS6detail17trampoline_kernelINS0_14default_configENS1_27lower_bound_config_selectorIslEEZNS1_14transform_implILb0ES3_S5_N6thrust23THRUST_200600_302600_NS6detail15normal_iteratorINS8_7pointerIsNS8_11hip_rocprim5par_tENS8_11use_defaultESE_EEEENSA_INSB_IlSD_SE_SE_EEEEZNS1_13binary_searchIS3_S5_PsSG_SI_NS1_21lower_bound_search_opENS9_16wrapped_functionINS8_6system6detail7generic6detail18binary_search_lessEbEEEE10hipError_tPvRmT1_T2_T3_mmT4_T5_P12ihipStream_tbEUlRKsE_EEST_SX_SY_mSZ_S12_bEUlT_E_NS1_11comp_targetILNS1_3genE8ELNS1_11target_archE1030ELNS1_3gpuE2ELNS1_3repE0EEENS1_30default_config_static_selectorELNS0_4arch9wavefront6targetE1EEEvSW_.private_seg_size, 0
	.set _ZN7rocprim17ROCPRIM_400000_NS6detail17trampoline_kernelINS0_14default_configENS1_27lower_bound_config_selectorIslEEZNS1_14transform_implILb0ES3_S5_N6thrust23THRUST_200600_302600_NS6detail15normal_iteratorINS8_7pointerIsNS8_11hip_rocprim5par_tENS8_11use_defaultESE_EEEENSA_INSB_IlSD_SE_SE_EEEEZNS1_13binary_searchIS3_S5_PsSG_SI_NS1_21lower_bound_search_opENS9_16wrapped_functionINS8_6system6detail7generic6detail18binary_search_lessEbEEEE10hipError_tPvRmT1_T2_T3_mmT4_T5_P12ihipStream_tbEUlRKsE_EEST_SX_SY_mSZ_S12_bEUlT_E_NS1_11comp_targetILNS1_3genE8ELNS1_11target_archE1030ELNS1_3gpuE2ELNS1_3repE0EEENS1_30default_config_static_selectorELNS0_4arch9wavefront6targetE1EEEvSW_.uses_vcc, 0
	.set _ZN7rocprim17ROCPRIM_400000_NS6detail17trampoline_kernelINS0_14default_configENS1_27lower_bound_config_selectorIslEEZNS1_14transform_implILb0ES3_S5_N6thrust23THRUST_200600_302600_NS6detail15normal_iteratorINS8_7pointerIsNS8_11hip_rocprim5par_tENS8_11use_defaultESE_EEEENSA_INSB_IlSD_SE_SE_EEEEZNS1_13binary_searchIS3_S5_PsSG_SI_NS1_21lower_bound_search_opENS9_16wrapped_functionINS8_6system6detail7generic6detail18binary_search_lessEbEEEE10hipError_tPvRmT1_T2_T3_mmT4_T5_P12ihipStream_tbEUlRKsE_EEST_SX_SY_mSZ_S12_bEUlT_E_NS1_11comp_targetILNS1_3genE8ELNS1_11target_archE1030ELNS1_3gpuE2ELNS1_3repE0EEENS1_30default_config_static_selectorELNS0_4arch9wavefront6targetE1EEEvSW_.uses_flat_scratch, 0
	.set _ZN7rocprim17ROCPRIM_400000_NS6detail17trampoline_kernelINS0_14default_configENS1_27lower_bound_config_selectorIslEEZNS1_14transform_implILb0ES3_S5_N6thrust23THRUST_200600_302600_NS6detail15normal_iteratorINS8_7pointerIsNS8_11hip_rocprim5par_tENS8_11use_defaultESE_EEEENSA_INSB_IlSD_SE_SE_EEEEZNS1_13binary_searchIS3_S5_PsSG_SI_NS1_21lower_bound_search_opENS9_16wrapped_functionINS8_6system6detail7generic6detail18binary_search_lessEbEEEE10hipError_tPvRmT1_T2_T3_mmT4_T5_P12ihipStream_tbEUlRKsE_EEST_SX_SY_mSZ_S12_bEUlT_E_NS1_11comp_targetILNS1_3genE8ELNS1_11target_archE1030ELNS1_3gpuE2ELNS1_3repE0EEENS1_30default_config_static_selectorELNS0_4arch9wavefront6targetE1EEEvSW_.has_dyn_sized_stack, 0
	.set _ZN7rocprim17ROCPRIM_400000_NS6detail17trampoline_kernelINS0_14default_configENS1_27lower_bound_config_selectorIslEEZNS1_14transform_implILb0ES3_S5_N6thrust23THRUST_200600_302600_NS6detail15normal_iteratorINS8_7pointerIsNS8_11hip_rocprim5par_tENS8_11use_defaultESE_EEEENSA_INSB_IlSD_SE_SE_EEEEZNS1_13binary_searchIS3_S5_PsSG_SI_NS1_21lower_bound_search_opENS9_16wrapped_functionINS8_6system6detail7generic6detail18binary_search_lessEbEEEE10hipError_tPvRmT1_T2_T3_mmT4_T5_P12ihipStream_tbEUlRKsE_EEST_SX_SY_mSZ_S12_bEUlT_E_NS1_11comp_targetILNS1_3genE8ELNS1_11target_archE1030ELNS1_3gpuE2ELNS1_3repE0EEENS1_30default_config_static_selectorELNS0_4arch9wavefront6targetE1EEEvSW_.has_recursion, 0
	.set _ZN7rocprim17ROCPRIM_400000_NS6detail17trampoline_kernelINS0_14default_configENS1_27lower_bound_config_selectorIslEEZNS1_14transform_implILb0ES3_S5_N6thrust23THRUST_200600_302600_NS6detail15normal_iteratorINS8_7pointerIsNS8_11hip_rocprim5par_tENS8_11use_defaultESE_EEEENSA_INSB_IlSD_SE_SE_EEEEZNS1_13binary_searchIS3_S5_PsSG_SI_NS1_21lower_bound_search_opENS9_16wrapped_functionINS8_6system6detail7generic6detail18binary_search_lessEbEEEE10hipError_tPvRmT1_T2_T3_mmT4_T5_P12ihipStream_tbEUlRKsE_EEST_SX_SY_mSZ_S12_bEUlT_E_NS1_11comp_targetILNS1_3genE8ELNS1_11target_archE1030ELNS1_3gpuE2ELNS1_3repE0EEENS1_30default_config_static_selectorELNS0_4arch9wavefront6targetE1EEEvSW_.has_indirect_call, 0
	.section	.AMDGPU.csdata,"",@progbits
; Kernel info:
; codeLenInByte = 0
; TotalNumSgprs: 4
; NumVgprs: 0
; ScratchSize: 0
; MemoryBound: 0
; FloatMode: 240
; IeeeMode: 1
; LDSByteSize: 0 bytes/workgroup (compile time only)
; SGPRBlocks: 0
; VGPRBlocks: 0
; NumSGPRsForWavesPerEU: 4
; NumVGPRsForWavesPerEU: 1
; Occupancy: 10
; WaveLimiterHint : 0
; COMPUTE_PGM_RSRC2:SCRATCH_EN: 0
; COMPUTE_PGM_RSRC2:USER_SGPR: 6
; COMPUTE_PGM_RSRC2:TRAP_HANDLER: 0
; COMPUTE_PGM_RSRC2:TGID_X_EN: 1
; COMPUTE_PGM_RSRC2:TGID_Y_EN: 0
; COMPUTE_PGM_RSRC2:TGID_Z_EN: 0
; COMPUTE_PGM_RSRC2:TIDIG_COMP_CNT: 0
	.section	.text._Z18upper_bound_kernelIdEvmPT_Pl,"axG",@progbits,_Z18upper_bound_kernelIdEvmPT_Pl,comdat
	.protected	_Z18upper_bound_kernelIdEvmPT_Pl ; -- Begin function _Z18upper_bound_kernelIdEvmPT_Pl
	.globl	_Z18upper_bound_kernelIdEvmPT_Pl
	.p2align	8
	.type	_Z18upper_bound_kernelIdEvmPT_Pl,@function
_Z18upper_bound_kernelIdEvmPT_Pl:       ; @_Z18upper_bound_kernelIdEvmPT_Pl
; %bb.0:
	s_load_dwordx4 s[0:3], s[4:5], 0x0
	s_load_dwordx2 s[6:7], s[4:5], 0x10
	s_mov_b64 s[8:9], -1
	s_waitcnt lgkmcnt(0)
	s_lshl_b64 s[0:1], s[0:1], 3
	s_add_u32 s0, s2, s0
	s_addc_u32 s1, s3, s1
	s_sub_u32 s0, s0, s2
	s_subb_u32 s1, s1, s3
	s_ashr_i64 s[4:5], s[0:1], 3
	v_cmp_lt_i64_e64 s[0:1], s[4:5], 1
	s_and_b64 s[0:1], exec, s[0:1]
	s_mov_b64 vcc, s[0:1]
	s_cbranch_vccz .LBB161_2
; %bb.1:
	v_mov_b32_e32 v0, 0
	v_mov_b32_e32 v1, v0
	global_store_dwordx2 v0, v[0:1], s[6:7]
	s_mov_b64 s[8:9], 0
.LBB161_2:
	s_andn2_b64 vcc, exec, s[8:9]
	s_mov_b64 s[8:9], 0
	s_cbranch_vccnz .LBB161_7
; %bb.3:
	s_mov_b64 s[10:11], s[4:5]
.LBB161_4:                              ; =>This Inner Loop Header: Depth=1
	s_sub_u32 s12, s10, s8
	s_subb_u32 s13, s11, s9
	s_lshr_b64 s[12:13], s[12:13], 1
	s_add_u32 s12, s12, s8
	s_addc_u32 s13, s13, s9
	s_lshl_b64 s[14:15], s[12:13], 3
	s_add_u32 s14, s2, s14
	s_addc_u32 s15, s3, s15
	s_load_dwordx2 s[14:15], s[14:15], 0x0
	s_add_u32 s16, s12, 1
	s_addc_u32 s17, s13, 0
	s_waitcnt lgkmcnt(0)
	v_cmp_gt_f64_e64 s[14:15], s[14:15], 0
	s_and_b64 s[14:15], s[14:15], exec
	s_cselect_b32 s10, s12, s10
	s_cselect_b32 s11, s13, s11
	v_mov_b32_e32 v0, s10
	s_cselect_b32 s9, s9, s17
	s_cselect_b32 s8, s8, s16
	v_mov_b32_e32 v1, s11
	v_cmp_lt_i64_e32 vcc, s[8:9], v[0:1]
	s_cbranch_vccnz .LBB161_4
; %bb.5:
	s_lshl_b64 s[8:9], s[8:9], 3
	s_add_u32 s8, s2, s8
	s_addc_u32 s9, s3, s9
	s_sub_u32 s8, s8, s2
	s_subb_u32 s9, s9, s3
	s_ashr_i64 s[8:9], s[8:9], 3
	v_mov_b32_e32 v0, s8
	v_mov_b32_e32 v2, 0
	;; [unrolled: 1-line block ×3, first 2 shown]
	s_mov_b64 s[8:9], 0
	s_mov_b64 s[10:11], s[4:5]
	global_store_dwordx2 v2, v[0:1], s[6:7]
.LBB161_6:                              ; =>This Inner Loop Header: Depth=1
	s_sub_u32 s12, s10, s8
	s_subb_u32 s13, s11, s9
	s_lshr_b64 s[12:13], s[12:13], 1
	s_add_u32 s12, s12, s8
	s_addc_u32 s13, s13, s9
	s_lshl_b64 s[14:15], s[12:13], 3
	s_add_u32 s14, s2, s14
	s_addc_u32 s15, s3, s15
	s_load_dwordx2 s[14:15], s[14:15], 0x0
	s_add_u32 s16, s12, 1
	s_addc_u32 s17, s13, 0
	s_waitcnt lgkmcnt(0)
	v_cmp_gt_f64_e64 s[14:15], s[14:15], 1.0
	s_and_b64 s[14:15], s[14:15], exec
	s_cselect_b32 s10, s12, s10
	s_cselect_b32 s11, s13, s11
	v_mov_b32_e32 v0, s10
	s_cselect_b32 s9, s9, s17
	s_cselect_b32 s8, s8, s16
	v_mov_b32_e32 v1, s11
	v_cmp_ge_i64_e32 vcc, s[8:9], v[0:1]
	s_cbranch_vccz .LBB161_6
.LBB161_7:
	s_lshl_b64 s[8:9], s[8:9], 3
	s_add_u32 s8, s2, s8
	s_addc_u32 s9, s3, s9
	s_sub_u32 s8, s8, s2
	s_subb_u32 s9, s9, s3
	s_ashr_i64 s[8:9], s[8:9], 3
	v_mov_b32_e32 v1, s8
	v_mov_b32_e32 v0, 0
	;; [unrolled: 1-line block ×3, first 2 shown]
	s_mov_b64 s[8:9], -1
	s_mov_b64 vcc, s[0:1]
	global_store_dwordx2 v0, v[1:2], s[6:7] offset:8
	s_cbranch_vccz .LBB161_9
; %bb.8:
	v_mov_b32_e32 v1, v0
	global_store_dwordx2 v0, v[0:1], s[6:7] offset:16
	s_mov_b64 s[8:9], 0
.LBB161_9:
	s_andn2_b64 vcc, exec, s[8:9]
	s_mov_b64 s[8:9], 0
	s_cbranch_vccnz .LBB161_14
; %bb.10:
	s_mov_b64 s[10:11], s[4:5]
.LBB161_11:                             ; =>This Inner Loop Header: Depth=1
	s_sub_u32 s12, s10, s8
	s_subb_u32 s13, s11, s9
	s_lshr_b64 s[12:13], s[12:13], 1
	s_add_u32 s12, s12, s8
	s_addc_u32 s13, s13, s9
	s_lshl_b64 s[14:15], s[12:13], 3
	s_add_u32 s14, s2, s14
	s_addc_u32 s15, s3, s15
	s_load_dwordx2 s[14:15], s[14:15], 0x0
	s_add_u32 s16, s12, 1
	s_addc_u32 s17, s13, 0
	s_waitcnt lgkmcnt(0)
	v_cmp_gt_f64_e64 s[14:15], s[14:15], 2.0
	s_and_b64 s[14:15], s[14:15], exec
	s_cselect_b32 s10, s12, s10
	s_cselect_b32 s11, s13, s11
	v_mov_b32_e32 v0, s10
	s_cselect_b32 s9, s9, s17
	s_cselect_b32 s8, s8, s16
	v_mov_b32_e32 v1, s11
	v_cmp_lt_i64_e32 vcc, s[8:9], v[0:1]
	s_cbranch_vccnz .LBB161_11
; %bb.12:
	s_lshl_b64 s[8:9], s[8:9], 3
	s_add_u32 s8, s2, s8
	s_addc_u32 s9, s3, s9
	s_sub_u32 s8, s8, s2
	s_subb_u32 s9, s9, s3
	s_ashr_i64 s[8:9], s[8:9], 3
	v_mov_b32_e32 v0, s8
	v_mov_b32_e32 v2, 0
	;; [unrolled: 1-line block ×3, first 2 shown]
	global_store_dwordx2 v2, v[0:1], s[6:7] offset:16
	v_mov_b32_e32 v0, 0
	s_mov_b64 s[8:9], 0
	v_mov_b32_e32 v1, 0x40080000
	s_mov_b64 s[10:11], s[4:5]
.LBB161_13:                             ; =>This Inner Loop Header: Depth=1
	s_sub_u32 s12, s10, s8
	s_subb_u32 s13, s11, s9
	s_lshr_b64 s[12:13], s[12:13], 1
	s_add_u32 s12, s12, s8
	s_addc_u32 s13, s13, s9
	s_lshl_b64 s[14:15], s[12:13], 3
	s_add_u32 s14, s2, s14
	s_addc_u32 s15, s3, s15
	s_load_dwordx2 s[14:15], s[14:15], 0x0
	s_add_u32 s16, s12, 1
	s_addc_u32 s17, s13, 0
	s_waitcnt lgkmcnt(0)
	v_cmp_gt_f64_e32 vcc, s[14:15], v[0:1]
	s_and_b64 s[14:15], vcc, exec
	s_cselect_b32 s10, s12, s10
	s_cselect_b32 s11, s13, s11
	v_mov_b32_e32 v2, s10
	s_cselect_b32 s9, s9, s17
	s_cselect_b32 s8, s8, s16
	v_mov_b32_e32 v3, s11
	v_cmp_ge_i64_e32 vcc, s[8:9], v[2:3]
	s_cbranch_vccz .LBB161_13
.LBB161_14:
	s_lshl_b64 s[8:9], s[8:9], 3
	s_add_u32 s8, s2, s8
	s_addc_u32 s9, s3, s9
	s_sub_u32 s8, s8, s2
	s_subb_u32 s9, s9, s3
	s_ashr_i64 s[8:9], s[8:9], 3
	v_mov_b32_e32 v1, s8
	v_mov_b32_e32 v0, 0
	;; [unrolled: 1-line block ×3, first 2 shown]
	s_mov_b64 s[8:9], -1
	s_mov_b64 vcc, s[0:1]
	global_store_dwordx2 v0, v[1:2], s[6:7] offset:24
	s_cbranch_vccz .LBB161_16
; %bb.15:
	v_mov_b32_e32 v1, v0
	global_store_dwordx2 v0, v[0:1], s[6:7] offset:32
	s_mov_b64 s[8:9], 0
.LBB161_16:
	s_andn2_b64 vcc, exec, s[8:9]
	s_mov_b64 s[8:9], 0
	s_cbranch_vccnz .LBB161_21
; %bb.17:
	s_mov_b64 s[10:11], s[4:5]
.LBB161_18:                             ; =>This Inner Loop Header: Depth=1
	s_sub_u32 s12, s10, s8
	s_subb_u32 s13, s11, s9
	s_lshr_b64 s[12:13], s[12:13], 1
	s_add_u32 s12, s12, s8
	s_addc_u32 s13, s13, s9
	s_lshl_b64 s[14:15], s[12:13], 3
	s_add_u32 s14, s2, s14
	s_addc_u32 s15, s3, s15
	s_load_dwordx2 s[14:15], s[14:15], 0x0
	s_add_u32 s16, s12, 1
	s_addc_u32 s17, s13, 0
	s_waitcnt lgkmcnt(0)
	v_cmp_gt_f64_e64 s[14:15], s[14:15], 4.0
	s_and_b64 s[14:15], s[14:15], exec
	s_cselect_b32 s10, s12, s10
	s_cselect_b32 s11, s13, s11
	v_mov_b32_e32 v0, s10
	s_cselect_b32 s9, s9, s17
	s_cselect_b32 s8, s8, s16
	v_mov_b32_e32 v1, s11
	v_cmp_lt_i64_e32 vcc, s[8:9], v[0:1]
	s_cbranch_vccnz .LBB161_18
; %bb.19:
	s_lshl_b64 s[8:9], s[8:9], 3
	s_add_u32 s8, s2, s8
	s_addc_u32 s9, s3, s9
	s_sub_u32 s8, s8, s2
	s_subb_u32 s9, s9, s3
	s_ashr_i64 s[8:9], s[8:9], 3
	v_mov_b32_e32 v0, s8
	v_mov_b32_e32 v2, 0
	;; [unrolled: 1-line block ×3, first 2 shown]
	global_store_dwordx2 v2, v[0:1], s[6:7] offset:32
	v_mov_b32_e32 v0, 0
	s_mov_b64 s[8:9], 0
	v_mov_b32_e32 v1, 0x40140000
	s_mov_b64 s[10:11], s[4:5]
.LBB161_20:                             ; =>This Inner Loop Header: Depth=1
	s_sub_u32 s12, s10, s8
	s_subb_u32 s13, s11, s9
	s_lshr_b64 s[12:13], s[12:13], 1
	s_add_u32 s12, s12, s8
	s_addc_u32 s13, s13, s9
	s_lshl_b64 s[14:15], s[12:13], 3
	s_add_u32 s14, s2, s14
	s_addc_u32 s15, s3, s15
	s_load_dwordx2 s[14:15], s[14:15], 0x0
	s_add_u32 s16, s12, 1
	s_addc_u32 s17, s13, 0
	s_waitcnt lgkmcnt(0)
	v_cmp_gt_f64_e32 vcc, s[14:15], v[0:1]
	s_and_b64 s[14:15], vcc, exec
	s_cselect_b32 s10, s12, s10
	s_cselect_b32 s11, s13, s11
	v_mov_b32_e32 v2, s10
	s_cselect_b32 s9, s9, s17
	s_cselect_b32 s8, s8, s16
	v_mov_b32_e32 v3, s11
	v_cmp_ge_i64_e32 vcc, s[8:9], v[2:3]
	s_cbranch_vccz .LBB161_20
.LBB161_21:
	s_lshl_b64 s[8:9], s[8:9], 3
	s_add_u32 s8, s2, s8
	s_addc_u32 s9, s3, s9
	s_sub_u32 s8, s8, s2
	s_subb_u32 s9, s9, s3
	s_ashr_i64 s[8:9], s[8:9], 3
	v_mov_b32_e32 v1, s8
	v_mov_b32_e32 v0, 0
	v_mov_b32_e32 v2, s9
	s_mov_b64 s[8:9], -1
	s_mov_b64 vcc, s[0:1]
	global_store_dwordx2 v0, v[1:2], s[6:7] offset:40
	s_cbranch_vccz .LBB161_23
; %bb.22:
	v_mov_b32_e32 v1, v0
	global_store_dwordx2 v0, v[0:1], s[6:7] offset:48
	s_mov_b64 s[8:9], 0
.LBB161_23:
	s_andn2_b64 vcc, exec, s[8:9]
	s_mov_b64 s[8:9], 0
	s_cbranch_vccnz .LBB161_28
; %bb.24:
	v_mov_b32_e32 v0, 0
	v_mov_b32_e32 v1, 0x40180000
	s_mov_b64 s[10:11], s[4:5]
.LBB161_25:                             ; =>This Inner Loop Header: Depth=1
	s_sub_u32 s12, s10, s8
	s_subb_u32 s13, s11, s9
	s_lshr_b64 s[12:13], s[12:13], 1
	s_add_u32 s12, s12, s8
	s_addc_u32 s13, s13, s9
	s_lshl_b64 s[14:15], s[12:13], 3
	s_add_u32 s14, s2, s14
	s_addc_u32 s15, s3, s15
	s_load_dwordx2 s[14:15], s[14:15], 0x0
	s_add_u32 s16, s12, 1
	s_addc_u32 s17, s13, 0
	s_waitcnt lgkmcnt(0)
	v_cmp_gt_f64_e32 vcc, s[14:15], v[0:1]
	s_and_b64 s[14:15], vcc, exec
	s_cselect_b32 s10, s12, s10
	s_cselect_b32 s11, s13, s11
	v_mov_b32_e32 v2, s10
	s_cselect_b32 s9, s9, s17
	s_cselect_b32 s8, s8, s16
	v_mov_b32_e32 v3, s11
	v_cmp_lt_i64_e32 vcc, s[8:9], v[2:3]
	s_cbranch_vccnz .LBB161_25
; %bb.26:
	s_lshl_b64 s[8:9], s[8:9], 3
	s_add_u32 s8, s2, s8
	s_addc_u32 s9, s3, s9
	s_sub_u32 s8, s8, s2
	s_subb_u32 s9, s9, s3
	s_ashr_i64 s[8:9], s[8:9], 3
	v_mov_b32_e32 v0, s8
	v_mov_b32_e32 v2, 0
	;; [unrolled: 1-line block ×3, first 2 shown]
	global_store_dwordx2 v2, v[0:1], s[6:7] offset:48
	v_mov_b32_e32 v0, 0
	s_mov_b64 s[8:9], 0
	v_mov_b32_e32 v1, 0x401c0000
	s_mov_b64 s[10:11], s[4:5]
.LBB161_27:                             ; =>This Inner Loop Header: Depth=1
	s_sub_u32 s12, s10, s8
	s_subb_u32 s13, s11, s9
	s_lshr_b64 s[12:13], s[12:13], 1
	s_add_u32 s12, s12, s8
	s_addc_u32 s13, s13, s9
	s_lshl_b64 s[14:15], s[12:13], 3
	s_add_u32 s14, s2, s14
	s_addc_u32 s15, s3, s15
	s_load_dwordx2 s[14:15], s[14:15], 0x0
	s_add_u32 s16, s12, 1
	s_addc_u32 s17, s13, 0
	s_waitcnt lgkmcnt(0)
	v_cmp_gt_f64_e32 vcc, s[14:15], v[0:1]
	s_and_b64 s[14:15], vcc, exec
	s_cselect_b32 s10, s12, s10
	s_cselect_b32 s11, s13, s11
	v_mov_b32_e32 v2, s10
	s_cselect_b32 s9, s9, s17
	s_cselect_b32 s8, s8, s16
	v_mov_b32_e32 v3, s11
	v_cmp_ge_i64_e32 vcc, s[8:9], v[2:3]
	s_cbranch_vccz .LBB161_27
.LBB161_28:
	s_lshl_b64 s[8:9], s[8:9], 3
	s_add_u32 s8, s2, s8
	s_addc_u32 s9, s3, s9
	s_sub_u32 s8, s8, s2
	s_subb_u32 s9, s9, s3
	s_ashr_i64 s[8:9], s[8:9], 3
	v_mov_b32_e32 v1, s8
	v_mov_b32_e32 v0, 0
	v_mov_b32_e32 v2, s9
	s_mov_b64 s[8:9], -1
	s_mov_b64 vcc, s[0:1]
	global_store_dwordx2 v0, v[1:2], s[6:7] offset:56
	s_cbranch_vccz .LBB161_30
; %bb.29:
	v_mov_b32_e32 v1, v0
	global_store_dwordx2 v0, v[0:1], s[6:7] offset:64
	s_mov_b64 s[8:9], 0
.LBB161_30:
	s_andn2_b64 vcc, exec, s[8:9]
	s_mov_b64 s[0:1], 0
	s_cbranch_vccnz .LBB161_35
; %bb.31:
	v_mov_b32_e32 v0, 0
	v_mov_b32_e32 v1, 0x40200000
	s_mov_b64 s[8:9], s[4:5]
.LBB161_32:                             ; =>This Inner Loop Header: Depth=1
	s_sub_u32 s10, s8, s0
	s_subb_u32 s11, s9, s1
	s_lshr_b64 s[10:11], s[10:11], 1
	s_add_u32 s10, s10, s0
	s_addc_u32 s11, s11, s1
	s_lshl_b64 s[12:13], s[10:11], 3
	s_add_u32 s12, s2, s12
	s_addc_u32 s13, s3, s13
	s_load_dwordx2 s[12:13], s[12:13], 0x0
	s_add_u32 s14, s10, 1
	s_addc_u32 s15, s11, 0
	s_waitcnt lgkmcnt(0)
	v_cmp_gt_f64_e32 vcc, s[12:13], v[0:1]
	s_and_b64 s[12:13], vcc, exec
	s_cselect_b32 s8, s10, s8
	s_cselect_b32 s9, s11, s9
	v_mov_b32_e32 v2, s8
	s_cselect_b32 s1, s1, s15
	s_cselect_b32 s0, s0, s14
	v_mov_b32_e32 v3, s9
	v_cmp_lt_i64_e32 vcc, s[0:1], v[2:3]
	s_cbranch_vccnz .LBB161_32
; %bb.33:
	s_lshl_b64 s[0:1], s[0:1], 3
	s_add_u32 s0, s2, s0
	s_addc_u32 s1, s3, s1
	s_sub_u32 s0, s0, s2
	s_subb_u32 s1, s1, s3
	s_ashr_i64 s[0:1], s[0:1], 3
	v_mov_b32_e32 v0, s0
	v_mov_b32_e32 v2, 0
	v_mov_b32_e32 v1, s1
	global_store_dwordx2 v2, v[0:1], s[6:7] offset:64
	v_mov_b32_e32 v0, 0
	v_mov_b32_e32 v1, 0x40220000
	s_mov_b64 s[0:1], 0
.LBB161_34:                             ; =>This Inner Loop Header: Depth=1
	s_sub_u32 s8, s4, s0
	s_subb_u32 s9, s5, s1
	s_lshr_b64 s[8:9], s[8:9], 1
	s_add_u32 s8, s8, s0
	s_addc_u32 s9, s9, s1
	s_lshl_b64 s[10:11], s[8:9], 3
	s_add_u32 s10, s2, s10
	s_addc_u32 s11, s3, s11
	s_load_dwordx2 s[10:11], s[10:11], 0x0
	s_add_u32 s12, s8, 1
	s_addc_u32 s13, s9, 0
	s_waitcnt lgkmcnt(0)
	v_cmp_gt_f64_e32 vcc, s[10:11], v[0:1]
	s_and_b64 s[10:11], vcc, exec
	s_cselect_b32 s4, s8, s4
	s_cselect_b32 s5, s9, s5
	v_mov_b32_e32 v2, s4
	s_cselect_b32 s1, s1, s13
	s_cselect_b32 s0, s0, s12
	v_mov_b32_e32 v3, s5
	v_cmp_ge_i64_e32 vcc, s[0:1], v[2:3]
	s_cbranch_vccz .LBB161_34
.LBB161_35:
	s_lshl_b64 s[0:1], s[0:1], 3
	s_add_u32 s0, s2, s0
	s_addc_u32 s1, s3, s1
	s_sub_u32 s0, s0, s2
	s_subb_u32 s1, s1, s3
	s_ashr_i64 s[0:1], s[0:1], 3
	v_mov_b32_e32 v0, s0
	v_mov_b32_e32 v2, 0
	;; [unrolled: 1-line block ×3, first 2 shown]
	global_store_dwordx2 v2, v[0:1], s[6:7] offset:72
	s_endpgm
	.section	.rodata,"a",@progbits
	.p2align	6, 0x0
	.amdhsa_kernel _Z18upper_bound_kernelIdEvmPT_Pl
		.amdhsa_group_segment_fixed_size 0
		.amdhsa_private_segment_fixed_size 0
		.amdhsa_kernarg_size 24
		.amdhsa_user_sgpr_count 6
		.amdhsa_user_sgpr_private_segment_buffer 1
		.amdhsa_user_sgpr_dispatch_ptr 0
		.amdhsa_user_sgpr_queue_ptr 0
		.amdhsa_user_sgpr_kernarg_segment_ptr 1
		.amdhsa_user_sgpr_dispatch_id 0
		.amdhsa_user_sgpr_flat_scratch_init 0
		.amdhsa_user_sgpr_private_segment_size 0
		.amdhsa_uses_dynamic_stack 0
		.amdhsa_system_sgpr_private_segment_wavefront_offset 0
		.amdhsa_system_sgpr_workgroup_id_x 1
		.amdhsa_system_sgpr_workgroup_id_y 0
		.amdhsa_system_sgpr_workgroup_id_z 0
		.amdhsa_system_sgpr_workgroup_info 0
		.amdhsa_system_vgpr_workitem_id 0
		.amdhsa_next_free_vgpr 4
		.amdhsa_next_free_sgpr 18
		.amdhsa_reserve_vcc 1
		.amdhsa_reserve_flat_scratch 0
		.amdhsa_float_round_mode_32 0
		.amdhsa_float_round_mode_16_64 0
		.amdhsa_float_denorm_mode_32 3
		.amdhsa_float_denorm_mode_16_64 3
		.amdhsa_dx10_clamp 1
		.amdhsa_ieee_mode 1
		.amdhsa_fp16_overflow 0
		.amdhsa_exception_fp_ieee_invalid_op 0
		.amdhsa_exception_fp_denorm_src 0
		.amdhsa_exception_fp_ieee_div_zero 0
		.amdhsa_exception_fp_ieee_overflow 0
		.amdhsa_exception_fp_ieee_underflow 0
		.amdhsa_exception_fp_ieee_inexact 0
		.amdhsa_exception_int_div_zero 0
	.end_amdhsa_kernel
	.section	.text._Z18upper_bound_kernelIdEvmPT_Pl,"axG",@progbits,_Z18upper_bound_kernelIdEvmPT_Pl,comdat
.Lfunc_end161:
	.size	_Z18upper_bound_kernelIdEvmPT_Pl, .Lfunc_end161-_Z18upper_bound_kernelIdEvmPT_Pl
                                        ; -- End function
	.set _Z18upper_bound_kernelIdEvmPT_Pl.num_vgpr, 4
	.set _Z18upper_bound_kernelIdEvmPT_Pl.num_agpr, 0
	.set _Z18upper_bound_kernelIdEvmPT_Pl.numbered_sgpr, 18
	.set _Z18upper_bound_kernelIdEvmPT_Pl.num_named_barrier, 0
	.set _Z18upper_bound_kernelIdEvmPT_Pl.private_seg_size, 0
	.set _Z18upper_bound_kernelIdEvmPT_Pl.uses_vcc, 1
	.set _Z18upper_bound_kernelIdEvmPT_Pl.uses_flat_scratch, 0
	.set _Z18upper_bound_kernelIdEvmPT_Pl.has_dyn_sized_stack, 0
	.set _Z18upper_bound_kernelIdEvmPT_Pl.has_recursion, 0
	.set _Z18upper_bound_kernelIdEvmPT_Pl.has_indirect_call, 0
	.section	.AMDGPU.csdata,"",@progbits
; Kernel info:
; codeLenInByte = 1768
; TotalNumSgprs: 22
; NumVgprs: 4
; ScratchSize: 0
; MemoryBound: 0
; FloatMode: 240
; IeeeMode: 1
; LDSByteSize: 0 bytes/workgroup (compile time only)
; SGPRBlocks: 2
; VGPRBlocks: 0
; NumSGPRsForWavesPerEU: 22
; NumVGPRsForWavesPerEU: 4
; Occupancy: 10
; WaveLimiterHint : 0
; COMPUTE_PGM_RSRC2:SCRATCH_EN: 0
; COMPUTE_PGM_RSRC2:USER_SGPR: 6
; COMPUTE_PGM_RSRC2:TRAP_HANDLER: 0
; COMPUTE_PGM_RSRC2:TGID_X_EN: 1
; COMPUTE_PGM_RSRC2:TGID_Y_EN: 0
; COMPUTE_PGM_RSRC2:TGID_Z_EN: 0
; COMPUTE_PGM_RSRC2:TIDIG_COMP_CNT: 0
	.section	.text._ZN7rocprim17ROCPRIM_400000_NS6detail17trampoline_kernelINS0_14default_configENS1_27upper_bound_config_selectorIdlEEZNS1_14transform_implILb0ES3_S5_N6thrust23THRUST_200600_302600_NS6detail15normal_iteratorINS8_7pointerIdNS8_11hip_rocprim5par_tENS8_11use_defaultESE_EEEENSA_INSB_IlSD_SE_SE_EEEEZNS1_13binary_searchIS3_S5_PdSG_SI_NS1_21upper_bound_search_opENS9_16wrapped_functionINS8_6system6detail7generic6detail18binary_search_lessEbEEEE10hipError_tPvRmT1_T2_T3_mmT4_T5_P12ihipStream_tbEUlRKdE_EEST_SX_SY_mSZ_S12_bEUlT_E_NS1_11comp_targetILNS1_3genE0ELNS1_11target_archE4294967295ELNS1_3gpuE0ELNS1_3repE0EEENS1_30default_config_static_selectorELNS0_4arch9wavefront6targetE1EEEvSW_,"axG",@progbits,_ZN7rocprim17ROCPRIM_400000_NS6detail17trampoline_kernelINS0_14default_configENS1_27upper_bound_config_selectorIdlEEZNS1_14transform_implILb0ES3_S5_N6thrust23THRUST_200600_302600_NS6detail15normal_iteratorINS8_7pointerIdNS8_11hip_rocprim5par_tENS8_11use_defaultESE_EEEENSA_INSB_IlSD_SE_SE_EEEEZNS1_13binary_searchIS3_S5_PdSG_SI_NS1_21upper_bound_search_opENS9_16wrapped_functionINS8_6system6detail7generic6detail18binary_search_lessEbEEEE10hipError_tPvRmT1_T2_T3_mmT4_T5_P12ihipStream_tbEUlRKdE_EEST_SX_SY_mSZ_S12_bEUlT_E_NS1_11comp_targetILNS1_3genE0ELNS1_11target_archE4294967295ELNS1_3gpuE0ELNS1_3repE0EEENS1_30default_config_static_selectorELNS0_4arch9wavefront6targetE1EEEvSW_,comdat
	.protected	_ZN7rocprim17ROCPRIM_400000_NS6detail17trampoline_kernelINS0_14default_configENS1_27upper_bound_config_selectorIdlEEZNS1_14transform_implILb0ES3_S5_N6thrust23THRUST_200600_302600_NS6detail15normal_iteratorINS8_7pointerIdNS8_11hip_rocprim5par_tENS8_11use_defaultESE_EEEENSA_INSB_IlSD_SE_SE_EEEEZNS1_13binary_searchIS3_S5_PdSG_SI_NS1_21upper_bound_search_opENS9_16wrapped_functionINS8_6system6detail7generic6detail18binary_search_lessEbEEEE10hipError_tPvRmT1_T2_T3_mmT4_T5_P12ihipStream_tbEUlRKdE_EEST_SX_SY_mSZ_S12_bEUlT_E_NS1_11comp_targetILNS1_3genE0ELNS1_11target_archE4294967295ELNS1_3gpuE0ELNS1_3repE0EEENS1_30default_config_static_selectorELNS0_4arch9wavefront6targetE1EEEvSW_ ; -- Begin function _ZN7rocprim17ROCPRIM_400000_NS6detail17trampoline_kernelINS0_14default_configENS1_27upper_bound_config_selectorIdlEEZNS1_14transform_implILb0ES3_S5_N6thrust23THRUST_200600_302600_NS6detail15normal_iteratorINS8_7pointerIdNS8_11hip_rocprim5par_tENS8_11use_defaultESE_EEEENSA_INSB_IlSD_SE_SE_EEEEZNS1_13binary_searchIS3_S5_PdSG_SI_NS1_21upper_bound_search_opENS9_16wrapped_functionINS8_6system6detail7generic6detail18binary_search_lessEbEEEE10hipError_tPvRmT1_T2_T3_mmT4_T5_P12ihipStream_tbEUlRKdE_EEST_SX_SY_mSZ_S12_bEUlT_E_NS1_11comp_targetILNS1_3genE0ELNS1_11target_archE4294967295ELNS1_3gpuE0ELNS1_3repE0EEENS1_30default_config_static_selectorELNS0_4arch9wavefront6targetE1EEEvSW_
	.globl	_ZN7rocprim17ROCPRIM_400000_NS6detail17trampoline_kernelINS0_14default_configENS1_27upper_bound_config_selectorIdlEEZNS1_14transform_implILb0ES3_S5_N6thrust23THRUST_200600_302600_NS6detail15normal_iteratorINS8_7pointerIdNS8_11hip_rocprim5par_tENS8_11use_defaultESE_EEEENSA_INSB_IlSD_SE_SE_EEEEZNS1_13binary_searchIS3_S5_PdSG_SI_NS1_21upper_bound_search_opENS9_16wrapped_functionINS8_6system6detail7generic6detail18binary_search_lessEbEEEE10hipError_tPvRmT1_T2_T3_mmT4_T5_P12ihipStream_tbEUlRKdE_EEST_SX_SY_mSZ_S12_bEUlT_E_NS1_11comp_targetILNS1_3genE0ELNS1_11target_archE4294967295ELNS1_3gpuE0ELNS1_3repE0EEENS1_30default_config_static_selectorELNS0_4arch9wavefront6targetE1EEEvSW_
	.p2align	8
	.type	_ZN7rocprim17ROCPRIM_400000_NS6detail17trampoline_kernelINS0_14default_configENS1_27upper_bound_config_selectorIdlEEZNS1_14transform_implILb0ES3_S5_N6thrust23THRUST_200600_302600_NS6detail15normal_iteratorINS8_7pointerIdNS8_11hip_rocprim5par_tENS8_11use_defaultESE_EEEENSA_INSB_IlSD_SE_SE_EEEEZNS1_13binary_searchIS3_S5_PdSG_SI_NS1_21upper_bound_search_opENS9_16wrapped_functionINS8_6system6detail7generic6detail18binary_search_lessEbEEEE10hipError_tPvRmT1_T2_T3_mmT4_T5_P12ihipStream_tbEUlRKdE_EEST_SX_SY_mSZ_S12_bEUlT_E_NS1_11comp_targetILNS1_3genE0ELNS1_11target_archE4294967295ELNS1_3gpuE0ELNS1_3repE0EEENS1_30default_config_static_selectorELNS0_4arch9wavefront6targetE1EEEvSW_,@function
_ZN7rocprim17ROCPRIM_400000_NS6detail17trampoline_kernelINS0_14default_configENS1_27upper_bound_config_selectorIdlEEZNS1_14transform_implILb0ES3_S5_N6thrust23THRUST_200600_302600_NS6detail15normal_iteratorINS8_7pointerIdNS8_11hip_rocprim5par_tENS8_11use_defaultESE_EEEENSA_INSB_IlSD_SE_SE_EEEEZNS1_13binary_searchIS3_S5_PdSG_SI_NS1_21upper_bound_search_opENS9_16wrapped_functionINS8_6system6detail7generic6detail18binary_search_lessEbEEEE10hipError_tPvRmT1_T2_T3_mmT4_T5_P12ihipStream_tbEUlRKdE_EEST_SX_SY_mSZ_S12_bEUlT_E_NS1_11comp_targetILNS1_3genE0ELNS1_11target_archE4294967295ELNS1_3gpuE0ELNS1_3repE0EEENS1_30default_config_static_selectorELNS0_4arch9wavefront6targetE1EEEvSW_: ; @_ZN7rocprim17ROCPRIM_400000_NS6detail17trampoline_kernelINS0_14default_configENS1_27upper_bound_config_selectorIdlEEZNS1_14transform_implILb0ES3_S5_N6thrust23THRUST_200600_302600_NS6detail15normal_iteratorINS8_7pointerIdNS8_11hip_rocprim5par_tENS8_11use_defaultESE_EEEENSA_INSB_IlSD_SE_SE_EEEEZNS1_13binary_searchIS3_S5_PdSG_SI_NS1_21upper_bound_search_opENS9_16wrapped_functionINS8_6system6detail7generic6detail18binary_search_lessEbEEEE10hipError_tPvRmT1_T2_T3_mmT4_T5_P12ihipStream_tbEUlRKdE_EEST_SX_SY_mSZ_S12_bEUlT_E_NS1_11comp_targetILNS1_3genE0ELNS1_11target_archE4294967295ELNS1_3gpuE0ELNS1_3repE0EEENS1_30default_config_static_selectorELNS0_4arch9wavefront6targetE1EEEvSW_
; %bb.0:
	.section	.rodata,"a",@progbits
	.p2align	6, 0x0
	.amdhsa_kernel _ZN7rocprim17ROCPRIM_400000_NS6detail17trampoline_kernelINS0_14default_configENS1_27upper_bound_config_selectorIdlEEZNS1_14transform_implILb0ES3_S5_N6thrust23THRUST_200600_302600_NS6detail15normal_iteratorINS8_7pointerIdNS8_11hip_rocprim5par_tENS8_11use_defaultESE_EEEENSA_INSB_IlSD_SE_SE_EEEEZNS1_13binary_searchIS3_S5_PdSG_SI_NS1_21upper_bound_search_opENS9_16wrapped_functionINS8_6system6detail7generic6detail18binary_search_lessEbEEEE10hipError_tPvRmT1_T2_T3_mmT4_T5_P12ihipStream_tbEUlRKdE_EEST_SX_SY_mSZ_S12_bEUlT_E_NS1_11comp_targetILNS1_3genE0ELNS1_11target_archE4294967295ELNS1_3gpuE0ELNS1_3repE0EEENS1_30default_config_static_selectorELNS0_4arch9wavefront6targetE1EEEvSW_
		.amdhsa_group_segment_fixed_size 0
		.amdhsa_private_segment_fixed_size 0
		.amdhsa_kernarg_size 56
		.amdhsa_user_sgpr_count 6
		.amdhsa_user_sgpr_private_segment_buffer 1
		.amdhsa_user_sgpr_dispatch_ptr 0
		.amdhsa_user_sgpr_queue_ptr 0
		.amdhsa_user_sgpr_kernarg_segment_ptr 1
		.amdhsa_user_sgpr_dispatch_id 0
		.amdhsa_user_sgpr_flat_scratch_init 0
		.amdhsa_user_sgpr_private_segment_size 0
		.amdhsa_uses_dynamic_stack 0
		.amdhsa_system_sgpr_private_segment_wavefront_offset 0
		.amdhsa_system_sgpr_workgroup_id_x 1
		.amdhsa_system_sgpr_workgroup_id_y 0
		.amdhsa_system_sgpr_workgroup_id_z 0
		.amdhsa_system_sgpr_workgroup_info 0
		.amdhsa_system_vgpr_workitem_id 0
		.amdhsa_next_free_vgpr 1
		.amdhsa_next_free_sgpr 0
		.amdhsa_reserve_vcc 0
		.amdhsa_reserve_flat_scratch 0
		.amdhsa_float_round_mode_32 0
		.amdhsa_float_round_mode_16_64 0
		.amdhsa_float_denorm_mode_32 3
		.amdhsa_float_denorm_mode_16_64 3
		.amdhsa_dx10_clamp 1
		.amdhsa_ieee_mode 1
		.amdhsa_fp16_overflow 0
		.amdhsa_exception_fp_ieee_invalid_op 0
		.amdhsa_exception_fp_denorm_src 0
		.amdhsa_exception_fp_ieee_div_zero 0
		.amdhsa_exception_fp_ieee_overflow 0
		.amdhsa_exception_fp_ieee_underflow 0
		.amdhsa_exception_fp_ieee_inexact 0
		.amdhsa_exception_int_div_zero 0
	.end_amdhsa_kernel
	.section	.text._ZN7rocprim17ROCPRIM_400000_NS6detail17trampoline_kernelINS0_14default_configENS1_27upper_bound_config_selectorIdlEEZNS1_14transform_implILb0ES3_S5_N6thrust23THRUST_200600_302600_NS6detail15normal_iteratorINS8_7pointerIdNS8_11hip_rocprim5par_tENS8_11use_defaultESE_EEEENSA_INSB_IlSD_SE_SE_EEEEZNS1_13binary_searchIS3_S5_PdSG_SI_NS1_21upper_bound_search_opENS9_16wrapped_functionINS8_6system6detail7generic6detail18binary_search_lessEbEEEE10hipError_tPvRmT1_T2_T3_mmT4_T5_P12ihipStream_tbEUlRKdE_EEST_SX_SY_mSZ_S12_bEUlT_E_NS1_11comp_targetILNS1_3genE0ELNS1_11target_archE4294967295ELNS1_3gpuE0ELNS1_3repE0EEENS1_30default_config_static_selectorELNS0_4arch9wavefront6targetE1EEEvSW_,"axG",@progbits,_ZN7rocprim17ROCPRIM_400000_NS6detail17trampoline_kernelINS0_14default_configENS1_27upper_bound_config_selectorIdlEEZNS1_14transform_implILb0ES3_S5_N6thrust23THRUST_200600_302600_NS6detail15normal_iteratorINS8_7pointerIdNS8_11hip_rocprim5par_tENS8_11use_defaultESE_EEEENSA_INSB_IlSD_SE_SE_EEEEZNS1_13binary_searchIS3_S5_PdSG_SI_NS1_21upper_bound_search_opENS9_16wrapped_functionINS8_6system6detail7generic6detail18binary_search_lessEbEEEE10hipError_tPvRmT1_T2_T3_mmT4_T5_P12ihipStream_tbEUlRKdE_EEST_SX_SY_mSZ_S12_bEUlT_E_NS1_11comp_targetILNS1_3genE0ELNS1_11target_archE4294967295ELNS1_3gpuE0ELNS1_3repE0EEENS1_30default_config_static_selectorELNS0_4arch9wavefront6targetE1EEEvSW_,comdat
.Lfunc_end162:
	.size	_ZN7rocprim17ROCPRIM_400000_NS6detail17trampoline_kernelINS0_14default_configENS1_27upper_bound_config_selectorIdlEEZNS1_14transform_implILb0ES3_S5_N6thrust23THRUST_200600_302600_NS6detail15normal_iteratorINS8_7pointerIdNS8_11hip_rocprim5par_tENS8_11use_defaultESE_EEEENSA_INSB_IlSD_SE_SE_EEEEZNS1_13binary_searchIS3_S5_PdSG_SI_NS1_21upper_bound_search_opENS9_16wrapped_functionINS8_6system6detail7generic6detail18binary_search_lessEbEEEE10hipError_tPvRmT1_T2_T3_mmT4_T5_P12ihipStream_tbEUlRKdE_EEST_SX_SY_mSZ_S12_bEUlT_E_NS1_11comp_targetILNS1_3genE0ELNS1_11target_archE4294967295ELNS1_3gpuE0ELNS1_3repE0EEENS1_30default_config_static_selectorELNS0_4arch9wavefront6targetE1EEEvSW_, .Lfunc_end162-_ZN7rocprim17ROCPRIM_400000_NS6detail17trampoline_kernelINS0_14default_configENS1_27upper_bound_config_selectorIdlEEZNS1_14transform_implILb0ES3_S5_N6thrust23THRUST_200600_302600_NS6detail15normal_iteratorINS8_7pointerIdNS8_11hip_rocprim5par_tENS8_11use_defaultESE_EEEENSA_INSB_IlSD_SE_SE_EEEEZNS1_13binary_searchIS3_S5_PdSG_SI_NS1_21upper_bound_search_opENS9_16wrapped_functionINS8_6system6detail7generic6detail18binary_search_lessEbEEEE10hipError_tPvRmT1_T2_T3_mmT4_T5_P12ihipStream_tbEUlRKdE_EEST_SX_SY_mSZ_S12_bEUlT_E_NS1_11comp_targetILNS1_3genE0ELNS1_11target_archE4294967295ELNS1_3gpuE0ELNS1_3repE0EEENS1_30default_config_static_selectorELNS0_4arch9wavefront6targetE1EEEvSW_
                                        ; -- End function
	.set _ZN7rocprim17ROCPRIM_400000_NS6detail17trampoline_kernelINS0_14default_configENS1_27upper_bound_config_selectorIdlEEZNS1_14transform_implILb0ES3_S5_N6thrust23THRUST_200600_302600_NS6detail15normal_iteratorINS8_7pointerIdNS8_11hip_rocprim5par_tENS8_11use_defaultESE_EEEENSA_INSB_IlSD_SE_SE_EEEEZNS1_13binary_searchIS3_S5_PdSG_SI_NS1_21upper_bound_search_opENS9_16wrapped_functionINS8_6system6detail7generic6detail18binary_search_lessEbEEEE10hipError_tPvRmT1_T2_T3_mmT4_T5_P12ihipStream_tbEUlRKdE_EEST_SX_SY_mSZ_S12_bEUlT_E_NS1_11comp_targetILNS1_3genE0ELNS1_11target_archE4294967295ELNS1_3gpuE0ELNS1_3repE0EEENS1_30default_config_static_selectorELNS0_4arch9wavefront6targetE1EEEvSW_.num_vgpr, 0
	.set _ZN7rocprim17ROCPRIM_400000_NS6detail17trampoline_kernelINS0_14default_configENS1_27upper_bound_config_selectorIdlEEZNS1_14transform_implILb0ES3_S5_N6thrust23THRUST_200600_302600_NS6detail15normal_iteratorINS8_7pointerIdNS8_11hip_rocprim5par_tENS8_11use_defaultESE_EEEENSA_INSB_IlSD_SE_SE_EEEEZNS1_13binary_searchIS3_S5_PdSG_SI_NS1_21upper_bound_search_opENS9_16wrapped_functionINS8_6system6detail7generic6detail18binary_search_lessEbEEEE10hipError_tPvRmT1_T2_T3_mmT4_T5_P12ihipStream_tbEUlRKdE_EEST_SX_SY_mSZ_S12_bEUlT_E_NS1_11comp_targetILNS1_3genE0ELNS1_11target_archE4294967295ELNS1_3gpuE0ELNS1_3repE0EEENS1_30default_config_static_selectorELNS0_4arch9wavefront6targetE1EEEvSW_.num_agpr, 0
	.set _ZN7rocprim17ROCPRIM_400000_NS6detail17trampoline_kernelINS0_14default_configENS1_27upper_bound_config_selectorIdlEEZNS1_14transform_implILb0ES3_S5_N6thrust23THRUST_200600_302600_NS6detail15normal_iteratorINS8_7pointerIdNS8_11hip_rocprim5par_tENS8_11use_defaultESE_EEEENSA_INSB_IlSD_SE_SE_EEEEZNS1_13binary_searchIS3_S5_PdSG_SI_NS1_21upper_bound_search_opENS9_16wrapped_functionINS8_6system6detail7generic6detail18binary_search_lessEbEEEE10hipError_tPvRmT1_T2_T3_mmT4_T5_P12ihipStream_tbEUlRKdE_EEST_SX_SY_mSZ_S12_bEUlT_E_NS1_11comp_targetILNS1_3genE0ELNS1_11target_archE4294967295ELNS1_3gpuE0ELNS1_3repE0EEENS1_30default_config_static_selectorELNS0_4arch9wavefront6targetE1EEEvSW_.numbered_sgpr, 0
	.set _ZN7rocprim17ROCPRIM_400000_NS6detail17trampoline_kernelINS0_14default_configENS1_27upper_bound_config_selectorIdlEEZNS1_14transform_implILb0ES3_S5_N6thrust23THRUST_200600_302600_NS6detail15normal_iteratorINS8_7pointerIdNS8_11hip_rocprim5par_tENS8_11use_defaultESE_EEEENSA_INSB_IlSD_SE_SE_EEEEZNS1_13binary_searchIS3_S5_PdSG_SI_NS1_21upper_bound_search_opENS9_16wrapped_functionINS8_6system6detail7generic6detail18binary_search_lessEbEEEE10hipError_tPvRmT1_T2_T3_mmT4_T5_P12ihipStream_tbEUlRKdE_EEST_SX_SY_mSZ_S12_bEUlT_E_NS1_11comp_targetILNS1_3genE0ELNS1_11target_archE4294967295ELNS1_3gpuE0ELNS1_3repE0EEENS1_30default_config_static_selectorELNS0_4arch9wavefront6targetE1EEEvSW_.num_named_barrier, 0
	.set _ZN7rocprim17ROCPRIM_400000_NS6detail17trampoline_kernelINS0_14default_configENS1_27upper_bound_config_selectorIdlEEZNS1_14transform_implILb0ES3_S5_N6thrust23THRUST_200600_302600_NS6detail15normal_iteratorINS8_7pointerIdNS8_11hip_rocprim5par_tENS8_11use_defaultESE_EEEENSA_INSB_IlSD_SE_SE_EEEEZNS1_13binary_searchIS3_S5_PdSG_SI_NS1_21upper_bound_search_opENS9_16wrapped_functionINS8_6system6detail7generic6detail18binary_search_lessEbEEEE10hipError_tPvRmT1_T2_T3_mmT4_T5_P12ihipStream_tbEUlRKdE_EEST_SX_SY_mSZ_S12_bEUlT_E_NS1_11comp_targetILNS1_3genE0ELNS1_11target_archE4294967295ELNS1_3gpuE0ELNS1_3repE0EEENS1_30default_config_static_selectorELNS0_4arch9wavefront6targetE1EEEvSW_.private_seg_size, 0
	.set _ZN7rocprim17ROCPRIM_400000_NS6detail17trampoline_kernelINS0_14default_configENS1_27upper_bound_config_selectorIdlEEZNS1_14transform_implILb0ES3_S5_N6thrust23THRUST_200600_302600_NS6detail15normal_iteratorINS8_7pointerIdNS8_11hip_rocprim5par_tENS8_11use_defaultESE_EEEENSA_INSB_IlSD_SE_SE_EEEEZNS1_13binary_searchIS3_S5_PdSG_SI_NS1_21upper_bound_search_opENS9_16wrapped_functionINS8_6system6detail7generic6detail18binary_search_lessEbEEEE10hipError_tPvRmT1_T2_T3_mmT4_T5_P12ihipStream_tbEUlRKdE_EEST_SX_SY_mSZ_S12_bEUlT_E_NS1_11comp_targetILNS1_3genE0ELNS1_11target_archE4294967295ELNS1_3gpuE0ELNS1_3repE0EEENS1_30default_config_static_selectorELNS0_4arch9wavefront6targetE1EEEvSW_.uses_vcc, 0
	.set _ZN7rocprim17ROCPRIM_400000_NS6detail17trampoline_kernelINS0_14default_configENS1_27upper_bound_config_selectorIdlEEZNS1_14transform_implILb0ES3_S5_N6thrust23THRUST_200600_302600_NS6detail15normal_iteratorINS8_7pointerIdNS8_11hip_rocprim5par_tENS8_11use_defaultESE_EEEENSA_INSB_IlSD_SE_SE_EEEEZNS1_13binary_searchIS3_S5_PdSG_SI_NS1_21upper_bound_search_opENS9_16wrapped_functionINS8_6system6detail7generic6detail18binary_search_lessEbEEEE10hipError_tPvRmT1_T2_T3_mmT4_T5_P12ihipStream_tbEUlRKdE_EEST_SX_SY_mSZ_S12_bEUlT_E_NS1_11comp_targetILNS1_3genE0ELNS1_11target_archE4294967295ELNS1_3gpuE0ELNS1_3repE0EEENS1_30default_config_static_selectorELNS0_4arch9wavefront6targetE1EEEvSW_.uses_flat_scratch, 0
	.set _ZN7rocprim17ROCPRIM_400000_NS6detail17trampoline_kernelINS0_14default_configENS1_27upper_bound_config_selectorIdlEEZNS1_14transform_implILb0ES3_S5_N6thrust23THRUST_200600_302600_NS6detail15normal_iteratorINS8_7pointerIdNS8_11hip_rocprim5par_tENS8_11use_defaultESE_EEEENSA_INSB_IlSD_SE_SE_EEEEZNS1_13binary_searchIS3_S5_PdSG_SI_NS1_21upper_bound_search_opENS9_16wrapped_functionINS8_6system6detail7generic6detail18binary_search_lessEbEEEE10hipError_tPvRmT1_T2_T3_mmT4_T5_P12ihipStream_tbEUlRKdE_EEST_SX_SY_mSZ_S12_bEUlT_E_NS1_11comp_targetILNS1_3genE0ELNS1_11target_archE4294967295ELNS1_3gpuE0ELNS1_3repE0EEENS1_30default_config_static_selectorELNS0_4arch9wavefront6targetE1EEEvSW_.has_dyn_sized_stack, 0
	.set _ZN7rocprim17ROCPRIM_400000_NS6detail17trampoline_kernelINS0_14default_configENS1_27upper_bound_config_selectorIdlEEZNS1_14transform_implILb0ES3_S5_N6thrust23THRUST_200600_302600_NS6detail15normal_iteratorINS8_7pointerIdNS8_11hip_rocprim5par_tENS8_11use_defaultESE_EEEENSA_INSB_IlSD_SE_SE_EEEEZNS1_13binary_searchIS3_S5_PdSG_SI_NS1_21upper_bound_search_opENS9_16wrapped_functionINS8_6system6detail7generic6detail18binary_search_lessEbEEEE10hipError_tPvRmT1_T2_T3_mmT4_T5_P12ihipStream_tbEUlRKdE_EEST_SX_SY_mSZ_S12_bEUlT_E_NS1_11comp_targetILNS1_3genE0ELNS1_11target_archE4294967295ELNS1_3gpuE0ELNS1_3repE0EEENS1_30default_config_static_selectorELNS0_4arch9wavefront6targetE1EEEvSW_.has_recursion, 0
	.set _ZN7rocprim17ROCPRIM_400000_NS6detail17trampoline_kernelINS0_14default_configENS1_27upper_bound_config_selectorIdlEEZNS1_14transform_implILb0ES3_S5_N6thrust23THRUST_200600_302600_NS6detail15normal_iteratorINS8_7pointerIdNS8_11hip_rocprim5par_tENS8_11use_defaultESE_EEEENSA_INSB_IlSD_SE_SE_EEEEZNS1_13binary_searchIS3_S5_PdSG_SI_NS1_21upper_bound_search_opENS9_16wrapped_functionINS8_6system6detail7generic6detail18binary_search_lessEbEEEE10hipError_tPvRmT1_T2_T3_mmT4_T5_P12ihipStream_tbEUlRKdE_EEST_SX_SY_mSZ_S12_bEUlT_E_NS1_11comp_targetILNS1_3genE0ELNS1_11target_archE4294967295ELNS1_3gpuE0ELNS1_3repE0EEENS1_30default_config_static_selectorELNS0_4arch9wavefront6targetE1EEEvSW_.has_indirect_call, 0
	.section	.AMDGPU.csdata,"",@progbits
; Kernel info:
; codeLenInByte = 0
; TotalNumSgprs: 4
; NumVgprs: 0
; ScratchSize: 0
; MemoryBound: 0
; FloatMode: 240
; IeeeMode: 1
; LDSByteSize: 0 bytes/workgroup (compile time only)
; SGPRBlocks: 0
; VGPRBlocks: 0
; NumSGPRsForWavesPerEU: 4
; NumVGPRsForWavesPerEU: 1
; Occupancy: 10
; WaveLimiterHint : 0
; COMPUTE_PGM_RSRC2:SCRATCH_EN: 0
; COMPUTE_PGM_RSRC2:USER_SGPR: 6
; COMPUTE_PGM_RSRC2:TRAP_HANDLER: 0
; COMPUTE_PGM_RSRC2:TGID_X_EN: 1
; COMPUTE_PGM_RSRC2:TGID_Y_EN: 0
; COMPUTE_PGM_RSRC2:TGID_Z_EN: 0
; COMPUTE_PGM_RSRC2:TIDIG_COMP_CNT: 0
	.section	.text._ZN7rocprim17ROCPRIM_400000_NS6detail17trampoline_kernelINS0_14default_configENS1_27upper_bound_config_selectorIdlEEZNS1_14transform_implILb0ES3_S5_N6thrust23THRUST_200600_302600_NS6detail15normal_iteratorINS8_7pointerIdNS8_11hip_rocprim5par_tENS8_11use_defaultESE_EEEENSA_INSB_IlSD_SE_SE_EEEEZNS1_13binary_searchIS3_S5_PdSG_SI_NS1_21upper_bound_search_opENS9_16wrapped_functionINS8_6system6detail7generic6detail18binary_search_lessEbEEEE10hipError_tPvRmT1_T2_T3_mmT4_T5_P12ihipStream_tbEUlRKdE_EEST_SX_SY_mSZ_S12_bEUlT_E_NS1_11comp_targetILNS1_3genE5ELNS1_11target_archE942ELNS1_3gpuE9ELNS1_3repE0EEENS1_30default_config_static_selectorELNS0_4arch9wavefront6targetE1EEEvSW_,"axG",@progbits,_ZN7rocprim17ROCPRIM_400000_NS6detail17trampoline_kernelINS0_14default_configENS1_27upper_bound_config_selectorIdlEEZNS1_14transform_implILb0ES3_S5_N6thrust23THRUST_200600_302600_NS6detail15normal_iteratorINS8_7pointerIdNS8_11hip_rocprim5par_tENS8_11use_defaultESE_EEEENSA_INSB_IlSD_SE_SE_EEEEZNS1_13binary_searchIS3_S5_PdSG_SI_NS1_21upper_bound_search_opENS9_16wrapped_functionINS8_6system6detail7generic6detail18binary_search_lessEbEEEE10hipError_tPvRmT1_T2_T3_mmT4_T5_P12ihipStream_tbEUlRKdE_EEST_SX_SY_mSZ_S12_bEUlT_E_NS1_11comp_targetILNS1_3genE5ELNS1_11target_archE942ELNS1_3gpuE9ELNS1_3repE0EEENS1_30default_config_static_selectorELNS0_4arch9wavefront6targetE1EEEvSW_,comdat
	.protected	_ZN7rocprim17ROCPRIM_400000_NS6detail17trampoline_kernelINS0_14default_configENS1_27upper_bound_config_selectorIdlEEZNS1_14transform_implILb0ES3_S5_N6thrust23THRUST_200600_302600_NS6detail15normal_iteratorINS8_7pointerIdNS8_11hip_rocprim5par_tENS8_11use_defaultESE_EEEENSA_INSB_IlSD_SE_SE_EEEEZNS1_13binary_searchIS3_S5_PdSG_SI_NS1_21upper_bound_search_opENS9_16wrapped_functionINS8_6system6detail7generic6detail18binary_search_lessEbEEEE10hipError_tPvRmT1_T2_T3_mmT4_T5_P12ihipStream_tbEUlRKdE_EEST_SX_SY_mSZ_S12_bEUlT_E_NS1_11comp_targetILNS1_3genE5ELNS1_11target_archE942ELNS1_3gpuE9ELNS1_3repE0EEENS1_30default_config_static_selectorELNS0_4arch9wavefront6targetE1EEEvSW_ ; -- Begin function _ZN7rocprim17ROCPRIM_400000_NS6detail17trampoline_kernelINS0_14default_configENS1_27upper_bound_config_selectorIdlEEZNS1_14transform_implILb0ES3_S5_N6thrust23THRUST_200600_302600_NS6detail15normal_iteratorINS8_7pointerIdNS8_11hip_rocprim5par_tENS8_11use_defaultESE_EEEENSA_INSB_IlSD_SE_SE_EEEEZNS1_13binary_searchIS3_S5_PdSG_SI_NS1_21upper_bound_search_opENS9_16wrapped_functionINS8_6system6detail7generic6detail18binary_search_lessEbEEEE10hipError_tPvRmT1_T2_T3_mmT4_T5_P12ihipStream_tbEUlRKdE_EEST_SX_SY_mSZ_S12_bEUlT_E_NS1_11comp_targetILNS1_3genE5ELNS1_11target_archE942ELNS1_3gpuE9ELNS1_3repE0EEENS1_30default_config_static_selectorELNS0_4arch9wavefront6targetE1EEEvSW_
	.globl	_ZN7rocprim17ROCPRIM_400000_NS6detail17trampoline_kernelINS0_14default_configENS1_27upper_bound_config_selectorIdlEEZNS1_14transform_implILb0ES3_S5_N6thrust23THRUST_200600_302600_NS6detail15normal_iteratorINS8_7pointerIdNS8_11hip_rocprim5par_tENS8_11use_defaultESE_EEEENSA_INSB_IlSD_SE_SE_EEEEZNS1_13binary_searchIS3_S5_PdSG_SI_NS1_21upper_bound_search_opENS9_16wrapped_functionINS8_6system6detail7generic6detail18binary_search_lessEbEEEE10hipError_tPvRmT1_T2_T3_mmT4_T5_P12ihipStream_tbEUlRKdE_EEST_SX_SY_mSZ_S12_bEUlT_E_NS1_11comp_targetILNS1_3genE5ELNS1_11target_archE942ELNS1_3gpuE9ELNS1_3repE0EEENS1_30default_config_static_selectorELNS0_4arch9wavefront6targetE1EEEvSW_
	.p2align	8
	.type	_ZN7rocprim17ROCPRIM_400000_NS6detail17trampoline_kernelINS0_14default_configENS1_27upper_bound_config_selectorIdlEEZNS1_14transform_implILb0ES3_S5_N6thrust23THRUST_200600_302600_NS6detail15normal_iteratorINS8_7pointerIdNS8_11hip_rocprim5par_tENS8_11use_defaultESE_EEEENSA_INSB_IlSD_SE_SE_EEEEZNS1_13binary_searchIS3_S5_PdSG_SI_NS1_21upper_bound_search_opENS9_16wrapped_functionINS8_6system6detail7generic6detail18binary_search_lessEbEEEE10hipError_tPvRmT1_T2_T3_mmT4_T5_P12ihipStream_tbEUlRKdE_EEST_SX_SY_mSZ_S12_bEUlT_E_NS1_11comp_targetILNS1_3genE5ELNS1_11target_archE942ELNS1_3gpuE9ELNS1_3repE0EEENS1_30default_config_static_selectorELNS0_4arch9wavefront6targetE1EEEvSW_,@function
_ZN7rocprim17ROCPRIM_400000_NS6detail17trampoline_kernelINS0_14default_configENS1_27upper_bound_config_selectorIdlEEZNS1_14transform_implILb0ES3_S5_N6thrust23THRUST_200600_302600_NS6detail15normal_iteratorINS8_7pointerIdNS8_11hip_rocprim5par_tENS8_11use_defaultESE_EEEENSA_INSB_IlSD_SE_SE_EEEEZNS1_13binary_searchIS3_S5_PdSG_SI_NS1_21upper_bound_search_opENS9_16wrapped_functionINS8_6system6detail7generic6detail18binary_search_lessEbEEEE10hipError_tPvRmT1_T2_T3_mmT4_T5_P12ihipStream_tbEUlRKdE_EEST_SX_SY_mSZ_S12_bEUlT_E_NS1_11comp_targetILNS1_3genE5ELNS1_11target_archE942ELNS1_3gpuE9ELNS1_3repE0EEENS1_30default_config_static_selectorELNS0_4arch9wavefront6targetE1EEEvSW_: ; @_ZN7rocprim17ROCPRIM_400000_NS6detail17trampoline_kernelINS0_14default_configENS1_27upper_bound_config_selectorIdlEEZNS1_14transform_implILb0ES3_S5_N6thrust23THRUST_200600_302600_NS6detail15normal_iteratorINS8_7pointerIdNS8_11hip_rocprim5par_tENS8_11use_defaultESE_EEEENSA_INSB_IlSD_SE_SE_EEEEZNS1_13binary_searchIS3_S5_PdSG_SI_NS1_21upper_bound_search_opENS9_16wrapped_functionINS8_6system6detail7generic6detail18binary_search_lessEbEEEE10hipError_tPvRmT1_T2_T3_mmT4_T5_P12ihipStream_tbEUlRKdE_EEST_SX_SY_mSZ_S12_bEUlT_E_NS1_11comp_targetILNS1_3genE5ELNS1_11target_archE942ELNS1_3gpuE9ELNS1_3repE0EEENS1_30default_config_static_selectorELNS0_4arch9wavefront6targetE1EEEvSW_
; %bb.0:
	.section	.rodata,"a",@progbits
	.p2align	6, 0x0
	.amdhsa_kernel _ZN7rocprim17ROCPRIM_400000_NS6detail17trampoline_kernelINS0_14default_configENS1_27upper_bound_config_selectorIdlEEZNS1_14transform_implILb0ES3_S5_N6thrust23THRUST_200600_302600_NS6detail15normal_iteratorINS8_7pointerIdNS8_11hip_rocprim5par_tENS8_11use_defaultESE_EEEENSA_INSB_IlSD_SE_SE_EEEEZNS1_13binary_searchIS3_S5_PdSG_SI_NS1_21upper_bound_search_opENS9_16wrapped_functionINS8_6system6detail7generic6detail18binary_search_lessEbEEEE10hipError_tPvRmT1_T2_T3_mmT4_T5_P12ihipStream_tbEUlRKdE_EEST_SX_SY_mSZ_S12_bEUlT_E_NS1_11comp_targetILNS1_3genE5ELNS1_11target_archE942ELNS1_3gpuE9ELNS1_3repE0EEENS1_30default_config_static_selectorELNS0_4arch9wavefront6targetE1EEEvSW_
		.amdhsa_group_segment_fixed_size 0
		.amdhsa_private_segment_fixed_size 0
		.amdhsa_kernarg_size 56
		.amdhsa_user_sgpr_count 6
		.amdhsa_user_sgpr_private_segment_buffer 1
		.amdhsa_user_sgpr_dispatch_ptr 0
		.amdhsa_user_sgpr_queue_ptr 0
		.amdhsa_user_sgpr_kernarg_segment_ptr 1
		.amdhsa_user_sgpr_dispatch_id 0
		.amdhsa_user_sgpr_flat_scratch_init 0
		.amdhsa_user_sgpr_private_segment_size 0
		.amdhsa_uses_dynamic_stack 0
		.amdhsa_system_sgpr_private_segment_wavefront_offset 0
		.amdhsa_system_sgpr_workgroup_id_x 1
		.amdhsa_system_sgpr_workgroup_id_y 0
		.amdhsa_system_sgpr_workgroup_id_z 0
		.amdhsa_system_sgpr_workgroup_info 0
		.amdhsa_system_vgpr_workitem_id 0
		.amdhsa_next_free_vgpr 1
		.amdhsa_next_free_sgpr 0
		.amdhsa_reserve_vcc 0
		.amdhsa_reserve_flat_scratch 0
		.amdhsa_float_round_mode_32 0
		.amdhsa_float_round_mode_16_64 0
		.amdhsa_float_denorm_mode_32 3
		.amdhsa_float_denorm_mode_16_64 3
		.amdhsa_dx10_clamp 1
		.amdhsa_ieee_mode 1
		.amdhsa_fp16_overflow 0
		.amdhsa_exception_fp_ieee_invalid_op 0
		.amdhsa_exception_fp_denorm_src 0
		.amdhsa_exception_fp_ieee_div_zero 0
		.amdhsa_exception_fp_ieee_overflow 0
		.amdhsa_exception_fp_ieee_underflow 0
		.amdhsa_exception_fp_ieee_inexact 0
		.amdhsa_exception_int_div_zero 0
	.end_amdhsa_kernel
	.section	.text._ZN7rocprim17ROCPRIM_400000_NS6detail17trampoline_kernelINS0_14default_configENS1_27upper_bound_config_selectorIdlEEZNS1_14transform_implILb0ES3_S5_N6thrust23THRUST_200600_302600_NS6detail15normal_iteratorINS8_7pointerIdNS8_11hip_rocprim5par_tENS8_11use_defaultESE_EEEENSA_INSB_IlSD_SE_SE_EEEEZNS1_13binary_searchIS3_S5_PdSG_SI_NS1_21upper_bound_search_opENS9_16wrapped_functionINS8_6system6detail7generic6detail18binary_search_lessEbEEEE10hipError_tPvRmT1_T2_T3_mmT4_T5_P12ihipStream_tbEUlRKdE_EEST_SX_SY_mSZ_S12_bEUlT_E_NS1_11comp_targetILNS1_3genE5ELNS1_11target_archE942ELNS1_3gpuE9ELNS1_3repE0EEENS1_30default_config_static_selectorELNS0_4arch9wavefront6targetE1EEEvSW_,"axG",@progbits,_ZN7rocprim17ROCPRIM_400000_NS6detail17trampoline_kernelINS0_14default_configENS1_27upper_bound_config_selectorIdlEEZNS1_14transform_implILb0ES3_S5_N6thrust23THRUST_200600_302600_NS6detail15normal_iteratorINS8_7pointerIdNS8_11hip_rocprim5par_tENS8_11use_defaultESE_EEEENSA_INSB_IlSD_SE_SE_EEEEZNS1_13binary_searchIS3_S5_PdSG_SI_NS1_21upper_bound_search_opENS9_16wrapped_functionINS8_6system6detail7generic6detail18binary_search_lessEbEEEE10hipError_tPvRmT1_T2_T3_mmT4_T5_P12ihipStream_tbEUlRKdE_EEST_SX_SY_mSZ_S12_bEUlT_E_NS1_11comp_targetILNS1_3genE5ELNS1_11target_archE942ELNS1_3gpuE9ELNS1_3repE0EEENS1_30default_config_static_selectorELNS0_4arch9wavefront6targetE1EEEvSW_,comdat
.Lfunc_end163:
	.size	_ZN7rocprim17ROCPRIM_400000_NS6detail17trampoline_kernelINS0_14default_configENS1_27upper_bound_config_selectorIdlEEZNS1_14transform_implILb0ES3_S5_N6thrust23THRUST_200600_302600_NS6detail15normal_iteratorINS8_7pointerIdNS8_11hip_rocprim5par_tENS8_11use_defaultESE_EEEENSA_INSB_IlSD_SE_SE_EEEEZNS1_13binary_searchIS3_S5_PdSG_SI_NS1_21upper_bound_search_opENS9_16wrapped_functionINS8_6system6detail7generic6detail18binary_search_lessEbEEEE10hipError_tPvRmT1_T2_T3_mmT4_T5_P12ihipStream_tbEUlRKdE_EEST_SX_SY_mSZ_S12_bEUlT_E_NS1_11comp_targetILNS1_3genE5ELNS1_11target_archE942ELNS1_3gpuE9ELNS1_3repE0EEENS1_30default_config_static_selectorELNS0_4arch9wavefront6targetE1EEEvSW_, .Lfunc_end163-_ZN7rocprim17ROCPRIM_400000_NS6detail17trampoline_kernelINS0_14default_configENS1_27upper_bound_config_selectorIdlEEZNS1_14transform_implILb0ES3_S5_N6thrust23THRUST_200600_302600_NS6detail15normal_iteratorINS8_7pointerIdNS8_11hip_rocprim5par_tENS8_11use_defaultESE_EEEENSA_INSB_IlSD_SE_SE_EEEEZNS1_13binary_searchIS3_S5_PdSG_SI_NS1_21upper_bound_search_opENS9_16wrapped_functionINS8_6system6detail7generic6detail18binary_search_lessEbEEEE10hipError_tPvRmT1_T2_T3_mmT4_T5_P12ihipStream_tbEUlRKdE_EEST_SX_SY_mSZ_S12_bEUlT_E_NS1_11comp_targetILNS1_3genE5ELNS1_11target_archE942ELNS1_3gpuE9ELNS1_3repE0EEENS1_30default_config_static_selectorELNS0_4arch9wavefront6targetE1EEEvSW_
                                        ; -- End function
	.set _ZN7rocprim17ROCPRIM_400000_NS6detail17trampoline_kernelINS0_14default_configENS1_27upper_bound_config_selectorIdlEEZNS1_14transform_implILb0ES3_S5_N6thrust23THRUST_200600_302600_NS6detail15normal_iteratorINS8_7pointerIdNS8_11hip_rocprim5par_tENS8_11use_defaultESE_EEEENSA_INSB_IlSD_SE_SE_EEEEZNS1_13binary_searchIS3_S5_PdSG_SI_NS1_21upper_bound_search_opENS9_16wrapped_functionINS8_6system6detail7generic6detail18binary_search_lessEbEEEE10hipError_tPvRmT1_T2_T3_mmT4_T5_P12ihipStream_tbEUlRKdE_EEST_SX_SY_mSZ_S12_bEUlT_E_NS1_11comp_targetILNS1_3genE5ELNS1_11target_archE942ELNS1_3gpuE9ELNS1_3repE0EEENS1_30default_config_static_selectorELNS0_4arch9wavefront6targetE1EEEvSW_.num_vgpr, 0
	.set _ZN7rocprim17ROCPRIM_400000_NS6detail17trampoline_kernelINS0_14default_configENS1_27upper_bound_config_selectorIdlEEZNS1_14transform_implILb0ES3_S5_N6thrust23THRUST_200600_302600_NS6detail15normal_iteratorINS8_7pointerIdNS8_11hip_rocprim5par_tENS8_11use_defaultESE_EEEENSA_INSB_IlSD_SE_SE_EEEEZNS1_13binary_searchIS3_S5_PdSG_SI_NS1_21upper_bound_search_opENS9_16wrapped_functionINS8_6system6detail7generic6detail18binary_search_lessEbEEEE10hipError_tPvRmT1_T2_T3_mmT4_T5_P12ihipStream_tbEUlRKdE_EEST_SX_SY_mSZ_S12_bEUlT_E_NS1_11comp_targetILNS1_3genE5ELNS1_11target_archE942ELNS1_3gpuE9ELNS1_3repE0EEENS1_30default_config_static_selectorELNS0_4arch9wavefront6targetE1EEEvSW_.num_agpr, 0
	.set _ZN7rocprim17ROCPRIM_400000_NS6detail17trampoline_kernelINS0_14default_configENS1_27upper_bound_config_selectorIdlEEZNS1_14transform_implILb0ES3_S5_N6thrust23THRUST_200600_302600_NS6detail15normal_iteratorINS8_7pointerIdNS8_11hip_rocprim5par_tENS8_11use_defaultESE_EEEENSA_INSB_IlSD_SE_SE_EEEEZNS1_13binary_searchIS3_S5_PdSG_SI_NS1_21upper_bound_search_opENS9_16wrapped_functionINS8_6system6detail7generic6detail18binary_search_lessEbEEEE10hipError_tPvRmT1_T2_T3_mmT4_T5_P12ihipStream_tbEUlRKdE_EEST_SX_SY_mSZ_S12_bEUlT_E_NS1_11comp_targetILNS1_3genE5ELNS1_11target_archE942ELNS1_3gpuE9ELNS1_3repE0EEENS1_30default_config_static_selectorELNS0_4arch9wavefront6targetE1EEEvSW_.numbered_sgpr, 0
	.set _ZN7rocprim17ROCPRIM_400000_NS6detail17trampoline_kernelINS0_14default_configENS1_27upper_bound_config_selectorIdlEEZNS1_14transform_implILb0ES3_S5_N6thrust23THRUST_200600_302600_NS6detail15normal_iteratorINS8_7pointerIdNS8_11hip_rocprim5par_tENS8_11use_defaultESE_EEEENSA_INSB_IlSD_SE_SE_EEEEZNS1_13binary_searchIS3_S5_PdSG_SI_NS1_21upper_bound_search_opENS9_16wrapped_functionINS8_6system6detail7generic6detail18binary_search_lessEbEEEE10hipError_tPvRmT1_T2_T3_mmT4_T5_P12ihipStream_tbEUlRKdE_EEST_SX_SY_mSZ_S12_bEUlT_E_NS1_11comp_targetILNS1_3genE5ELNS1_11target_archE942ELNS1_3gpuE9ELNS1_3repE0EEENS1_30default_config_static_selectorELNS0_4arch9wavefront6targetE1EEEvSW_.num_named_barrier, 0
	.set _ZN7rocprim17ROCPRIM_400000_NS6detail17trampoline_kernelINS0_14default_configENS1_27upper_bound_config_selectorIdlEEZNS1_14transform_implILb0ES3_S5_N6thrust23THRUST_200600_302600_NS6detail15normal_iteratorINS8_7pointerIdNS8_11hip_rocprim5par_tENS8_11use_defaultESE_EEEENSA_INSB_IlSD_SE_SE_EEEEZNS1_13binary_searchIS3_S5_PdSG_SI_NS1_21upper_bound_search_opENS9_16wrapped_functionINS8_6system6detail7generic6detail18binary_search_lessEbEEEE10hipError_tPvRmT1_T2_T3_mmT4_T5_P12ihipStream_tbEUlRKdE_EEST_SX_SY_mSZ_S12_bEUlT_E_NS1_11comp_targetILNS1_3genE5ELNS1_11target_archE942ELNS1_3gpuE9ELNS1_3repE0EEENS1_30default_config_static_selectorELNS0_4arch9wavefront6targetE1EEEvSW_.private_seg_size, 0
	.set _ZN7rocprim17ROCPRIM_400000_NS6detail17trampoline_kernelINS0_14default_configENS1_27upper_bound_config_selectorIdlEEZNS1_14transform_implILb0ES3_S5_N6thrust23THRUST_200600_302600_NS6detail15normal_iteratorINS8_7pointerIdNS8_11hip_rocprim5par_tENS8_11use_defaultESE_EEEENSA_INSB_IlSD_SE_SE_EEEEZNS1_13binary_searchIS3_S5_PdSG_SI_NS1_21upper_bound_search_opENS9_16wrapped_functionINS8_6system6detail7generic6detail18binary_search_lessEbEEEE10hipError_tPvRmT1_T2_T3_mmT4_T5_P12ihipStream_tbEUlRKdE_EEST_SX_SY_mSZ_S12_bEUlT_E_NS1_11comp_targetILNS1_3genE5ELNS1_11target_archE942ELNS1_3gpuE9ELNS1_3repE0EEENS1_30default_config_static_selectorELNS0_4arch9wavefront6targetE1EEEvSW_.uses_vcc, 0
	.set _ZN7rocprim17ROCPRIM_400000_NS6detail17trampoline_kernelINS0_14default_configENS1_27upper_bound_config_selectorIdlEEZNS1_14transform_implILb0ES3_S5_N6thrust23THRUST_200600_302600_NS6detail15normal_iteratorINS8_7pointerIdNS8_11hip_rocprim5par_tENS8_11use_defaultESE_EEEENSA_INSB_IlSD_SE_SE_EEEEZNS1_13binary_searchIS3_S5_PdSG_SI_NS1_21upper_bound_search_opENS9_16wrapped_functionINS8_6system6detail7generic6detail18binary_search_lessEbEEEE10hipError_tPvRmT1_T2_T3_mmT4_T5_P12ihipStream_tbEUlRKdE_EEST_SX_SY_mSZ_S12_bEUlT_E_NS1_11comp_targetILNS1_3genE5ELNS1_11target_archE942ELNS1_3gpuE9ELNS1_3repE0EEENS1_30default_config_static_selectorELNS0_4arch9wavefront6targetE1EEEvSW_.uses_flat_scratch, 0
	.set _ZN7rocprim17ROCPRIM_400000_NS6detail17trampoline_kernelINS0_14default_configENS1_27upper_bound_config_selectorIdlEEZNS1_14transform_implILb0ES3_S5_N6thrust23THRUST_200600_302600_NS6detail15normal_iteratorINS8_7pointerIdNS8_11hip_rocprim5par_tENS8_11use_defaultESE_EEEENSA_INSB_IlSD_SE_SE_EEEEZNS1_13binary_searchIS3_S5_PdSG_SI_NS1_21upper_bound_search_opENS9_16wrapped_functionINS8_6system6detail7generic6detail18binary_search_lessEbEEEE10hipError_tPvRmT1_T2_T3_mmT4_T5_P12ihipStream_tbEUlRKdE_EEST_SX_SY_mSZ_S12_bEUlT_E_NS1_11comp_targetILNS1_3genE5ELNS1_11target_archE942ELNS1_3gpuE9ELNS1_3repE0EEENS1_30default_config_static_selectorELNS0_4arch9wavefront6targetE1EEEvSW_.has_dyn_sized_stack, 0
	.set _ZN7rocprim17ROCPRIM_400000_NS6detail17trampoline_kernelINS0_14default_configENS1_27upper_bound_config_selectorIdlEEZNS1_14transform_implILb0ES3_S5_N6thrust23THRUST_200600_302600_NS6detail15normal_iteratorINS8_7pointerIdNS8_11hip_rocprim5par_tENS8_11use_defaultESE_EEEENSA_INSB_IlSD_SE_SE_EEEEZNS1_13binary_searchIS3_S5_PdSG_SI_NS1_21upper_bound_search_opENS9_16wrapped_functionINS8_6system6detail7generic6detail18binary_search_lessEbEEEE10hipError_tPvRmT1_T2_T3_mmT4_T5_P12ihipStream_tbEUlRKdE_EEST_SX_SY_mSZ_S12_bEUlT_E_NS1_11comp_targetILNS1_3genE5ELNS1_11target_archE942ELNS1_3gpuE9ELNS1_3repE0EEENS1_30default_config_static_selectorELNS0_4arch9wavefront6targetE1EEEvSW_.has_recursion, 0
	.set _ZN7rocprim17ROCPRIM_400000_NS6detail17trampoline_kernelINS0_14default_configENS1_27upper_bound_config_selectorIdlEEZNS1_14transform_implILb0ES3_S5_N6thrust23THRUST_200600_302600_NS6detail15normal_iteratorINS8_7pointerIdNS8_11hip_rocprim5par_tENS8_11use_defaultESE_EEEENSA_INSB_IlSD_SE_SE_EEEEZNS1_13binary_searchIS3_S5_PdSG_SI_NS1_21upper_bound_search_opENS9_16wrapped_functionINS8_6system6detail7generic6detail18binary_search_lessEbEEEE10hipError_tPvRmT1_T2_T3_mmT4_T5_P12ihipStream_tbEUlRKdE_EEST_SX_SY_mSZ_S12_bEUlT_E_NS1_11comp_targetILNS1_3genE5ELNS1_11target_archE942ELNS1_3gpuE9ELNS1_3repE0EEENS1_30default_config_static_selectorELNS0_4arch9wavefront6targetE1EEEvSW_.has_indirect_call, 0
	.section	.AMDGPU.csdata,"",@progbits
; Kernel info:
; codeLenInByte = 0
; TotalNumSgprs: 4
; NumVgprs: 0
; ScratchSize: 0
; MemoryBound: 0
; FloatMode: 240
; IeeeMode: 1
; LDSByteSize: 0 bytes/workgroup (compile time only)
; SGPRBlocks: 0
; VGPRBlocks: 0
; NumSGPRsForWavesPerEU: 4
; NumVGPRsForWavesPerEU: 1
; Occupancy: 10
; WaveLimiterHint : 0
; COMPUTE_PGM_RSRC2:SCRATCH_EN: 0
; COMPUTE_PGM_RSRC2:USER_SGPR: 6
; COMPUTE_PGM_RSRC2:TRAP_HANDLER: 0
; COMPUTE_PGM_RSRC2:TGID_X_EN: 1
; COMPUTE_PGM_RSRC2:TGID_Y_EN: 0
; COMPUTE_PGM_RSRC2:TGID_Z_EN: 0
; COMPUTE_PGM_RSRC2:TIDIG_COMP_CNT: 0
	.section	.text._ZN7rocprim17ROCPRIM_400000_NS6detail17trampoline_kernelINS0_14default_configENS1_27upper_bound_config_selectorIdlEEZNS1_14transform_implILb0ES3_S5_N6thrust23THRUST_200600_302600_NS6detail15normal_iteratorINS8_7pointerIdNS8_11hip_rocprim5par_tENS8_11use_defaultESE_EEEENSA_INSB_IlSD_SE_SE_EEEEZNS1_13binary_searchIS3_S5_PdSG_SI_NS1_21upper_bound_search_opENS9_16wrapped_functionINS8_6system6detail7generic6detail18binary_search_lessEbEEEE10hipError_tPvRmT1_T2_T3_mmT4_T5_P12ihipStream_tbEUlRKdE_EEST_SX_SY_mSZ_S12_bEUlT_E_NS1_11comp_targetILNS1_3genE4ELNS1_11target_archE910ELNS1_3gpuE8ELNS1_3repE0EEENS1_30default_config_static_selectorELNS0_4arch9wavefront6targetE1EEEvSW_,"axG",@progbits,_ZN7rocprim17ROCPRIM_400000_NS6detail17trampoline_kernelINS0_14default_configENS1_27upper_bound_config_selectorIdlEEZNS1_14transform_implILb0ES3_S5_N6thrust23THRUST_200600_302600_NS6detail15normal_iteratorINS8_7pointerIdNS8_11hip_rocprim5par_tENS8_11use_defaultESE_EEEENSA_INSB_IlSD_SE_SE_EEEEZNS1_13binary_searchIS3_S5_PdSG_SI_NS1_21upper_bound_search_opENS9_16wrapped_functionINS8_6system6detail7generic6detail18binary_search_lessEbEEEE10hipError_tPvRmT1_T2_T3_mmT4_T5_P12ihipStream_tbEUlRKdE_EEST_SX_SY_mSZ_S12_bEUlT_E_NS1_11comp_targetILNS1_3genE4ELNS1_11target_archE910ELNS1_3gpuE8ELNS1_3repE0EEENS1_30default_config_static_selectorELNS0_4arch9wavefront6targetE1EEEvSW_,comdat
	.protected	_ZN7rocprim17ROCPRIM_400000_NS6detail17trampoline_kernelINS0_14default_configENS1_27upper_bound_config_selectorIdlEEZNS1_14transform_implILb0ES3_S5_N6thrust23THRUST_200600_302600_NS6detail15normal_iteratorINS8_7pointerIdNS8_11hip_rocprim5par_tENS8_11use_defaultESE_EEEENSA_INSB_IlSD_SE_SE_EEEEZNS1_13binary_searchIS3_S5_PdSG_SI_NS1_21upper_bound_search_opENS9_16wrapped_functionINS8_6system6detail7generic6detail18binary_search_lessEbEEEE10hipError_tPvRmT1_T2_T3_mmT4_T5_P12ihipStream_tbEUlRKdE_EEST_SX_SY_mSZ_S12_bEUlT_E_NS1_11comp_targetILNS1_3genE4ELNS1_11target_archE910ELNS1_3gpuE8ELNS1_3repE0EEENS1_30default_config_static_selectorELNS0_4arch9wavefront6targetE1EEEvSW_ ; -- Begin function _ZN7rocprim17ROCPRIM_400000_NS6detail17trampoline_kernelINS0_14default_configENS1_27upper_bound_config_selectorIdlEEZNS1_14transform_implILb0ES3_S5_N6thrust23THRUST_200600_302600_NS6detail15normal_iteratorINS8_7pointerIdNS8_11hip_rocprim5par_tENS8_11use_defaultESE_EEEENSA_INSB_IlSD_SE_SE_EEEEZNS1_13binary_searchIS3_S5_PdSG_SI_NS1_21upper_bound_search_opENS9_16wrapped_functionINS8_6system6detail7generic6detail18binary_search_lessEbEEEE10hipError_tPvRmT1_T2_T3_mmT4_T5_P12ihipStream_tbEUlRKdE_EEST_SX_SY_mSZ_S12_bEUlT_E_NS1_11comp_targetILNS1_3genE4ELNS1_11target_archE910ELNS1_3gpuE8ELNS1_3repE0EEENS1_30default_config_static_selectorELNS0_4arch9wavefront6targetE1EEEvSW_
	.globl	_ZN7rocprim17ROCPRIM_400000_NS6detail17trampoline_kernelINS0_14default_configENS1_27upper_bound_config_selectorIdlEEZNS1_14transform_implILb0ES3_S5_N6thrust23THRUST_200600_302600_NS6detail15normal_iteratorINS8_7pointerIdNS8_11hip_rocprim5par_tENS8_11use_defaultESE_EEEENSA_INSB_IlSD_SE_SE_EEEEZNS1_13binary_searchIS3_S5_PdSG_SI_NS1_21upper_bound_search_opENS9_16wrapped_functionINS8_6system6detail7generic6detail18binary_search_lessEbEEEE10hipError_tPvRmT1_T2_T3_mmT4_T5_P12ihipStream_tbEUlRKdE_EEST_SX_SY_mSZ_S12_bEUlT_E_NS1_11comp_targetILNS1_3genE4ELNS1_11target_archE910ELNS1_3gpuE8ELNS1_3repE0EEENS1_30default_config_static_selectorELNS0_4arch9wavefront6targetE1EEEvSW_
	.p2align	8
	.type	_ZN7rocprim17ROCPRIM_400000_NS6detail17trampoline_kernelINS0_14default_configENS1_27upper_bound_config_selectorIdlEEZNS1_14transform_implILb0ES3_S5_N6thrust23THRUST_200600_302600_NS6detail15normal_iteratorINS8_7pointerIdNS8_11hip_rocprim5par_tENS8_11use_defaultESE_EEEENSA_INSB_IlSD_SE_SE_EEEEZNS1_13binary_searchIS3_S5_PdSG_SI_NS1_21upper_bound_search_opENS9_16wrapped_functionINS8_6system6detail7generic6detail18binary_search_lessEbEEEE10hipError_tPvRmT1_T2_T3_mmT4_T5_P12ihipStream_tbEUlRKdE_EEST_SX_SY_mSZ_S12_bEUlT_E_NS1_11comp_targetILNS1_3genE4ELNS1_11target_archE910ELNS1_3gpuE8ELNS1_3repE0EEENS1_30default_config_static_selectorELNS0_4arch9wavefront6targetE1EEEvSW_,@function
_ZN7rocprim17ROCPRIM_400000_NS6detail17trampoline_kernelINS0_14default_configENS1_27upper_bound_config_selectorIdlEEZNS1_14transform_implILb0ES3_S5_N6thrust23THRUST_200600_302600_NS6detail15normal_iteratorINS8_7pointerIdNS8_11hip_rocprim5par_tENS8_11use_defaultESE_EEEENSA_INSB_IlSD_SE_SE_EEEEZNS1_13binary_searchIS3_S5_PdSG_SI_NS1_21upper_bound_search_opENS9_16wrapped_functionINS8_6system6detail7generic6detail18binary_search_lessEbEEEE10hipError_tPvRmT1_T2_T3_mmT4_T5_P12ihipStream_tbEUlRKdE_EEST_SX_SY_mSZ_S12_bEUlT_E_NS1_11comp_targetILNS1_3genE4ELNS1_11target_archE910ELNS1_3gpuE8ELNS1_3repE0EEENS1_30default_config_static_selectorELNS0_4arch9wavefront6targetE1EEEvSW_: ; @_ZN7rocprim17ROCPRIM_400000_NS6detail17trampoline_kernelINS0_14default_configENS1_27upper_bound_config_selectorIdlEEZNS1_14transform_implILb0ES3_S5_N6thrust23THRUST_200600_302600_NS6detail15normal_iteratorINS8_7pointerIdNS8_11hip_rocprim5par_tENS8_11use_defaultESE_EEEENSA_INSB_IlSD_SE_SE_EEEEZNS1_13binary_searchIS3_S5_PdSG_SI_NS1_21upper_bound_search_opENS9_16wrapped_functionINS8_6system6detail7generic6detail18binary_search_lessEbEEEE10hipError_tPvRmT1_T2_T3_mmT4_T5_P12ihipStream_tbEUlRKdE_EEST_SX_SY_mSZ_S12_bEUlT_E_NS1_11comp_targetILNS1_3genE4ELNS1_11target_archE910ELNS1_3gpuE8ELNS1_3repE0EEENS1_30default_config_static_selectorELNS0_4arch9wavefront6targetE1EEEvSW_
; %bb.0:
	.section	.rodata,"a",@progbits
	.p2align	6, 0x0
	.amdhsa_kernel _ZN7rocprim17ROCPRIM_400000_NS6detail17trampoline_kernelINS0_14default_configENS1_27upper_bound_config_selectorIdlEEZNS1_14transform_implILb0ES3_S5_N6thrust23THRUST_200600_302600_NS6detail15normal_iteratorINS8_7pointerIdNS8_11hip_rocprim5par_tENS8_11use_defaultESE_EEEENSA_INSB_IlSD_SE_SE_EEEEZNS1_13binary_searchIS3_S5_PdSG_SI_NS1_21upper_bound_search_opENS9_16wrapped_functionINS8_6system6detail7generic6detail18binary_search_lessEbEEEE10hipError_tPvRmT1_T2_T3_mmT4_T5_P12ihipStream_tbEUlRKdE_EEST_SX_SY_mSZ_S12_bEUlT_E_NS1_11comp_targetILNS1_3genE4ELNS1_11target_archE910ELNS1_3gpuE8ELNS1_3repE0EEENS1_30default_config_static_selectorELNS0_4arch9wavefront6targetE1EEEvSW_
		.amdhsa_group_segment_fixed_size 0
		.amdhsa_private_segment_fixed_size 0
		.amdhsa_kernarg_size 56
		.amdhsa_user_sgpr_count 6
		.amdhsa_user_sgpr_private_segment_buffer 1
		.amdhsa_user_sgpr_dispatch_ptr 0
		.amdhsa_user_sgpr_queue_ptr 0
		.amdhsa_user_sgpr_kernarg_segment_ptr 1
		.amdhsa_user_sgpr_dispatch_id 0
		.amdhsa_user_sgpr_flat_scratch_init 0
		.amdhsa_user_sgpr_private_segment_size 0
		.amdhsa_uses_dynamic_stack 0
		.amdhsa_system_sgpr_private_segment_wavefront_offset 0
		.amdhsa_system_sgpr_workgroup_id_x 1
		.amdhsa_system_sgpr_workgroup_id_y 0
		.amdhsa_system_sgpr_workgroup_id_z 0
		.amdhsa_system_sgpr_workgroup_info 0
		.amdhsa_system_vgpr_workitem_id 0
		.amdhsa_next_free_vgpr 1
		.amdhsa_next_free_sgpr 0
		.amdhsa_reserve_vcc 0
		.amdhsa_reserve_flat_scratch 0
		.amdhsa_float_round_mode_32 0
		.amdhsa_float_round_mode_16_64 0
		.amdhsa_float_denorm_mode_32 3
		.amdhsa_float_denorm_mode_16_64 3
		.amdhsa_dx10_clamp 1
		.amdhsa_ieee_mode 1
		.amdhsa_fp16_overflow 0
		.amdhsa_exception_fp_ieee_invalid_op 0
		.amdhsa_exception_fp_denorm_src 0
		.amdhsa_exception_fp_ieee_div_zero 0
		.amdhsa_exception_fp_ieee_overflow 0
		.amdhsa_exception_fp_ieee_underflow 0
		.amdhsa_exception_fp_ieee_inexact 0
		.amdhsa_exception_int_div_zero 0
	.end_amdhsa_kernel
	.section	.text._ZN7rocprim17ROCPRIM_400000_NS6detail17trampoline_kernelINS0_14default_configENS1_27upper_bound_config_selectorIdlEEZNS1_14transform_implILb0ES3_S5_N6thrust23THRUST_200600_302600_NS6detail15normal_iteratorINS8_7pointerIdNS8_11hip_rocprim5par_tENS8_11use_defaultESE_EEEENSA_INSB_IlSD_SE_SE_EEEEZNS1_13binary_searchIS3_S5_PdSG_SI_NS1_21upper_bound_search_opENS9_16wrapped_functionINS8_6system6detail7generic6detail18binary_search_lessEbEEEE10hipError_tPvRmT1_T2_T3_mmT4_T5_P12ihipStream_tbEUlRKdE_EEST_SX_SY_mSZ_S12_bEUlT_E_NS1_11comp_targetILNS1_3genE4ELNS1_11target_archE910ELNS1_3gpuE8ELNS1_3repE0EEENS1_30default_config_static_selectorELNS0_4arch9wavefront6targetE1EEEvSW_,"axG",@progbits,_ZN7rocprim17ROCPRIM_400000_NS6detail17trampoline_kernelINS0_14default_configENS1_27upper_bound_config_selectorIdlEEZNS1_14transform_implILb0ES3_S5_N6thrust23THRUST_200600_302600_NS6detail15normal_iteratorINS8_7pointerIdNS8_11hip_rocprim5par_tENS8_11use_defaultESE_EEEENSA_INSB_IlSD_SE_SE_EEEEZNS1_13binary_searchIS3_S5_PdSG_SI_NS1_21upper_bound_search_opENS9_16wrapped_functionINS8_6system6detail7generic6detail18binary_search_lessEbEEEE10hipError_tPvRmT1_T2_T3_mmT4_T5_P12ihipStream_tbEUlRKdE_EEST_SX_SY_mSZ_S12_bEUlT_E_NS1_11comp_targetILNS1_3genE4ELNS1_11target_archE910ELNS1_3gpuE8ELNS1_3repE0EEENS1_30default_config_static_selectorELNS0_4arch9wavefront6targetE1EEEvSW_,comdat
.Lfunc_end164:
	.size	_ZN7rocprim17ROCPRIM_400000_NS6detail17trampoline_kernelINS0_14default_configENS1_27upper_bound_config_selectorIdlEEZNS1_14transform_implILb0ES3_S5_N6thrust23THRUST_200600_302600_NS6detail15normal_iteratorINS8_7pointerIdNS8_11hip_rocprim5par_tENS8_11use_defaultESE_EEEENSA_INSB_IlSD_SE_SE_EEEEZNS1_13binary_searchIS3_S5_PdSG_SI_NS1_21upper_bound_search_opENS9_16wrapped_functionINS8_6system6detail7generic6detail18binary_search_lessEbEEEE10hipError_tPvRmT1_T2_T3_mmT4_T5_P12ihipStream_tbEUlRKdE_EEST_SX_SY_mSZ_S12_bEUlT_E_NS1_11comp_targetILNS1_3genE4ELNS1_11target_archE910ELNS1_3gpuE8ELNS1_3repE0EEENS1_30default_config_static_selectorELNS0_4arch9wavefront6targetE1EEEvSW_, .Lfunc_end164-_ZN7rocprim17ROCPRIM_400000_NS6detail17trampoline_kernelINS0_14default_configENS1_27upper_bound_config_selectorIdlEEZNS1_14transform_implILb0ES3_S5_N6thrust23THRUST_200600_302600_NS6detail15normal_iteratorINS8_7pointerIdNS8_11hip_rocprim5par_tENS8_11use_defaultESE_EEEENSA_INSB_IlSD_SE_SE_EEEEZNS1_13binary_searchIS3_S5_PdSG_SI_NS1_21upper_bound_search_opENS9_16wrapped_functionINS8_6system6detail7generic6detail18binary_search_lessEbEEEE10hipError_tPvRmT1_T2_T3_mmT4_T5_P12ihipStream_tbEUlRKdE_EEST_SX_SY_mSZ_S12_bEUlT_E_NS1_11comp_targetILNS1_3genE4ELNS1_11target_archE910ELNS1_3gpuE8ELNS1_3repE0EEENS1_30default_config_static_selectorELNS0_4arch9wavefront6targetE1EEEvSW_
                                        ; -- End function
	.set _ZN7rocprim17ROCPRIM_400000_NS6detail17trampoline_kernelINS0_14default_configENS1_27upper_bound_config_selectorIdlEEZNS1_14transform_implILb0ES3_S5_N6thrust23THRUST_200600_302600_NS6detail15normal_iteratorINS8_7pointerIdNS8_11hip_rocprim5par_tENS8_11use_defaultESE_EEEENSA_INSB_IlSD_SE_SE_EEEEZNS1_13binary_searchIS3_S5_PdSG_SI_NS1_21upper_bound_search_opENS9_16wrapped_functionINS8_6system6detail7generic6detail18binary_search_lessEbEEEE10hipError_tPvRmT1_T2_T3_mmT4_T5_P12ihipStream_tbEUlRKdE_EEST_SX_SY_mSZ_S12_bEUlT_E_NS1_11comp_targetILNS1_3genE4ELNS1_11target_archE910ELNS1_3gpuE8ELNS1_3repE0EEENS1_30default_config_static_selectorELNS0_4arch9wavefront6targetE1EEEvSW_.num_vgpr, 0
	.set _ZN7rocprim17ROCPRIM_400000_NS6detail17trampoline_kernelINS0_14default_configENS1_27upper_bound_config_selectorIdlEEZNS1_14transform_implILb0ES3_S5_N6thrust23THRUST_200600_302600_NS6detail15normal_iteratorINS8_7pointerIdNS8_11hip_rocprim5par_tENS8_11use_defaultESE_EEEENSA_INSB_IlSD_SE_SE_EEEEZNS1_13binary_searchIS3_S5_PdSG_SI_NS1_21upper_bound_search_opENS9_16wrapped_functionINS8_6system6detail7generic6detail18binary_search_lessEbEEEE10hipError_tPvRmT1_T2_T3_mmT4_T5_P12ihipStream_tbEUlRKdE_EEST_SX_SY_mSZ_S12_bEUlT_E_NS1_11comp_targetILNS1_3genE4ELNS1_11target_archE910ELNS1_3gpuE8ELNS1_3repE0EEENS1_30default_config_static_selectorELNS0_4arch9wavefront6targetE1EEEvSW_.num_agpr, 0
	.set _ZN7rocprim17ROCPRIM_400000_NS6detail17trampoline_kernelINS0_14default_configENS1_27upper_bound_config_selectorIdlEEZNS1_14transform_implILb0ES3_S5_N6thrust23THRUST_200600_302600_NS6detail15normal_iteratorINS8_7pointerIdNS8_11hip_rocprim5par_tENS8_11use_defaultESE_EEEENSA_INSB_IlSD_SE_SE_EEEEZNS1_13binary_searchIS3_S5_PdSG_SI_NS1_21upper_bound_search_opENS9_16wrapped_functionINS8_6system6detail7generic6detail18binary_search_lessEbEEEE10hipError_tPvRmT1_T2_T3_mmT4_T5_P12ihipStream_tbEUlRKdE_EEST_SX_SY_mSZ_S12_bEUlT_E_NS1_11comp_targetILNS1_3genE4ELNS1_11target_archE910ELNS1_3gpuE8ELNS1_3repE0EEENS1_30default_config_static_selectorELNS0_4arch9wavefront6targetE1EEEvSW_.numbered_sgpr, 0
	.set _ZN7rocprim17ROCPRIM_400000_NS6detail17trampoline_kernelINS0_14default_configENS1_27upper_bound_config_selectorIdlEEZNS1_14transform_implILb0ES3_S5_N6thrust23THRUST_200600_302600_NS6detail15normal_iteratorINS8_7pointerIdNS8_11hip_rocprim5par_tENS8_11use_defaultESE_EEEENSA_INSB_IlSD_SE_SE_EEEEZNS1_13binary_searchIS3_S5_PdSG_SI_NS1_21upper_bound_search_opENS9_16wrapped_functionINS8_6system6detail7generic6detail18binary_search_lessEbEEEE10hipError_tPvRmT1_T2_T3_mmT4_T5_P12ihipStream_tbEUlRKdE_EEST_SX_SY_mSZ_S12_bEUlT_E_NS1_11comp_targetILNS1_3genE4ELNS1_11target_archE910ELNS1_3gpuE8ELNS1_3repE0EEENS1_30default_config_static_selectorELNS0_4arch9wavefront6targetE1EEEvSW_.num_named_barrier, 0
	.set _ZN7rocprim17ROCPRIM_400000_NS6detail17trampoline_kernelINS0_14default_configENS1_27upper_bound_config_selectorIdlEEZNS1_14transform_implILb0ES3_S5_N6thrust23THRUST_200600_302600_NS6detail15normal_iteratorINS8_7pointerIdNS8_11hip_rocprim5par_tENS8_11use_defaultESE_EEEENSA_INSB_IlSD_SE_SE_EEEEZNS1_13binary_searchIS3_S5_PdSG_SI_NS1_21upper_bound_search_opENS9_16wrapped_functionINS8_6system6detail7generic6detail18binary_search_lessEbEEEE10hipError_tPvRmT1_T2_T3_mmT4_T5_P12ihipStream_tbEUlRKdE_EEST_SX_SY_mSZ_S12_bEUlT_E_NS1_11comp_targetILNS1_3genE4ELNS1_11target_archE910ELNS1_3gpuE8ELNS1_3repE0EEENS1_30default_config_static_selectorELNS0_4arch9wavefront6targetE1EEEvSW_.private_seg_size, 0
	.set _ZN7rocprim17ROCPRIM_400000_NS6detail17trampoline_kernelINS0_14default_configENS1_27upper_bound_config_selectorIdlEEZNS1_14transform_implILb0ES3_S5_N6thrust23THRUST_200600_302600_NS6detail15normal_iteratorINS8_7pointerIdNS8_11hip_rocprim5par_tENS8_11use_defaultESE_EEEENSA_INSB_IlSD_SE_SE_EEEEZNS1_13binary_searchIS3_S5_PdSG_SI_NS1_21upper_bound_search_opENS9_16wrapped_functionINS8_6system6detail7generic6detail18binary_search_lessEbEEEE10hipError_tPvRmT1_T2_T3_mmT4_T5_P12ihipStream_tbEUlRKdE_EEST_SX_SY_mSZ_S12_bEUlT_E_NS1_11comp_targetILNS1_3genE4ELNS1_11target_archE910ELNS1_3gpuE8ELNS1_3repE0EEENS1_30default_config_static_selectorELNS0_4arch9wavefront6targetE1EEEvSW_.uses_vcc, 0
	.set _ZN7rocprim17ROCPRIM_400000_NS6detail17trampoline_kernelINS0_14default_configENS1_27upper_bound_config_selectorIdlEEZNS1_14transform_implILb0ES3_S5_N6thrust23THRUST_200600_302600_NS6detail15normal_iteratorINS8_7pointerIdNS8_11hip_rocprim5par_tENS8_11use_defaultESE_EEEENSA_INSB_IlSD_SE_SE_EEEEZNS1_13binary_searchIS3_S5_PdSG_SI_NS1_21upper_bound_search_opENS9_16wrapped_functionINS8_6system6detail7generic6detail18binary_search_lessEbEEEE10hipError_tPvRmT1_T2_T3_mmT4_T5_P12ihipStream_tbEUlRKdE_EEST_SX_SY_mSZ_S12_bEUlT_E_NS1_11comp_targetILNS1_3genE4ELNS1_11target_archE910ELNS1_3gpuE8ELNS1_3repE0EEENS1_30default_config_static_selectorELNS0_4arch9wavefront6targetE1EEEvSW_.uses_flat_scratch, 0
	.set _ZN7rocprim17ROCPRIM_400000_NS6detail17trampoline_kernelINS0_14default_configENS1_27upper_bound_config_selectorIdlEEZNS1_14transform_implILb0ES3_S5_N6thrust23THRUST_200600_302600_NS6detail15normal_iteratorINS8_7pointerIdNS8_11hip_rocprim5par_tENS8_11use_defaultESE_EEEENSA_INSB_IlSD_SE_SE_EEEEZNS1_13binary_searchIS3_S5_PdSG_SI_NS1_21upper_bound_search_opENS9_16wrapped_functionINS8_6system6detail7generic6detail18binary_search_lessEbEEEE10hipError_tPvRmT1_T2_T3_mmT4_T5_P12ihipStream_tbEUlRKdE_EEST_SX_SY_mSZ_S12_bEUlT_E_NS1_11comp_targetILNS1_3genE4ELNS1_11target_archE910ELNS1_3gpuE8ELNS1_3repE0EEENS1_30default_config_static_selectorELNS0_4arch9wavefront6targetE1EEEvSW_.has_dyn_sized_stack, 0
	.set _ZN7rocprim17ROCPRIM_400000_NS6detail17trampoline_kernelINS0_14default_configENS1_27upper_bound_config_selectorIdlEEZNS1_14transform_implILb0ES3_S5_N6thrust23THRUST_200600_302600_NS6detail15normal_iteratorINS8_7pointerIdNS8_11hip_rocprim5par_tENS8_11use_defaultESE_EEEENSA_INSB_IlSD_SE_SE_EEEEZNS1_13binary_searchIS3_S5_PdSG_SI_NS1_21upper_bound_search_opENS9_16wrapped_functionINS8_6system6detail7generic6detail18binary_search_lessEbEEEE10hipError_tPvRmT1_T2_T3_mmT4_T5_P12ihipStream_tbEUlRKdE_EEST_SX_SY_mSZ_S12_bEUlT_E_NS1_11comp_targetILNS1_3genE4ELNS1_11target_archE910ELNS1_3gpuE8ELNS1_3repE0EEENS1_30default_config_static_selectorELNS0_4arch9wavefront6targetE1EEEvSW_.has_recursion, 0
	.set _ZN7rocprim17ROCPRIM_400000_NS6detail17trampoline_kernelINS0_14default_configENS1_27upper_bound_config_selectorIdlEEZNS1_14transform_implILb0ES3_S5_N6thrust23THRUST_200600_302600_NS6detail15normal_iteratorINS8_7pointerIdNS8_11hip_rocprim5par_tENS8_11use_defaultESE_EEEENSA_INSB_IlSD_SE_SE_EEEEZNS1_13binary_searchIS3_S5_PdSG_SI_NS1_21upper_bound_search_opENS9_16wrapped_functionINS8_6system6detail7generic6detail18binary_search_lessEbEEEE10hipError_tPvRmT1_T2_T3_mmT4_T5_P12ihipStream_tbEUlRKdE_EEST_SX_SY_mSZ_S12_bEUlT_E_NS1_11comp_targetILNS1_3genE4ELNS1_11target_archE910ELNS1_3gpuE8ELNS1_3repE0EEENS1_30default_config_static_selectorELNS0_4arch9wavefront6targetE1EEEvSW_.has_indirect_call, 0
	.section	.AMDGPU.csdata,"",@progbits
; Kernel info:
; codeLenInByte = 0
; TotalNumSgprs: 4
; NumVgprs: 0
; ScratchSize: 0
; MemoryBound: 0
; FloatMode: 240
; IeeeMode: 1
; LDSByteSize: 0 bytes/workgroup (compile time only)
; SGPRBlocks: 0
; VGPRBlocks: 0
; NumSGPRsForWavesPerEU: 4
; NumVGPRsForWavesPerEU: 1
; Occupancy: 10
; WaveLimiterHint : 0
; COMPUTE_PGM_RSRC2:SCRATCH_EN: 0
; COMPUTE_PGM_RSRC2:USER_SGPR: 6
; COMPUTE_PGM_RSRC2:TRAP_HANDLER: 0
; COMPUTE_PGM_RSRC2:TGID_X_EN: 1
; COMPUTE_PGM_RSRC2:TGID_Y_EN: 0
; COMPUTE_PGM_RSRC2:TGID_Z_EN: 0
; COMPUTE_PGM_RSRC2:TIDIG_COMP_CNT: 0
	.section	.text._ZN7rocprim17ROCPRIM_400000_NS6detail17trampoline_kernelINS0_14default_configENS1_27upper_bound_config_selectorIdlEEZNS1_14transform_implILb0ES3_S5_N6thrust23THRUST_200600_302600_NS6detail15normal_iteratorINS8_7pointerIdNS8_11hip_rocprim5par_tENS8_11use_defaultESE_EEEENSA_INSB_IlSD_SE_SE_EEEEZNS1_13binary_searchIS3_S5_PdSG_SI_NS1_21upper_bound_search_opENS9_16wrapped_functionINS8_6system6detail7generic6detail18binary_search_lessEbEEEE10hipError_tPvRmT1_T2_T3_mmT4_T5_P12ihipStream_tbEUlRKdE_EEST_SX_SY_mSZ_S12_bEUlT_E_NS1_11comp_targetILNS1_3genE3ELNS1_11target_archE908ELNS1_3gpuE7ELNS1_3repE0EEENS1_30default_config_static_selectorELNS0_4arch9wavefront6targetE1EEEvSW_,"axG",@progbits,_ZN7rocprim17ROCPRIM_400000_NS6detail17trampoline_kernelINS0_14default_configENS1_27upper_bound_config_selectorIdlEEZNS1_14transform_implILb0ES3_S5_N6thrust23THRUST_200600_302600_NS6detail15normal_iteratorINS8_7pointerIdNS8_11hip_rocprim5par_tENS8_11use_defaultESE_EEEENSA_INSB_IlSD_SE_SE_EEEEZNS1_13binary_searchIS3_S5_PdSG_SI_NS1_21upper_bound_search_opENS9_16wrapped_functionINS8_6system6detail7generic6detail18binary_search_lessEbEEEE10hipError_tPvRmT1_T2_T3_mmT4_T5_P12ihipStream_tbEUlRKdE_EEST_SX_SY_mSZ_S12_bEUlT_E_NS1_11comp_targetILNS1_3genE3ELNS1_11target_archE908ELNS1_3gpuE7ELNS1_3repE0EEENS1_30default_config_static_selectorELNS0_4arch9wavefront6targetE1EEEvSW_,comdat
	.protected	_ZN7rocprim17ROCPRIM_400000_NS6detail17trampoline_kernelINS0_14default_configENS1_27upper_bound_config_selectorIdlEEZNS1_14transform_implILb0ES3_S5_N6thrust23THRUST_200600_302600_NS6detail15normal_iteratorINS8_7pointerIdNS8_11hip_rocprim5par_tENS8_11use_defaultESE_EEEENSA_INSB_IlSD_SE_SE_EEEEZNS1_13binary_searchIS3_S5_PdSG_SI_NS1_21upper_bound_search_opENS9_16wrapped_functionINS8_6system6detail7generic6detail18binary_search_lessEbEEEE10hipError_tPvRmT1_T2_T3_mmT4_T5_P12ihipStream_tbEUlRKdE_EEST_SX_SY_mSZ_S12_bEUlT_E_NS1_11comp_targetILNS1_3genE3ELNS1_11target_archE908ELNS1_3gpuE7ELNS1_3repE0EEENS1_30default_config_static_selectorELNS0_4arch9wavefront6targetE1EEEvSW_ ; -- Begin function _ZN7rocprim17ROCPRIM_400000_NS6detail17trampoline_kernelINS0_14default_configENS1_27upper_bound_config_selectorIdlEEZNS1_14transform_implILb0ES3_S5_N6thrust23THRUST_200600_302600_NS6detail15normal_iteratorINS8_7pointerIdNS8_11hip_rocprim5par_tENS8_11use_defaultESE_EEEENSA_INSB_IlSD_SE_SE_EEEEZNS1_13binary_searchIS3_S5_PdSG_SI_NS1_21upper_bound_search_opENS9_16wrapped_functionINS8_6system6detail7generic6detail18binary_search_lessEbEEEE10hipError_tPvRmT1_T2_T3_mmT4_T5_P12ihipStream_tbEUlRKdE_EEST_SX_SY_mSZ_S12_bEUlT_E_NS1_11comp_targetILNS1_3genE3ELNS1_11target_archE908ELNS1_3gpuE7ELNS1_3repE0EEENS1_30default_config_static_selectorELNS0_4arch9wavefront6targetE1EEEvSW_
	.globl	_ZN7rocprim17ROCPRIM_400000_NS6detail17trampoline_kernelINS0_14default_configENS1_27upper_bound_config_selectorIdlEEZNS1_14transform_implILb0ES3_S5_N6thrust23THRUST_200600_302600_NS6detail15normal_iteratorINS8_7pointerIdNS8_11hip_rocprim5par_tENS8_11use_defaultESE_EEEENSA_INSB_IlSD_SE_SE_EEEEZNS1_13binary_searchIS3_S5_PdSG_SI_NS1_21upper_bound_search_opENS9_16wrapped_functionINS8_6system6detail7generic6detail18binary_search_lessEbEEEE10hipError_tPvRmT1_T2_T3_mmT4_T5_P12ihipStream_tbEUlRKdE_EEST_SX_SY_mSZ_S12_bEUlT_E_NS1_11comp_targetILNS1_3genE3ELNS1_11target_archE908ELNS1_3gpuE7ELNS1_3repE0EEENS1_30default_config_static_selectorELNS0_4arch9wavefront6targetE1EEEvSW_
	.p2align	8
	.type	_ZN7rocprim17ROCPRIM_400000_NS6detail17trampoline_kernelINS0_14default_configENS1_27upper_bound_config_selectorIdlEEZNS1_14transform_implILb0ES3_S5_N6thrust23THRUST_200600_302600_NS6detail15normal_iteratorINS8_7pointerIdNS8_11hip_rocprim5par_tENS8_11use_defaultESE_EEEENSA_INSB_IlSD_SE_SE_EEEEZNS1_13binary_searchIS3_S5_PdSG_SI_NS1_21upper_bound_search_opENS9_16wrapped_functionINS8_6system6detail7generic6detail18binary_search_lessEbEEEE10hipError_tPvRmT1_T2_T3_mmT4_T5_P12ihipStream_tbEUlRKdE_EEST_SX_SY_mSZ_S12_bEUlT_E_NS1_11comp_targetILNS1_3genE3ELNS1_11target_archE908ELNS1_3gpuE7ELNS1_3repE0EEENS1_30default_config_static_selectorELNS0_4arch9wavefront6targetE1EEEvSW_,@function
_ZN7rocprim17ROCPRIM_400000_NS6detail17trampoline_kernelINS0_14default_configENS1_27upper_bound_config_selectorIdlEEZNS1_14transform_implILb0ES3_S5_N6thrust23THRUST_200600_302600_NS6detail15normal_iteratorINS8_7pointerIdNS8_11hip_rocprim5par_tENS8_11use_defaultESE_EEEENSA_INSB_IlSD_SE_SE_EEEEZNS1_13binary_searchIS3_S5_PdSG_SI_NS1_21upper_bound_search_opENS9_16wrapped_functionINS8_6system6detail7generic6detail18binary_search_lessEbEEEE10hipError_tPvRmT1_T2_T3_mmT4_T5_P12ihipStream_tbEUlRKdE_EEST_SX_SY_mSZ_S12_bEUlT_E_NS1_11comp_targetILNS1_3genE3ELNS1_11target_archE908ELNS1_3gpuE7ELNS1_3repE0EEENS1_30default_config_static_selectorELNS0_4arch9wavefront6targetE1EEEvSW_: ; @_ZN7rocprim17ROCPRIM_400000_NS6detail17trampoline_kernelINS0_14default_configENS1_27upper_bound_config_selectorIdlEEZNS1_14transform_implILb0ES3_S5_N6thrust23THRUST_200600_302600_NS6detail15normal_iteratorINS8_7pointerIdNS8_11hip_rocprim5par_tENS8_11use_defaultESE_EEEENSA_INSB_IlSD_SE_SE_EEEEZNS1_13binary_searchIS3_S5_PdSG_SI_NS1_21upper_bound_search_opENS9_16wrapped_functionINS8_6system6detail7generic6detail18binary_search_lessEbEEEE10hipError_tPvRmT1_T2_T3_mmT4_T5_P12ihipStream_tbEUlRKdE_EEST_SX_SY_mSZ_S12_bEUlT_E_NS1_11comp_targetILNS1_3genE3ELNS1_11target_archE908ELNS1_3gpuE7ELNS1_3repE0EEENS1_30default_config_static_selectorELNS0_4arch9wavefront6targetE1EEEvSW_
; %bb.0:
	.section	.rodata,"a",@progbits
	.p2align	6, 0x0
	.amdhsa_kernel _ZN7rocprim17ROCPRIM_400000_NS6detail17trampoline_kernelINS0_14default_configENS1_27upper_bound_config_selectorIdlEEZNS1_14transform_implILb0ES3_S5_N6thrust23THRUST_200600_302600_NS6detail15normal_iteratorINS8_7pointerIdNS8_11hip_rocprim5par_tENS8_11use_defaultESE_EEEENSA_INSB_IlSD_SE_SE_EEEEZNS1_13binary_searchIS3_S5_PdSG_SI_NS1_21upper_bound_search_opENS9_16wrapped_functionINS8_6system6detail7generic6detail18binary_search_lessEbEEEE10hipError_tPvRmT1_T2_T3_mmT4_T5_P12ihipStream_tbEUlRKdE_EEST_SX_SY_mSZ_S12_bEUlT_E_NS1_11comp_targetILNS1_3genE3ELNS1_11target_archE908ELNS1_3gpuE7ELNS1_3repE0EEENS1_30default_config_static_selectorELNS0_4arch9wavefront6targetE1EEEvSW_
		.amdhsa_group_segment_fixed_size 0
		.amdhsa_private_segment_fixed_size 0
		.amdhsa_kernarg_size 56
		.amdhsa_user_sgpr_count 6
		.amdhsa_user_sgpr_private_segment_buffer 1
		.amdhsa_user_sgpr_dispatch_ptr 0
		.amdhsa_user_sgpr_queue_ptr 0
		.amdhsa_user_sgpr_kernarg_segment_ptr 1
		.amdhsa_user_sgpr_dispatch_id 0
		.amdhsa_user_sgpr_flat_scratch_init 0
		.amdhsa_user_sgpr_private_segment_size 0
		.amdhsa_uses_dynamic_stack 0
		.amdhsa_system_sgpr_private_segment_wavefront_offset 0
		.amdhsa_system_sgpr_workgroup_id_x 1
		.amdhsa_system_sgpr_workgroup_id_y 0
		.amdhsa_system_sgpr_workgroup_id_z 0
		.amdhsa_system_sgpr_workgroup_info 0
		.amdhsa_system_vgpr_workitem_id 0
		.amdhsa_next_free_vgpr 1
		.amdhsa_next_free_sgpr 0
		.amdhsa_reserve_vcc 0
		.amdhsa_reserve_flat_scratch 0
		.amdhsa_float_round_mode_32 0
		.amdhsa_float_round_mode_16_64 0
		.amdhsa_float_denorm_mode_32 3
		.amdhsa_float_denorm_mode_16_64 3
		.amdhsa_dx10_clamp 1
		.amdhsa_ieee_mode 1
		.amdhsa_fp16_overflow 0
		.amdhsa_exception_fp_ieee_invalid_op 0
		.amdhsa_exception_fp_denorm_src 0
		.amdhsa_exception_fp_ieee_div_zero 0
		.amdhsa_exception_fp_ieee_overflow 0
		.amdhsa_exception_fp_ieee_underflow 0
		.amdhsa_exception_fp_ieee_inexact 0
		.amdhsa_exception_int_div_zero 0
	.end_amdhsa_kernel
	.section	.text._ZN7rocprim17ROCPRIM_400000_NS6detail17trampoline_kernelINS0_14default_configENS1_27upper_bound_config_selectorIdlEEZNS1_14transform_implILb0ES3_S5_N6thrust23THRUST_200600_302600_NS6detail15normal_iteratorINS8_7pointerIdNS8_11hip_rocprim5par_tENS8_11use_defaultESE_EEEENSA_INSB_IlSD_SE_SE_EEEEZNS1_13binary_searchIS3_S5_PdSG_SI_NS1_21upper_bound_search_opENS9_16wrapped_functionINS8_6system6detail7generic6detail18binary_search_lessEbEEEE10hipError_tPvRmT1_T2_T3_mmT4_T5_P12ihipStream_tbEUlRKdE_EEST_SX_SY_mSZ_S12_bEUlT_E_NS1_11comp_targetILNS1_3genE3ELNS1_11target_archE908ELNS1_3gpuE7ELNS1_3repE0EEENS1_30default_config_static_selectorELNS0_4arch9wavefront6targetE1EEEvSW_,"axG",@progbits,_ZN7rocprim17ROCPRIM_400000_NS6detail17trampoline_kernelINS0_14default_configENS1_27upper_bound_config_selectorIdlEEZNS1_14transform_implILb0ES3_S5_N6thrust23THRUST_200600_302600_NS6detail15normal_iteratorINS8_7pointerIdNS8_11hip_rocprim5par_tENS8_11use_defaultESE_EEEENSA_INSB_IlSD_SE_SE_EEEEZNS1_13binary_searchIS3_S5_PdSG_SI_NS1_21upper_bound_search_opENS9_16wrapped_functionINS8_6system6detail7generic6detail18binary_search_lessEbEEEE10hipError_tPvRmT1_T2_T3_mmT4_T5_P12ihipStream_tbEUlRKdE_EEST_SX_SY_mSZ_S12_bEUlT_E_NS1_11comp_targetILNS1_3genE3ELNS1_11target_archE908ELNS1_3gpuE7ELNS1_3repE0EEENS1_30default_config_static_selectorELNS0_4arch9wavefront6targetE1EEEvSW_,comdat
.Lfunc_end165:
	.size	_ZN7rocprim17ROCPRIM_400000_NS6detail17trampoline_kernelINS0_14default_configENS1_27upper_bound_config_selectorIdlEEZNS1_14transform_implILb0ES3_S5_N6thrust23THRUST_200600_302600_NS6detail15normal_iteratorINS8_7pointerIdNS8_11hip_rocprim5par_tENS8_11use_defaultESE_EEEENSA_INSB_IlSD_SE_SE_EEEEZNS1_13binary_searchIS3_S5_PdSG_SI_NS1_21upper_bound_search_opENS9_16wrapped_functionINS8_6system6detail7generic6detail18binary_search_lessEbEEEE10hipError_tPvRmT1_T2_T3_mmT4_T5_P12ihipStream_tbEUlRKdE_EEST_SX_SY_mSZ_S12_bEUlT_E_NS1_11comp_targetILNS1_3genE3ELNS1_11target_archE908ELNS1_3gpuE7ELNS1_3repE0EEENS1_30default_config_static_selectorELNS0_4arch9wavefront6targetE1EEEvSW_, .Lfunc_end165-_ZN7rocprim17ROCPRIM_400000_NS6detail17trampoline_kernelINS0_14default_configENS1_27upper_bound_config_selectorIdlEEZNS1_14transform_implILb0ES3_S5_N6thrust23THRUST_200600_302600_NS6detail15normal_iteratorINS8_7pointerIdNS8_11hip_rocprim5par_tENS8_11use_defaultESE_EEEENSA_INSB_IlSD_SE_SE_EEEEZNS1_13binary_searchIS3_S5_PdSG_SI_NS1_21upper_bound_search_opENS9_16wrapped_functionINS8_6system6detail7generic6detail18binary_search_lessEbEEEE10hipError_tPvRmT1_T2_T3_mmT4_T5_P12ihipStream_tbEUlRKdE_EEST_SX_SY_mSZ_S12_bEUlT_E_NS1_11comp_targetILNS1_3genE3ELNS1_11target_archE908ELNS1_3gpuE7ELNS1_3repE0EEENS1_30default_config_static_selectorELNS0_4arch9wavefront6targetE1EEEvSW_
                                        ; -- End function
	.set _ZN7rocprim17ROCPRIM_400000_NS6detail17trampoline_kernelINS0_14default_configENS1_27upper_bound_config_selectorIdlEEZNS1_14transform_implILb0ES3_S5_N6thrust23THRUST_200600_302600_NS6detail15normal_iteratorINS8_7pointerIdNS8_11hip_rocprim5par_tENS8_11use_defaultESE_EEEENSA_INSB_IlSD_SE_SE_EEEEZNS1_13binary_searchIS3_S5_PdSG_SI_NS1_21upper_bound_search_opENS9_16wrapped_functionINS8_6system6detail7generic6detail18binary_search_lessEbEEEE10hipError_tPvRmT1_T2_T3_mmT4_T5_P12ihipStream_tbEUlRKdE_EEST_SX_SY_mSZ_S12_bEUlT_E_NS1_11comp_targetILNS1_3genE3ELNS1_11target_archE908ELNS1_3gpuE7ELNS1_3repE0EEENS1_30default_config_static_selectorELNS0_4arch9wavefront6targetE1EEEvSW_.num_vgpr, 0
	.set _ZN7rocprim17ROCPRIM_400000_NS6detail17trampoline_kernelINS0_14default_configENS1_27upper_bound_config_selectorIdlEEZNS1_14transform_implILb0ES3_S5_N6thrust23THRUST_200600_302600_NS6detail15normal_iteratorINS8_7pointerIdNS8_11hip_rocprim5par_tENS8_11use_defaultESE_EEEENSA_INSB_IlSD_SE_SE_EEEEZNS1_13binary_searchIS3_S5_PdSG_SI_NS1_21upper_bound_search_opENS9_16wrapped_functionINS8_6system6detail7generic6detail18binary_search_lessEbEEEE10hipError_tPvRmT1_T2_T3_mmT4_T5_P12ihipStream_tbEUlRKdE_EEST_SX_SY_mSZ_S12_bEUlT_E_NS1_11comp_targetILNS1_3genE3ELNS1_11target_archE908ELNS1_3gpuE7ELNS1_3repE0EEENS1_30default_config_static_selectorELNS0_4arch9wavefront6targetE1EEEvSW_.num_agpr, 0
	.set _ZN7rocprim17ROCPRIM_400000_NS6detail17trampoline_kernelINS0_14default_configENS1_27upper_bound_config_selectorIdlEEZNS1_14transform_implILb0ES3_S5_N6thrust23THRUST_200600_302600_NS6detail15normal_iteratorINS8_7pointerIdNS8_11hip_rocprim5par_tENS8_11use_defaultESE_EEEENSA_INSB_IlSD_SE_SE_EEEEZNS1_13binary_searchIS3_S5_PdSG_SI_NS1_21upper_bound_search_opENS9_16wrapped_functionINS8_6system6detail7generic6detail18binary_search_lessEbEEEE10hipError_tPvRmT1_T2_T3_mmT4_T5_P12ihipStream_tbEUlRKdE_EEST_SX_SY_mSZ_S12_bEUlT_E_NS1_11comp_targetILNS1_3genE3ELNS1_11target_archE908ELNS1_3gpuE7ELNS1_3repE0EEENS1_30default_config_static_selectorELNS0_4arch9wavefront6targetE1EEEvSW_.numbered_sgpr, 0
	.set _ZN7rocprim17ROCPRIM_400000_NS6detail17trampoline_kernelINS0_14default_configENS1_27upper_bound_config_selectorIdlEEZNS1_14transform_implILb0ES3_S5_N6thrust23THRUST_200600_302600_NS6detail15normal_iteratorINS8_7pointerIdNS8_11hip_rocprim5par_tENS8_11use_defaultESE_EEEENSA_INSB_IlSD_SE_SE_EEEEZNS1_13binary_searchIS3_S5_PdSG_SI_NS1_21upper_bound_search_opENS9_16wrapped_functionINS8_6system6detail7generic6detail18binary_search_lessEbEEEE10hipError_tPvRmT1_T2_T3_mmT4_T5_P12ihipStream_tbEUlRKdE_EEST_SX_SY_mSZ_S12_bEUlT_E_NS1_11comp_targetILNS1_3genE3ELNS1_11target_archE908ELNS1_3gpuE7ELNS1_3repE0EEENS1_30default_config_static_selectorELNS0_4arch9wavefront6targetE1EEEvSW_.num_named_barrier, 0
	.set _ZN7rocprim17ROCPRIM_400000_NS6detail17trampoline_kernelINS0_14default_configENS1_27upper_bound_config_selectorIdlEEZNS1_14transform_implILb0ES3_S5_N6thrust23THRUST_200600_302600_NS6detail15normal_iteratorINS8_7pointerIdNS8_11hip_rocprim5par_tENS8_11use_defaultESE_EEEENSA_INSB_IlSD_SE_SE_EEEEZNS1_13binary_searchIS3_S5_PdSG_SI_NS1_21upper_bound_search_opENS9_16wrapped_functionINS8_6system6detail7generic6detail18binary_search_lessEbEEEE10hipError_tPvRmT1_T2_T3_mmT4_T5_P12ihipStream_tbEUlRKdE_EEST_SX_SY_mSZ_S12_bEUlT_E_NS1_11comp_targetILNS1_3genE3ELNS1_11target_archE908ELNS1_3gpuE7ELNS1_3repE0EEENS1_30default_config_static_selectorELNS0_4arch9wavefront6targetE1EEEvSW_.private_seg_size, 0
	.set _ZN7rocprim17ROCPRIM_400000_NS6detail17trampoline_kernelINS0_14default_configENS1_27upper_bound_config_selectorIdlEEZNS1_14transform_implILb0ES3_S5_N6thrust23THRUST_200600_302600_NS6detail15normal_iteratorINS8_7pointerIdNS8_11hip_rocprim5par_tENS8_11use_defaultESE_EEEENSA_INSB_IlSD_SE_SE_EEEEZNS1_13binary_searchIS3_S5_PdSG_SI_NS1_21upper_bound_search_opENS9_16wrapped_functionINS8_6system6detail7generic6detail18binary_search_lessEbEEEE10hipError_tPvRmT1_T2_T3_mmT4_T5_P12ihipStream_tbEUlRKdE_EEST_SX_SY_mSZ_S12_bEUlT_E_NS1_11comp_targetILNS1_3genE3ELNS1_11target_archE908ELNS1_3gpuE7ELNS1_3repE0EEENS1_30default_config_static_selectorELNS0_4arch9wavefront6targetE1EEEvSW_.uses_vcc, 0
	.set _ZN7rocprim17ROCPRIM_400000_NS6detail17trampoline_kernelINS0_14default_configENS1_27upper_bound_config_selectorIdlEEZNS1_14transform_implILb0ES3_S5_N6thrust23THRUST_200600_302600_NS6detail15normal_iteratorINS8_7pointerIdNS8_11hip_rocprim5par_tENS8_11use_defaultESE_EEEENSA_INSB_IlSD_SE_SE_EEEEZNS1_13binary_searchIS3_S5_PdSG_SI_NS1_21upper_bound_search_opENS9_16wrapped_functionINS8_6system6detail7generic6detail18binary_search_lessEbEEEE10hipError_tPvRmT1_T2_T3_mmT4_T5_P12ihipStream_tbEUlRKdE_EEST_SX_SY_mSZ_S12_bEUlT_E_NS1_11comp_targetILNS1_3genE3ELNS1_11target_archE908ELNS1_3gpuE7ELNS1_3repE0EEENS1_30default_config_static_selectorELNS0_4arch9wavefront6targetE1EEEvSW_.uses_flat_scratch, 0
	.set _ZN7rocprim17ROCPRIM_400000_NS6detail17trampoline_kernelINS0_14default_configENS1_27upper_bound_config_selectorIdlEEZNS1_14transform_implILb0ES3_S5_N6thrust23THRUST_200600_302600_NS6detail15normal_iteratorINS8_7pointerIdNS8_11hip_rocprim5par_tENS8_11use_defaultESE_EEEENSA_INSB_IlSD_SE_SE_EEEEZNS1_13binary_searchIS3_S5_PdSG_SI_NS1_21upper_bound_search_opENS9_16wrapped_functionINS8_6system6detail7generic6detail18binary_search_lessEbEEEE10hipError_tPvRmT1_T2_T3_mmT4_T5_P12ihipStream_tbEUlRKdE_EEST_SX_SY_mSZ_S12_bEUlT_E_NS1_11comp_targetILNS1_3genE3ELNS1_11target_archE908ELNS1_3gpuE7ELNS1_3repE0EEENS1_30default_config_static_selectorELNS0_4arch9wavefront6targetE1EEEvSW_.has_dyn_sized_stack, 0
	.set _ZN7rocprim17ROCPRIM_400000_NS6detail17trampoline_kernelINS0_14default_configENS1_27upper_bound_config_selectorIdlEEZNS1_14transform_implILb0ES3_S5_N6thrust23THRUST_200600_302600_NS6detail15normal_iteratorINS8_7pointerIdNS8_11hip_rocprim5par_tENS8_11use_defaultESE_EEEENSA_INSB_IlSD_SE_SE_EEEEZNS1_13binary_searchIS3_S5_PdSG_SI_NS1_21upper_bound_search_opENS9_16wrapped_functionINS8_6system6detail7generic6detail18binary_search_lessEbEEEE10hipError_tPvRmT1_T2_T3_mmT4_T5_P12ihipStream_tbEUlRKdE_EEST_SX_SY_mSZ_S12_bEUlT_E_NS1_11comp_targetILNS1_3genE3ELNS1_11target_archE908ELNS1_3gpuE7ELNS1_3repE0EEENS1_30default_config_static_selectorELNS0_4arch9wavefront6targetE1EEEvSW_.has_recursion, 0
	.set _ZN7rocprim17ROCPRIM_400000_NS6detail17trampoline_kernelINS0_14default_configENS1_27upper_bound_config_selectorIdlEEZNS1_14transform_implILb0ES3_S5_N6thrust23THRUST_200600_302600_NS6detail15normal_iteratorINS8_7pointerIdNS8_11hip_rocprim5par_tENS8_11use_defaultESE_EEEENSA_INSB_IlSD_SE_SE_EEEEZNS1_13binary_searchIS3_S5_PdSG_SI_NS1_21upper_bound_search_opENS9_16wrapped_functionINS8_6system6detail7generic6detail18binary_search_lessEbEEEE10hipError_tPvRmT1_T2_T3_mmT4_T5_P12ihipStream_tbEUlRKdE_EEST_SX_SY_mSZ_S12_bEUlT_E_NS1_11comp_targetILNS1_3genE3ELNS1_11target_archE908ELNS1_3gpuE7ELNS1_3repE0EEENS1_30default_config_static_selectorELNS0_4arch9wavefront6targetE1EEEvSW_.has_indirect_call, 0
	.section	.AMDGPU.csdata,"",@progbits
; Kernel info:
; codeLenInByte = 0
; TotalNumSgprs: 4
; NumVgprs: 0
; ScratchSize: 0
; MemoryBound: 0
; FloatMode: 240
; IeeeMode: 1
; LDSByteSize: 0 bytes/workgroup (compile time only)
; SGPRBlocks: 0
; VGPRBlocks: 0
; NumSGPRsForWavesPerEU: 4
; NumVGPRsForWavesPerEU: 1
; Occupancy: 10
; WaveLimiterHint : 0
; COMPUTE_PGM_RSRC2:SCRATCH_EN: 0
; COMPUTE_PGM_RSRC2:USER_SGPR: 6
; COMPUTE_PGM_RSRC2:TRAP_HANDLER: 0
; COMPUTE_PGM_RSRC2:TGID_X_EN: 1
; COMPUTE_PGM_RSRC2:TGID_Y_EN: 0
; COMPUTE_PGM_RSRC2:TGID_Z_EN: 0
; COMPUTE_PGM_RSRC2:TIDIG_COMP_CNT: 0
	.section	.text._ZN7rocprim17ROCPRIM_400000_NS6detail17trampoline_kernelINS0_14default_configENS1_27upper_bound_config_selectorIdlEEZNS1_14transform_implILb0ES3_S5_N6thrust23THRUST_200600_302600_NS6detail15normal_iteratorINS8_7pointerIdNS8_11hip_rocprim5par_tENS8_11use_defaultESE_EEEENSA_INSB_IlSD_SE_SE_EEEEZNS1_13binary_searchIS3_S5_PdSG_SI_NS1_21upper_bound_search_opENS9_16wrapped_functionINS8_6system6detail7generic6detail18binary_search_lessEbEEEE10hipError_tPvRmT1_T2_T3_mmT4_T5_P12ihipStream_tbEUlRKdE_EEST_SX_SY_mSZ_S12_bEUlT_E_NS1_11comp_targetILNS1_3genE2ELNS1_11target_archE906ELNS1_3gpuE6ELNS1_3repE0EEENS1_30default_config_static_selectorELNS0_4arch9wavefront6targetE1EEEvSW_,"axG",@progbits,_ZN7rocprim17ROCPRIM_400000_NS6detail17trampoline_kernelINS0_14default_configENS1_27upper_bound_config_selectorIdlEEZNS1_14transform_implILb0ES3_S5_N6thrust23THRUST_200600_302600_NS6detail15normal_iteratorINS8_7pointerIdNS8_11hip_rocprim5par_tENS8_11use_defaultESE_EEEENSA_INSB_IlSD_SE_SE_EEEEZNS1_13binary_searchIS3_S5_PdSG_SI_NS1_21upper_bound_search_opENS9_16wrapped_functionINS8_6system6detail7generic6detail18binary_search_lessEbEEEE10hipError_tPvRmT1_T2_T3_mmT4_T5_P12ihipStream_tbEUlRKdE_EEST_SX_SY_mSZ_S12_bEUlT_E_NS1_11comp_targetILNS1_3genE2ELNS1_11target_archE906ELNS1_3gpuE6ELNS1_3repE0EEENS1_30default_config_static_selectorELNS0_4arch9wavefront6targetE1EEEvSW_,comdat
	.protected	_ZN7rocprim17ROCPRIM_400000_NS6detail17trampoline_kernelINS0_14default_configENS1_27upper_bound_config_selectorIdlEEZNS1_14transform_implILb0ES3_S5_N6thrust23THRUST_200600_302600_NS6detail15normal_iteratorINS8_7pointerIdNS8_11hip_rocprim5par_tENS8_11use_defaultESE_EEEENSA_INSB_IlSD_SE_SE_EEEEZNS1_13binary_searchIS3_S5_PdSG_SI_NS1_21upper_bound_search_opENS9_16wrapped_functionINS8_6system6detail7generic6detail18binary_search_lessEbEEEE10hipError_tPvRmT1_T2_T3_mmT4_T5_P12ihipStream_tbEUlRKdE_EEST_SX_SY_mSZ_S12_bEUlT_E_NS1_11comp_targetILNS1_3genE2ELNS1_11target_archE906ELNS1_3gpuE6ELNS1_3repE0EEENS1_30default_config_static_selectorELNS0_4arch9wavefront6targetE1EEEvSW_ ; -- Begin function _ZN7rocprim17ROCPRIM_400000_NS6detail17trampoline_kernelINS0_14default_configENS1_27upper_bound_config_selectorIdlEEZNS1_14transform_implILb0ES3_S5_N6thrust23THRUST_200600_302600_NS6detail15normal_iteratorINS8_7pointerIdNS8_11hip_rocprim5par_tENS8_11use_defaultESE_EEEENSA_INSB_IlSD_SE_SE_EEEEZNS1_13binary_searchIS3_S5_PdSG_SI_NS1_21upper_bound_search_opENS9_16wrapped_functionINS8_6system6detail7generic6detail18binary_search_lessEbEEEE10hipError_tPvRmT1_T2_T3_mmT4_T5_P12ihipStream_tbEUlRKdE_EEST_SX_SY_mSZ_S12_bEUlT_E_NS1_11comp_targetILNS1_3genE2ELNS1_11target_archE906ELNS1_3gpuE6ELNS1_3repE0EEENS1_30default_config_static_selectorELNS0_4arch9wavefront6targetE1EEEvSW_
	.globl	_ZN7rocprim17ROCPRIM_400000_NS6detail17trampoline_kernelINS0_14default_configENS1_27upper_bound_config_selectorIdlEEZNS1_14transform_implILb0ES3_S5_N6thrust23THRUST_200600_302600_NS6detail15normal_iteratorINS8_7pointerIdNS8_11hip_rocprim5par_tENS8_11use_defaultESE_EEEENSA_INSB_IlSD_SE_SE_EEEEZNS1_13binary_searchIS3_S5_PdSG_SI_NS1_21upper_bound_search_opENS9_16wrapped_functionINS8_6system6detail7generic6detail18binary_search_lessEbEEEE10hipError_tPvRmT1_T2_T3_mmT4_T5_P12ihipStream_tbEUlRKdE_EEST_SX_SY_mSZ_S12_bEUlT_E_NS1_11comp_targetILNS1_3genE2ELNS1_11target_archE906ELNS1_3gpuE6ELNS1_3repE0EEENS1_30default_config_static_selectorELNS0_4arch9wavefront6targetE1EEEvSW_
	.p2align	8
	.type	_ZN7rocprim17ROCPRIM_400000_NS6detail17trampoline_kernelINS0_14default_configENS1_27upper_bound_config_selectorIdlEEZNS1_14transform_implILb0ES3_S5_N6thrust23THRUST_200600_302600_NS6detail15normal_iteratorINS8_7pointerIdNS8_11hip_rocprim5par_tENS8_11use_defaultESE_EEEENSA_INSB_IlSD_SE_SE_EEEEZNS1_13binary_searchIS3_S5_PdSG_SI_NS1_21upper_bound_search_opENS9_16wrapped_functionINS8_6system6detail7generic6detail18binary_search_lessEbEEEE10hipError_tPvRmT1_T2_T3_mmT4_T5_P12ihipStream_tbEUlRKdE_EEST_SX_SY_mSZ_S12_bEUlT_E_NS1_11comp_targetILNS1_3genE2ELNS1_11target_archE906ELNS1_3gpuE6ELNS1_3repE0EEENS1_30default_config_static_selectorELNS0_4arch9wavefront6targetE1EEEvSW_,@function
_ZN7rocprim17ROCPRIM_400000_NS6detail17trampoline_kernelINS0_14default_configENS1_27upper_bound_config_selectorIdlEEZNS1_14transform_implILb0ES3_S5_N6thrust23THRUST_200600_302600_NS6detail15normal_iteratorINS8_7pointerIdNS8_11hip_rocprim5par_tENS8_11use_defaultESE_EEEENSA_INSB_IlSD_SE_SE_EEEEZNS1_13binary_searchIS3_S5_PdSG_SI_NS1_21upper_bound_search_opENS9_16wrapped_functionINS8_6system6detail7generic6detail18binary_search_lessEbEEEE10hipError_tPvRmT1_T2_T3_mmT4_T5_P12ihipStream_tbEUlRKdE_EEST_SX_SY_mSZ_S12_bEUlT_E_NS1_11comp_targetILNS1_3genE2ELNS1_11target_archE906ELNS1_3gpuE6ELNS1_3repE0EEENS1_30default_config_static_selectorELNS0_4arch9wavefront6targetE1EEEvSW_: ; @_ZN7rocprim17ROCPRIM_400000_NS6detail17trampoline_kernelINS0_14default_configENS1_27upper_bound_config_selectorIdlEEZNS1_14transform_implILb0ES3_S5_N6thrust23THRUST_200600_302600_NS6detail15normal_iteratorINS8_7pointerIdNS8_11hip_rocprim5par_tENS8_11use_defaultESE_EEEENSA_INSB_IlSD_SE_SE_EEEEZNS1_13binary_searchIS3_S5_PdSG_SI_NS1_21upper_bound_search_opENS9_16wrapped_functionINS8_6system6detail7generic6detail18binary_search_lessEbEEEE10hipError_tPvRmT1_T2_T3_mmT4_T5_P12ihipStream_tbEUlRKdE_EEST_SX_SY_mSZ_S12_bEUlT_E_NS1_11comp_targetILNS1_3genE2ELNS1_11target_archE906ELNS1_3gpuE6ELNS1_3repE0EEENS1_30default_config_static_selectorELNS0_4arch9wavefront6targetE1EEEvSW_
; %bb.0:
	s_load_dwordx4 s[0:3], s[4:5], 0x0
	s_load_dwordx4 s[8:11], s[4:5], 0x18
	s_load_dwordx2 s[12:13], s[4:5], 0x28
	s_load_dword s17, s[4:5], 0x38
	s_waitcnt lgkmcnt(0)
	s_lshl_b64 s[2:3], s[2:3], 3
	s_add_u32 s7, s0, s2
	s_addc_u32 s16, s1, s3
	s_add_u32 s14, s8, s2
	s_addc_u32 s15, s9, s3
	s_lshl_b32 s8, s6, 8
	s_add_i32 s17, s17, -1
	s_mov_b32 s9, 0
	s_cmp_lg_u32 s6, s17
	s_mov_b64 s[0:1], -1
	s_cbranch_scc0 .LBB166_7
; %bb.1:
	s_cmp_eq_u64 s[12:13], 0
	s_mov_b64 s[2:3], 0
	s_cbranch_scc1 .LBB166_5
; %bb.2:
	s_lshl_b64 s[0:1], s[8:9], 3
	s_add_u32 s0, s7, s0
	s_addc_u32 s1, s16, s1
	v_lshlrev_b32_e32 v1, 3, v0
	v_mov_b32_e32 v2, s1
	v_add_co_u32_e32 v1, vcc, s0, v1
	v_addc_co_u32_e32 v2, vcc, 0, v2, vcc
	flat_load_dwordx2 v[3:4], v[1:2]
	v_mov_b32_e32 v1, 0
	v_mov_b32_e32 v5, s12
	;; [unrolled: 1-line block ×5, first 2 shown]
.LBB166_3:                              ; =>This Inner Loop Header: Depth=1
	v_sub_co_u32_e32 v8, vcc, v5, v1
	v_subb_co_u32_e32 v9, vcc, v6, v2, vcc
	v_lshrrev_b64 v[10:11], 1, v[8:9]
	v_lshrrev_b64 v[8:9], 6, v[8:9]
	v_add_co_u32_e32 v10, vcc, v10, v1
	v_addc_co_u32_e32 v11, vcc, v11, v2, vcc
	v_add_co_u32_e32 v8, vcc, v10, v8
	v_addc_co_u32_e32 v9, vcc, v11, v9, vcc
	v_lshlrev_b64 v[10:11], 3, v[8:9]
	v_add_co_u32_e32 v10, vcc, s10, v10
	v_addc_co_u32_e32 v11, vcc, v7, v11, vcc
	global_load_dwordx2 v[10:11], v[10:11], off
	s_waitcnt vmcnt(0) lgkmcnt(0)
	v_cmp_lt_f64_e32 vcc, v[3:4], v[10:11]
	v_add_co_u32_e64 v10, s[0:1], 1, v8
	v_addc_co_u32_e64 v11, s[0:1], 0, v9, s[0:1]
	v_cndmask_b32_e32 v6, v6, v9, vcc
	v_cndmask_b32_e32 v5, v5, v8, vcc
	;; [unrolled: 1-line block ×4, first 2 shown]
	v_cmp_ge_u64_e32 vcc, v[1:2], v[5:6]
	s_or_b64 s[2:3], vcc, s[2:3]
	s_andn2_b64 exec, exec, s[2:3]
	s_cbranch_execnz .LBB166_3
; %bb.4:
	s_or_b64 exec, exec, s[2:3]
	s_branch .LBB166_6
.LBB166_5:
	v_mov_b32_e32 v1, 0
	v_mov_b32_e32 v2, 0
.LBB166_6:
	s_lshl_b64 s[0:1], s[8:9], 3
	s_add_u32 s0, s14, s0
	s_addc_u32 s1, s15, s1
	v_lshlrev_b32_e32 v3, 3, v0
	v_mov_b32_e32 v4, s1
	v_add_co_u32_e32 v3, vcc, s0, v3
	v_addc_co_u32_e32 v4, vcc, 0, v4, vcc
	s_mov_b64 s[0:1], 0
	flat_store_dwordx2 v[3:4], v[1:2]
.LBB166_7:
	s_and_b64 vcc, exec, s[0:1]
	s_cbranch_vccz .LBB166_16
; %bb.8:
	s_load_dword s0, s[4:5], 0x10
                                        ; implicit-def: $vgpr3_vgpr4
	s_waitcnt lgkmcnt(0)
	s_sub_i32 s2, s0, s8
	v_cmp_le_u32_e64 s[0:1], s2, v0
	v_cmp_gt_u32_e32 vcc, s2, v0
	s_and_saveexec_b64 s[4:5], vcc
	s_cbranch_execz .LBB166_10
; %bb.9:
	s_lshl_b64 s[2:3], s[8:9], 3
	s_add_u32 s2, s7, s2
	s_addc_u32 s3, s16, s3
	v_lshlrev_b32_e32 v1, 3, v0
	v_mov_b32_e32 v2, s3
	v_add_co_u32_e64 v1, s[2:3], s2, v1
	v_addc_co_u32_e64 v2, s[2:3], 0, v2, s[2:3]
	flat_load_dwordx2 v[3:4], v[1:2]
.LBB166_10:
	s_or_b64 exec, exec, s[4:5]
	s_cmp_lg_u64 s[12:13], 0
	s_cselect_b64 s[2:3], -1, 0
	s_xor_b64 s[0:1], s[0:1], -1
	v_mov_b32_e32 v1, 0
	s_mov_b64 s[4:5], 0
	v_mov_b32_e32 v2, 0
	s_and_b64 s[0:1], s[0:1], s[2:3]
	s_and_saveexec_b64 s[6:7], s[0:1]
	s_cbranch_execz .LBB166_14
; %bb.11:
	v_mov_b32_e32 v1, 0
	v_mov_b32_e32 v5, s12
	;; [unrolled: 1-line block ×5, first 2 shown]
.LBB166_12:                             ; =>This Inner Loop Header: Depth=1
	v_sub_co_u32_e64 v8, s[0:1], v5, v1
	v_subb_co_u32_e64 v9, s[0:1], v6, v2, s[0:1]
	v_lshrrev_b64 v[10:11], 1, v[8:9]
	v_lshrrev_b64 v[8:9], 6, v[8:9]
	v_add_co_u32_e64 v10, s[0:1], v10, v1
	v_addc_co_u32_e64 v11, s[0:1], v11, v2, s[0:1]
	v_add_co_u32_e64 v8, s[0:1], v10, v8
	v_addc_co_u32_e64 v9, s[0:1], v11, v9, s[0:1]
	v_lshlrev_b64 v[10:11], 3, v[8:9]
	v_add_co_u32_e64 v10, s[0:1], s10, v10
	v_addc_co_u32_e64 v11, s[0:1], v7, v11, s[0:1]
	global_load_dwordx2 v[10:11], v[10:11], off
	s_waitcnt vmcnt(0) lgkmcnt(0)
	v_cmp_lt_f64_e64 s[0:1], v[3:4], v[10:11]
	v_add_co_u32_e64 v10, s[2:3], 1, v8
	v_addc_co_u32_e64 v11, s[2:3], 0, v9, s[2:3]
	v_cndmask_b32_e64 v6, v6, v9, s[0:1]
	v_cndmask_b32_e64 v5, v5, v8, s[0:1]
	;; [unrolled: 1-line block ×4, first 2 shown]
	v_cmp_ge_u64_e64 s[0:1], v[1:2], v[5:6]
	s_or_b64 s[4:5], s[0:1], s[4:5]
	s_andn2_b64 exec, exec, s[4:5]
	s_cbranch_execnz .LBB166_12
; %bb.13:
	s_or_b64 exec, exec, s[4:5]
.LBB166_14:
	s_or_b64 exec, exec, s[6:7]
	s_and_saveexec_b64 s[0:1], vcc
	s_cbranch_execz .LBB166_16
; %bb.15:
	s_lshl_b64 s[0:1], s[8:9], 3
	s_add_u32 s0, s14, s0
	s_addc_u32 s1, s15, s1
	v_lshlrev_b32_e32 v0, 3, v0
	s_waitcnt vmcnt(0) lgkmcnt(0)
	v_mov_b32_e32 v4, s1
	v_add_co_u32_e32 v3, vcc, s0, v0
	v_addc_co_u32_e32 v4, vcc, 0, v4, vcc
	flat_store_dwordx2 v[3:4], v[1:2]
.LBB166_16:
	s_endpgm
	.section	.rodata,"a",@progbits
	.p2align	6, 0x0
	.amdhsa_kernel _ZN7rocprim17ROCPRIM_400000_NS6detail17trampoline_kernelINS0_14default_configENS1_27upper_bound_config_selectorIdlEEZNS1_14transform_implILb0ES3_S5_N6thrust23THRUST_200600_302600_NS6detail15normal_iteratorINS8_7pointerIdNS8_11hip_rocprim5par_tENS8_11use_defaultESE_EEEENSA_INSB_IlSD_SE_SE_EEEEZNS1_13binary_searchIS3_S5_PdSG_SI_NS1_21upper_bound_search_opENS9_16wrapped_functionINS8_6system6detail7generic6detail18binary_search_lessEbEEEE10hipError_tPvRmT1_T2_T3_mmT4_T5_P12ihipStream_tbEUlRKdE_EEST_SX_SY_mSZ_S12_bEUlT_E_NS1_11comp_targetILNS1_3genE2ELNS1_11target_archE906ELNS1_3gpuE6ELNS1_3repE0EEENS1_30default_config_static_selectorELNS0_4arch9wavefront6targetE1EEEvSW_
		.amdhsa_group_segment_fixed_size 0
		.amdhsa_private_segment_fixed_size 0
		.amdhsa_kernarg_size 312
		.amdhsa_user_sgpr_count 6
		.amdhsa_user_sgpr_private_segment_buffer 1
		.amdhsa_user_sgpr_dispatch_ptr 0
		.amdhsa_user_sgpr_queue_ptr 0
		.amdhsa_user_sgpr_kernarg_segment_ptr 1
		.amdhsa_user_sgpr_dispatch_id 0
		.amdhsa_user_sgpr_flat_scratch_init 0
		.amdhsa_user_sgpr_private_segment_size 0
		.amdhsa_uses_dynamic_stack 0
		.amdhsa_system_sgpr_private_segment_wavefront_offset 0
		.amdhsa_system_sgpr_workgroup_id_x 1
		.amdhsa_system_sgpr_workgroup_id_y 0
		.amdhsa_system_sgpr_workgroup_id_z 0
		.amdhsa_system_sgpr_workgroup_info 0
		.amdhsa_system_vgpr_workitem_id 0
		.amdhsa_next_free_vgpr 12
		.amdhsa_next_free_sgpr 18
		.amdhsa_reserve_vcc 1
		.amdhsa_reserve_flat_scratch 0
		.amdhsa_float_round_mode_32 0
		.amdhsa_float_round_mode_16_64 0
		.amdhsa_float_denorm_mode_32 3
		.amdhsa_float_denorm_mode_16_64 3
		.amdhsa_dx10_clamp 1
		.amdhsa_ieee_mode 1
		.amdhsa_fp16_overflow 0
		.amdhsa_exception_fp_ieee_invalid_op 0
		.amdhsa_exception_fp_denorm_src 0
		.amdhsa_exception_fp_ieee_div_zero 0
		.amdhsa_exception_fp_ieee_overflow 0
		.amdhsa_exception_fp_ieee_underflow 0
		.amdhsa_exception_fp_ieee_inexact 0
		.amdhsa_exception_int_div_zero 0
	.end_amdhsa_kernel
	.section	.text._ZN7rocprim17ROCPRIM_400000_NS6detail17trampoline_kernelINS0_14default_configENS1_27upper_bound_config_selectorIdlEEZNS1_14transform_implILb0ES3_S5_N6thrust23THRUST_200600_302600_NS6detail15normal_iteratorINS8_7pointerIdNS8_11hip_rocprim5par_tENS8_11use_defaultESE_EEEENSA_INSB_IlSD_SE_SE_EEEEZNS1_13binary_searchIS3_S5_PdSG_SI_NS1_21upper_bound_search_opENS9_16wrapped_functionINS8_6system6detail7generic6detail18binary_search_lessEbEEEE10hipError_tPvRmT1_T2_T3_mmT4_T5_P12ihipStream_tbEUlRKdE_EEST_SX_SY_mSZ_S12_bEUlT_E_NS1_11comp_targetILNS1_3genE2ELNS1_11target_archE906ELNS1_3gpuE6ELNS1_3repE0EEENS1_30default_config_static_selectorELNS0_4arch9wavefront6targetE1EEEvSW_,"axG",@progbits,_ZN7rocprim17ROCPRIM_400000_NS6detail17trampoline_kernelINS0_14default_configENS1_27upper_bound_config_selectorIdlEEZNS1_14transform_implILb0ES3_S5_N6thrust23THRUST_200600_302600_NS6detail15normal_iteratorINS8_7pointerIdNS8_11hip_rocprim5par_tENS8_11use_defaultESE_EEEENSA_INSB_IlSD_SE_SE_EEEEZNS1_13binary_searchIS3_S5_PdSG_SI_NS1_21upper_bound_search_opENS9_16wrapped_functionINS8_6system6detail7generic6detail18binary_search_lessEbEEEE10hipError_tPvRmT1_T2_T3_mmT4_T5_P12ihipStream_tbEUlRKdE_EEST_SX_SY_mSZ_S12_bEUlT_E_NS1_11comp_targetILNS1_3genE2ELNS1_11target_archE906ELNS1_3gpuE6ELNS1_3repE0EEENS1_30default_config_static_selectorELNS0_4arch9wavefront6targetE1EEEvSW_,comdat
.Lfunc_end166:
	.size	_ZN7rocprim17ROCPRIM_400000_NS6detail17trampoline_kernelINS0_14default_configENS1_27upper_bound_config_selectorIdlEEZNS1_14transform_implILb0ES3_S5_N6thrust23THRUST_200600_302600_NS6detail15normal_iteratorINS8_7pointerIdNS8_11hip_rocprim5par_tENS8_11use_defaultESE_EEEENSA_INSB_IlSD_SE_SE_EEEEZNS1_13binary_searchIS3_S5_PdSG_SI_NS1_21upper_bound_search_opENS9_16wrapped_functionINS8_6system6detail7generic6detail18binary_search_lessEbEEEE10hipError_tPvRmT1_T2_T3_mmT4_T5_P12ihipStream_tbEUlRKdE_EEST_SX_SY_mSZ_S12_bEUlT_E_NS1_11comp_targetILNS1_3genE2ELNS1_11target_archE906ELNS1_3gpuE6ELNS1_3repE0EEENS1_30default_config_static_selectorELNS0_4arch9wavefront6targetE1EEEvSW_, .Lfunc_end166-_ZN7rocprim17ROCPRIM_400000_NS6detail17trampoline_kernelINS0_14default_configENS1_27upper_bound_config_selectorIdlEEZNS1_14transform_implILb0ES3_S5_N6thrust23THRUST_200600_302600_NS6detail15normal_iteratorINS8_7pointerIdNS8_11hip_rocprim5par_tENS8_11use_defaultESE_EEEENSA_INSB_IlSD_SE_SE_EEEEZNS1_13binary_searchIS3_S5_PdSG_SI_NS1_21upper_bound_search_opENS9_16wrapped_functionINS8_6system6detail7generic6detail18binary_search_lessEbEEEE10hipError_tPvRmT1_T2_T3_mmT4_T5_P12ihipStream_tbEUlRKdE_EEST_SX_SY_mSZ_S12_bEUlT_E_NS1_11comp_targetILNS1_3genE2ELNS1_11target_archE906ELNS1_3gpuE6ELNS1_3repE0EEENS1_30default_config_static_selectorELNS0_4arch9wavefront6targetE1EEEvSW_
                                        ; -- End function
	.set _ZN7rocprim17ROCPRIM_400000_NS6detail17trampoline_kernelINS0_14default_configENS1_27upper_bound_config_selectorIdlEEZNS1_14transform_implILb0ES3_S5_N6thrust23THRUST_200600_302600_NS6detail15normal_iteratorINS8_7pointerIdNS8_11hip_rocprim5par_tENS8_11use_defaultESE_EEEENSA_INSB_IlSD_SE_SE_EEEEZNS1_13binary_searchIS3_S5_PdSG_SI_NS1_21upper_bound_search_opENS9_16wrapped_functionINS8_6system6detail7generic6detail18binary_search_lessEbEEEE10hipError_tPvRmT1_T2_T3_mmT4_T5_P12ihipStream_tbEUlRKdE_EEST_SX_SY_mSZ_S12_bEUlT_E_NS1_11comp_targetILNS1_3genE2ELNS1_11target_archE906ELNS1_3gpuE6ELNS1_3repE0EEENS1_30default_config_static_selectorELNS0_4arch9wavefront6targetE1EEEvSW_.num_vgpr, 12
	.set _ZN7rocprim17ROCPRIM_400000_NS6detail17trampoline_kernelINS0_14default_configENS1_27upper_bound_config_selectorIdlEEZNS1_14transform_implILb0ES3_S5_N6thrust23THRUST_200600_302600_NS6detail15normal_iteratorINS8_7pointerIdNS8_11hip_rocprim5par_tENS8_11use_defaultESE_EEEENSA_INSB_IlSD_SE_SE_EEEEZNS1_13binary_searchIS3_S5_PdSG_SI_NS1_21upper_bound_search_opENS9_16wrapped_functionINS8_6system6detail7generic6detail18binary_search_lessEbEEEE10hipError_tPvRmT1_T2_T3_mmT4_T5_P12ihipStream_tbEUlRKdE_EEST_SX_SY_mSZ_S12_bEUlT_E_NS1_11comp_targetILNS1_3genE2ELNS1_11target_archE906ELNS1_3gpuE6ELNS1_3repE0EEENS1_30default_config_static_selectorELNS0_4arch9wavefront6targetE1EEEvSW_.num_agpr, 0
	.set _ZN7rocprim17ROCPRIM_400000_NS6detail17trampoline_kernelINS0_14default_configENS1_27upper_bound_config_selectorIdlEEZNS1_14transform_implILb0ES3_S5_N6thrust23THRUST_200600_302600_NS6detail15normal_iteratorINS8_7pointerIdNS8_11hip_rocprim5par_tENS8_11use_defaultESE_EEEENSA_INSB_IlSD_SE_SE_EEEEZNS1_13binary_searchIS3_S5_PdSG_SI_NS1_21upper_bound_search_opENS9_16wrapped_functionINS8_6system6detail7generic6detail18binary_search_lessEbEEEE10hipError_tPvRmT1_T2_T3_mmT4_T5_P12ihipStream_tbEUlRKdE_EEST_SX_SY_mSZ_S12_bEUlT_E_NS1_11comp_targetILNS1_3genE2ELNS1_11target_archE906ELNS1_3gpuE6ELNS1_3repE0EEENS1_30default_config_static_selectorELNS0_4arch9wavefront6targetE1EEEvSW_.numbered_sgpr, 18
	.set _ZN7rocprim17ROCPRIM_400000_NS6detail17trampoline_kernelINS0_14default_configENS1_27upper_bound_config_selectorIdlEEZNS1_14transform_implILb0ES3_S5_N6thrust23THRUST_200600_302600_NS6detail15normal_iteratorINS8_7pointerIdNS8_11hip_rocprim5par_tENS8_11use_defaultESE_EEEENSA_INSB_IlSD_SE_SE_EEEEZNS1_13binary_searchIS3_S5_PdSG_SI_NS1_21upper_bound_search_opENS9_16wrapped_functionINS8_6system6detail7generic6detail18binary_search_lessEbEEEE10hipError_tPvRmT1_T2_T3_mmT4_T5_P12ihipStream_tbEUlRKdE_EEST_SX_SY_mSZ_S12_bEUlT_E_NS1_11comp_targetILNS1_3genE2ELNS1_11target_archE906ELNS1_3gpuE6ELNS1_3repE0EEENS1_30default_config_static_selectorELNS0_4arch9wavefront6targetE1EEEvSW_.num_named_barrier, 0
	.set _ZN7rocprim17ROCPRIM_400000_NS6detail17trampoline_kernelINS0_14default_configENS1_27upper_bound_config_selectorIdlEEZNS1_14transform_implILb0ES3_S5_N6thrust23THRUST_200600_302600_NS6detail15normal_iteratorINS8_7pointerIdNS8_11hip_rocprim5par_tENS8_11use_defaultESE_EEEENSA_INSB_IlSD_SE_SE_EEEEZNS1_13binary_searchIS3_S5_PdSG_SI_NS1_21upper_bound_search_opENS9_16wrapped_functionINS8_6system6detail7generic6detail18binary_search_lessEbEEEE10hipError_tPvRmT1_T2_T3_mmT4_T5_P12ihipStream_tbEUlRKdE_EEST_SX_SY_mSZ_S12_bEUlT_E_NS1_11comp_targetILNS1_3genE2ELNS1_11target_archE906ELNS1_3gpuE6ELNS1_3repE0EEENS1_30default_config_static_selectorELNS0_4arch9wavefront6targetE1EEEvSW_.private_seg_size, 0
	.set _ZN7rocprim17ROCPRIM_400000_NS6detail17trampoline_kernelINS0_14default_configENS1_27upper_bound_config_selectorIdlEEZNS1_14transform_implILb0ES3_S5_N6thrust23THRUST_200600_302600_NS6detail15normal_iteratorINS8_7pointerIdNS8_11hip_rocprim5par_tENS8_11use_defaultESE_EEEENSA_INSB_IlSD_SE_SE_EEEEZNS1_13binary_searchIS3_S5_PdSG_SI_NS1_21upper_bound_search_opENS9_16wrapped_functionINS8_6system6detail7generic6detail18binary_search_lessEbEEEE10hipError_tPvRmT1_T2_T3_mmT4_T5_P12ihipStream_tbEUlRKdE_EEST_SX_SY_mSZ_S12_bEUlT_E_NS1_11comp_targetILNS1_3genE2ELNS1_11target_archE906ELNS1_3gpuE6ELNS1_3repE0EEENS1_30default_config_static_selectorELNS0_4arch9wavefront6targetE1EEEvSW_.uses_vcc, 1
	.set _ZN7rocprim17ROCPRIM_400000_NS6detail17trampoline_kernelINS0_14default_configENS1_27upper_bound_config_selectorIdlEEZNS1_14transform_implILb0ES3_S5_N6thrust23THRUST_200600_302600_NS6detail15normal_iteratorINS8_7pointerIdNS8_11hip_rocprim5par_tENS8_11use_defaultESE_EEEENSA_INSB_IlSD_SE_SE_EEEEZNS1_13binary_searchIS3_S5_PdSG_SI_NS1_21upper_bound_search_opENS9_16wrapped_functionINS8_6system6detail7generic6detail18binary_search_lessEbEEEE10hipError_tPvRmT1_T2_T3_mmT4_T5_P12ihipStream_tbEUlRKdE_EEST_SX_SY_mSZ_S12_bEUlT_E_NS1_11comp_targetILNS1_3genE2ELNS1_11target_archE906ELNS1_3gpuE6ELNS1_3repE0EEENS1_30default_config_static_selectorELNS0_4arch9wavefront6targetE1EEEvSW_.uses_flat_scratch, 0
	.set _ZN7rocprim17ROCPRIM_400000_NS6detail17trampoline_kernelINS0_14default_configENS1_27upper_bound_config_selectorIdlEEZNS1_14transform_implILb0ES3_S5_N6thrust23THRUST_200600_302600_NS6detail15normal_iteratorINS8_7pointerIdNS8_11hip_rocprim5par_tENS8_11use_defaultESE_EEEENSA_INSB_IlSD_SE_SE_EEEEZNS1_13binary_searchIS3_S5_PdSG_SI_NS1_21upper_bound_search_opENS9_16wrapped_functionINS8_6system6detail7generic6detail18binary_search_lessEbEEEE10hipError_tPvRmT1_T2_T3_mmT4_T5_P12ihipStream_tbEUlRKdE_EEST_SX_SY_mSZ_S12_bEUlT_E_NS1_11comp_targetILNS1_3genE2ELNS1_11target_archE906ELNS1_3gpuE6ELNS1_3repE0EEENS1_30default_config_static_selectorELNS0_4arch9wavefront6targetE1EEEvSW_.has_dyn_sized_stack, 0
	.set _ZN7rocprim17ROCPRIM_400000_NS6detail17trampoline_kernelINS0_14default_configENS1_27upper_bound_config_selectorIdlEEZNS1_14transform_implILb0ES3_S5_N6thrust23THRUST_200600_302600_NS6detail15normal_iteratorINS8_7pointerIdNS8_11hip_rocprim5par_tENS8_11use_defaultESE_EEEENSA_INSB_IlSD_SE_SE_EEEEZNS1_13binary_searchIS3_S5_PdSG_SI_NS1_21upper_bound_search_opENS9_16wrapped_functionINS8_6system6detail7generic6detail18binary_search_lessEbEEEE10hipError_tPvRmT1_T2_T3_mmT4_T5_P12ihipStream_tbEUlRKdE_EEST_SX_SY_mSZ_S12_bEUlT_E_NS1_11comp_targetILNS1_3genE2ELNS1_11target_archE906ELNS1_3gpuE6ELNS1_3repE0EEENS1_30default_config_static_selectorELNS0_4arch9wavefront6targetE1EEEvSW_.has_recursion, 0
	.set _ZN7rocprim17ROCPRIM_400000_NS6detail17trampoline_kernelINS0_14default_configENS1_27upper_bound_config_selectorIdlEEZNS1_14transform_implILb0ES3_S5_N6thrust23THRUST_200600_302600_NS6detail15normal_iteratorINS8_7pointerIdNS8_11hip_rocprim5par_tENS8_11use_defaultESE_EEEENSA_INSB_IlSD_SE_SE_EEEEZNS1_13binary_searchIS3_S5_PdSG_SI_NS1_21upper_bound_search_opENS9_16wrapped_functionINS8_6system6detail7generic6detail18binary_search_lessEbEEEE10hipError_tPvRmT1_T2_T3_mmT4_T5_P12ihipStream_tbEUlRKdE_EEST_SX_SY_mSZ_S12_bEUlT_E_NS1_11comp_targetILNS1_3genE2ELNS1_11target_archE906ELNS1_3gpuE6ELNS1_3repE0EEENS1_30default_config_static_selectorELNS0_4arch9wavefront6targetE1EEEvSW_.has_indirect_call, 0
	.section	.AMDGPU.csdata,"",@progbits
; Kernel info:
; codeLenInByte = 708
; TotalNumSgprs: 22
; NumVgprs: 12
; ScratchSize: 0
; MemoryBound: 0
; FloatMode: 240
; IeeeMode: 1
; LDSByteSize: 0 bytes/workgroup (compile time only)
; SGPRBlocks: 2
; VGPRBlocks: 2
; NumSGPRsForWavesPerEU: 22
; NumVGPRsForWavesPerEU: 12
; Occupancy: 10
; WaveLimiterHint : 0
; COMPUTE_PGM_RSRC2:SCRATCH_EN: 0
; COMPUTE_PGM_RSRC2:USER_SGPR: 6
; COMPUTE_PGM_RSRC2:TRAP_HANDLER: 0
; COMPUTE_PGM_RSRC2:TGID_X_EN: 1
; COMPUTE_PGM_RSRC2:TGID_Y_EN: 0
; COMPUTE_PGM_RSRC2:TGID_Z_EN: 0
; COMPUTE_PGM_RSRC2:TIDIG_COMP_CNT: 0
	.section	.text._ZN7rocprim17ROCPRIM_400000_NS6detail17trampoline_kernelINS0_14default_configENS1_27upper_bound_config_selectorIdlEEZNS1_14transform_implILb0ES3_S5_N6thrust23THRUST_200600_302600_NS6detail15normal_iteratorINS8_7pointerIdNS8_11hip_rocprim5par_tENS8_11use_defaultESE_EEEENSA_INSB_IlSD_SE_SE_EEEEZNS1_13binary_searchIS3_S5_PdSG_SI_NS1_21upper_bound_search_opENS9_16wrapped_functionINS8_6system6detail7generic6detail18binary_search_lessEbEEEE10hipError_tPvRmT1_T2_T3_mmT4_T5_P12ihipStream_tbEUlRKdE_EEST_SX_SY_mSZ_S12_bEUlT_E_NS1_11comp_targetILNS1_3genE10ELNS1_11target_archE1201ELNS1_3gpuE5ELNS1_3repE0EEENS1_30default_config_static_selectorELNS0_4arch9wavefront6targetE1EEEvSW_,"axG",@progbits,_ZN7rocprim17ROCPRIM_400000_NS6detail17trampoline_kernelINS0_14default_configENS1_27upper_bound_config_selectorIdlEEZNS1_14transform_implILb0ES3_S5_N6thrust23THRUST_200600_302600_NS6detail15normal_iteratorINS8_7pointerIdNS8_11hip_rocprim5par_tENS8_11use_defaultESE_EEEENSA_INSB_IlSD_SE_SE_EEEEZNS1_13binary_searchIS3_S5_PdSG_SI_NS1_21upper_bound_search_opENS9_16wrapped_functionINS8_6system6detail7generic6detail18binary_search_lessEbEEEE10hipError_tPvRmT1_T2_T3_mmT4_T5_P12ihipStream_tbEUlRKdE_EEST_SX_SY_mSZ_S12_bEUlT_E_NS1_11comp_targetILNS1_3genE10ELNS1_11target_archE1201ELNS1_3gpuE5ELNS1_3repE0EEENS1_30default_config_static_selectorELNS0_4arch9wavefront6targetE1EEEvSW_,comdat
	.protected	_ZN7rocprim17ROCPRIM_400000_NS6detail17trampoline_kernelINS0_14default_configENS1_27upper_bound_config_selectorIdlEEZNS1_14transform_implILb0ES3_S5_N6thrust23THRUST_200600_302600_NS6detail15normal_iteratorINS8_7pointerIdNS8_11hip_rocprim5par_tENS8_11use_defaultESE_EEEENSA_INSB_IlSD_SE_SE_EEEEZNS1_13binary_searchIS3_S5_PdSG_SI_NS1_21upper_bound_search_opENS9_16wrapped_functionINS8_6system6detail7generic6detail18binary_search_lessEbEEEE10hipError_tPvRmT1_T2_T3_mmT4_T5_P12ihipStream_tbEUlRKdE_EEST_SX_SY_mSZ_S12_bEUlT_E_NS1_11comp_targetILNS1_3genE10ELNS1_11target_archE1201ELNS1_3gpuE5ELNS1_3repE0EEENS1_30default_config_static_selectorELNS0_4arch9wavefront6targetE1EEEvSW_ ; -- Begin function _ZN7rocprim17ROCPRIM_400000_NS6detail17trampoline_kernelINS0_14default_configENS1_27upper_bound_config_selectorIdlEEZNS1_14transform_implILb0ES3_S5_N6thrust23THRUST_200600_302600_NS6detail15normal_iteratorINS8_7pointerIdNS8_11hip_rocprim5par_tENS8_11use_defaultESE_EEEENSA_INSB_IlSD_SE_SE_EEEEZNS1_13binary_searchIS3_S5_PdSG_SI_NS1_21upper_bound_search_opENS9_16wrapped_functionINS8_6system6detail7generic6detail18binary_search_lessEbEEEE10hipError_tPvRmT1_T2_T3_mmT4_T5_P12ihipStream_tbEUlRKdE_EEST_SX_SY_mSZ_S12_bEUlT_E_NS1_11comp_targetILNS1_3genE10ELNS1_11target_archE1201ELNS1_3gpuE5ELNS1_3repE0EEENS1_30default_config_static_selectorELNS0_4arch9wavefront6targetE1EEEvSW_
	.globl	_ZN7rocprim17ROCPRIM_400000_NS6detail17trampoline_kernelINS0_14default_configENS1_27upper_bound_config_selectorIdlEEZNS1_14transform_implILb0ES3_S5_N6thrust23THRUST_200600_302600_NS6detail15normal_iteratorINS8_7pointerIdNS8_11hip_rocprim5par_tENS8_11use_defaultESE_EEEENSA_INSB_IlSD_SE_SE_EEEEZNS1_13binary_searchIS3_S5_PdSG_SI_NS1_21upper_bound_search_opENS9_16wrapped_functionINS8_6system6detail7generic6detail18binary_search_lessEbEEEE10hipError_tPvRmT1_T2_T3_mmT4_T5_P12ihipStream_tbEUlRKdE_EEST_SX_SY_mSZ_S12_bEUlT_E_NS1_11comp_targetILNS1_3genE10ELNS1_11target_archE1201ELNS1_3gpuE5ELNS1_3repE0EEENS1_30default_config_static_selectorELNS0_4arch9wavefront6targetE1EEEvSW_
	.p2align	8
	.type	_ZN7rocprim17ROCPRIM_400000_NS6detail17trampoline_kernelINS0_14default_configENS1_27upper_bound_config_selectorIdlEEZNS1_14transform_implILb0ES3_S5_N6thrust23THRUST_200600_302600_NS6detail15normal_iteratorINS8_7pointerIdNS8_11hip_rocprim5par_tENS8_11use_defaultESE_EEEENSA_INSB_IlSD_SE_SE_EEEEZNS1_13binary_searchIS3_S5_PdSG_SI_NS1_21upper_bound_search_opENS9_16wrapped_functionINS8_6system6detail7generic6detail18binary_search_lessEbEEEE10hipError_tPvRmT1_T2_T3_mmT4_T5_P12ihipStream_tbEUlRKdE_EEST_SX_SY_mSZ_S12_bEUlT_E_NS1_11comp_targetILNS1_3genE10ELNS1_11target_archE1201ELNS1_3gpuE5ELNS1_3repE0EEENS1_30default_config_static_selectorELNS0_4arch9wavefront6targetE1EEEvSW_,@function
_ZN7rocprim17ROCPRIM_400000_NS6detail17trampoline_kernelINS0_14default_configENS1_27upper_bound_config_selectorIdlEEZNS1_14transform_implILb0ES3_S5_N6thrust23THRUST_200600_302600_NS6detail15normal_iteratorINS8_7pointerIdNS8_11hip_rocprim5par_tENS8_11use_defaultESE_EEEENSA_INSB_IlSD_SE_SE_EEEEZNS1_13binary_searchIS3_S5_PdSG_SI_NS1_21upper_bound_search_opENS9_16wrapped_functionINS8_6system6detail7generic6detail18binary_search_lessEbEEEE10hipError_tPvRmT1_T2_T3_mmT4_T5_P12ihipStream_tbEUlRKdE_EEST_SX_SY_mSZ_S12_bEUlT_E_NS1_11comp_targetILNS1_3genE10ELNS1_11target_archE1201ELNS1_3gpuE5ELNS1_3repE0EEENS1_30default_config_static_selectorELNS0_4arch9wavefront6targetE1EEEvSW_: ; @_ZN7rocprim17ROCPRIM_400000_NS6detail17trampoline_kernelINS0_14default_configENS1_27upper_bound_config_selectorIdlEEZNS1_14transform_implILb0ES3_S5_N6thrust23THRUST_200600_302600_NS6detail15normal_iteratorINS8_7pointerIdNS8_11hip_rocprim5par_tENS8_11use_defaultESE_EEEENSA_INSB_IlSD_SE_SE_EEEEZNS1_13binary_searchIS3_S5_PdSG_SI_NS1_21upper_bound_search_opENS9_16wrapped_functionINS8_6system6detail7generic6detail18binary_search_lessEbEEEE10hipError_tPvRmT1_T2_T3_mmT4_T5_P12ihipStream_tbEUlRKdE_EEST_SX_SY_mSZ_S12_bEUlT_E_NS1_11comp_targetILNS1_3genE10ELNS1_11target_archE1201ELNS1_3gpuE5ELNS1_3repE0EEENS1_30default_config_static_selectorELNS0_4arch9wavefront6targetE1EEEvSW_
; %bb.0:
	.section	.rodata,"a",@progbits
	.p2align	6, 0x0
	.amdhsa_kernel _ZN7rocprim17ROCPRIM_400000_NS6detail17trampoline_kernelINS0_14default_configENS1_27upper_bound_config_selectorIdlEEZNS1_14transform_implILb0ES3_S5_N6thrust23THRUST_200600_302600_NS6detail15normal_iteratorINS8_7pointerIdNS8_11hip_rocprim5par_tENS8_11use_defaultESE_EEEENSA_INSB_IlSD_SE_SE_EEEEZNS1_13binary_searchIS3_S5_PdSG_SI_NS1_21upper_bound_search_opENS9_16wrapped_functionINS8_6system6detail7generic6detail18binary_search_lessEbEEEE10hipError_tPvRmT1_T2_T3_mmT4_T5_P12ihipStream_tbEUlRKdE_EEST_SX_SY_mSZ_S12_bEUlT_E_NS1_11comp_targetILNS1_3genE10ELNS1_11target_archE1201ELNS1_3gpuE5ELNS1_3repE0EEENS1_30default_config_static_selectorELNS0_4arch9wavefront6targetE1EEEvSW_
		.amdhsa_group_segment_fixed_size 0
		.amdhsa_private_segment_fixed_size 0
		.amdhsa_kernarg_size 56
		.amdhsa_user_sgpr_count 6
		.amdhsa_user_sgpr_private_segment_buffer 1
		.amdhsa_user_sgpr_dispatch_ptr 0
		.amdhsa_user_sgpr_queue_ptr 0
		.amdhsa_user_sgpr_kernarg_segment_ptr 1
		.amdhsa_user_sgpr_dispatch_id 0
		.amdhsa_user_sgpr_flat_scratch_init 0
		.amdhsa_user_sgpr_private_segment_size 0
		.amdhsa_uses_dynamic_stack 0
		.amdhsa_system_sgpr_private_segment_wavefront_offset 0
		.amdhsa_system_sgpr_workgroup_id_x 1
		.amdhsa_system_sgpr_workgroup_id_y 0
		.amdhsa_system_sgpr_workgroup_id_z 0
		.amdhsa_system_sgpr_workgroup_info 0
		.amdhsa_system_vgpr_workitem_id 0
		.amdhsa_next_free_vgpr 1
		.amdhsa_next_free_sgpr 0
		.amdhsa_reserve_vcc 0
		.amdhsa_reserve_flat_scratch 0
		.amdhsa_float_round_mode_32 0
		.amdhsa_float_round_mode_16_64 0
		.amdhsa_float_denorm_mode_32 3
		.amdhsa_float_denorm_mode_16_64 3
		.amdhsa_dx10_clamp 1
		.amdhsa_ieee_mode 1
		.amdhsa_fp16_overflow 0
		.amdhsa_exception_fp_ieee_invalid_op 0
		.amdhsa_exception_fp_denorm_src 0
		.amdhsa_exception_fp_ieee_div_zero 0
		.amdhsa_exception_fp_ieee_overflow 0
		.amdhsa_exception_fp_ieee_underflow 0
		.amdhsa_exception_fp_ieee_inexact 0
		.amdhsa_exception_int_div_zero 0
	.end_amdhsa_kernel
	.section	.text._ZN7rocprim17ROCPRIM_400000_NS6detail17trampoline_kernelINS0_14default_configENS1_27upper_bound_config_selectorIdlEEZNS1_14transform_implILb0ES3_S5_N6thrust23THRUST_200600_302600_NS6detail15normal_iteratorINS8_7pointerIdNS8_11hip_rocprim5par_tENS8_11use_defaultESE_EEEENSA_INSB_IlSD_SE_SE_EEEEZNS1_13binary_searchIS3_S5_PdSG_SI_NS1_21upper_bound_search_opENS9_16wrapped_functionINS8_6system6detail7generic6detail18binary_search_lessEbEEEE10hipError_tPvRmT1_T2_T3_mmT4_T5_P12ihipStream_tbEUlRKdE_EEST_SX_SY_mSZ_S12_bEUlT_E_NS1_11comp_targetILNS1_3genE10ELNS1_11target_archE1201ELNS1_3gpuE5ELNS1_3repE0EEENS1_30default_config_static_selectorELNS0_4arch9wavefront6targetE1EEEvSW_,"axG",@progbits,_ZN7rocprim17ROCPRIM_400000_NS6detail17trampoline_kernelINS0_14default_configENS1_27upper_bound_config_selectorIdlEEZNS1_14transform_implILb0ES3_S5_N6thrust23THRUST_200600_302600_NS6detail15normal_iteratorINS8_7pointerIdNS8_11hip_rocprim5par_tENS8_11use_defaultESE_EEEENSA_INSB_IlSD_SE_SE_EEEEZNS1_13binary_searchIS3_S5_PdSG_SI_NS1_21upper_bound_search_opENS9_16wrapped_functionINS8_6system6detail7generic6detail18binary_search_lessEbEEEE10hipError_tPvRmT1_T2_T3_mmT4_T5_P12ihipStream_tbEUlRKdE_EEST_SX_SY_mSZ_S12_bEUlT_E_NS1_11comp_targetILNS1_3genE10ELNS1_11target_archE1201ELNS1_3gpuE5ELNS1_3repE0EEENS1_30default_config_static_selectorELNS0_4arch9wavefront6targetE1EEEvSW_,comdat
.Lfunc_end167:
	.size	_ZN7rocprim17ROCPRIM_400000_NS6detail17trampoline_kernelINS0_14default_configENS1_27upper_bound_config_selectorIdlEEZNS1_14transform_implILb0ES3_S5_N6thrust23THRUST_200600_302600_NS6detail15normal_iteratorINS8_7pointerIdNS8_11hip_rocprim5par_tENS8_11use_defaultESE_EEEENSA_INSB_IlSD_SE_SE_EEEEZNS1_13binary_searchIS3_S5_PdSG_SI_NS1_21upper_bound_search_opENS9_16wrapped_functionINS8_6system6detail7generic6detail18binary_search_lessEbEEEE10hipError_tPvRmT1_T2_T3_mmT4_T5_P12ihipStream_tbEUlRKdE_EEST_SX_SY_mSZ_S12_bEUlT_E_NS1_11comp_targetILNS1_3genE10ELNS1_11target_archE1201ELNS1_3gpuE5ELNS1_3repE0EEENS1_30default_config_static_selectorELNS0_4arch9wavefront6targetE1EEEvSW_, .Lfunc_end167-_ZN7rocprim17ROCPRIM_400000_NS6detail17trampoline_kernelINS0_14default_configENS1_27upper_bound_config_selectorIdlEEZNS1_14transform_implILb0ES3_S5_N6thrust23THRUST_200600_302600_NS6detail15normal_iteratorINS8_7pointerIdNS8_11hip_rocprim5par_tENS8_11use_defaultESE_EEEENSA_INSB_IlSD_SE_SE_EEEEZNS1_13binary_searchIS3_S5_PdSG_SI_NS1_21upper_bound_search_opENS9_16wrapped_functionINS8_6system6detail7generic6detail18binary_search_lessEbEEEE10hipError_tPvRmT1_T2_T3_mmT4_T5_P12ihipStream_tbEUlRKdE_EEST_SX_SY_mSZ_S12_bEUlT_E_NS1_11comp_targetILNS1_3genE10ELNS1_11target_archE1201ELNS1_3gpuE5ELNS1_3repE0EEENS1_30default_config_static_selectorELNS0_4arch9wavefront6targetE1EEEvSW_
                                        ; -- End function
	.set _ZN7rocprim17ROCPRIM_400000_NS6detail17trampoline_kernelINS0_14default_configENS1_27upper_bound_config_selectorIdlEEZNS1_14transform_implILb0ES3_S5_N6thrust23THRUST_200600_302600_NS6detail15normal_iteratorINS8_7pointerIdNS8_11hip_rocprim5par_tENS8_11use_defaultESE_EEEENSA_INSB_IlSD_SE_SE_EEEEZNS1_13binary_searchIS3_S5_PdSG_SI_NS1_21upper_bound_search_opENS9_16wrapped_functionINS8_6system6detail7generic6detail18binary_search_lessEbEEEE10hipError_tPvRmT1_T2_T3_mmT4_T5_P12ihipStream_tbEUlRKdE_EEST_SX_SY_mSZ_S12_bEUlT_E_NS1_11comp_targetILNS1_3genE10ELNS1_11target_archE1201ELNS1_3gpuE5ELNS1_3repE0EEENS1_30default_config_static_selectorELNS0_4arch9wavefront6targetE1EEEvSW_.num_vgpr, 0
	.set _ZN7rocprim17ROCPRIM_400000_NS6detail17trampoline_kernelINS0_14default_configENS1_27upper_bound_config_selectorIdlEEZNS1_14transform_implILb0ES3_S5_N6thrust23THRUST_200600_302600_NS6detail15normal_iteratorINS8_7pointerIdNS8_11hip_rocprim5par_tENS8_11use_defaultESE_EEEENSA_INSB_IlSD_SE_SE_EEEEZNS1_13binary_searchIS3_S5_PdSG_SI_NS1_21upper_bound_search_opENS9_16wrapped_functionINS8_6system6detail7generic6detail18binary_search_lessEbEEEE10hipError_tPvRmT1_T2_T3_mmT4_T5_P12ihipStream_tbEUlRKdE_EEST_SX_SY_mSZ_S12_bEUlT_E_NS1_11comp_targetILNS1_3genE10ELNS1_11target_archE1201ELNS1_3gpuE5ELNS1_3repE0EEENS1_30default_config_static_selectorELNS0_4arch9wavefront6targetE1EEEvSW_.num_agpr, 0
	.set _ZN7rocprim17ROCPRIM_400000_NS6detail17trampoline_kernelINS0_14default_configENS1_27upper_bound_config_selectorIdlEEZNS1_14transform_implILb0ES3_S5_N6thrust23THRUST_200600_302600_NS6detail15normal_iteratorINS8_7pointerIdNS8_11hip_rocprim5par_tENS8_11use_defaultESE_EEEENSA_INSB_IlSD_SE_SE_EEEEZNS1_13binary_searchIS3_S5_PdSG_SI_NS1_21upper_bound_search_opENS9_16wrapped_functionINS8_6system6detail7generic6detail18binary_search_lessEbEEEE10hipError_tPvRmT1_T2_T3_mmT4_T5_P12ihipStream_tbEUlRKdE_EEST_SX_SY_mSZ_S12_bEUlT_E_NS1_11comp_targetILNS1_3genE10ELNS1_11target_archE1201ELNS1_3gpuE5ELNS1_3repE0EEENS1_30default_config_static_selectorELNS0_4arch9wavefront6targetE1EEEvSW_.numbered_sgpr, 0
	.set _ZN7rocprim17ROCPRIM_400000_NS6detail17trampoline_kernelINS0_14default_configENS1_27upper_bound_config_selectorIdlEEZNS1_14transform_implILb0ES3_S5_N6thrust23THRUST_200600_302600_NS6detail15normal_iteratorINS8_7pointerIdNS8_11hip_rocprim5par_tENS8_11use_defaultESE_EEEENSA_INSB_IlSD_SE_SE_EEEEZNS1_13binary_searchIS3_S5_PdSG_SI_NS1_21upper_bound_search_opENS9_16wrapped_functionINS8_6system6detail7generic6detail18binary_search_lessEbEEEE10hipError_tPvRmT1_T2_T3_mmT4_T5_P12ihipStream_tbEUlRKdE_EEST_SX_SY_mSZ_S12_bEUlT_E_NS1_11comp_targetILNS1_3genE10ELNS1_11target_archE1201ELNS1_3gpuE5ELNS1_3repE0EEENS1_30default_config_static_selectorELNS0_4arch9wavefront6targetE1EEEvSW_.num_named_barrier, 0
	.set _ZN7rocprim17ROCPRIM_400000_NS6detail17trampoline_kernelINS0_14default_configENS1_27upper_bound_config_selectorIdlEEZNS1_14transform_implILb0ES3_S5_N6thrust23THRUST_200600_302600_NS6detail15normal_iteratorINS8_7pointerIdNS8_11hip_rocprim5par_tENS8_11use_defaultESE_EEEENSA_INSB_IlSD_SE_SE_EEEEZNS1_13binary_searchIS3_S5_PdSG_SI_NS1_21upper_bound_search_opENS9_16wrapped_functionINS8_6system6detail7generic6detail18binary_search_lessEbEEEE10hipError_tPvRmT1_T2_T3_mmT4_T5_P12ihipStream_tbEUlRKdE_EEST_SX_SY_mSZ_S12_bEUlT_E_NS1_11comp_targetILNS1_3genE10ELNS1_11target_archE1201ELNS1_3gpuE5ELNS1_3repE0EEENS1_30default_config_static_selectorELNS0_4arch9wavefront6targetE1EEEvSW_.private_seg_size, 0
	.set _ZN7rocprim17ROCPRIM_400000_NS6detail17trampoline_kernelINS0_14default_configENS1_27upper_bound_config_selectorIdlEEZNS1_14transform_implILb0ES3_S5_N6thrust23THRUST_200600_302600_NS6detail15normal_iteratorINS8_7pointerIdNS8_11hip_rocprim5par_tENS8_11use_defaultESE_EEEENSA_INSB_IlSD_SE_SE_EEEEZNS1_13binary_searchIS3_S5_PdSG_SI_NS1_21upper_bound_search_opENS9_16wrapped_functionINS8_6system6detail7generic6detail18binary_search_lessEbEEEE10hipError_tPvRmT1_T2_T3_mmT4_T5_P12ihipStream_tbEUlRKdE_EEST_SX_SY_mSZ_S12_bEUlT_E_NS1_11comp_targetILNS1_3genE10ELNS1_11target_archE1201ELNS1_3gpuE5ELNS1_3repE0EEENS1_30default_config_static_selectorELNS0_4arch9wavefront6targetE1EEEvSW_.uses_vcc, 0
	.set _ZN7rocprim17ROCPRIM_400000_NS6detail17trampoline_kernelINS0_14default_configENS1_27upper_bound_config_selectorIdlEEZNS1_14transform_implILb0ES3_S5_N6thrust23THRUST_200600_302600_NS6detail15normal_iteratorINS8_7pointerIdNS8_11hip_rocprim5par_tENS8_11use_defaultESE_EEEENSA_INSB_IlSD_SE_SE_EEEEZNS1_13binary_searchIS3_S5_PdSG_SI_NS1_21upper_bound_search_opENS9_16wrapped_functionINS8_6system6detail7generic6detail18binary_search_lessEbEEEE10hipError_tPvRmT1_T2_T3_mmT4_T5_P12ihipStream_tbEUlRKdE_EEST_SX_SY_mSZ_S12_bEUlT_E_NS1_11comp_targetILNS1_3genE10ELNS1_11target_archE1201ELNS1_3gpuE5ELNS1_3repE0EEENS1_30default_config_static_selectorELNS0_4arch9wavefront6targetE1EEEvSW_.uses_flat_scratch, 0
	.set _ZN7rocprim17ROCPRIM_400000_NS6detail17trampoline_kernelINS0_14default_configENS1_27upper_bound_config_selectorIdlEEZNS1_14transform_implILb0ES3_S5_N6thrust23THRUST_200600_302600_NS6detail15normal_iteratorINS8_7pointerIdNS8_11hip_rocprim5par_tENS8_11use_defaultESE_EEEENSA_INSB_IlSD_SE_SE_EEEEZNS1_13binary_searchIS3_S5_PdSG_SI_NS1_21upper_bound_search_opENS9_16wrapped_functionINS8_6system6detail7generic6detail18binary_search_lessEbEEEE10hipError_tPvRmT1_T2_T3_mmT4_T5_P12ihipStream_tbEUlRKdE_EEST_SX_SY_mSZ_S12_bEUlT_E_NS1_11comp_targetILNS1_3genE10ELNS1_11target_archE1201ELNS1_3gpuE5ELNS1_3repE0EEENS1_30default_config_static_selectorELNS0_4arch9wavefront6targetE1EEEvSW_.has_dyn_sized_stack, 0
	.set _ZN7rocprim17ROCPRIM_400000_NS6detail17trampoline_kernelINS0_14default_configENS1_27upper_bound_config_selectorIdlEEZNS1_14transform_implILb0ES3_S5_N6thrust23THRUST_200600_302600_NS6detail15normal_iteratorINS8_7pointerIdNS8_11hip_rocprim5par_tENS8_11use_defaultESE_EEEENSA_INSB_IlSD_SE_SE_EEEEZNS1_13binary_searchIS3_S5_PdSG_SI_NS1_21upper_bound_search_opENS9_16wrapped_functionINS8_6system6detail7generic6detail18binary_search_lessEbEEEE10hipError_tPvRmT1_T2_T3_mmT4_T5_P12ihipStream_tbEUlRKdE_EEST_SX_SY_mSZ_S12_bEUlT_E_NS1_11comp_targetILNS1_3genE10ELNS1_11target_archE1201ELNS1_3gpuE5ELNS1_3repE0EEENS1_30default_config_static_selectorELNS0_4arch9wavefront6targetE1EEEvSW_.has_recursion, 0
	.set _ZN7rocprim17ROCPRIM_400000_NS6detail17trampoline_kernelINS0_14default_configENS1_27upper_bound_config_selectorIdlEEZNS1_14transform_implILb0ES3_S5_N6thrust23THRUST_200600_302600_NS6detail15normal_iteratorINS8_7pointerIdNS8_11hip_rocprim5par_tENS8_11use_defaultESE_EEEENSA_INSB_IlSD_SE_SE_EEEEZNS1_13binary_searchIS3_S5_PdSG_SI_NS1_21upper_bound_search_opENS9_16wrapped_functionINS8_6system6detail7generic6detail18binary_search_lessEbEEEE10hipError_tPvRmT1_T2_T3_mmT4_T5_P12ihipStream_tbEUlRKdE_EEST_SX_SY_mSZ_S12_bEUlT_E_NS1_11comp_targetILNS1_3genE10ELNS1_11target_archE1201ELNS1_3gpuE5ELNS1_3repE0EEENS1_30default_config_static_selectorELNS0_4arch9wavefront6targetE1EEEvSW_.has_indirect_call, 0
	.section	.AMDGPU.csdata,"",@progbits
; Kernel info:
; codeLenInByte = 0
; TotalNumSgprs: 4
; NumVgprs: 0
; ScratchSize: 0
; MemoryBound: 0
; FloatMode: 240
; IeeeMode: 1
; LDSByteSize: 0 bytes/workgroup (compile time only)
; SGPRBlocks: 0
; VGPRBlocks: 0
; NumSGPRsForWavesPerEU: 4
; NumVGPRsForWavesPerEU: 1
; Occupancy: 10
; WaveLimiterHint : 0
; COMPUTE_PGM_RSRC2:SCRATCH_EN: 0
; COMPUTE_PGM_RSRC2:USER_SGPR: 6
; COMPUTE_PGM_RSRC2:TRAP_HANDLER: 0
; COMPUTE_PGM_RSRC2:TGID_X_EN: 1
; COMPUTE_PGM_RSRC2:TGID_Y_EN: 0
; COMPUTE_PGM_RSRC2:TGID_Z_EN: 0
; COMPUTE_PGM_RSRC2:TIDIG_COMP_CNT: 0
	.section	.text._ZN7rocprim17ROCPRIM_400000_NS6detail17trampoline_kernelINS0_14default_configENS1_27upper_bound_config_selectorIdlEEZNS1_14transform_implILb0ES3_S5_N6thrust23THRUST_200600_302600_NS6detail15normal_iteratorINS8_7pointerIdNS8_11hip_rocprim5par_tENS8_11use_defaultESE_EEEENSA_INSB_IlSD_SE_SE_EEEEZNS1_13binary_searchIS3_S5_PdSG_SI_NS1_21upper_bound_search_opENS9_16wrapped_functionINS8_6system6detail7generic6detail18binary_search_lessEbEEEE10hipError_tPvRmT1_T2_T3_mmT4_T5_P12ihipStream_tbEUlRKdE_EEST_SX_SY_mSZ_S12_bEUlT_E_NS1_11comp_targetILNS1_3genE10ELNS1_11target_archE1200ELNS1_3gpuE4ELNS1_3repE0EEENS1_30default_config_static_selectorELNS0_4arch9wavefront6targetE1EEEvSW_,"axG",@progbits,_ZN7rocprim17ROCPRIM_400000_NS6detail17trampoline_kernelINS0_14default_configENS1_27upper_bound_config_selectorIdlEEZNS1_14transform_implILb0ES3_S5_N6thrust23THRUST_200600_302600_NS6detail15normal_iteratorINS8_7pointerIdNS8_11hip_rocprim5par_tENS8_11use_defaultESE_EEEENSA_INSB_IlSD_SE_SE_EEEEZNS1_13binary_searchIS3_S5_PdSG_SI_NS1_21upper_bound_search_opENS9_16wrapped_functionINS8_6system6detail7generic6detail18binary_search_lessEbEEEE10hipError_tPvRmT1_T2_T3_mmT4_T5_P12ihipStream_tbEUlRKdE_EEST_SX_SY_mSZ_S12_bEUlT_E_NS1_11comp_targetILNS1_3genE10ELNS1_11target_archE1200ELNS1_3gpuE4ELNS1_3repE0EEENS1_30default_config_static_selectorELNS0_4arch9wavefront6targetE1EEEvSW_,comdat
	.protected	_ZN7rocprim17ROCPRIM_400000_NS6detail17trampoline_kernelINS0_14default_configENS1_27upper_bound_config_selectorIdlEEZNS1_14transform_implILb0ES3_S5_N6thrust23THRUST_200600_302600_NS6detail15normal_iteratorINS8_7pointerIdNS8_11hip_rocprim5par_tENS8_11use_defaultESE_EEEENSA_INSB_IlSD_SE_SE_EEEEZNS1_13binary_searchIS3_S5_PdSG_SI_NS1_21upper_bound_search_opENS9_16wrapped_functionINS8_6system6detail7generic6detail18binary_search_lessEbEEEE10hipError_tPvRmT1_T2_T3_mmT4_T5_P12ihipStream_tbEUlRKdE_EEST_SX_SY_mSZ_S12_bEUlT_E_NS1_11comp_targetILNS1_3genE10ELNS1_11target_archE1200ELNS1_3gpuE4ELNS1_3repE0EEENS1_30default_config_static_selectorELNS0_4arch9wavefront6targetE1EEEvSW_ ; -- Begin function _ZN7rocprim17ROCPRIM_400000_NS6detail17trampoline_kernelINS0_14default_configENS1_27upper_bound_config_selectorIdlEEZNS1_14transform_implILb0ES3_S5_N6thrust23THRUST_200600_302600_NS6detail15normal_iteratorINS8_7pointerIdNS8_11hip_rocprim5par_tENS8_11use_defaultESE_EEEENSA_INSB_IlSD_SE_SE_EEEEZNS1_13binary_searchIS3_S5_PdSG_SI_NS1_21upper_bound_search_opENS9_16wrapped_functionINS8_6system6detail7generic6detail18binary_search_lessEbEEEE10hipError_tPvRmT1_T2_T3_mmT4_T5_P12ihipStream_tbEUlRKdE_EEST_SX_SY_mSZ_S12_bEUlT_E_NS1_11comp_targetILNS1_3genE10ELNS1_11target_archE1200ELNS1_3gpuE4ELNS1_3repE0EEENS1_30default_config_static_selectorELNS0_4arch9wavefront6targetE1EEEvSW_
	.globl	_ZN7rocprim17ROCPRIM_400000_NS6detail17trampoline_kernelINS0_14default_configENS1_27upper_bound_config_selectorIdlEEZNS1_14transform_implILb0ES3_S5_N6thrust23THRUST_200600_302600_NS6detail15normal_iteratorINS8_7pointerIdNS8_11hip_rocprim5par_tENS8_11use_defaultESE_EEEENSA_INSB_IlSD_SE_SE_EEEEZNS1_13binary_searchIS3_S5_PdSG_SI_NS1_21upper_bound_search_opENS9_16wrapped_functionINS8_6system6detail7generic6detail18binary_search_lessEbEEEE10hipError_tPvRmT1_T2_T3_mmT4_T5_P12ihipStream_tbEUlRKdE_EEST_SX_SY_mSZ_S12_bEUlT_E_NS1_11comp_targetILNS1_3genE10ELNS1_11target_archE1200ELNS1_3gpuE4ELNS1_3repE0EEENS1_30default_config_static_selectorELNS0_4arch9wavefront6targetE1EEEvSW_
	.p2align	8
	.type	_ZN7rocprim17ROCPRIM_400000_NS6detail17trampoline_kernelINS0_14default_configENS1_27upper_bound_config_selectorIdlEEZNS1_14transform_implILb0ES3_S5_N6thrust23THRUST_200600_302600_NS6detail15normal_iteratorINS8_7pointerIdNS8_11hip_rocprim5par_tENS8_11use_defaultESE_EEEENSA_INSB_IlSD_SE_SE_EEEEZNS1_13binary_searchIS3_S5_PdSG_SI_NS1_21upper_bound_search_opENS9_16wrapped_functionINS8_6system6detail7generic6detail18binary_search_lessEbEEEE10hipError_tPvRmT1_T2_T3_mmT4_T5_P12ihipStream_tbEUlRKdE_EEST_SX_SY_mSZ_S12_bEUlT_E_NS1_11comp_targetILNS1_3genE10ELNS1_11target_archE1200ELNS1_3gpuE4ELNS1_3repE0EEENS1_30default_config_static_selectorELNS0_4arch9wavefront6targetE1EEEvSW_,@function
_ZN7rocprim17ROCPRIM_400000_NS6detail17trampoline_kernelINS0_14default_configENS1_27upper_bound_config_selectorIdlEEZNS1_14transform_implILb0ES3_S5_N6thrust23THRUST_200600_302600_NS6detail15normal_iteratorINS8_7pointerIdNS8_11hip_rocprim5par_tENS8_11use_defaultESE_EEEENSA_INSB_IlSD_SE_SE_EEEEZNS1_13binary_searchIS3_S5_PdSG_SI_NS1_21upper_bound_search_opENS9_16wrapped_functionINS8_6system6detail7generic6detail18binary_search_lessEbEEEE10hipError_tPvRmT1_T2_T3_mmT4_T5_P12ihipStream_tbEUlRKdE_EEST_SX_SY_mSZ_S12_bEUlT_E_NS1_11comp_targetILNS1_3genE10ELNS1_11target_archE1200ELNS1_3gpuE4ELNS1_3repE0EEENS1_30default_config_static_selectorELNS0_4arch9wavefront6targetE1EEEvSW_: ; @_ZN7rocprim17ROCPRIM_400000_NS6detail17trampoline_kernelINS0_14default_configENS1_27upper_bound_config_selectorIdlEEZNS1_14transform_implILb0ES3_S5_N6thrust23THRUST_200600_302600_NS6detail15normal_iteratorINS8_7pointerIdNS8_11hip_rocprim5par_tENS8_11use_defaultESE_EEEENSA_INSB_IlSD_SE_SE_EEEEZNS1_13binary_searchIS3_S5_PdSG_SI_NS1_21upper_bound_search_opENS9_16wrapped_functionINS8_6system6detail7generic6detail18binary_search_lessEbEEEE10hipError_tPvRmT1_T2_T3_mmT4_T5_P12ihipStream_tbEUlRKdE_EEST_SX_SY_mSZ_S12_bEUlT_E_NS1_11comp_targetILNS1_3genE10ELNS1_11target_archE1200ELNS1_3gpuE4ELNS1_3repE0EEENS1_30default_config_static_selectorELNS0_4arch9wavefront6targetE1EEEvSW_
; %bb.0:
	.section	.rodata,"a",@progbits
	.p2align	6, 0x0
	.amdhsa_kernel _ZN7rocprim17ROCPRIM_400000_NS6detail17trampoline_kernelINS0_14default_configENS1_27upper_bound_config_selectorIdlEEZNS1_14transform_implILb0ES3_S5_N6thrust23THRUST_200600_302600_NS6detail15normal_iteratorINS8_7pointerIdNS8_11hip_rocprim5par_tENS8_11use_defaultESE_EEEENSA_INSB_IlSD_SE_SE_EEEEZNS1_13binary_searchIS3_S5_PdSG_SI_NS1_21upper_bound_search_opENS9_16wrapped_functionINS8_6system6detail7generic6detail18binary_search_lessEbEEEE10hipError_tPvRmT1_T2_T3_mmT4_T5_P12ihipStream_tbEUlRKdE_EEST_SX_SY_mSZ_S12_bEUlT_E_NS1_11comp_targetILNS1_3genE10ELNS1_11target_archE1200ELNS1_3gpuE4ELNS1_3repE0EEENS1_30default_config_static_selectorELNS0_4arch9wavefront6targetE1EEEvSW_
		.amdhsa_group_segment_fixed_size 0
		.amdhsa_private_segment_fixed_size 0
		.amdhsa_kernarg_size 56
		.amdhsa_user_sgpr_count 6
		.amdhsa_user_sgpr_private_segment_buffer 1
		.amdhsa_user_sgpr_dispatch_ptr 0
		.amdhsa_user_sgpr_queue_ptr 0
		.amdhsa_user_sgpr_kernarg_segment_ptr 1
		.amdhsa_user_sgpr_dispatch_id 0
		.amdhsa_user_sgpr_flat_scratch_init 0
		.amdhsa_user_sgpr_private_segment_size 0
		.amdhsa_uses_dynamic_stack 0
		.amdhsa_system_sgpr_private_segment_wavefront_offset 0
		.amdhsa_system_sgpr_workgroup_id_x 1
		.amdhsa_system_sgpr_workgroup_id_y 0
		.amdhsa_system_sgpr_workgroup_id_z 0
		.amdhsa_system_sgpr_workgroup_info 0
		.amdhsa_system_vgpr_workitem_id 0
		.amdhsa_next_free_vgpr 1
		.amdhsa_next_free_sgpr 0
		.amdhsa_reserve_vcc 0
		.amdhsa_reserve_flat_scratch 0
		.amdhsa_float_round_mode_32 0
		.amdhsa_float_round_mode_16_64 0
		.amdhsa_float_denorm_mode_32 3
		.amdhsa_float_denorm_mode_16_64 3
		.amdhsa_dx10_clamp 1
		.amdhsa_ieee_mode 1
		.amdhsa_fp16_overflow 0
		.amdhsa_exception_fp_ieee_invalid_op 0
		.amdhsa_exception_fp_denorm_src 0
		.amdhsa_exception_fp_ieee_div_zero 0
		.amdhsa_exception_fp_ieee_overflow 0
		.amdhsa_exception_fp_ieee_underflow 0
		.amdhsa_exception_fp_ieee_inexact 0
		.amdhsa_exception_int_div_zero 0
	.end_amdhsa_kernel
	.section	.text._ZN7rocprim17ROCPRIM_400000_NS6detail17trampoline_kernelINS0_14default_configENS1_27upper_bound_config_selectorIdlEEZNS1_14transform_implILb0ES3_S5_N6thrust23THRUST_200600_302600_NS6detail15normal_iteratorINS8_7pointerIdNS8_11hip_rocprim5par_tENS8_11use_defaultESE_EEEENSA_INSB_IlSD_SE_SE_EEEEZNS1_13binary_searchIS3_S5_PdSG_SI_NS1_21upper_bound_search_opENS9_16wrapped_functionINS8_6system6detail7generic6detail18binary_search_lessEbEEEE10hipError_tPvRmT1_T2_T3_mmT4_T5_P12ihipStream_tbEUlRKdE_EEST_SX_SY_mSZ_S12_bEUlT_E_NS1_11comp_targetILNS1_3genE10ELNS1_11target_archE1200ELNS1_3gpuE4ELNS1_3repE0EEENS1_30default_config_static_selectorELNS0_4arch9wavefront6targetE1EEEvSW_,"axG",@progbits,_ZN7rocprim17ROCPRIM_400000_NS6detail17trampoline_kernelINS0_14default_configENS1_27upper_bound_config_selectorIdlEEZNS1_14transform_implILb0ES3_S5_N6thrust23THRUST_200600_302600_NS6detail15normal_iteratorINS8_7pointerIdNS8_11hip_rocprim5par_tENS8_11use_defaultESE_EEEENSA_INSB_IlSD_SE_SE_EEEEZNS1_13binary_searchIS3_S5_PdSG_SI_NS1_21upper_bound_search_opENS9_16wrapped_functionINS8_6system6detail7generic6detail18binary_search_lessEbEEEE10hipError_tPvRmT1_T2_T3_mmT4_T5_P12ihipStream_tbEUlRKdE_EEST_SX_SY_mSZ_S12_bEUlT_E_NS1_11comp_targetILNS1_3genE10ELNS1_11target_archE1200ELNS1_3gpuE4ELNS1_3repE0EEENS1_30default_config_static_selectorELNS0_4arch9wavefront6targetE1EEEvSW_,comdat
.Lfunc_end168:
	.size	_ZN7rocprim17ROCPRIM_400000_NS6detail17trampoline_kernelINS0_14default_configENS1_27upper_bound_config_selectorIdlEEZNS1_14transform_implILb0ES3_S5_N6thrust23THRUST_200600_302600_NS6detail15normal_iteratorINS8_7pointerIdNS8_11hip_rocprim5par_tENS8_11use_defaultESE_EEEENSA_INSB_IlSD_SE_SE_EEEEZNS1_13binary_searchIS3_S5_PdSG_SI_NS1_21upper_bound_search_opENS9_16wrapped_functionINS8_6system6detail7generic6detail18binary_search_lessEbEEEE10hipError_tPvRmT1_T2_T3_mmT4_T5_P12ihipStream_tbEUlRKdE_EEST_SX_SY_mSZ_S12_bEUlT_E_NS1_11comp_targetILNS1_3genE10ELNS1_11target_archE1200ELNS1_3gpuE4ELNS1_3repE0EEENS1_30default_config_static_selectorELNS0_4arch9wavefront6targetE1EEEvSW_, .Lfunc_end168-_ZN7rocprim17ROCPRIM_400000_NS6detail17trampoline_kernelINS0_14default_configENS1_27upper_bound_config_selectorIdlEEZNS1_14transform_implILb0ES3_S5_N6thrust23THRUST_200600_302600_NS6detail15normal_iteratorINS8_7pointerIdNS8_11hip_rocprim5par_tENS8_11use_defaultESE_EEEENSA_INSB_IlSD_SE_SE_EEEEZNS1_13binary_searchIS3_S5_PdSG_SI_NS1_21upper_bound_search_opENS9_16wrapped_functionINS8_6system6detail7generic6detail18binary_search_lessEbEEEE10hipError_tPvRmT1_T2_T3_mmT4_T5_P12ihipStream_tbEUlRKdE_EEST_SX_SY_mSZ_S12_bEUlT_E_NS1_11comp_targetILNS1_3genE10ELNS1_11target_archE1200ELNS1_3gpuE4ELNS1_3repE0EEENS1_30default_config_static_selectorELNS0_4arch9wavefront6targetE1EEEvSW_
                                        ; -- End function
	.set _ZN7rocprim17ROCPRIM_400000_NS6detail17trampoline_kernelINS0_14default_configENS1_27upper_bound_config_selectorIdlEEZNS1_14transform_implILb0ES3_S5_N6thrust23THRUST_200600_302600_NS6detail15normal_iteratorINS8_7pointerIdNS8_11hip_rocprim5par_tENS8_11use_defaultESE_EEEENSA_INSB_IlSD_SE_SE_EEEEZNS1_13binary_searchIS3_S5_PdSG_SI_NS1_21upper_bound_search_opENS9_16wrapped_functionINS8_6system6detail7generic6detail18binary_search_lessEbEEEE10hipError_tPvRmT1_T2_T3_mmT4_T5_P12ihipStream_tbEUlRKdE_EEST_SX_SY_mSZ_S12_bEUlT_E_NS1_11comp_targetILNS1_3genE10ELNS1_11target_archE1200ELNS1_3gpuE4ELNS1_3repE0EEENS1_30default_config_static_selectorELNS0_4arch9wavefront6targetE1EEEvSW_.num_vgpr, 0
	.set _ZN7rocprim17ROCPRIM_400000_NS6detail17trampoline_kernelINS0_14default_configENS1_27upper_bound_config_selectorIdlEEZNS1_14transform_implILb0ES3_S5_N6thrust23THRUST_200600_302600_NS6detail15normal_iteratorINS8_7pointerIdNS8_11hip_rocprim5par_tENS8_11use_defaultESE_EEEENSA_INSB_IlSD_SE_SE_EEEEZNS1_13binary_searchIS3_S5_PdSG_SI_NS1_21upper_bound_search_opENS9_16wrapped_functionINS8_6system6detail7generic6detail18binary_search_lessEbEEEE10hipError_tPvRmT1_T2_T3_mmT4_T5_P12ihipStream_tbEUlRKdE_EEST_SX_SY_mSZ_S12_bEUlT_E_NS1_11comp_targetILNS1_3genE10ELNS1_11target_archE1200ELNS1_3gpuE4ELNS1_3repE0EEENS1_30default_config_static_selectorELNS0_4arch9wavefront6targetE1EEEvSW_.num_agpr, 0
	.set _ZN7rocprim17ROCPRIM_400000_NS6detail17trampoline_kernelINS0_14default_configENS1_27upper_bound_config_selectorIdlEEZNS1_14transform_implILb0ES3_S5_N6thrust23THRUST_200600_302600_NS6detail15normal_iteratorINS8_7pointerIdNS8_11hip_rocprim5par_tENS8_11use_defaultESE_EEEENSA_INSB_IlSD_SE_SE_EEEEZNS1_13binary_searchIS3_S5_PdSG_SI_NS1_21upper_bound_search_opENS9_16wrapped_functionINS8_6system6detail7generic6detail18binary_search_lessEbEEEE10hipError_tPvRmT1_T2_T3_mmT4_T5_P12ihipStream_tbEUlRKdE_EEST_SX_SY_mSZ_S12_bEUlT_E_NS1_11comp_targetILNS1_3genE10ELNS1_11target_archE1200ELNS1_3gpuE4ELNS1_3repE0EEENS1_30default_config_static_selectorELNS0_4arch9wavefront6targetE1EEEvSW_.numbered_sgpr, 0
	.set _ZN7rocprim17ROCPRIM_400000_NS6detail17trampoline_kernelINS0_14default_configENS1_27upper_bound_config_selectorIdlEEZNS1_14transform_implILb0ES3_S5_N6thrust23THRUST_200600_302600_NS6detail15normal_iteratorINS8_7pointerIdNS8_11hip_rocprim5par_tENS8_11use_defaultESE_EEEENSA_INSB_IlSD_SE_SE_EEEEZNS1_13binary_searchIS3_S5_PdSG_SI_NS1_21upper_bound_search_opENS9_16wrapped_functionINS8_6system6detail7generic6detail18binary_search_lessEbEEEE10hipError_tPvRmT1_T2_T3_mmT4_T5_P12ihipStream_tbEUlRKdE_EEST_SX_SY_mSZ_S12_bEUlT_E_NS1_11comp_targetILNS1_3genE10ELNS1_11target_archE1200ELNS1_3gpuE4ELNS1_3repE0EEENS1_30default_config_static_selectorELNS0_4arch9wavefront6targetE1EEEvSW_.num_named_barrier, 0
	.set _ZN7rocprim17ROCPRIM_400000_NS6detail17trampoline_kernelINS0_14default_configENS1_27upper_bound_config_selectorIdlEEZNS1_14transform_implILb0ES3_S5_N6thrust23THRUST_200600_302600_NS6detail15normal_iteratorINS8_7pointerIdNS8_11hip_rocprim5par_tENS8_11use_defaultESE_EEEENSA_INSB_IlSD_SE_SE_EEEEZNS1_13binary_searchIS3_S5_PdSG_SI_NS1_21upper_bound_search_opENS9_16wrapped_functionINS8_6system6detail7generic6detail18binary_search_lessEbEEEE10hipError_tPvRmT1_T2_T3_mmT4_T5_P12ihipStream_tbEUlRKdE_EEST_SX_SY_mSZ_S12_bEUlT_E_NS1_11comp_targetILNS1_3genE10ELNS1_11target_archE1200ELNS1_3gpuE4ELNS1_3repE0EEENS1_30default_config_static_selectorELNS0_4arch9wavefront6targetE1EEEvSW_.private_seg_size, 0
	.set _ZN7rocprim17ROCPRIM_400000_NS6detail17trampoline_kernelINS0_14default_configENS1_27upper_bound_config_selectorIdlEEZNS1_14transform_implILb0ES3_S5_N6thrust23THRUST_200600_302600_NS6detail15normal_iteratorINS8_7pointerIdNS8_11hip_rocprim5par_tENS8_11use_defaultESE_EEEENSA_INSB_IlSD_SE_SE_EEEEZNS1_13binary_searchIS3_S5_PdSG_SI_NS1_21upper_bound_search_opENS9_16wrapped_functionINS8_6system6detail7generic6detail18binary_search_lessEbEEEE10hipError_tPvRmT1_T2_T3_mmT4_T5_P12ihipStream_tbEUlRKdE_EEST_SX_SY_mSZ_S12_bEUlT_E_NS1_11comp_targetILNS1_3genE10ELNS1_11target_archE1200ELNS1_3gpuE4ELNS1_3repE0EEENS1_30default_config_static_selectorELNS0_4arch9wavefront6targetE1EEEvSW_.uses_vcc, 0
	.set _ZN7rocprim17ROCPRIM_400000_NS6detail17trampoline_kernelINS0_14default_configENS1_27upper_bound_config_selectorIdlEEZNS1_14transform_implILb0ES3_S5_N6thrust23THRUST_200600_302600_NS6detail15normal_iteratorINS8_7pointerIdNS8_11hip_rocprim5par_tENS8_11use_defaultESE_EEEENSA_INSB_IlSD_SE_SE_EEEEZNS1_13binary_searchIS3_S5_PdSG_SI_NS1_21upper_bound_search_opENS9_16wrapped_functionINS8_6system6detail7generic6detail18binary_search_lessEbEEEE10hipError_tPvRmT1_T2_T3_mmT4_T5_P12ihipStream_tbEUlRKdE_EEST_SX_SY_mSZ_S12_bEUlT_E_NS1_11comp_targetILNS1_3genE10ELNS1_11target_archE1200ELNS1_3gpuE4ELNS1_3repE0EEENS1_30default_config_static_selectorELNS0_4arch9wavefront6targetE1EEEvSW_.uses_flat_scratch, 0
	.set _ZN7rocprim17ROCPRIM_400000_NS6detail17trampoline_kernelINS0_14default_configENS1_27upper_bound_config_selectorIdlEEZNS1_14transform_implILb0ES3_S5_N6thrust23THRUST_200600_302600_NS6detail15normal_iteratorINS8_7pointerIdNS8_11hip_rocprim5par_tENS8_11use_defaultESE_EEEENSA_INSB_IlSD_SE_SE_EEEEZNS1_13binary_searchIS3_S5_PdSG_SI_NS1_21upper_bound_search_opENS9_16wrapped_functionINS8_6system6detail7generic6detail18binary_search_lessEbEEEE10hipError_tPvRmT1_T2_T3_mmT4_T5_P12ihipStream_tbEUlRKdE_EEST_SX_SY_mSZ_S12_bEUlT_E_NS1_11comp_targetILNS1_3genE10ELNS1_11target_archE1200ELNS1_3gpuE4ELNS1_3repE0EEENS1_30default_config_static_selectorELNS0_4arch9wavefront6targetE1EEEvSW_.has_dyn_sized_stack, 0
	.set _ZN7rocprim17ROCPRIM_400000_NS6detail17trampoline_kernelINS0_14default_configENS1_27upper_bound_config_selectorIdlEEZNS1_14transform_implILb0ES3_S5_N6thrust23THRUST_200600_302600_NS6detail15normal_iteratorINS8_7pointerIdNS8_11hip_rocprim5par_tENS8_11use_defaultESE_EEEENSA_INSB_IlSD_SE_SE_EEEEZNS1_13binary_searchIS3_S5_PdSG_SI_NS1_21upper_bound_search_opENS9_16wrapped_functionINS8_6system6detail7generic6detail18binary_search_lessEbEEEE10hipError_tPvRmT1_T2_T3_mmT4_T5_P12ihipStream_tbEUlRKdE_EEST_SX_SY_mSZ_S12_bEUlT_E_NS1_11comp_targetILNS1_3genE10ELNS1_11target_archE1200ELNS1_3gpuE4ELNS1_3repE0EEENS1_30default_config_static_selectorELNS0_4arch9wavefront6targetE1EEEvSW_.has_recursion, 0
	.set _ZN7rocprim17ROCPRIM_400000_NS6detail17trampoline_kernelINS0_14default_configENS1_27upper_bound_config_selectorIdlEEZNS1_14transform_implILb0ES3_S5_N6thrust23THRUST_200600_302600_NS6detail15normal_iteratorINS8_7pointerIdNS8_11hip_rocprim5par_tENS8_11use_defaultESE_EEEENSA_INSB_IlSD_SE_SE_EEEEZNS1_13binary_searchIS3_S5_PdSG_SI_NS1_21upper_bound_search_opENS9_16wrapped_functionINS8_6system6detail7generic6detail18binary_search_lessEbEEEE10hipError_tPvRmT1_T2_T3_mmT4_T5_P12ihipStream_tbEUlRKdE_EEST_SX_SY_mSZ_S12_bEUlT_E_NS1_11comp_targetILNS1_3genE10ELNS1_11target_archE1200ELNS1_3gpuE4ELNS1_3repE0EEENS1_30default_config_static_selectorELNS0_4arch9wavefront6targetE1EEEvSW_.has_indirect_call, 0
	.section	.AMDGPU.csdata,"",@progbits
; Kernel info:
; codeLenInByte = 0
; TotalNumSgprs: 4
; NumVgprs: 0
; ScratchSize: 0
; MemoryBound: 0
; FloatMode: 240
; IeeeMode: 1
; LDSByteSize: 0 bytes/workgroup (compile time only)
; SGPRBlocks: 0
; VGPRBlocks: 0
; NumSGPRsForWavesPerEU: 4
; NumVGPRsForWavesPerEU: 1
; Occupancy: 10
; WaveLimiterHint : 0
; COMPUTE_PGM_RSRC2:SCRATCH_EN: 0
; COMPUTE_PGM_RSRC2:USER_SGPR: 6
; COMPUTE_PGM_RSRC2:TRAP_HANDLER: 0
; COMPUTE_PGM_RSRC2:TGID_X_EN: 1
; COMPUTE_PGM_RSRC2:TGID_Y_EN: 0
; COMPUTE_PGM_RSRC2:TGID_Z_EN: 0
; COMPUTE_PGM_RSRC2:TIDIG_COMP_CNT: 0
	.section	.text._ZN7rocprim17ROCPRIM_400000_NS6detail17trampoline_kernelINS0_14default_configENS1_27upper_bound_config_selectorIdlEEZNS1_14transform_implILb0ES3_S5_N6thrust23THRUST_200600_302600_NS6detail15normal_iteratorINS8_7pointerIdNS8_11hip_rocprim5par_tENS8_11use_defaultESE_EEEENSA_INSB_IlSD_SE_SE_EEEEZNS1_13binary_searchIS3_S5_PdSG_SI_NS1_21upper_bound_search_opENS9_16wrapped_functionINS8_6system6detail7generic6detail18binary_search_lessEbEEEE10hipError_tPvRmT1_T2_T3_mmT4_T5_P12ihipStream_tbEUlRKdE_EEST_SX_SY_mSZ_S12_bEUlT_E_NS1_11comp_targetILNS1_3genE9ELNS1_11target_archE1100ELNS1_3gpuE3ELNS1_3repE0EEENS1_30default_config_static_selectorELNS0_4arch9wavefront6targetE1EEEvSW_,"axG",@progbits,_ZN7rocprim17ROCPRIM_400000_NS6detail17trampoline_kernelINS0_14default_configENS1_27upper_bound_config_selectorIdlEEZNS1_14transform_implILb0ES3_S5_N6thrust23THRUST_200600_302600_NS6detail15normal_iteratorINS8_7pointerIdNS8_11hip_rocprim5par_tENS8_11use_defaultESE_EEEENSA_INSB_IlSD_SE_SE_EEEEZNS1_13binary_searchIS3_S5_PdSG_SI_NS1_21upper_bound_search_opENS9_16wrapped_functionINS8_6system6detail7generic6detail18binary_search_lessEbEEEE10hipError_tPvRmT1_T2_T3_mmT4_T5_P12ihipStream_tbEUlRKdE_EEST_SX_SY_mSZ_S12_bEUlT_E_NS1_11comp_targetILNS1_3genE9ELNS1_11target_archE1100ELNS1_3gpuE3ELNS1_3repE0EEENS1_30default_config_static_selectorELNS0_4arch9wavefront6targetE1EEEvSW_,comdat
	.protected	_ZN7rocprim17ROCPRIM_400000_NS6detail17trampoline_kernelINS0_14default_configENS1_27upper_bound_config_selectorIdlEEZNS1_14transform_implILb0ES3_S5_N6thrust23THRUST_200600_302600_NS6detail15normal_iteratorINS8_7pointerIdNS8_11hip_rocprim5par_tENS8_11use_defaultESE_EEEENSA_INSB_IlSD_SE_SE_EEEEZNS1_13binary_searchIS3_S5_PdSG_SI_NS1_21upper_bound_search_opENS9_16wrapped_functionINS8_6system6detail7generic6detail18binary_search_lessEbEEEE10hipError_tPvRmT1_T2_T3_mmT4_T5_P12ihipStream_tbEUlRKdE_EEST_SX_SY_mSZ_S12_bEUlT_E_NS1_11comp_targetILNS1_3genE9ELNS1_11target_archE1100ELNS1_3gpuE3ELNS1_3repE0EEENS1_30default_config_static_selectorELNS0_4arch9wavefront6targetE1EEEvSW_ ; -- Begin function _ZN7rocprim17ROCPRIM_400000_NS6detail17trampoline_kernelINS0_14default_configENS1_27upper_bound_config_selectorIdlEEZNS1_14transform_implILb0ES3_S5_N6thrust23THRUST_200600_302600_NS6detail15normal_iteratorINS8_7pointerIdNS8_11hip_rocprim5par_tENS8_11use_defaultESE_EEEENSA_INSB_IlSD_SE_SE_EEEEZNS1_13binary_searchIS3_S5_PdSG_SI_NS1_21upper_bound_search_opENS9_16wrapped_functionINS8_6system6detail7generic6detail18binary_search_lessEbEEEE10hipError_tPvRmT1_T2_T3_mmT4_T5_P12ihipStream_tbEUlRKdE_EEST_SX_SY_mSZ_S12_bEUlT_E_NS1_11comp_targetILNS1_3genE9ELNS1_11target_archE1100ELNS1_3gpuE3ELNS1_3repE0EEENS1_30default_config_static_selectorELNS0_4arch9wavefront6targetE1EEEvSW_
	.globl	_ZN7rocprim17ROCPRIM_400000_NS6detail17trampoline_kernelINS0_14default_configENS1_27upper_bound_config_selectorIdlEEZNS1_14transform_implILb0ES3_S5_N6thrust23THRUST_200600_302600_NS6detail15normal_iteratorINS8_7pointerIdNS8_11hip_rocprim5par_tENS8_11use_defaultESE_EEEENSA_INSB_IlSD_SE_SE_EEEEZNS1_13binary_searchIS3_S5_PdSG_SI_NS1_21upper_bound_search_opENS9_16wrapped_functionINS8_6system6detail7generic6detail18binary_search_lessEbEEEE10hipError_tPvRmT1_T2_T3_mmT4_T5_P12ihipStream_tbEUlRKdE_EEST_SX_SY_mSZ_S12_bEUlT_E_NS1_11comp_targetILNS1_3genE9ELNS1_11target_archE1100ELNS1_3gpuE3ELNS1_3repE0EEENS1_30default_config_static_selectorELNS0_4arch9wavefront6targetE1EEEvSW_
	.p2align	8
	.type	_ZN7rocprim17ROCPRIM_400000_NS6detail17trampoline_kernelINS0_14default_configENS1_27upper_bound_config_selectorIdlEEZNS1_14transform_implILb0ES3_S5_N6thrust23THRUST_200600_302600_NS6detail15normal_iteratorINS8_7pointerIdNS8_11hip_rocprim5par_tENS8_11use_defaultESE_EEEENSA_INSB_IlSD_SE_SE_EEEEZNS1_13binary_searchIS3_S5_PdSG_SI_NS1_21upper_bound_search_opENS9_16wrapped_functionINS8_6system6detail7generic6detail18binary_search_lessEbEEEE10hipError_tPvRmT1_T2_T3_mmT4_T5_P12ihipStream_tbEUlRKdE_EEST_SX_SY_mSZ_S12_bEUlT_E_NS1_11comp_targetILNS1_3genE9ELNS1_11target_archE1100ELNS1_3gpuE3ELNS1_3repE0EEENS1_30default_config_static_selectorELNS0_4arch9wavefront6targetE1EEEvSW_,@function
_ZN7rocprim17ROCPRIM_400000_NS6detail17trampoline_kernelINS0_14default_configENS1_27upper_bound_config_selectorIdlEEZNS1_14transform_implILb0ES3_S5_N6thrust23THRUST_200600_302600_NS6detail15normal_iteratorINS8_7pointerIdNS8_11hip_rocprim5par_tENS8_11use_defaultESE_EEEENSA_INSB_IlSD_SE_SE_EEEEZNS1_13binary_searchIS3_S5_PdSG_SI_NS1_21upper_bound_search_opENS9_16wrapped_functionINS8_6system6detail7generic6detail18binary_search_lessEbEEEE10hipError_tPvRmT1_T2_T3_mmT4_T5_P12ihipStream_tbEUlRKdE_EEST_SX_SY_mSZ_S12_bEUlT_E_NS1_11comp_targetILNS1_3genE9ELNS1_11target_archE1100ELNS1_3gpuE3ELNS1_3repE0EEENS1_30default_config_static_selectorELNS0_4arch9wavefront6targetE1EEEvSW_: ; @_ZN7rocprim17ROCPRIM_400000_NS6detail17trampoline_kernelINS0_14default_configENS1_27upper_bound_config_selectorIdlEEZNS1_14transform_implILb0ES3_S5_N6thrust23THRUST_200600_302600_NS6detail15normal_iteratorINS8_7pointerIdNS8_11hip_rocprim5par_tENS8_11use_defaultESE_EEEENSA_INSB_IlSD_SE_SE_EEEEZNS1_13binary_searchIS3_S5_PdSG_SI_NS1_21upper_bound_search_opENS9_16wrapped_functionINS8_6system6detail7generic6detail18binary_search_lessEbEEEE10hipError_tPvRmT1_T2_T3_mmT4_T5_P12ihipStream_tbEUlRKdE_EEST_SX_SY_mSZ_S12_bEUlT_E_NS1_11comp_targetILNS1_3genE9ELNS1_11target_archE1100ELNS1_3gpuE3ELNS1_3repE0EEENS1_30default_config_static_selectorELNS0_4arch9wavefront6targetE1EEEvSW_
; %bb.0:
	.section	.rodata,"a",@progbits
	.p2align	6, 0x0
	.amdhsa_kernel _ZN7rocprim17ROCPRIM_400000_NS6detail17trampoline_kernelINS0_14default_configENS1_27upper_bound_config_selectorIdlEEZNS1_14transform_implILb0ES3_S5_N6thrust23THRUST_200600_302600_NS6detail15normal_iteratorINS8_7pointerIdNS8_11hip_rocprim5par_tENS8_11use_defaultESE_EEEENSA_INSB_IlSD_SE_SE_EEEEZNS1_13binary_searchIS3_S5_PdSG_SI_NS1_21upper_bound_search_opENS9_16wrapped_functionINS8_6system6detail7generic6detail18binary_search_lessEbEEEE10hipError_tPvRmT1_T2_T3_mmT4_T5_P12ihipStream_tbEUlRKdE_EEST_SX_SY_mSZ_S12_bEUlT_E_NS1_11comp_targetILNS1_3genE9ELNS1_11target_archE1100ELNS1_3gpuE3ELNS1_3repE0EEENS1_30default_config_static_selectorELNS0_4arch9wavefront6targetE1EEEvSW_
		.amdhsa_group_segment_fixed_size 0
		.amdhsa_private_segment_fixed_size 0
		.amdhsa_kernarg_size 56
		.amdhsa_user_sgpr_count 6
		.amdhsa_user_sgpr_private_segment_buffer 1
		.amdhsa_user_sgpr_dispatch_ptr 0
		.amdhsa_user_sgpr_queue_ptr 0
		.amdhsa_user_sgpr_kernarg_segment_ptr 1
		.amdhsa_user_sgpr_dispatch_id 0
		.amdhsa_user_sgpr_flat_scratch_init 0
		.amdhsa_user_sgpr_private_segment_size 0
		.amdhsa_uses_dynamic_stack 0
		.amdhsa_system_sgpr_private_segment_wavefront_offset 0
		.amdhsa_system_sgpr_workgroup_id_x 1
		.amdhsa_system_sgpr_workgroup_id_y 0
		.amdhsa_system_sgpr_workgroup_id_z 0
		.amdhsa_system_sgpr_workgroup_info 0
		.amdhsa_system_vgpr_workitem_id 0
		.amdhsa_next_free_vgpr 1
		.amdhsa_next_free_sgpr 0
		.amdhsa_reserve_vcc 0
		.amdhsa_reserve_flat_scratch 0
		.amdhsa_float_round_mode_32 0
		.amdhsa_float_round_mode_16_64 0
		.amdhsa_float_denorm_mode_32 3
		.amdhsa_float_denorm_mode_16_64 3
		.amdhsa_dx10_clamp 1
		.amdhsa_ieee_mode 1
		.amdhsa_fp16_overflow 0
		.amdhsa_exception_fp_ieee_invalid_op 0
		.amdhsa_exception_fp_denorm_src 0
		.amdhsa_exception_fp_ieee_div_zero 0
		.amdhsa_exception_fp_ieee_overflow 0
		.amdhsa_exception_fp_ieee_underflow 0
		.amdhsa_exception_fp_ieee_inexact 0
		.amdhsa_exception_int_div_zero 0
	.end_amdhsa_kernel
	.section	.text._ZN7rocprim17ROCPRIM_400000_NS6detail17trampoline_kernelINS0_14default_configENS1_27upper_bound_config_selectorIdlEEZNS1_14transform_implILb0ES3_S5_N6thrust23THRUST_200600_302600_NS6detail15normal_iteratorINS8_7pointerIdNS8_11hip_rocprim5par_tENS8_11use_defaultESE_EEEENSA_INSB_IlSD_SE_SE_EEEEZNS1_13binary_searchIS3_S5_PdSG_SI_NS1_21upper_bound_search_opENS9_16wrapped_functionINS8_6system6detail7generic6detail18binary_search_lessEbEEEE10hipError_tPvRmT1_T2_T3_mmT4_T5_P12ihipStream_tbEUlRKdE_EEST_SX_SY_mSZ_S12_bEUlT_E_NS1_11comp_targetILNS1_3genE9ELNS1_11target_archE1100ELNS1_3gpuE3ELNS1_3repE0EEENS1_30default_config_static_selectorELNS0_4arch9wavefront6targetE1EEEvSW_,"axG",@progbits,_ZN7rocprim17ROCPRIM_400000_NS6detail17trampoline_kernelINS0_14default_configENS1_27upper_bound_config_selectorIdlEEZNS1_14transform_implILb0ES3_S5_N6thrust23THRUST_200600_302600_NS6detail15normal_iteratorINS8_7pointerIdNS8_11hip_rocprim5par_tENS8_11use_defaultESE_EEEENSA_INSB_IlSD_SE_SE_EEEEZNS1_13binary_searchIS3_S5_PdSG_SI_NS1_21upper_bound_search_opENS9_16wrapped_functionINS8_6system6detail7generic6detail18binary_search_lessEbEEEE10hipError_tPvRmT1_T2_T3_mmT4_T5_P12ihipStream_tbEUlRKdE_EEST_SX_SY_mSZ_S12_bEUlT_E_NS1_11comp_targetILNS1_3genE9ELNS1_11target_archE1100ELNS1_3gpuE3ELNS1_3repE0EEENS1_30default_config_static_selectorELNS0_4arch9wavefront6targetE1EEEvSW_,comdat
.Lfunc_end169:
	.size	_ZN7rocprim17ROCPRIM_400000_NS6detail17trampoline_kernelINS0_14default_configENS1_27upper_bound_config_selectorIdlEEZNS1_14transform_implILb0ES3_S5_N6thrust23THRUST_200600_302600_NS6detail15normal_iteratorINS8_7pointerIdNS8_11hip_rocprim5par_tENS8_11use_defaultESE_EEEENSA_INSB_IlSD_SE_SE_EEEEZNS1_13binary_searchIS3_S5_PdSG_SI_NS1_21upper_bound_search_opENS9_16wrapped_functionINS8_6system6detail7generic6detail18binary_search_lessEbEEEE10hipError_tPvRmT1_T2_T3_mmT4_T5_P12ihipStream_tbEUlRKdE_EEST_SX_SY_mSZ_S12_bEUlT_E_NS1_11comp_targetILNS1_3genE9ELNS1_11target_archE1100ELNS1_3gpuE3ELNS1_3repE0EEENS1_30default_config_static_selectorELNS0_4arch9wavefront6targetE1EEEvSW_, .Lfunc_end169-_ZN7rocprim17ROCPRIM_400000_NS6detail17trampoline_kernelINS0_14default_configENS1_27upper_bound_config_selectorIdlEEZNS1_14transform_implILb0ES3_S5_N6thrust23THRUST_200600_302600_NS6detail15normal_iteratorINS8_7pointerIdNS8_11hip_rocprim5par_tENS8_11use_defaultESE_EEEENSA_INSB_IlSD_SE_SE_EEEEZNS1_13binary_searchIS3_S5_PdSG_SI_NS1_21upper_bound_search_opENS9_16wrapped_functionINS8_6system6detail7generic6detail18binary_search_lessEbEEEE10hipError_tPvRmT1_T2_T3_mmT4_T5_P12ihipStream_tbEUlRKdE_EEST_SX_SY_mSZ_S12_bEUlT_E_NS1_11comp_targetILNS1_3genE9ELNS1_11target_archE1100ELNS1_3gpuE3ELNS1_3repE0EEENS1_30default_config_static_selectorELNS0_4arch9wavefront6targetE1EEEvSW_
                                        ; -- End function
	.set _ZN7rocprim17ROCPRIM_400000_NS6detail17trampoline_kernelINS0_14default_configENS1_27upper_bound_config_selectorIdlEEZNS1_14transform_implILb0ES3_S5_N6thrust23THRUST_200600_302600_NS6detail15normal_iteratorINS8_7pointerIdNS8_11hip_rocprim5par_tENS8_11use_defaultESE_EEEENSA_INSB_IlSD_SE_SE_EEEEZNS1_13binary_searchIS3_S5_PdSG_SI_NS1_21upper_bound_search_opENS9_16wrapped_functionINS8_6system6detail7generic6detail18binary_search_lessEbEEEE10hipError_tPvRmT1_T2_T3_mmT4_T5_P12ihipStream_tbEUlRKdE_EEST_SX_SY_mSZ_S12_bEUlT_E_NS1_11comp_targetILNS1_3genE9ELNS1_11target_archE1100ELNS1_3gpuE3ELNS1_3repE0EEENS1_30default_config_static_selectorELNS0_4arch9wavefront6targetE1EEEvSW_.num_vgpr, 0
	.set _ZN7rocprim17ROCPRIM_400000_NS6detail17trampoline_kernelINS0_14default_configENS1_27upper_bound_config_selectorIdlEEZNS1_14transform_implILb0ES3_S5_N6thrust23THRUST_200600_302600_NS6detail15normal_iteratorINS8_7pointerIdNS8_11hip_rocprim5par_tENS8_11use_defaultESE_EEEENSA_INSB_IlSD_SE_SE_EEEEZNS1_13binary_searchIS3_S5_PdSG_SI_NS1_21upper_bound_search_opENS9_16wrapped_functionINS8_6system6detail7generic6detail18binary_search_lessEbEEEE10hipError_tPvRmT1_T2_T3_mmT4_T5_P12ihipStream_tbEUlRKdE_EEST_SX_SY_mSZ_S12_bEUlT_E_NS1_11comp_targetILNS1_3genE9ELNS1_11target_archE1100ELNS1_3gpuE3ELNS1_3repE0EEENS1_30default_config_static_selectorELNS0_4arch9wavefront6targetE1EEEvSW_.num_agpr, 0
	.set _ZN7rocprim17ROCPRIM_400000_NS6detail17trampoline_kernelINS0_14default_configENS1_27upper_bound_config_selectorIdlEEZNS1_14transform_implILb0ES3_S5_N6thrust23THRUST_200600_302600_NS6detail15normal_iteratorINS8_7pointerIdNS8_11hip_rocprim5par_tENS8_11use_defaultESE_EEEENSA_INSB_IlSD_SE_SE_EEEEZNS1_13binary_searchIS3_S5_PdSG_SI_NS1_21upper_bound_search_opENS9_16wrapped_functionINS8_6system6detail7generic6detail18binary_search_lessEbEEEE10hipError_tPvRmT1_T2_T3_mmT4_T5_P12ihipStream_tbEUlRKdE_EEST_SX_SY_mSZ_S12_bEUlT_E_NS1_11comp_targetILNS1_3genE9ELNS1_11target_archE1100ELNS1_3gpuE3ELNS1_3repE0EEENS1_30default_config_static_selectorELNS0_4arch9wavefront6targetE1EEEvSW_.numbered_sgpr, 0
	.set _ZN7rocprim17ROCPRIM_400000_NS6detail17trampoline_kernelINS0_14default_configENS1_27upper_bound_config_selectorIdlEEZNS1_14transform_implILb0ES3_S5_N6thrust23THRUST_200600_302600_NS6detail15normal_iteratorINS8_7pointerIdNS8_11hip_rocprim5par_tENS8_11use_defaultESE_EEEENSA_INSB_IlSD_SE_SE_EEEEZNS1_13binary_searchIS3_S5_PdSG_SI_NS1_21upper_bound_search_opENS9_16wrapped_functionINS8_6system6detail7generic6detail18binary_search_lessEbEEEE10hipError_tPvRmT1_T2_T3_mmT4_T5_P12ihipStream_tbEUlRKdE_EEST_SX_SY_mSZ_S12_bEUlT_E_NS1_11comp_targetILNS1_3genE9ELNS1_11target_archE1100ELNS1_3gpuE3ELNS1_3repE0EEENS1_30default_config_static_selectorELNS0_4arch9wavefront6targetE1EEEvSW_.num_named_barrier, 0
	.set _ZN7rocprim17ROCPRIM_400000_NS6detail17trampoline_kernelINS0_14default_configENS1_27upper_bound_config_selectorIdlEEZNS1_14transform_implILb0ES3_S5_N6thrust23THRUST_200600_302600_NS6detail15normal_iteratorINS8_7pointerIdNS8_11hip_rocprim5par_tENS8_11use_defaultESE_EEEENSA_INSB_IlSD_SE_SE_EEEEZNS1_13binary_searchIS3_S5_PdSG_SI_NS1_21upper_bound_search_opENS9_16wrapped_functionINS8_6system6detail7generic6detail18binary_search_lessEbEEEE10hipError_tPvRmT1_T2_T3_mmT4_T5_P12ihipStream_tbEUlRKdE_EEST_SX_SY_mSZ_S12_bEUlT_E_NS1_11comp_targetILNS1_3genE9ELNS1_11target_archE1100ELNS1_3gpuE3ELNS1_3repE0EEENS1_30default_config_static_selectorELNS0_4arch9wavefront6targetE1EEEvSW_.private_seg_size, 0
	.set _ZN7rocprim17ROCPRIM_400000_NS6detail17trampoline_kernelINS0_14default_configENS1_27upper_bound_config_selectorIdlEEZNS1_14transform_implILb0ES3_S5_N6thrust23THRUST_200600_302600_NS6detail15normal_iteratorINS8_7pointerIdNS8_11hip_rocprim5par_tENS8_11use_defaultESE_EEEENSA_INSB_IlSD_SE_SE_EEEEZNS1_13binary_searchIS3_S5_PdSG_SI_NS1_21upper_bound_search_opENS9_16wrapped_functionINS8_6system6detail7generic6detail18binary_search_lessEbEEEE10hipError_tPvRmT1_T2_T3_mmT4_T5_P12ihipStream_tbEUlRKdE_EEST_SX_SY_mSZ_S12_bEUlT_E_NS1_11comp_targetILNS1_3genE9ELNS1_11target_archE1100ELNS1_3gpuE3ELNS1_3repE0EEENS1_30default_config_static_selectorELNS0_4arch9wavefront6targetE1EEEvSW_.uses_vcc, 0
	.set _ZN7rocprim17ROCPRIM_400000_NS6detail17trampoline_kernelINS0_14default_configENS1_27upper_bound_config_selectorIdlEEZNS1_14transform_implILb0ES3_S5_N6thrust23THRUST_200600_302600_NS6detail15normal_iteratorINS8_7pointerIdNS8_11hip_rocprim5par_tENS8_11use_defaultESE_EEEENSA_INSB_IlSD_SE_SE_EEEEZNS1_13binary_searchIS3_S5_PdSG_SI_NS1_21upper_bound_search_opENS9_16wrapped_functionINS8_6system6detail7generic6detail18binary_search_lessEbEEEE10hipError_tPvRmT1_T2_T3_mmT4_T5_P12ihipStream_tbEUlRKdE_EEST_SX_SY_mSZ_S12_bEUlT_E_NS1_11comp_targetILNS1_3genE9ELNS1_11target_archE1100ELNS1_3gpuE3ELNS1_3repE0EEENS1_30default_config_static_selectorELNS0_4arch9wavefront6targetE1EEEvSW_.uses_flat_scratch, 0
	.set _ZN7rocprim17ROCPRIM_400000_NS6detail17trampoline_kernelINS0_14default_configENS1_27upper_bound_config_selectorIdlEEZNS1_14transform_implILb0ES3_S5_N6thrust23THRUST_200600_302600_NS6detail15normal_iteratorINS8_7pointerIdNS8_11hip_rocprim5par_tENS8_11use_defaultESE_EEEENSA_INSB_IlSD_SE_SE_EEEEZNS1_13binary_searchIS3_S5_PdSG_SI_NS1_21upper_bound_search_opENS9_16wrapped_functionINS8_6system6detail7generic6detail18binary_search_lessEbEEEE10hipError_tPvRmT1_T2_T3_mmT4_T5_P12ihipStream_tbEUlRKdE_EEST_SX_SY_mSZ_S12_bEUlT_E_NS1_11comp_targetILNS1_3genE9ELNS1_11target_archE1100ELNS1_3gpuE3ELNS1_3repE0EEENS1_30default_config_static_selectorELNS0_4arch9wavefront6targetE1EEEvSW_.has_dyn_sized_stack, 0
	.set _ZN7rocprim17ROCPRIM_400000_NS6detail17trampoline_kernelINS0_14default_configENS1_27upper_bound_config_selectorIdlEEZNS1_14transform_implILb0ES3_S5_N6thrust23THRUST_200600_302600_NS6detail15normal_iteratorINS8_7pointerIdNS8_11hip_rocprim5par_tENS8_11use_defaultESE_EEEENSA_INSB_IlSD_SE_SE_EEEEZNS1_13binary_searchIS3_S5_PdSG_SI_NS1_21upper_bound_search_opENS9_16wrapped_functionINS8_6system6detail7generic6detail18binary_search_lessEbEEEE10hipError_tPvRmT1_T2_T3_mmT4_T5_P12ihipStream_tbEUlRKdE_EEST_SX_SY_mSZ_S12_bEUlT_E_NS1_11comp_targetILNS1_3genE9ELNS1_11target_archE1100ELNS1_3gpuE3ELNS1_3repE0EEENS1_30default_config_static_selectorELNS0_4arch9wavefront6targetE1EEEvSW_.has_recursion, 0
	.set _ZN7rocprim17ROCPRIM_400000_NS6detail17trampoline_kernelINS0_14default_configENS1_27upper_bound_config_selectorIdlEEZNS1_14transform_implILb0ES3_S5_N6thrust23THRUST_200600_302600_NS6detail15normal_iteratorINS8_7pointerIdNS8_11hip_rocprim5par_tENS8_11use_defaultESE_EEEENSA_INSB_IlSD_SE_SE_EEEEZNS1_13binary_searchIS3_S5_PdSG_SI_NS1_21upper_bound_search_opENS9_16wrapped_functionINS8_6system6detail7generic6detail18binary_search_lessEbEEEE10hipError_tPvRmT1_T2_T3_mmT4_T5_P12ihipStream_tbEUlRKdE_EEST_SX_SY_mSZ_S12_bEUlT_E_NS1_11comp_targetILNS1_3genE9ELNS1_11target_archE1100ELNS1_3gpuE3ELNS1_3repE0EEENS1_30default_config_static_selectorELNS0_4arch9wavefront6targetE1EEEvSW_.has_indirect_call, 0
	.section	.AMDGPU.csdata,"",@progbits
; Kernel info:
; codeLenInByte = 0
; TotalNumSgprs: 4
; NumVgprs: 0
; ScratchSize: 0
; MemoryBound: 0
; FloatMode: 240
; IeeeMode: 1
; LDSByteSize: 0 bytes/workgroup (compile time only)
; SGPRBlocks: 0
; VGPRBlocks: 0
; NumSGPRsForWavesPerEU: 4
; NumVGPRsForWavesPerEU: 1
; Occupancy: 10
; WaveLimiterHint : 0
; COMPUTE_PGM_RSRC2:SCRATCH_EN: 0
; COMPUTE_PGM_RSRC2:USER_SGPR: 6
; COMPUTE_PGM_RSRC2:TRAP_HANDLER: 0
; COMPUTE_PGM_RSRC2:TGID_X_EN: 1
; COMPUTE_PGM_RSRC2:TGID_Y_EN: 0
; COMPUTE_PGM_RSRC2:TGID_Z_EN: 0
; COMPUTE_PGM_RSRC2:TIDIG_COMP_CNT: 0
	.section	.text._ZN7rocprim17ROCPRIM_400000_NS6detail17trampoline_kernelINS0_14default_configENS1_27upper_bound_config_selectorIdlEEZNS1_14transform_implILb0ES3_S5_N6thrust23THRUST_200600_302600_NS6detail15normal_iteratorINS8_7pointerIdNS8_11hip_rocprim5par_tENS8_11use_defaultESE_EEEENSA_INSB_IlSD_SE_SE_EEEEZNS1_13binary_searchIS3_S5_PdSG_SI_NS1_21upper_bound_search_opENS9_16wrapped_functionINS8_6system6detail7generic6detail18binary_search_lessEbEEEE10hipError_tPvRmT1_T2_T3_mmT4_T5_P12ihipStream_tbEUlRKdE_EEST_SX_SY_mSZ_S12_bEUlT_E_NS1_11comp_targetILNS1_3genE8ELNS1_11target_archE1030ELNS1_3gpuE2ELNS1_3repE0EEENS1_30default_config_static_selectorELNS0_4arch9wavefront6targetE1EEEvSW_,"axG",@progbits,_ZN7rocprim17ROCPRIM_400000_NS6detail17trampoline_kernelINS0_14default_configENS1_27upper_bound_config_selectorIdlEEZNS1_14transform_implILb0ES3_S5_N6thrust23THRUST_200600_302600_NS6detail15normal_iteratorINS8_7pointerIdNS8_11hip_rocprim5par_tENS8_11use_defaultESE_EEEENSA_INSB_IlSD_SE_SE_EEEEZNS1_13binary_searchIS3_S5_PdSG_SI_NS1_21upper_bound_search_opENS9_16wrapped_functionINS8_6system6detail7generic6detail18binary_search_lessEbEEEE10hipError_tPvRmT1_T2_T3_mmT4_T5_P12ihipStream_tbEUlRKdE_EEST_SX_SY_mSZ_S12_bEUlT_E_NS1_11comp_targetILNS1_3genE8ELNS1_11target_archE1030ELNS1_3gpuE2ELNS1_3repE0EEENS1_30default_config_static_selectorELNS0_4arch9wavefront6targetE1EEEvSW_,comdat
	.protected	_ZN7rocprim17ROCPRIM_400000_NS6detail17trampoline_kernelINS0_14default_configENS1_27upper_bound_config_selectorIdlEEZNS1_14transform_implILb0ES3_S5_N6thrust23THRUST_200600_302600_NS6detail15normal_iteratorINS8_7pointerIdNS8_11hip_rocprim5par_tENS8_11use_defaultESE_EEEENSA_INSB_IlSD_SE_SE_EEEEZNS1_13binary_searchIS3_S5_PdSG_SI_NS1_21upper_bound_search_opENS9_16wrapped_functionINS8_6system6detail7generic6detail18binary_search_lessEbEEEE10hipError_tPvRmT1_T2_T3_mmT4_T5_P12ihipStream_tbEUlRKdE_EEST_SX_SY_mSZ_S12_bEUlT_E_NS1_11comp_targetILNS1_3genE8ELNS1_11target_archE1030ELNS1_3gpuE2ELNS1_3repE0EEENS1_30default_config_static_selectorELNS0_4arch9wavefront6targetE1EEEvSW_ ; -- Begin function _ZN7rocprim17ROCPRIM_400000_NS6detail17trampoline_kernelINS0_14default_configENS1_27upper_bound_config_selectorIdlEEZNS1_14transform_implILb0ES3_S5_N6thrust23THRUST_200600_302600_NS6detail15normal_iteratorINS8_7pointerIdNS8_11hip_rocprim5par_tENS8_11use_defaultESE_EEEENSA_INSB_IlSD_SE_SE_EEEEZNS1_13binary_searchIS3_S5_PdSG_SI_NS1_21upper_bound_search_opENS9_16wrapped_functionINS8_6system6detail7generic6detail18binary_search_lessEbEEEE10hipError_tPvRmT1_T2_T3_mmT4_T5_P12ihipStream_tbEUlRKdE_EEST_SX_SY_mSZ_S12_bEUlT_E_NS1_11comp_targetILNS1_3genE8ELNS1_11target_archE1030ELNS1_3gpuE2ELNS1_3repE0EEENS1_30default_config_static_selectorELNS0_4arch9wavefront6targetE1EEEvSW_
	.globl	_ZN7rocprim17ROCPRIM_400000_NS6detail17trampoline_kernelINS0_14default_configENS1_27upper_bound_config_selectorIdlEEZNS1_14transform_implILb0ES3_S5_N6thrust23THRUST_200600_302600_NS6detail15normal_iteratorINS8_7pointerIdNS8_11hip_rocprim5par_tENS8_11use_defaultESE_EEEENSA_INSB_IlSD_SE_SE_EEEEZNS1_13binary_searchIS3_S5_PdSG_SI_NS1_21upper_bound_search_opENS9_16wrapped_functionINS8_6system6detail7generic6detail18binary_search_lessEbEEEE10hipError_tPvRmT1_T2_T3_mmT4_T5_P12ihipStream_tbEUlRKdE_EEST_SX_SY_mSZ_S12_bEUlT_E_NS1_11comp_targetILNS1_3genE8ELNS1_11target_archE1030ELNS1_3gpuE2ELNS1_3repE0EEENS1_30default_config_static_selectorELNS0_4arch9wavefront6targetE1EEEvSW_
	.p2align	8
	.type	_ZN7rocprim17ROCPRIM_400000_NS6detail17trampoline_kernelINS0_14default_configENS1_27upper_bound_config_selectorIdlEEZNS1_14transform_implILb0ES3_S5_N6thrust23THRUST_200600_302600_NS6detail15normal_iteratorINS8_7pointerIdNS8_11hip_rocprim5par_tENS8_11use_defaultESE_EEEENSA_INSB_IlSD_SE_SE_EEEEZNS1_13binary_searchIS3_S5_PdSG_SI_NS1_21upper_bound_search_opENS9_16wrapped_functionINS8_6system6detail7generic6detail18binary_search_lessEbEEEE10hipError_tPvRmT1_T2_T3_mmT4_T5_P12ihipStream_tbEUlRKdE_EEST_SX_SY_mSZ_S12_bEUlT_E_NS1_11comp_targetILNS1_3genE8ELNS1_11target_archE1030ELNS1_3gpuE2ELNS1_3repE0EEENS1_30default_config_static_selectorELNS0_4arch9wavefront6targetE1EEEvSW_,@function
_ZN7rocprim17ROCPRIM_400000_NS6detail17trampoline_kernelINS0_14default_configENS1_27upper_bound_config_selectorIdlEEZNS1_14transform_implILb0ES3_S5_N6thrust23THRUST_200600_302600_NS6detail15normal_iteratorINS8_7pointerIdNS8_11hip_rocprim5par_tENS8_11use_defaultESE_EEEENSA_INSB_IlSD_SE_SE_EEEEZNS1_13binary_searchIS3_S5_PdSG_SI_NS1_21upper_bound_search_opENS9_16wrapped_functionINS8_6system6detail7generic6detail18binary_search_lessEbEEEE10hipError_tPvRmT1_T2_T3_mmT4_T5_P12ihipStream_tbEUlRKdE_EEST_SX_SY_mSZ_S12_bEUlT_E_NS1_11comp_targetILNS1_3genE8ELNS1_11target_archE1030ELNS1_3gpuE2ELNS1_3repE0EEENS1_30default_config_static_selectorELNS0_4arch9wavefront6targetE1EEEvSW_: ; @_ZN7rocprim17ROCPRIM_400000_NS6detail17trampoline_kernelINS0_14default_configENS1_27upper_bound_config_selectorIdlEEZNS1_14transform_implILb0ES3_S5_N6thrust23THRUST_200600_302600_NS6detail15normal_iteratorINS8_7pointerIdNS8_11hip_rocprim5par_tENS8_11use_defaultESE_EEEENSA_INSB_IlSD_SE_SE_EEEEZNS1_13binary_searchIS3_S5_PdSG_SI_NS1_21upper_bound_search_opENS9_16wrapped_functionINS8_6system6detail7generic6detail18binary_search_lessEbEEEE10hipError_tPvRmT1_T2_T3_mmT4_T5_P12ihipStream_tbEUlRKdE_EEST_SX_SY_mSZ_S12_bEUlT_E_NS1_11comp_targetILNS1_3genE8ELNS1_11target_archE1030ELNS1_3gpuE2ELNS1_3repE0EEENS1_30default_config_static_selectorELNS0_4arch9wavefront6targetE1EEEvSW_
; %bb.0:
	.section	.rodata,"a",@progbits
	.p2align	6, 0x0
	.amdhsa_kernel _ZN7rocprim17ROCPRIM_400000_NS6detail17trampoline_kernelINS0_14default_configENS1_27upper_bound_config_selectorIdlEEZNS1_14transform_implILb0ES3_S5_N6thrust23THRUST_200600_302600_NS6detail15normal_iteratorINS8_7pointerIdNS8_11hip_rocprim5par_tENS8_11use_defaultESE_EEEENSA_INSB_IlSD_SE_SE_EEEEZNS1_13binary_searchIS3_S5_PdSG_SI_NS1_21upper_bound_search_opENS9_16wrapped_functionINS8_6system6detail7generic6detail18binary_search_lessEbEEEE10hipError_tPvRmT1_T2_T3_mmT4_T5_P12ihipStream_tbEUlRKdE_EEST_SX_SY_mSZ_S12_bEUlT_E_NS1_11comp_targetILNS1_3genE8ELNS1_11target_archE1030ELNS1_3gpuE2ELNS1_3repE0EEENS1_30default_config_static_selectorELNS0_4arch9wavefront6targetE1EEEvSW_
		.amdhsa_group_segment_fixed_size 0
		.amdhsa_private_segment_fixed_size 0
		.amdhsa_kernarg_size 56
		.amdhsa_user_sgpr_count 6
		.amdhsa_user_sgpr_private_segment_buffer 1
		.amdhsa_user_sgpr_dispatch_ptr 0
		.amdhsa_user_sgpr_queue_ptr 0
		.amdhsa_user_sgpr_kernarg_segment_ptr 1
		.amdhsa_user_sgpr_dispatch_id 0
		.amdhsa_user_sgpr_flat_scratch_init 0
		.amdhsa_user_sgpr_private_segment_size 0
		.amdhsa_uses_dynamic_stack 0
		.amdhsa_system_sgpr_private_segment_wavefront_offset 0
		.amdhsa_system_sgpr_workgroup_id_x 1
		.amdhsa_system_sgpr_workgroup_id_y 0
		.amdhsa_system_sgpr_workgroup_id_z 0
		.amdhsa_system_sgpr_workgroup_info 0
		.amdhsa_system_vgpr_workitem_id 0
		.amdhsa_next_free_vgpr 1
		.amdhsa_next_free_sgpr 0
		.amdhsa_reserve_vcc 0
		.amdhsa_reserve_flat_scratch 0
		.amdhsa_float_round_mode_32 0
		.amdhsa_float_round_mode_16_64 0
		.amdhsa_float_denorm_mode_32 3
		.amdhsa_float_denorm_mode_16_64 3
		.amdhsa_dx10_clamp 1
		.amdhsa_ieee_mode 1
		.amdhsa_fp16_overflow 0
		.amdhsa_exception_fp_ieee_invalid_op 0
		.amdhsa_exception_fp_denorm_src 0
		.amdhsa_exception_fp_ieee_div_zero 0
		.amdhsa_exception_fp_ieee_overflow 0
		.amdhsa_exception_fp_ieee_underflow 0
		.amdhsa_exception_fp_ieee_inexact 0
		.amdhsa_exception_int_div_zero 0
	.end_amdhsa_kernel
	.section	.text._ZN7rocprim17ROCPRIM_400000_NS6detail17trampoline_kernelINS0_14default_configENS1_27upper_bound_config_selectorIdlEEZNS1_14transform_implILb0ES3_S5_N6thrust23THRUST_200600_302600_NS6detail15normal_iteratorINS8_7pointerIdNS8_11hip_rocprim5par_tENS8_11use_defaultESE_EEEENSA_INSB_IlSD_SE_SE_EEEEZNS1_13binary_searchIS3_S5_PdSG_SI_NS1_21upper_bound_search_opENS9_16wrapped_functionINS8_6system6detail7generic6detail18binary_search_lessEbEEEE10hipError_tPvRmT1_T2_T3_mmT4_T5_P12ihipStream_tbEUlRKdE_EEST_SX_SY_mSZ_S12_bEUlT_E_NS1_11comp_targetILNS1_3genE8ELNS1_11target_archE1030ELNS1_3gpuE2ELNS1_3repE0EEENS1_30default_config_static_selectorELNS0_4arch9wavefront6targetE1EEEvSW_,"axG",@progbits,_ZN7rocprim17ROCPRIM_400000_NS6detail17trampoline_kernelINS0_14default_configENS1_27upper_bound_config_selectorIdlEEZNS1_14transform_implILb0ES3_S5_N6thrust23THRUST_200600_302600_NS6detail15normal_iteratorINS8_7pointerIdNS8_11hip_rocprim5par_tENS8_11use_defaultESE_EEEENSA_INSB_IlSD_SE_SE_EEEEZNS1_13binary_searchIS3_S5_PdSG_SI_NS1_21upper_bound_search_opENS9_16wrapped_functionINS8_6system6detail7generic6detail18binary_search_lessEbEEEE10hipError_tPvRmT1_T2_T3_mmT4_T5_P12ihipStream_tbEUlRKdE_EEST_SX_SY_mSZ_S12_bEUlT_E_NS1_11comp_targetILNS1_3genE8ELNS1_11target_archE1030ELNS1_3gpuE2ELNS1_3repE0EEENS1_30default_config_static_selectorELNS0_4arch9wavefront6targetE1EEEvSW_,comdat
.Lfunc_end170:
	.size	_ZN7rocprim17ROCPRIM_400000_NS6detail17trampoline_kernelINS0_14default_configENS1_27upper_bound_config_selectorIdlEEZNS1_14transform_implILb0ES3_S5_N6thrust23THRUST_200600_302600_NS6detail15normal_iteratorINS8_7pointerIdNS8_11hip_rocprim5par_tENS8_11use_defaultESE_EEEENSA_INSB_IlSD_SE_SE_EEEEZNS1_13binary_searchIS3_S5_PdSG_SI_NS1_21upper_bound_search_opENS9_16wrapped_functionINS8_6system6detail7generic6detail18binary_search_lessEbEEEE10hipError_tPvRmT1_T2_T3_mmT4_T5_P12ihipStream_tbEUlRKdE_EEST_SX_SY_mSZ_S12_bEUlT_E_NS1_11comp_targetILNS1_3genE8ELNS1_11target_archE1030ELNS1_3gpuE2ELNS1_3repE0EEENS1_30default_config_static_selectorELNS0_4arch9wavefront6targetE1EEEvSW_, .Lfunc_end170-_ZN7rocprim17ROCPRIM_400000_NS6detail17trampoline_kernelINS0_14default_configENS1_27upper_bound_config_selectorIdlEEZNS1_14transform_implILb0ES3_S5_N6thrust23THRUST_200600_302600_NS6detail15normal_iteratorINS8_7pointerIdNS8_11hip_rocprim5par_tENS8_11use_defaultESE_EEEENSA_INSB_IlSD_SE_SE_EEEEZNS1_13binary_searchIS3_S5_PdSG_SI_NS1_21upper_bound_search_opENS9_16wrapped_functionINS8_6system6detail7generic6detail18binary_search_lessEbEEEE10hipError_tPvRmT1_T2_T3_mmT4_T5_P12ihipStream_tbEUlRKdE_EEST_SX_SY_mSZ_S12_bEUlT_E_NS1_11comp_targetILNS1_3genE8ELNS1_11target_archE1030ELNS1_3gpuE2ELNS1_3repE0EEENS1_30default_config_static_selectorELNS0_4arch9wavefront6targetE1EEEvSW_
                                        ; -- End function
	.set _ZN7rocprim17ROCPRIM_400000_NS6detail17trampoline_kernelINS0_14default_configENS1_27upper_bound_config_selectorIdlEEZNS1_14transform_implILb0ES3_S5_N6thrust23THRUST_200600_302600_NS6detail15normal_iteratorINS8_7pointerIdNS8_11hip_rocprim5par_tENS8_11use_defaultESE_EEEENSA_INSB_IlSD_SE_SE_EEEEZNS1_13binary_searchIS3_S5_PdSG_SI_NS1_21upper_bound_search_opENS9_16wrapped_functionINS8_6system6detail7generic6detail18binary_search_lessEbEEEE10hipError_tPvRmT1_T2_T3_mmT4_T5_P12ihipStream_tbEUlRKdE_EEST_SX_SY_mSZ_S12_bEUlT_E_NS1_11comp_targetILNS1_3genE8ELNS1_11target_archE1030ELNS1_3gpuE2ELNS1_3repE0EEENS1_30default_config_static_selectorELNS0_4arch9wavefront6targetE1EEEvSW_.num_vgpr, 0
	.set _ZN7rocprim17ROCPRIM_400000_NS6detail17trampoline_kernelINS0_14default_configENS1_27upper_bound_config_selectorIdlEEZNS1_14transform_implILb0ES3_S5_N6thrust23THRUST_200600_302600_NS6detail15normal_iteratorINS8_7pointerIdNS8_11hip_rocprim5par_tENS8_11use_defaultESE_EEEENSA_INSB_IlSD_SE_SE_EEEEZNS1_13binary_searchIS3_S5_PdSG_SI_NS1_21upper_bound_search_opENS9_16wrapped_functionINS8_6system6detail7generic6detail18binary_search_lessEbEEEE10hipError_tPvRmT1_T2_T3_mmT4_T5_P12ihipStream_tbEUlRKdE_EEST_SX_SY_mSZ_S12_bEUlT_E_NS1_11comp_targetILNS1_3genE8ELNS1_11target_archE1030ELNS1_3gpuE2ELNS1_3repE0EEENS1_30default_config_static_selectorELNS0_4arch9wavefront6targetE1EEEvSW_.num_agpr, 0
	.set _ZN7rocprim17ROCPRIM_400000_NS6detail17trampoline_kernelINS0_14default_configENS1_27upper_bound_config_selectorIdlEEZNS1_14transform_implILb0ES3_S5_N6thrust23THRUST_200600_302600_NS6detail15normal_iteratorINS8_7pointerIdNS8_11hip_rocprim5par_tENS8_11use_defaultESE_EEEENSA_INSB_IlSD_SE_SE_EEEEZNS1_13binary_searchIS3_S5_PdSG_SI_NS1_21upper_bound_search_opENS9_16wrapped_functionINS8_6system6detail7generic6detail18binary_search_lessEbEEEE10hipError_tPvRmT1_T2_T3_mmT4_T5_P12ihipStream_tbEUlRKdE_EEST_SX_SY_mSZ_S12_bEUlT_E_NS1_11comp_targetILNS1_3genE8ELNS1_11target_archE1030ELNS1_3gpuE2ELNS1_3repE0EEENS1_30default_config_static_selectorELNS0_4arch9wavefront6targetE1EEEvSW_.numbered_sgpr, 0
	.set _ZN7rocprim17ROCPRIM_400000_NS6detail17trampoline_kernelINS0_14default_configENS1_27upper_bound_config_selectorIdlEEZNS1_14transform_implILb0ES3_S5_N6thrust23THRUST_200600_302600_NS6detail15normal_iteratorINS8_7pointerIdNS8_11hip_rocprim5par_tENS8_11use_defaultESE_EEEENSA_INSB_IlSD_SE_SE_EEEEZNS1_13binary_searchIS3_S5_PdSG_SI_NS1_21upper_bound_search_opENS9_16wrapped_functionINS8_6system6detail7generic6detail18binary_search_lessEbEEEE10hipError_tPvRmT1_T2_T3_mmT4_T5_P12ihipStream_tbEUlRKdE_EEST_SX_SY_mSZ_S12_bEUlT_E_NS1_11comp_targetILNS1_3genE8ELNS1_11target_archE1030ELNS1_3gpuE2ELNS1_3repE0EEENS1_30default_config_static_selectorELNS0_4arch9wavefront6targetE1EEEvSW_.num_named_barrier, 0
	.set _ZN7rocprim17ROCPRIM_400000_NS6detail17trampoline_kernelINS0_14default_configENS1_27upper_bound_config_selectorIdlEEZNS1_14transform_implILb0ES3_S5_N6thrust23THRUST_200600_302600_NS6detail15normal_iteratorINS8_7pointerIdNS8_11hip_rocprim5par_tENS8_11use_defaultESE_EEEENSA_INSB_IlSD_SE_SE_EEEEZNS1_13binary_searchIS3_S5_PdSG_SI_NS1_21upper_bound_search_opENS9_16wrapped_functionINS8_6system6detail7generic6detail18binary_search_lessEbEEEE10hipError_tPvRmT1_T2_T3_mmT4_T5_P12ihipStream_tbEUlRKdE_EEST_SX_SY_mSZ_S12_bEUlT_E_NS1_11comp_targetILNS1_3genE8ELNS1_11target_archE1030ELNS1_3gpuE2ELNS1_3repE0EEENS1_30default_config_static_selectorELNS0_4arch9wavefront6targetE1EEEvSW_.private_seg_size, 0
	.set _ZN7rocprim17ROCPRIM_400000_NS6detail17trampoline_kernelINS0_14default_configENS1_27upper_bound_config_selectorIdlEEZNS1_14transform_implILb0ES3_S5_N6thrust23THRUST_200600_302600_NS6detail15normal_iteratorINS8_7pointerIdNS8_11hip_rocprim5par_tENS8_11use_defaultESE_EEEENSA_INSB_IlSD_SE_SE_EEEEZNS1_13binary_searchIS3_S5_PdSG_SI_NS1_21upper_bound_search_opENS9_16wrapped_functionINS8_6system6detail7generic6detail18binary_search_lessEbEEEE10hipError_tPvRmT1_T2_T3_mmT4_T5_P12ihipStream_tbEUlRKdE_EEST_SX_SY_mSZ_S12_bEUlT_E_NS1_11comp_targetILNS1_3genE8ELNS1_11target_archE1030ELNS1_3gpuE2ELNS1_3repE0EEENS1_30default_config_static_selectorELNS0_4arch9wavefront6targetE1EEEvSW_.uses_vcc, 0
	.set _ZN7rocprim17ROCPRIM_400000_NS6detail17trampoline_kernelINS0_14default_configENS1_27upper_bound_config_selectorIdlEEZNS1_14transform_implILb0ES3_S5_N6thrust23THRUST_200600_302600_NS6detail15normal_iteratorINS8_7pointerIdNS8_11hip_rocprim5par_tENS8_11use_defaultESE_EEEENSA_INSB_IlSD_SE_SE_EEEEZNS1_13binary_searchIS3_S5_PdSG_SI_NS1_21upper_bound_search_opENS9_16wrapped_functionINS8_6system6detail7generic6detail18binary_search_lessEbEEEE10hipError_tPvRmT1_T2_T3_mmT4_T5_P12ihipStream_tbEUlRKdE_EEST_SX_SY_mSZ_S12_bEUlT_E_NS1_11comp_targetILNS1_3genE8ELNS1_11target_archE1030ELNS1_3gpuE2ELNS1_3repE0EEENS1_30default_config_static_selectorELNS0_4arch9wavefront6targetE1EEEvSW_.uses_flat_scratch, 0
	.set _ZN7rocprim17ROCPRIM_400000_NS6detail17trampoline_kernelINS0_14default_configENS1_27upper_bound_config_selectorIdlEEZNS1_14transform_implILb0ES3_S5_N6thrust23THRUST_200600_302600_NS6detail15normal_iteratorINS8_7pointerIdNS8_11hip_rocprim5par_tENS8_11use_defaultESE_EEEENSA_INSB_IlSD_SE_SE_EEEEZNS1_13binary_searchIS3_S5_PdSG_SI_NS1_21upper_bound_search_opENS9_16wrapped_functionINS8_6system6detail7generic6detail18binary_search_lessEbEEEE10hipError_tPvRmT1_T2_T3_mmT4_T5_P12ihipStream_tbEUlRKdE_EEST_SX_SY_mSZ_S12_bEUlT_E_NS1_11comp_targetILNS1_3genE8ELNS1_11target_archE1030ELNS1_3gpuE2ELNS1_3repE0EEENS1_30default_config_static_selectorELNS0_4arch9wavefront6targetE1EEEvSW_.has_dyn_sized_stack, 0
	.set _ZN7rocprim17ROCPRIM_400000_NS6detail17trampoline_kernelINS0_14default_configENS1_27upper_bound_config_selectorIdlEEZNS1_14transform_implILb0ES3_S5_N6thrust23THRUST_200600_302600_NS6detail15normal_iteratorINS8_7pointerIdNS8_11hip_rocprim5par_tENS8_11use_defaultESE_EEEENSA_INSB_IlSD_SE_SE_EEEEZNS1_13binary_searchIS3_S5_PdSG_SI_NS1_21upper_bound_search_opENS9_16wrapped_functionINS8_6system6detail7generic6detail18binary_search_lessEbEEEE10hipError_tPvRmT1_T2_T3_mmT4_T5_P12ihipStream_tbEUlRKdE_EEST_SX_SY_mSZ_S12_bEUlT_E_NS1_11comp_targetILNS1_3genE8ELNS1_11target_archE1030ELNS1_3gpuE2ELNS1_3repE0EEENS1_30default_config_static_selectorELNS0_4arch9wavefront6targetE1EEEvSW_.has_recursion, 0
	.set _ZN7rocprim17ROCPRIM_400000_NS6detail17trampoline_kernelINS0_14default_configENS1_27upper_bound_config_selectorIdlEEZNS1_14transform_implILb0ES3_S5_N6thrust23THRUST_200600_302600_NS6detail15normal_iteratorINS8_7pointerIdNS8_11hip_rocprim5par_tENS8_11use_defaultESE_EEEENSA_INSB_IlSD_SE_SE_EEEEZNS1_13binary_searchIS3_S5_PdSG_SI_NS1_21upper_bound_search_opENS9_16wrapped_functionINS8_6system6detail7generic6detail18binary_search_lessEbEEEE10hipError_tPvRmT1_T2_T3_mmT4_T5_P12ihipStream_tbEUlRKdE_EEST_SX_SY_mSZ_S12_bEUlT_E_NS1_11comp_targetILNS1_3genE8ELNS1_11target_archE1030ELNS1_3gpuE2ELNS1_3repE0EEENS1_30default_config_static_selectorELNS0_4arch9wavefront6targetE1EEEvSW_.has_indirect_call, 0
	.section	.AMDGPU.csdata,"",@progbits
; Kernel info:
; codeLenInByte = 0
; TotalNumSgprs: 4
; NumVgprs: 0
; ScratchSize: 0
; MemoryBound: 0
; FloatMode: 240
; IeeeMode: 1
; LDSByteSize: 0 bytes/workgroup (compile time only)
; SGPRBlocks: 0
; VGPRBlocks: 0
; NumSGPRsForWavesPerEU: 4
; NumVGPRsForWavesPerEU: 1
; Occupancy: 10
; WaveLimiterHint : 0
; COMPUTE_PGM_RSRC2:SCRATCH_EN: 0
; COMPUTE_PGM_RSRC2:USER_SGPR: 6
; COMPUTE_PGM_RSRC2:TRAP_HANDLER: 0
; COMPUTE_PGM_RSRC2:TGID_X_EN: 1
; COMPUTE_PGM_RSRC2:TGID_Y_EN: 0
; COMPUTE_PGM_RSRC2:TGID_Z_EN: 0
; COMPUTE_PGM_RSRC2:TIDIG_COMP_CNT: 0
	.section	.text._Z18upper_bound_kernelIfEvmPT_Pl,"axG",@progbits,_Z18upper_bound_kernelIfEvmPT_Pl,comdat
	.protected	_Z18upper_bound_kernelIfEvmPT_Pl ; -- Begin function _Z18upper_bound_kernelIfEvmPT_Pl
	.globl	_Z18upper_bound_kernelIfEvmPT_Pl
	.p2align	8
	.type	_Z18upper_bound_kernelIfEvmPT_Pl,@function
_Z18upper_bound_kernelIfEvmPT_Pl:       ; @_Z18upper_bound_kernelIfEvmPT_Pl
; %bb.0:
	s_load_dwordx4 s[0:3], s[4:5], 0x0
	s_load_dwordx2 s[6:7], s[4:5], 0x10
	s_mov_b64 s[8:9], -1
	s_waitcnt lgkmcnt(0)
	s_lshl_b64 s[0:1], s[0:1], 2
	s_add_u32 s0, s2, s0
	s_addc_u32 s1, s3, s1
	s_sub_u32 s0, s0, s2
	s_subb_u32 s1, s1, s3
	s_ashr_i64 s[4:5], s[0:1], 2
	v_cmp_lt_i64_e64 s[0:1], s[4:5], 1
	s_and_b64 s[0:1], exec, s[0:1]
	s_mov_b64 vcc, s[0:1]
	s_cbranch_vccz .LBB171_2
; %bb.1:
	v_mov_b32_e32 v0, 0
	v_mov_b32_e32 v1, v0
	global_store_dwordx2 v0, v[0:1], s[6:7]
	s_mov_b64 s[8:9], 0
.LBB171_2:
	s_andn2_b64 vcc, exec, s[8:9]
	s_mov_b64 s[8:9], 0
	s_cbranch_vccnz .LBB171_7
; %bb.3:
	s_mov_b64 s[10:11], s[4:5]
.LBB171_4:                              ; =>This Inner Loop Header: Depth=1
	s_sub_u32 s12, s10, s8
	s_subb_u32 s13, s11, s9
	s_lshr_b64 s[12:13], s[12:13], 1
	s_add_u32 s12, s12, s8
	s_addc_u32 s13, s13, s9
	s_lshl_b64 s[14:15], s[12:13], 2
	s_add_u32 s14, s2, s14
	s_addc_u32 s15, s3, s15
	s_load_dword s14, s[14:15], 0x0
	s_add_u32 s16, s12, 1
	s_addc_u32 s17, s13, 0
	s_waitcnt lgkmcnt(0)
	v_cmp_gt_f32_e64 s[14:15], s14, 0
	s_and_b64 s[14:15], s[14:15], exec
	s_cselect_b32 s10, s12, s10
	s_cselect_b32 s11, s13, s11
	v_mov_b32_e32 v0, s10
	s_cselect_b32 s9, s9, s17
	s_cselect_b32 s8, s8, s16
	v_mov_b32_e32 v1, s11
	v_cmp_lt_i64_e32 vcc, s[8:9], v[0:1]
	s_cbranch_vccnz .LBB171_4
; %bb.5:
	s_lshl_b64 s[8:9], s[8:9], 2
	s_add_u32 s8, s2, s8
	s_addc_u32 s9, s3, s9
	s_sub_u32 s8, s8, s2
	s_subb_u32 s9, s9, s3
	s_ashr_i64 s[8:9], s[8:9], 2
	v_mov_b32_e32 v0, s8
	v_mov_b32_e32 v2, 0
	;; [unrolled: 1-line block ×3, first 2 shown]
	s_mov_b64 s[8:9], 0
	s_mov_b64 s[10:11], s[4:5]
	global_store_dwordx2 v2, v[0:1], s[6:7]
.LBB171_6:                              ; =>This Inner Loop Header: Depth=1
	s_sub_u32 s12, s10, s8
	s_subb_u32 s13, s11, s9
	s_lshr_b64 s[12:13], s[12:13], 1
	s_add_u32 s12, s12, s8
	s_addc_u32 s13, s13, s9
	s_lshl_b64 s[14:15], s[12:13], 2
	s_add_u32 s14, s2, s14
	s_addc_u32 s15, s3, s15
	s_load_dword s14, s[14:15], 0x0
	s_add_u32 s16, s12, 1
	s_addc_u32 s17, s13, 0
	s_waitcnt lgkmcnt(0)
	v_cmp_gt_f32_e64 s[14:15], s14, 1.0
	s_and_b64 s[14:15], s[14:15], exec
	s_cselect_b32 s10, s12, s10
	s_cselect_b32 s11, s13, s11
	v_mov_b32_e32 v0, s10
	s_cselect_b32 s9, s9, s17
	s_cselect_b32 s8, s8, s16
	v_mov_b32_e32 v1, s11
	v_cmp_ge_i64_e32 vcc, s[8:9], v[0:1]
	s_cbranch_vccz .LBB171_6
.LBB171_7:
	s_lshl_b64 s[8:9], s[8:9], 2
	s_add_u32 s8, s2, s8
	s_addc_u32 s9, s3, s9
	s_sub_u32 s8, s8, s2
	s_subb_u32 s9, s9, s3
	s_ashr_i64 s[8:9], s[8:9], 2
	v_mov_b32_e32 v1, s8
	v_mov_b32_e32 v0, 0
	;; [unrolled: 1-line block ×3, first 2 shown]
	s_mov_b64 s[8:9], -1
	s_mov_b64 vcc, s[0:1]
	global_store_dwordx2 v0, v[1:2], s[6:7] offset:8
	s_cbranch_vccz .LBB171_9
; %bb.8:
	v_mov_b32_e32 v1, v0
	global_store_dwordx2 v0, v[0:1], s[6:7] offset:16
	s_mov_b64 s[8:9], 0
.LBB171_9:
	s_andn2_b64 vcc, exec, s[8:9]
	s_mov_b64 s[8:9], 0
	s_cbranch_vccnz .LBB171_14
; %bb.10:
	s_mov_b64 s[10:11], s[4:5]
.LBB171_11:                             ; =>This Inner Loop Header: Depth=1
	s_sub_u32 s12, s10, s8
	s_subb_u32 s13, s11, s9
	s_lshr_b64 s[12:13], s[12:13], 1
	s_add_u32 s12, s12, s8
	s_addc_u32 s13, s13, s9
	s_lshl_b64 s[14:15], s[12:13], 2
	s_add_u32 s14, s2, s14
	s_addc_u32 s15, s3, s15
	s_load_dword s14, s[14:15], 0x0
	s_add_u32 s16, s12, 1
	s_addc_u32 s17, s13, 0
	s_waitcnt lgkmcnt(0)
	v_cmp_gt_f32_e64 s[14:15], s14, 2.0
	s_and_b64 s[14:15], s[14:15], exec
	s_cselect_b32 s10, s12, s10
	s_cselect_b32 s11, s13, s11
	v_mov_b32_e32 v0, s10
	s_cselect_b32 s9, s9, s17
	s_cselect_b32 s8, s8, s16
	v_mov_b32_e32 v1, s11
	v_cmp_lt_i64_e32 vcc, s[8:9], v[0:1]
	s_cbranch_vccnz .LBB171_11
; %bb.12:
	s_lshl_b64 s[8:9], s[8:9], 2
	s_add_u32 s8, s2, s8
	s_addc_u32 s9, s3, s9
	s_sub_u32 s8, s8, s2
	s_subb_u32 s9, s9, s3
	s_ashr_i64 s[8:9], s[8:9], 2
	v_mov_b32_e32 v0, s8
	v_mov_b32_e32 v2, 0
	;; [unrolled: 1-line block ×3, first 2 shown]
	global_store_dwordx2 v2, v[0:1], s[6:7] offset:16
	s_mov_b64 s[8:9], 0
	v_mov_b32_e32 v0, 0x40400000
	s_mov_b64 s[10:11], s[4:5]
.LBB171_13:                             ; =>This Inner Loop Header: Depth=1
	s_sub_u32 s12, s10, s8
	s_subb_u32 s13, s11, s9
	s_lshr_b64 s[12:13], s[12:13], 1
	s_add_u32 s12, s12, s8
	s_addc_u32 s13, s13, s9
	s_lshl_b64 s[14:15], s[12:13], 2
	s_add_u32 s14, s2, s14
	s_addc_u32 s15, s3, s15
	s_load_dword s14, s[14:15], 0x0
	s_add_u32 s16, s12, 1
	s_addc_u32 s17, s13, 0
	s_waitcnt lgkmcnt(0)
	v_cmp_gt_f32_e32 vcc, s14, v0
	s_and_b64 s[14:15], vcc, exec
	s_cselect_b32 s10, s12, s10
	s_cselect_b32 s11, s13, s11
	v_mov_b32_e32 v1, s10
	s_cselect_b32 s9, s9, s17
	s_cselect_b32 s8, s8, s16
	v_mov_b32_e32 v2, s11
	v_cmp_ge_i64_e32 vcc, s[8:9], v[1:2]
	s_cbranch_vccz .LBB171_13
.LBB171_14:
	s_lshl_b64 s[8:9], s[8:9], 2
	s_add_u32 s8, s2, s8
	s_addc_u32 s9, s3, s9
	s_sub_u32 s8, s8, s2
	s_subb_u32 s9, s9, s3
	s_ashr_i64 s[8:9], s[8:9], 2
	v_mov_b32_e32 v1, s8
	v_mov_b32_e32 v0, 0
	v_mov_b32_e32 v2, s9
	s_mov_b64 s[8:9], -1
	s_mov_b64 vcc, s[0:1]
	global_store_dwordx2 v0, v[1:2], s[6:7] offset:24
	s_cbranch_vccz .LBB171_16
; %bb.15:
	v_mov_b32_e32 v1, v0
	global_store_dwordx2 v0, v[0:1], s[6:7] offset:32
	s_mov_b64 s[8:9], 0
.LBB171_16:
	s_andn2_b64 vcc, exec, s[8:9]
	s_mov_b64 s[8:9], 0
	s_cbranch_vccnz .LBB171_21
; %bb.17:
	s_mov_b64 s[10:11], s[4:5]
.LBB171_18:                             ; =>This Inner Loop Header: Depth=1
	s_sub_u32 s12, s10, s8
	s_subb_u32 s13, s11, s9
	s_lshr_b64 s[12:13], s[12:13], 1
	s_add_u32 s12, s12, s8
	s_addc_u32 s13, s13, s9
	s_lshl_b64 s[14:15], s[12:13], 2
	s_add_u32 s14, s2, s14
	s_addc_u32 s15, s3, s15
	s_load_dword s14, s[14:15], 0x0
	s_add_u32 s16, s12, 1
	s_addc_u32 s17, s13, 0
	s_waitcnt lgkmcnt(0)
	v_cmp_gt_f32_e64 s[14:15], s14, 4.0
	s_and_b64 s[14:15], s[14:15], exec
	s_cselect_b32 s10, s12, s10
	s_cselect_b32 s11, s13, s11
	v_mov_b32_e32 v0, s10
	s_cselect_b32 s9, s9, s17
	s_cselect_b32 s8, s8, s16
	v_mov_b32_e32 v1, s11
	v_cmp_lt_i64_e32 vcc, s[8:9], v[0:1]
	s_cbranch_vccnz .LBB171_18
; %bb.19:
	s_lshl_b64 s[8:9], s[8:9], 2
	s_add_u32 s8, s2, s8
	s_addc_u32 s9, s3, s9
	s_sub_u32 s8, s8, s2
	s_subb_u32 s9, s9, s3
	s_ashr_i64 s[8:9], s[8:9], 2
	v_mov_b32_e32 v0, s8
	v_mov_b32_e32 v2, 0
	;; [unrolled: 1-line block ×3, first 2 shown]
	global_store_dwordx2 v2, v[0:1], s[6:7] offset:32
	s_mov_b64 s[8:9], 0
	v_mov_b32_e32 v0, 0x40a00000
	s_mov_b64 s[10:11], s[4:5]
.LBB171_20:                             ; =>This Inner Loop Header: Depth=1
	s_sub_u32 s12, s10, s8
	s_subb_u32 s13, s11, s9
	s_lshr_b64 s[12:13], s[12:13], 1
	s_add_u32 s12, s12, s8
	s_addc_u32 s13, s13, s9
	s_lshl_b64 s[14:15], s[12:13], 2
	s_add_u32 s14, s2, s14
	s_addc_u32 s15, s3, s15
	s_load_dword s14, s[14:15], 0x0
	s_add_u32 s16, s12, 1
	s_addc_u32 s17, s13, 0
	s_waitcnt lgkmcnt(0)
	v_cmp_gt_f32_e32 vcc, s14, v0
	s_and_b64 s[14:15], vcc, exec
	s_cselect_b32 s10, s12, s10
	s_cselect_b32 s11, s13, s11
	v_mov_b32_e32 v1, s10
	s_cselect_b32 s9, s9, s17
	s_cselect_b32 s8, s8, s16
	v_mov_b32_e32 v2, s11
	v_cmp_ge_i64_e32 vcc, s[8:9], v[1:2]
	s_cbranch_vccz .LBB171_20
.LBB171_21:
	s_lshl_b64 s[8:9], s[8:9], 2
	s_add_u32 s8, s2, s8
	s_addc_u32 s9, s3, s9
	s_sub_u32 s8, s8, s2
	s_subb_u32 s9, s9, s3
	s_ashr_i64 s[8:9], s[8:9], 2
	v_mov_b32_e32 v1, s8
	v_mov_b32_e32 v0, 0
	;; [unrolled: 1-line block ×3, first 2 shown]
	s_mov_b64 s[8:9], -1
	s_mov_b64 vcc, s[0:1]
	global_store_dwordx2 v0, v[1:2], s[6:7] offset:40
	s_cbranch_vccz .LBB171_23
; %bb.22:
	v_mov_b32_e32 v1, v0
	global_store_dwordx2 v0, v[0:1], s[6:7] offset:48
	s_mov_b64 s[8:9], 0
.LBB171_23:
	s_andn2_b64 vcc, exec, s[8:9]
	s_mov_b64 s[8:9], 0
	s_cbranch_vccnz .LBB171_28
; %bb.24:
	v_mov_b32_e32 v0, 0x40c00000
	s_mov_b64 s[10:11], s[4:5]
.LBB171_25:                             ; =>This Inner Loop Header: Depth=1
	s_sub_u32 s12, s10, s8
	s_subb_u32 s13, s11, s9
	s_lshr_b64 s[12:13], s[12:13], 1
	s_add_u32 s12, s12, s8
	s_addc_u32 s13, s13, s9
	s_lshl_b64 s[14:15], s[12:13], 2
	s_add_u32 s14, s2, s14
	s_addc_u32 s15, s3, s15
	s_load_dword s14, s[14:15], 0x0
	s_add_u32 s16, s12, 1
	s_addc_u32 s17, s13, 0
	s_waitcnt lgkmcnt(0)
	v_cmp_gt_f32_e32 vcc, s14, v0
	s_and_b64 s[14:15], vcc, exec
	s_cselect_b32 s10, s12, s10
	s_cselect_b32 s11, s13, s11
	v_mov_b32_e32 v1, s10
	s_cselect_b32 s9, s9, s17
	s_cselect_b32 s8, s8, s16
	v_mov_b32_e32 v2, s11
	v_cmp_lt_i64_e32 vcc, s[8:9], v[1:2]
	s_cbranch_vccnz .LBB171_25
; %bb.26:
	s_lshl_b64 s[8:9], s[8:9], 2
	s_add_u32 s8, s2, s8
	s_addc_u32 s9, s3, s9
	s_sub_u32 s8, s8, s2
	s_subb_u32 s9, s9, s3
	s_ashr_i64 s[8:9], s[8:9], 2
	v_mov_b32_e32 v0, s8
	v_mov_b32_e32 v2, 0
	;; [unrolled: 1-line block ×3, first 2 shown]
	global_store_dwordx2 v2, v[0:1], s[6:7] offset:48
	s_mov_b64 s[8:9], 0
	v_mov_b32_e32 v0, 0x40e00000
	s_mov_b64 s[10:11], s[4:5]
.LBB171_27:                             ; =>This Inner Loop Header: Depth=1
	s_sub_u32 s12, s10, s8
	s_subb_u32 s13, s11, s9
	s_lshr_b64 s[12:13], s[12:13], 1
	s_add_u32 s12, s12, s8
	s_addc_u32 s13, s13, s9
	s_lshl_b64 s[14:15], s[12:13], 2
	s_add_u32 s14, s2, s14
	s_addc_u32 s15, s3, s15
	s_load_dword s14, s[14:15], 0x0
	s_add_u32 s16, s12, 1
	s_addc_u32 s17, s13, 0
	s_waitcnt lgkmcnt(0)
	v_cmp_gt_f32_e32 vcc, s14, v0
	s_and_b64 s[14:15], vcc, exec
	s_cselect_b32 s10, s12, s10
	s_cselect_b32 s11, s13, s11
	v_mov_b32_e32 v1, s10
	s_cselect_b32 s9, s9, s17
	s_cselect_b32 s8, s8, s16
	v_mov_b32_e32 v2, s11
	v_cmp_ge_i64_e32 vcc, s[8:9], v[1:2]
	s_cbranch_vccz .LBB171_27
.LBB171_28:
	s_lshl_b64 s[8:9], s[8:9], 2
	s_add_u32 s8, s2, s8
	s_addc_u32 s9, s3, s9
	s_sub_u32 s8, s8, s2
	s_subb_u32 s9, s9, s3
	s_ashr_i64 s[8:9], s[8:9], 2
	v_mov_b32_e32 v1, s8
	v_mov_b32_e32 v0, 0
	;; [unrolled: 1-line block ×3, first 2 shown]
	s_mov_b64 s[8:9], -1
	s_mov_b64 vcc, s[0:1]
	global_store_dwordx2 v0, v[1:2], s[6:7] offset:56
	s_cbranch_vccz .LBB171_30
; %bb.29:
	v_mov_b32_e32 v1, v0
	global_store_dwordx2 v0, v[0:1], s[6:7] offset:64
	s_mov_b64 s[8:9], 0
.LBB171_30:
	s_andn2_b64 vcc, exec, s[8:9]
	s_mov_b64 s[0:1], 0
	s_cbranch_vccnz .LBB171_35
; %bb.31:
	v_mov_b32_e32 v0, 0x41000000
	s_mov_b64 s[8:9], s[4:5]
.LBB171_32:                             ; =>This Inner Loop Header: Depth=1
	s_sub_u32 s10, s8, s0
	s_subb_u32 s11, s9, s1
	s_lshr_b64 s[10:11], s[10:11], 1
	s_add_u32 s10, s10, s0
	s_addc_u32 s11, s11, s1
	s_lshl_b64 s[12:13], s[10:11], 2
	s_add_u32 s12, s2, s12
	s_addc_u32 s13, s3, s13
	s_load_dword s12, s[12:13], 0x0
	s_add_u32 s14, s10, 1
	s_addc_u32 s15, s11, 0
	s_waitcnt lgkmcnt(0)
	v_cmp_gt_f32_e32 vcc, s12, v0
	s_and_b64 s[12:13], vcc, exec
	s_cselect_b32 s8, s10, s8
	s_cselect_b32 s9, s11, s9
	v_mov_b32_e32 v1, s8
	s_cselect_b32 s1, s1, s15
	s_cselect_b32 s0, s0, s14
	v_mov_b32_e32 v2, s9
	v_cmp_lt_i64_e32 vcc, s[0:1], v[1:2]
	s_cbranch_vccnz .LBB171_32
; %bb.33:
	s_lshl_b64 s[0:1], s[0:1], 2
	s_add_u32 s0, s2, s0
	s_addc_u32 s1, s3, s1
	s_sub_u32 s0, s0, s2
	s_subb_u32 s1, s1, s3
	s_ashr_i64 s[0:1], s[0:1], 2
	v_mov_b32_e32 v0, s0
	v_mov_b32_e32 v2, 0
	;; [unrolled: 1-line block ×3, first 2 shown]
	global_store_dwordx2 v2, v[0:1], s[6:7] offset:64
	s_mov_b64 s[0:1], 0
	v_mov_b32_e32 v0, 0x41100000
.LBB171_34:                             ; =>This Inner Loop Header: Depth=1
	s_sub_u32 s8, s4, s0
	s_subb_u32 s9, s5, s1
	s_lshr_b64 s[8:9], s[8:9], 1
	s_add_u32 s8, s8, s0
	s_addc_u32 s9, s9, s1
	s_lshl_b64 s[10:11], s[8:9], 2
	s_add_u32 s10, s2, s10
	s_addc_u32 s11, s3, s11
	s_load_dword s10, s[10:11], 0x0
	s_add_u32 s12, s8, 1
	s_addc_u32 s13, s9, 0
	s_waitcnt lgkmcnt(0)
	v_cmp_gt_f32_e32 vcc, s10, v0
	s_and_b64 s[10:11], vcc, exec
	s_cselect_b32 s4, s8, s4
	s_cselect_b32 s5, s9, s5
	v_mov_b32_e32 v1, s4
	s_cselect_b32 s1, s1, s13
	s_cselect_b32 s0, s0, s12
	v_mov_b32_e32 v2, s5
	v_cmp_ge_i64_e32 vcc, s[0:1], v[1:2]
	s_cbranch_vccz .LBB171_34
.LBB171_35:
	s_lshl_b64 s[0:1], s[0:1], 2
	s_add_u32 s0, s2, s0
	s_addc_u32 s1, s3, s1
	s_sub_u32 s0, s0, s2
	s_subb_u32 s1, s1, s3
	s_ashr_i64 s[0:1], s[0:1], 2
	v_mov_b32_e32 v0, s0
	v_mov_b32_e32 v2, 0
	v_mov_b32_e32 v1, s1
	global_store_dwordx2 v2, v[0:1], s[6:7] offset:72
	s_endpgm
	.section	.rodata,"a",@progbits
	.p2align	6, 0x0
	.amdhsa_kernel _Z18upper_bound_kernelIfEvmPT_Pl
		.amdhsa_group_segment_fixed_size 0
		.amdhsa_private_segment_fixed_size 0
		.amdhsa_kernarg_size 24
		.amdhsa_user_sgpr_count 6
		.amdhsa_user_sgpr_private_segment_buffer 1
		.amdhsa_user_sgpr_dispatch_ptr 0
		.amdhsa_user_sgpr_queue_ptr 0
		.amdhsa_user_sgpr_kernarg_segment_ptr 1
		.amdhsa_user_sgpr_dispatch_id 0
		.amdhsa_user_sgpr_flat_scratch_init 0
		.amdhsa_user_sgpr_private_segment_size 0
		.amdhsa_uses_dynamic_stack 0
		.amdhsa_system_sgpr_private_segment_wavefront_offset 0
		.amdhsa_system_sgpr_workgroup_id_x 1
		.amdhsa_system_sgpr_workgroup_id_y 0
		.amdhsa_system_sgpr_workgroup_id_z 0
		.amdhsa_system_sgpr_workgroup_info 0
		.amdhsa_system_vgpr_workitem_id 0
		.amdhsa_next_free_vgpr 3
		.amdhsa_next_free_sgpr 18
		.amdhsa_reserve_vcc 1
		.amdhsa_reserve_flat_scratch 0
		.amdhsa_float_round_mode_32 0
		.amdhsa_float_round_mode_16_64 0
		.amdhsa_float_denorm_mode_32 3
		.amdhsa_float_denorm_mode_16_64 3
		.amdhsa_dx10_clamp 1
		.amdhsa_ieee_mode 1
		.amdhsa_fp16_overflow 0
		.amdhsa_exception_fp_ieee_invalid_op 0
		.amdhsa_exception_fp_denorm_src 0
		.amdhsa_exception_fp_ieee_div_zero 0
		.amdhsa_exception_fp_ieee_overflow 0
		.amdhsa_exception_fp_ieee_underflow 0
		.amdhsa_exception_fp_ieee_inexact 0
		.amdhsa_exception_int_div_zero 0
	.end_amdhsa_kernel
	.section	.text._Z18upper_bound_kernelIfEvmPT_Pl,"axG",@progbits,_Z18upper_bound_kernelIfEvmPT_Pl,comdat
.Lfunc_end171:
	.size	_Z18upper_bound_kernelIfEvmPT_Pl, .Lfunc_end171-_Z18upper_bound_kernelIfEvmPT_Pl
                                        ; -- End function
	.set _Z18upper_bound_kernelIfEvmPT_Pl.num_vgpr, 3
	.set _Z18upper_bound_kernelIfEvmPT_Pl.num_agpr, 0
	.set _Z18upper_bound_kernelIfEvmPT_Pl.numbered_sgpr, 18
	.set _Z18upper_bound_kernelIfEvmPT_Pl.num_named_barrier, 0
	.set _Z18upper_bound_kernelIfEvmPT_Pl.private_seg_size, 0
	.set _Z18upper_bound_kernelIfEvmPT_Pl.uses_vcc, 1
	.set _Z18upper_bound_kernelIfEvmPT_Pl.uses_flat_scratch, 0
	.set _Z18upper_bound_kernelIfEvmPT_Pl.has_dyn_sized_stack, 0
	.set _Z18upper_bound_kernelIfEvmPT_Pl.has_recursion, 0
	.set _Z18upper_bound_kernelIfEvmPT_Pl.has_indirect_call, 0
	.section	.AMDGPU.csdata,"",@progbits
; Kernel info:
; codeLenInByte = 1744
; TotalNumSgprs: 22
; NumVgprs: 3
; ScratchSize: 0
; MemoryBound: 0
; FloatMode: 240
; IeeeMode: 1
; LDSByteSize: 0 bytes/workgroup (compile time only)
; SGPRBlocks: 2
; VGPRBlocks: 0
; NumSGPRsForWavesPerEU: 22
; NumVGPRsForWavesPerEU: 3
; Occupancy: 10
; WaveLimiterHint : 0
; COMPUTE_PGM_RSRC2:SCRATCH_EN: 0
; COMPUTE_PGM_RSRC2:USER_SGPR: 6
; COMPUTE_PGM_RSRC2:TRAP_HANDLER: 0
; COMPUTE_PGM_RSRC2:TGID_X_EN: 1
; COMPUTE_PGM_RSRC2:TGID_Y_EN: 0
; COMPUTE_PGM_RSRC2:TGID_Z_EN: 0
; COMPUTE_PGM_RSRC2:TIDIG_COMP_CNT: 0
	.section	.text._ZN7rocprim17ROCPRIM_400000_NS6detail17trampoline_kernelINS0_14default_configENS1_27upper_bound_config_selectorIflEEZNS1_14transform_implILb0ES3_S5_N6thrust23THRUST_200600_302600_NS6detail15normal_iteratorINS8_7pointerIfNS8_11hip_rocprim5par_tENS8_11use_defaultESE_EEEENSA_INSB_IlSD_SE_SE_EEEEZNS1_13binary_searchIS3_S5_PfSG_SI_NS1_21upper_bound_search_opENS9_16wrapped_functionINS8_6system6detail7generic6detail18binary_search_lessEbEEEE10hipError_tPvRmT1_T2_T3_mmT4_T5_P12ihipStream_tbEUlRKfE_EEST_SX_SY_mSZ_S12_bEUlT_E_NS1_11comp_targetILNS1_3genE0ELNS1_11target_archE4294967295ELNS1_3gpuE0ELNS1_3repE0EEENS1_30default_config_static_selectorELNS0_4arch9wavefront6targetE1EEEvSW_,"axG",@progbits,_ZN7rocprim17ROCPRIM_400000_NS6detail17trampoline_kernelINS0_14default_configENS1_27upper_bound_config_selectorIflEEZNS1_14transform_implILb0ES3_S5_N6thrust23THRUST_200600_302600_NS6detail15normal_iteratorINS8_7pointerIfNS8_11hip_rocprim5par_tENS8_11use_defaultESE_EEEENSA_INSB_IlSD_SE_SE_EEEEZNS1_13binary_searchIS3_S5_PfSG_SI_NS1_21upper_bound_search_opENS9_16wrapped_functionINS8_6system6detail7generic6detail18binary_search_lessEbEEEE10hipError_tPvRmT1_T2_T3_mmT4_T5_P12ihipStream_tbEUlRKfE_EEST_SX_SY_mSZ_S12_bEUlT_E_NS1_11comp_targetILNS1_3genE0ELNS1_11target_archE4294967295ELNS1_3gpuE0ELNS1_3repE0EEENS1_30default_config_static_selectorELNS0_4arch9wavefront6targetE1EEEvSW_,comdat
	.protected	_ZN7rocprim17ROCPRIM_400000_NS6detail17trampoline_kernelINS0_14default_configENS1_27upper_bound_config_selectorIflEEZNS1_14transform_implILb0ES3_S5_N6thrust23THRUST_200600_302600_NS6detail15normal_iteratorINS8_7pointerIfNS8_11hip_rocprim5par_tENS8_11use_defaultESE_EEEENSA_INSB_IlSD_SE_SE_EEEEZNS1_13binary_searchIS3_S5_PfSG_SI_NS1_21upper_bound_search_opENS9_16wrapped_functionINS8_6system6detail7generic6detail18binary_search_lessEbEEEE10hipError_tPvRmT1_T2_T3_mmT4_T5_P12ihipStream_tbEUlRKfE_EEST_SX_SY_mSZ_S12_bEUlT_E_NS1_11comp_targetILNS1_3genE0ELNS1_11target_archE4294967295ELNS1_3gpuE0ELNS1_3repE0EEENS1_30default_config_static_selectorELNS0_4arch9wavefront6targetE1EEEvSW_ ; -- Begin function _ZN7rocprim17ROCPRIM_400000_NS6detail17trampoline_kernelINS0_14default_configENS1_27upper_bound_config_selectorIflEEZNS1_14transform_implILb0ES3_S5_N6thrust23THRUST_200600_302600_NS6detail15normal_iteratorINS8_7pointerIfNS8_11hip_rocprim5par_tENS8_11use_defaultESE_EEEENSA_INSB_IlSD_SE_SE_EEEEZNS1_13binary_searchIS3_S5_PfSG_SI_NS1_21upper_bound_search_opENS9_16wrapped_functionINS8_6system6detail7generic6detail18binary_search_lessEbEEEE10hipError_tPvRmT1_T2_T3_mmT4_T5_P12ihipStream_tbEUlRKfE_EEST_SX_SY_mSZ_S12_bEUlT_E_NS1_11comp_targetILNS1_3genE0ELNS1_11target_archE4294967295ELNS1_3gpuE0ELNS1_3repE0EEENS1_30default_config_static_selectorELNS0_4arch9wavefront6targetE1EEEvSW_
	.globl	_ZN7rocprim17ROCPRIM_400000_NS6detail17trampoline_kernelINS0_14default_configENS1_27upper_bound_config_selectorIflEEZNS1_14transform_implILb0ES3_S5_N6thrust23THRUST_200600_302600_NS6detail15normal_iteratorINS8_7pointerIfNS8_11hip_rocprim5par_tENS8_11use_defaultESE_EEEENSA_INSB_IlSD_SE_SE_EEEEZNS1_13binary_searchIS3_S5_PfSG_SI_NS1_21upper_bound_search_opENS9_16wrapped_functionINS8_6system6detail7generic6detail18binary_search_lessEbEEEE10hipError_tPvRmT1_T2_T3_mmT4_T5_P12ihipStream_tbEUlRKfE_EEST_SX_SY_mSZ_S12_bEUlT_E_NS1_11comp_targetILNS1_3genE0ELNS1_11target_archE4294967295ELNS1_3gpuE0ELNS1_3repE0EEENS1_30default_config_static_selectorELNS0_4arch9wavefront6targetE1EEEvSW_
	.p2align	8
	.type	_ZN7rocprim17ROCPRIM_400000_NS6detail17trampoline_kernelINS0_14default_configENS1_27upper_bound_config_selectorIflEEZNS1_14transform_implILb0ES3_S5_N6thrust23THRUST_200600_302600_NS6detail15normal_iteratorINS8_7pointerIfNS8_11hip_rocprim5par_tENS8_11use_defaultESE_EEEENSA_INSB_IlSD_SE_SE_EEEEZNS1_13binary_searchIS3_S5_PfSG_SI_NS1_21upper_bound_search_opENS9_16wrapped_functionINS8_6system6detail7generic6detail18binary_search_lessEbEEEE10hipError_tPvRmT1_T2_T3_mmT4_T5_P12ihipStream_tbEUlRKfE_EEST_SX_SY_mSZ_S12_bEUlT_E_NS1_11comp_targetILNS1_3genE0ELNS1_11target_archE4294967295ELNS1_3gpuE0ELNS1_3repE0EEENS1_30default_config_static_selectorELNS0_4arch9wavefront6targetE1EEEvSW_,@function
_ZN7rocprim17ROCPRIM_400000_NS6detail17trampoline_kernelINS0_14default_configENS1_27upper_bound_config_selectorIflEEZNS1_14transform_implILb0ES3_S5_N6thrust23THRUST_200600_302600_NS6detail15normal_iteratorINS8_7pointerIfNS8_11hip_rocprim5par_tENS8_11use_defaultESE_EEEENSA_INSB_IlSD_SE_SE_EEEEZNS1_13binary_searchIS3_S5_PfSG_SI_NS1_21upper_bound_search_opENS9_16wrapped_functionINS8_6system6detail7generic6detail18binary_search_lessEbEEEE10hipError_tPvRmT1_T2_T3_mmT4_T5_P12ihipStream_tbEUlRKfE_EEST_SX_SY_mSZ_S12_bEUlT_E_NS1_11comp_targetILNS1_3genE0ELNS1_11target_archE4294967295ELNS1_3gpuE0ELNS1_3repE0EEENS1_30default_config_static_selectorELNS0_4arch9wavefront6targetE1EEEvSW_: ; @_ZN7rocprim17ROCPRIM_400000_NS6detail17trampoline_kernelINS0_14default_configENS1_27upper_bound_config_selectorIflEEZNS1_14transform_implILb0ES3_S5_N6thrust23THRUST_200600_302600_NS6detail15normal_iteratorINS8_7pointerIfNS8_11hip_rocprim5par_tENS8_11use_defaultESE_EEEENSA_INSB_IlSD_SE_SE_EEEEZNS1_13binary_searchIS3_S5_PfSG_SI_NS1_21upper_bound_search_opENS9_16wrapped_functionINS8_6system6detail7generic6detail18binary_search_lessEbEEEE10hipError_tPvRmT1_T2_T3_mmT4_T5_P12ihipStream_tbEUlRKfE_EEST_SX_SY_mSZ_S12_bEUlT_E_NS1_11comp_targetILNS1_3genE0ELNS1_11target_archE4294967295ELNS1_3gpuE0ELNS1_3repE0EEENS1_30default_config_static_selectorELNS0_4arch9wavefront6targetE1EEEvSW_
; %bb.0:
	.section	.rodata,"a",@progbits
	.p2align	6, 0x0
	.amdhsa_kernel _ZN7rocprim17ROCPRIM_400000_NS6detail17trampoline_kernelINS0_14default_configENS1_27upper_bound_config_selectorIflEEZNS1_14transform_implILb0ES3_S5_N6thrust23THRUST_200600_302600_NS6detail15normal_iteratorINS8_7pointerIfNS8_11hip_rocprim5par_tENS8_11use_defaultESE_EEEENSA_INSB_IlSD_SE_SE_EEEEZNS1_13binary_searchIS3_S5_PfSG_SI_NS1_21upper_bound_search_opENS9_16wrapped_functionINS8_6system6detail7generic6detail18binary_search_lessEbEEEE10hipError_tPvRmT1_T2_T3_mmT4_T5_P12ihipStream_tbEUlRKfE_EEST_SX_SY_mSZ_S12_bEUlT_E_NS1_11comp_targetILNS1_3genE0ELNS1_11target_archE4294967295ELNS1_3gpuE0ELNS1_3repE0EEENS1_30default_config_static_selectorELNS0_4arch9wavefront6targetE1EEEvSW_
		.amdhsa_group_segment_fixed_size 0
		.amdhsa_private_segment_fixed_size 0
		.amdhsa_kernarg_size 56
		.amdhsa_user_sgpr_count 6
		.amdhsa_user_sgpr_private_segment_buffer 1
		.amdhsa_user_sgpr_dispatch_ptr 0
		.amdhsa_user_sgpr_queue_ptr 0
		.amdhsa_user_sgpr_kernarg_segment_ptr 1
		.amdhsa_user_sgpr_dispatch_id 0
		.amdhsa_user_sgpr_flat_scratch_init 0
		.amdhsa_user_sgpr_private_segment_size 0
		.amdhsa_uses_dynamic_stack 0
		.amdhsa_system_sgpr_private_segment_wavefront_offset 0
		.amdhsa_system_sgpr_workgroup_id_x 1
		.amdhsa_system_sgpr_workgroup_id_y 0
		.amdhsa_system_sgpr_workgroup_id_z 0
		.amdhsa_system_sgpr_workgroup_info 0
		.amdhsa_system_vgpr_workitem_id 0
		.amdhsa_next_free_vgpr 1
		.amdhsa_next_free_sgpr 0
		.amdhsa_reserve_vcc 0
		.amdhsa_reserve_flat_scratch 0
		.amdhsa_float_round_mode_32 0
		.amdhsa_float_round_mode_16_64 0
		.amdhsa_float_denorm_mode_32 3
		.amdhsa_float_denorm_mode_16_64 3
		.amdhsa_dx10_clamp 1
		.amdhsa_ieee_mode 1
		.amdhsa_fp16_overflow 0
		.amdhsa_exception_fp_ieee_invalid_op 0
		.amdhsa_exception_fp_denorm_src 0
		.amdhsa_exception_fp_ieee_div_zero 0
		.amdhsa_exception_fp_ieee_overflow 0
		.amdhsa_exception_fp_ieee_underflow 0
		.amdhsa_exception_fp_ieee_inexact 0
		.amdhsa_exception_int_div_zero 0
	.end_amdhsa_kernel
	.section	.text._ZN7rocprim17ROCPRIM_400000_NS6detail17trampoline_kernelINS0_14default_configENS1_27upper_bound_config_selectorIflEEZNS1_14transform_implILb0ES3_S5_N6thrust23THRUST_200600_302600_NS6detail15normal_iteratorINS8_7pointerIfNS8_11hip_rocprim5par_tENS8_11use_defaultESE_EEEENSA_INSB_IlSD_SE_SE_EEEEZNS1_13binary_searchIS3_S5_PfSG_SI_NS1_21upper_bound_search_opENS9_16wrapped_functionINS8_6system6detail7generic6detail18binary_search_lessEbEEEE10hipError_tPvRmT1_T2_T3_mmT4_T5_P12ihipStream_tbEUlRKfE_EEST_SX_SY_mSZ_S12_bEUlT_E_NS1_11comp_targetILNS1_3genE0ELNS1_11target_archE4294967295ELNS1_3gpuE0ELNS1_3repE0EEENS1_30default_config_static_selectorELNS0_4arch9wavefront6targetE1EEEvSW_,"axG",@progbits,_ZN7rocprim17ROCPRIM_400000_NS6detail17trampoline_kernelINS0_14default_configENS1_27upper_bound_config_selectorIflEEZNS1_14transform_implILb0ES3_S5_N6thrust23THRUST_200600_302600_NS6detail15normal_iteratorINS8_7pointerIfNS8_11hip_rocprim5par_tENS8_11use_defaultESE_EEEENSA_INSB_IlSD_SE_SE_EEEEZNS1_13binary_searchIS3_S5_PfSG_SI_NS1_21upper_bound_search_opENS9_16wrapped_functionINS8_6system6detail7generic6detail18binary_search_lessEbEEEE10hipError_tPvRmT1_T2_T3_mmT4_T5_P12ihipStream_tbEUlRKfE_EEST_SX_SY_mSZ_S12_bEUlT_E_NS1_11comp_targetILNS1_3genE0ELNS1_11target_archE4294967295ELNS1_3gpuE0ELNS1_3repE0EEENS1_30default_config_static_selectorELNS0_4arch9wavefront6targetE1EEEvSW_,comdat
.Lfunc_end172:
	.size	_ZN7rocprim17ROCPRIM_400000_NS6detail17trampoline_kernelINS0_14default_configENS1_27upper_bound_config_selectorIflEEZNS1_14transform_implILb0ES3_S5_N6thrust23THRUST_200600_302600_NS6detail15normal_iteratorINS8_7pointerIfNS8_11hip_rocprim5par_tENS8_11use_defaultESE_EEEENSA_INSB_IlSD_SE_SE_EEEEZNS1_13binary_searchIS3_S5_PfSG_SI_NS1_21upper_bound_search_opENS9_16wrapped_functionINS8_6system6detail7generic6detail18binary_search_lessEbEEEE10hipError_tPvRmT1_T2_T3_mmT4_T5_P12ihipStream_tbEUlRKfE_EEST_SX_SY_mSZ_S12_bEUlT_E_NS1_11comp_targetILNS1_3genE0ELNS1_11target_archE4294967295ELNS1_3gpuE0ELNS1_3repE0EEENS1_30default_config_static_selectorELNS0_4arch9wavefront6targetE1EEEvSW_, .Lfunc_end172-_ZN7rocprim17ROCPRIM_400000_NS6detail17trampoline_kernelINS0_14default_configENS1_27upper_bound_config_selectorIflEEZNS1_14transform_implILb0ES3_S5_N6thrust23THRUST_200600_302600_NS6detail15normal_iteratorINS8_7pointerIfNS8_11hip_rocprim5par_tENS8_11use_defaultESE_EEEENSA_INSB_IlSD_SE_SE_EEEEZNS1_13binary_searchIS3_S5_PfSG_SI_NS1_21upper_bound_search_opENS9_16wrapped_functionINS8_6system6detail7generic6detail18binary_search_lessEbEEEE10hipError_tPvRmT1_T2_T3_mmT4_T5_P12ihipStream_tbEUlRKfE_EEST_SX_SY_mSZ_S12_bEUlT_E_NS1_11comp_targetILNS1_3genE0ELNS1_11target_archE4294967295ELNS1_3gpuE0ELNS1_3repE0EEENS1_30default_config_static_selectorELNS0_4arch9wavefront6targetE1EEEvSW_
                                        ; -- End function
	.set _ZN7rocprim17ROCPRIM_400000_NS6detail17trampoline_kernelINS0_14default_configENS1_27upper_bound_config_selectorIflEEZNS1_14transform_implILb0ES3_S5_N6thrust23THRUST_200600_302600_NS6detail15normal_iteratorINS8_7pointerIfNS8_11hip_rocprim5par_tENS8_11use_defaultESE_EEEENSA_INSB_IlSD_SE_SE_EEEEZNS1_13binary_searchIS3_S5_PfSG_SI_NS1_21upper_bound_search_opENS9_16wrapped_functionINS8_6system6detail7generic6detail18binary_search_lessEbEEEE10hipError_tPvRmT1_T2_T3_mmT4_T5_P12ihipStream_tbEUlRKfE_EEST_SX_SY_mSZ_S12_bEUlT_E_NS1_11comp_targetILNS1_3genE0ELNS1_11target_archE4294967295ELNS1_3gpuE0ELNS1_3repE0EEENS1_30default_config_static_selectorELNS0_4arch9wavefront6targetE1EEEvSW_.num_vgpr, 0
	.set _ZN7rocprim17ROCPRIM_400000_NS6detail17trampoline_kernelINS0_14default_configENS1_27upper_bound_config_selectorIflEEZNS1_14transform_implILb0ES3_S5_N6thrust23THRUST_200600_302600_NS6detail15normal_iteratorINS8_7pointerIfNS8_11hip_rocprim5par_tENS8_11use_defaultESE_EEEENSA_INSB_IlSD_SE_SE_EEEEZNS1_13binary_searchIS3_S5_PfSG_SI_NS1_21upper_bound_search_opENS9_16wrapped_functionINS8_6system6detail7generic6detail18binary_search_lessEbEEEE10hipError_tPvRmT1_T2_T3_mmT4_T5_P12ihipStream_tbEUlRKfE_EEST_SX_SY_mSZ_S12_bEUlT_E_NS1_11comp_targetILNS1_3genE0ELNS1_11target_archE4294967295ELNS1_3gpuE0ELNS1_3repE0EEENS1_30default_config_static_selectorELNS0_4arch9wavefront6targetE1EEEvSW_.num_agpr, 0
	.set _ZN7rocprim17ROCPRIM_400000_NS6detail17trampoline_kernelINS0_14default_configENS1_27upper_bound_config_selectorIflEEZNS1_14transform_implILb0ES3_S5_N6thrust23THRUST_200600_302600_NS6detail15normal_iteratorINS8_7pointerIfNS8_11hip_rocprim5par_tENS8_11use_defaultESE_EEEENSA_INSB_IlSD_SE_SE_EEEEZNS1_13binary_searchIS3_S5_PfSG_SI_NS1_21upper_bound_search_opENS9_16wrapped_functionINS8_6system6detail7generic6detail18binary_search_lessEbEEEE10hipError_tPvRmT1_T2_T3_mmT4_T5_P12ihipStream_tbEUlRKfE_EEST_SX_SY_mSZ_S12_bEUlT_E_NS1_11comp_targetILNS1_3genE0ELNS1_11target_archE4294967295ELNS1_3gpuE0ELNS1_3repE0EEENS1_30default_config_static_selectorELNS0_4arch9wavefront6targetE1EEEvSW_.numbered_sgpr, 0
	.set _ZN7rocprim17ROCPRIM_400000_NS6detail17trampoline_kernelINS0_14default_configENS1_27upper_bound_config_selectorIflEEZNS1_14transform_implILb0ES3_S5_N6thrust23THRUST_200600_302600_NS6detail15normal_iteratorINS8_7pointerIfNS8_11hip_rocprim5par_tENS8_11use_defaultESE_EEEENSA_INSB_IlSD_SE_SE_EEEEZNS1_13binary_searchIS3_S5_PfSG_SI_NS1_21upper_bound_search_opENS9_16wrapped_functionINS8_6system6detail7generic6detail18binary_search_lessEbEEEE10hipError_tPvRmT1_T2_T3_mmT4_T5_P12ihipStream_tbEUlRKfE_EEST_SX_SY_mSZ_S12_bEUlT_E_NS1_11comp_targetILNS1_3genE0ELNS1_11target_archE4294967295ELNS1_3gpuE0ELNS1_3repE0EEENS1_30default_config_static_selectorELNS0_4arch9wavefront6targetE1EEEvSW_.num_named_barrier, 0
	.set _ZN7rocprim17ROCPRIM_400000_NS6detail17trampoline_kernelINS0_14default_configENS1_27upper_bound_config_selectorIflEEZNS1_14transform_implILb0ES3_S5_N6thrust23THRUST_200600_302600_NS6detail15normal_iteratorINS8_7pointerIfNS8_11hip_rocprim5par_tENS8_11use_defaultESE_EEEENSA_INSB_IlSD_SE_SE_EEEEZNS1_13binary_searchIS3_S5_PfSG_SI_NS1_21upper_bound_search_opENS9_16wrapped_functionINS8_6system6detail7generic6detail18binary_search_lessEbEEEE10hipError_tPvRmT1_T2_T3_mmT4_T5_P12ihipStream_tbEUlRKfE_EEST_SX_SY_mSZ_S12_bEUlT_E_NS1_11comp_targetILNS1_3genE0ELNS1_11target_archE4294967295ELNS1_3gpuE0ELNS1_3repE0EEENS1_30default_config_static_selectorELNS0_4arch9wavefront6targetE1EEEvSW_.private_seg_size, 0
	.set _ZN7rocprim17ROCPRIM_400000_NS6detail17trampoline_kernelINS0_14default_configENS1_27upper_bound_config_selectorIflEEZNS1_14transform_implILb0ES3_S5_N6thrust23THRUST_200600_302600_NS6detail15normal_iteratorINS8_7pointerIfNS8_11hip_rocprim5par_tENS8_11use_defaultESE_EEEENSA_INSB_IlSD_SE_SE_EEEEZNS1_13binary_searchIS3_S5_PfSG_SI_NS1_21upper_bound_search_opENS9_16wrapped_functionINS8_6system6detail7generic6detail18binary_search_lessEbEEEE10hipError_tPvRmT1_T2_T3_mmT4_T5_P12ihipStream_tbEUlRKfE_EEST_SX_SY_mSZ_S12_bEUlT_E_NS1_11comp_targetILNS1_3genE0ELNS1_11target_archE4294967295ELNS1_3gpuE0ELNS1_3repE0EEENS1_30default_config_static_selectorELNS0_4arch9wavefront6targetE1EEEvSW_.uses_vcc, 0
	.set _ZN7rocprim17ROCPRIM_400000_NS6detail17trampoline_kernelINS0_14default_configENS1_27upper_bound_config_selectorIflEEZNS1_14transform_implILb0ES3_S5_N6thrust23THRUST_200600_302600_NS6detail15normal_iteratorINS8_7pointerIfNS8_11hip_rocprim5par_tENS8_11use_defaultESE_EEEENSA_INSB_IlSD_SE_SE_EEEEZNS1_13binary_searchIS3_S5_PfSG_SI_NS1_21upper_bound_search_opENS9_16wrapped_functionINS8_6system6detail7generic6detail18binary_search_lessEbEEEE10hipError_tPvRmT1_T2_T3_mmT4_T5_P12ihipStream_tbEUlRKfE_EEST_SX_SY_mSZ_S12_bEUlT_E_NS1_11comp_targetILNS1_3genE0ELNS1_11target_archE4294967295ELNS1_3gpuE0ELNS1_3repE0EEENS1_30default_config_static_selectorELNS0_4arch9wavefront6targetE1EEEvSW_.uses_flat_scratch, 0
	.set _ZN7rocprim17ROCPRIM_400000_NS6detail17trampoline_kernelINS0_14default_configENS1_27upper_bound_config_selectorIflEEZNS1_14transform_implILb0ES3_S5_N6thrust23THRUST_200600_302600_NS6detail15normal_iteratorINS8_7pointerIfNS8_11hip_rocprim5par_tENS8_11use_defaultESE_EEEENSA_INSB_IlSD_SE_SE_EEEEZNS1_13binary_searchIS3_S5_PfSG_SI_NS1_21upper_bound_search_opENS9_16wrapped_functionINS8_6system6detail7generic6detail18binary_search_lessEbEEEE10hipError_tPvRmT1_T2_T3_mmT4_T5_P12ihipStream_tbEUlRKfE_EEST_SX_SY_mSZ_S12_bEUlT_E_NS1_11comp_targetILNS1_3genE0ELNS1_11target_archE4294967295ELNS1_3gpuE0ELNS1_3repE0EEENS1_30default_config_static_selectorELNS0_4arch9wavefront6targetE1EEEvSW_.has_dyn_sized_stack, 0
	.set _ZN7rocprim17ROCPRIM_400000_NS6detail17trampoline_kernelINS0_14default_configENS1_27upper_bound_config_selectorIflEEZNS1_14transform_implILb0ES3_S5_N6thrust23THRUST_200600_302600_NS6detail15normal_iteratorINS8_7pointerIfNS8_11hip_rocprim5par_tENS8_11use_defaultESE_EEEENSA_INSB_IlSD_SE_SE_EEEEZNS1_13binary_searchIS3_S5_PfSG_SI_NS1_21upper_bound_search_opENS9_16wrapped_functionINS8_6system6detail7generic6detail18binary_search_lessEbEEEE10hipError_tPvRmT1_T2_T3_mmT4_T5_P12ihipStream_tbEUlRKfE_EEST_SX_SY_mSZ_S12_bEUlT_E_NS1_11comp_targetILNS1_3genE0ELNS1_11target_archE4294967295ELNS1_3gpuE0ELNS1_3repE0EEENS1_30default_config_static_selectorELNS0_4arch9wavefront6targetE1EEEvSW_.has_recursion, 0
	.set _ZN7rocprim17ROCPRIM_400000_NS6detail17trampoline_kernelINS0_14default_configENS1_27upper_bound_config_selectorIflEEZNS1_14transform_implILb0ES3_S5_N6thrust23THRUST_200600_302600_NS6detail15normal_iteratorINS8_7pointerIfNS8_11hip_rocprim5par_tENS8_11use_defaultESE_EEEENSA_INSB_IlSD_SE_SE_EEEEZNS1_13binary_searchIS3_S5_PfSG_SI_NS1_21upper_bound_search_opENS9_16wrapped_functionINS8_6system6detail7generic6detail18binary_search_lessEbEEEE10hipError_tPvRmT1_T2_T3_mmT4_T5_P12ihipStream_tbEUlRKfE_EEST_SX_SY_mSZ_S12_bEUlT_E_NS1_11comp_targetILNS1_3genE0ELNS1_11target_archE4294967295ELNS1_3gpuE0ELNS1_3repE0EEENS1_30default_config_static_selectorELNS0_4arch9wavefront6targetE1EEEvSW_.has_indirect_call, 0
	.section	.AMDGPU.csdata,"",@progbits
; Kernel info:
; codeLenInByte = 0
; TotalNumSgprs: 4
; NumVgprs: 0
; ScratchSize: 0
; MemoryBound: 0
; FloatMode: 240
; IeeeMode: 1
; LDSByteSize: 0 bytes/workgroup (compile time only)
; SGPRBlocks: 0
; VGPRBlocks: 0
; NumSGPRsForWavesPerEU: 4
; NumVGPRsForWavesPerEU: 1
; Occupancy: 10
; WaveLimiterHint : 0
; COMPUTE_PGM_RSRC2:SCRATCH_EN: 0
; COMPUTE_PGM_RSRC2:USER_SGPR: 6
; COMPUTE_PGM_RSRC2:TRAP_HANDLER: 0
; COMPUTE_PGM_RSRC2:TGID_X_EN: 1
; COMPUTE_PGM_RSRC2:TGID_Y_EN: 0
; COMPUTE_PGM_RSRC2:TGID_Z_EN: 0
; COMPUTE_PGM_RSRC2:TIDIG_COMP_CNT: 0
	.section	.text._ZN7rocprim17ROCPRIM_400000_NS6detail17trampoline_kernelINS0_14default_configENS1_27upper_bound_config_selectorIflEEZNS1_14transform_implILb0ES3_S5_N6thrust23THRUST_200600_302600_NS6detail15normal_iteratorINS8_7pointerIfNS8_11hip_rocprim5par_tENS8_11use_defaultESE_EEEENSA_INSB_IlSD_SE_SE_EEEEZNS1_13binary_searchIS3_S5_PfSG_SI_NS1_21upper_bound_search_opENS9_16wrapped_functionINS8_6system6detail7generic6detail18binary_search_lessEbEEEE10hipError_tPvRmT1_T2_T3_mmT4_T5_P12ihipStream_tbEUlRKfE_EEST_SX_SY_mSZ_S12_bEUlT_E_NS1_11comp_targetILNS1_3genE5ELNS1_11target_archE942ELNS1_3gpuE9ELNS1_3repE0EEENS1_30default_config_static_selectorELNS0_4arch9wavefront6targetE1EEEvSW_,"axG",@progbits,_ZN7rocprim17ROCPRIM_400000_NS6detail17trampoline_kernelINS0_14default_configENS1_27upper_bound_config_selectorIflEEZNS1_14transform_implILb0ES3_S5_N6thrust23THRUST_200600_302600_NS6detail15normal_iteratorINS8_7pointerIfNS8_11hip_rocprim5par_tENS8_11use_defaultESE_EEEENSA_INSB_IlSD_SE_SE_EEEEZNS1_13binary_searchIS3_S5_PfSG_SI_NS1_21upper_bound_search_opENS9_16wrapped_functionINS8_6system6detail7generic6detail18binary_search_lessEbEEEE10hipError_tPvRmT1_T2_T3_mmT4_T5_P12ihipStream_tbEUlRKfE_EEST_SX_SY_mSZ_S12_bEUlT_E_NS1_11comp_targetILNS1_3genE5ELNS1_11target_archE942ELNS1_3gpuE9ELNS1_3repE0EEENS1_30default_config_static_selectorELNS0_4arch9wavefront6targetE1EEEvSW_,comdat
	.protected	_ZN7rocprim17ROCPRIM_400000_NS6detail17trampoline_kernelINS0_14default_configENS1_27upper_bound_config_selectorIflEEZNS1_14transform_implILb0ES3_S5_N6thrust23THRUST_200600_302600_NS6detail15normal_iteratorINS8_7pointerIfNS8_11hip_rocprim5par_tENS8_11use_defaultESE_EEEENSA_INSB_IlSD_SE_SE_EEEEZNS1_13binary_searchIS3_S5_PfSG_SI_NS1_21upper_bound_search_opENS9_16wrapped_functionINS8_6system6detail7generic6detail18binary_search_lessEbEEEE10hipError_tPvRmT1_T2_T3_mmT4_T5_P12ihipStream_tbEUlRKfE_EEST_SX_SY_mSZ_S12_bEUlT_E_NS1_11comp_targetILNS1_3genE5ELNS1_11target_archE942ELNS1_3gpuE9ELNS1_3repE0EEENS1_30default_config_static_selectorELNS0_4arch9wavefront6targetE1EEEvSW_ ; -- Begin function _ZN7rocprim17ROCPRIM_400000_NS6detail17trampoline_kernelINS0_14default_configENS1_27upper_bound_config_selectorIflEEZNS1_14transform_implILb0ES3_S5_N6thrust23THRUST_200600_302600_NS6detail15normal_iteratorINS8_7pointerIfNS8_11hip_rocprim5par_tENS8_11use_defaultESE_EEEENSA_INSB_IlSD_SE_SE_EEEEZNS1_13binary_searchIS3_S5_PfSG_SI_NS1_21upper_bound_search_opENS9_16wrapped_functionINS8_6system6detail7generic6detail18binary_search_lessEbEEEE10hipError_tPvRmT1_T2_T3_mmT4_T5_P12ihipStream_tbEUlRKfE_EEST_SX_SY_mSZ_S12_bEUlT_E_NS1_11comp_targetILNS1_3genE5ELNS1_11target_archE942ELNS1_3gpuE9ELNS1_3repE0EEENS1_30default_config_static_selectorELNS0_4arch9wavefront6targetE1EEEvSW_
	.globl	_ZN7rocprim17ROCPRIM_400000_NS6detail17trampoline_kernelINS0_14default_configENS1_27upper_bound_config_selectorIflEEZNS1_14transform_implILb0ES3_S5_N6thrust23THRUST_200600_302600_NS6detail15normal_iteratorINS8_7pointerIfNS8_11hip_rocprim5par_tENS8_11use_defaultESE_EEEENSA_INSB_IlSD_SE_SE_EEEEZNS1_13binary_searchIS3_S5_PfSG_SI_NS1_21upper_bound_search_opENS9_16wrapped_functionINS8_6system6detail7generic6detail18binary_search_lessEbEEEE10hipError_tPvRmT1_T2_T3_mmT4_T5_P12ihipStream_tbEUlRKfE_EEST_SX_SY_mSZ_S12_bEUlT_E_NS1_11comp_targetILNS1_3genE5ELNS1_11target_archE942ELNS1_3gpuE9ELNS1_3repE0EEENS1_30default_config_static_selectorELNS0_4arch9wavefront6targetE1EEEvSW_
	.p2align	8
	.type	_ZN7rocprim17ROCPRIM_400000_NS6detail17trampoline_kernelINS0_14default_configENS1_27upper_bound_config_selectorIflEEZNS1_14transform_implILb0ES3_S5_N6thrust23THRUST_200600_302600_NS6detail15normal_iteratorINS8_7pointerIfNS8_11hip_rocprim5par_tENS8_11use_defaultESE_EEEENSA_INSB_IlSD_SE_SE_EEEEZNS1_13binary_searchIS3_S5_PfSG_SI_NS1_21upper_bound_search_opENS9_16wrapped_functionINS8_6system6detail7generic6detail18binary_search_lessEbEEEE10hipError_tPvRmT1_T2_T3_mmT4_T5_P12ihipStream_tbEUlRKfE_EEST_SX_SY_mSZ_S12_bEUlT_E_NS1_11comp_targetILNS1_3genE5ELNS1_11target_archE942ELNS1_3gpuE9ELNS1_3repE0EEENS1_30default_config_static_selectorELNS0_4arch9wavefront6targetE1EEEvSW_,@function
_ZN7rocprim17ROCPRIM_400000_NS6detail17trampoline_kernelINS0_14default_configENS1_27upper_bound_config_selectorIflEEZNS1_14transform_implILb0ES3_S5_N6thrust23THRUST_200600_302600_NS6detail15normal_iteratorINS8_7pointerIfNS8_11hip_rocprim5par_tENS8_11use_defaultESE_EEEENSA_INSB_IlSD_SE_SE_EEEEZNS1_13binary_searchIS3_S5_PfSG_SI_NS1_21upper_bound_search_opENS9_16wrapped_functionINS8_6system6detail7generic6detail18binary_search_lessEbEEEE10hipError_tPvRmT1_T2_T3_mmT4_T5_P12ihipStream_tbEUlRKfE_EEST_SX_SY_mSZ_S12_bEUlT_E_NS1_11comp_targetILNS1_3genE5ELNS1_11target_archE942ELNS1_3gpuE9ELNS1_3repE0EEENS1_30default_config_static_selectorELNS0_4arch9wavefront6targetE1EEEvSW_: ; @_ZN7rocprim17ROCPRIM_400000_NS6detail17trampoline_kernelINS0_14default_configENS1_27upper_bound_config_selectorIflEEZNS1_14transform_implILb0ES3_S5_N6thrust23THRUST_200600_302600_NS6detail15normal_iteratorINS8_7pointerIfNS8_11hip_rocprim5par_tENS8_11use_defaultESE_EEEENSA_INSB_IlSD_SE_SE_EEEEZNS1_13binary_searchIS3_S5_PfSG_SI_NS1_21upper_bound_search_opENS9_16wrapped_functionINS8_6system6detail7generic6detail18binary_search_lessEbEEEE10hipError_tPvRmT1_T2_T3_mmT4_T5_P12ihipStream_tbEUlRKfE_EEST_SX_SY_mSZ_S12_bEUlT_E_NS1_11comp_targetILNS1_3genE5ELNS1_11target_archE942ELNS1_3gpuE9ELNS1_3repE0EEENS1_30default_config_static_selectorELNS0_4arch9wavefront6targetE1EEEvSW_
; %bb.0:
	.section	.rodata,"a",@progbits
	.p2align	6, 0x0
	.amdhsa_kernel _ZN7rocprim17ROCPRIM_400000_NS6detail17trampoline_kernelINS0_14default_configENS1_27upper_bound_config_selectorIflEEZNS1_14transform_implILb0ES3_S5_N6thrust23THRUST_200600_302600_NS6detail15normal_iteratorINS8_7pointerIfNS8_11hip_rocprim5par_tENS8_11use_defaultESE_EEEENSA_INSB_IlSD_SE_SE_EEEEZNS1_13binary_searchIS3_S5_PfSG_SI_NS1_21upper_bound_search_opENS9_16wrapped_functionINS8_6system6detail7generic6detail18binary_search_lessEbEEEE10hipError_tPvRmT1_T2_T3_mmT4_T5_P12ihipStream_tbEUlRKfE_EEST_SX_SY_mSZ_S12_bEUlT_E_NS1_11comp_targetILNS1_3genE5ELNS1_11target_archE942ELNS1_3gpuE9ELNS1_3repE0EEENS1_30default_config_static_selectorELNS0_4arch9wavefront6targetE1EEEvSW_
		.amdhsa_group_segment_fixed_size 0
		.amdhsa_private_segment_fixed_size 0
		.amdhsa_kernarg_size 56
		.amdhsa_user_sgpr_count 6
		.amdhsa_user_sgpr_private_segment_buffer 1
		.amdhsa_user_sgpr_dispatch_ptr 0
		.amdhsa_user_sgpr_queue_ptr 0
		.amdhsa_user_sgpr_kernarg_segment_ptr 1
		.amdhsa_user_sgpr_dispatch_id 0
		.amdhsa_user_sgpr_flat_scratch_init 0
		.amdhsa_user_sgpr_private_segment_size 0
		.amdhsa_uses_dynamic_stack 0
		.amdhsa_system_sgpr_private_segment_wavefront_offset 0
		.amdhsa_system_sgpr_workgroup_id_x 1
		.amdhsa_system_sgpr_workgroup_id_y 0
		.amdhsa_system_sgpr_workgroup_id_z 0
		.amdhsa_system_sgpr_workgroup_info 0
		.amdhsa_system_vgpr_workitem_id 0
		.amdhsa_next_free_vgpr 1
		.amdhsa_next_free_sgpr 0
		.amdhsa_reserve_vcc 0
		.amdhsa_reserve_flat_scratch 0
		.amdhsa_float_round_mode_32 0
		.amdhsa_float_round_mode_16_64 0
		.amdhsa_float_denorm_mode_32 3
		.amdhsa_float_denorm_mode_16_64 3
		.amdhsa_dx10_clamp 1
		.amdhsa_ieee_mode 1
		.amdhsa_fp16_overflow 0
		.amdhsa_exception_fp_ieee_invalid_op 0
		.amdhsa_exception_fp_denorm_src 0
		.amdhsa_exception_fp_ieee_div_zero 0
		.amdhsa_exception_fp_ieee_overflow 0
		.amdhsa_exception_fp_ieee_underflow 0
		.amdhsa_exception_fp_ieee_inexact 0
		.amdhsa_exception_int_div_zero 0
	.end_amdhsa_kernel
	.section	.text._ZN7rocprim17ROCPRIM_400000_NS6detail17trampoline_kernelINS0_14default_configENS1_27upper_bound_config_selectorIflEEZNS1_14transform_implILb0ES3_S5_N6thrust23THRUST_200600_302600_NS6detail15normal_iteratorINS8_7pointerIfNS8_11hip_rocprim5par_tENS8_11use_defaultESE_EEEENSA_INSB_IlSD_SE_SE_EEEEZNS1_13binary_searchIS3_S5_PfSG_SI_NS1_21upper_bound_search_opENS9_16wrapped_functionINS8_6system6detail7generic6detail18binary_search_lessEbEEEE10hipError_tPvRmT1_T2_T3_mmT4_T5_P12ihipStream_tbEUlRKfE_EEST_SX_SY_mSZ_S12_bEUlT_E_NS1_11comp_targetILNS1_3genE5ELNS1_11target_archE942ELNS1_3gpuE9ELNS1_3repE0EEENS1_30default_config_static_selectorELNS0_4arch9wavefront6targetE1EEEvSW_,"axG",@progbits,_ZN7rocprim17ROCPRIM_400000_NS6detail17trampoline_kernelINS0_14default_configENS1_27upper_bound_config_selectorIflEEZNS1_14transform_implILb0ES3_S5_N6thrust23THRUST_200600_302600_NS6detail15normal_iteratorINS8_7pointerIfNS8_11hip_rocprim5par_tENS8_11use_defaultESE_EEEENSA_INSB_IlSD_SE_SE_EEEEZNS1_13binary_searchIS3_S5_PfSG_SI_NS1_21upper_bound_search_opENS9_16wrapped_functionINS8_6system6detail7generic6detail18binary_search_lessEbEEEE10hipError_tPvRmT1_T2_T3_mmT4_T5_P12ihipStream_tbEUlRKfE_EEST_SX_SY_mSZ_S12_bEUlT_E_NS1_11comp_targetILNS1_3genE5ELNS1_11target_archE942ELNS1_3gpuE9ELNS1_3repE0EEENS1_30default_config_static_selectorELNS0_4arch9wavefront6targetE1EEEvSW_,comdat
.Lfunc_end173:
	.size	_ZN7rocprim17ROCPRIM_400000_NS6detail17trampoline_kernelINS0_14default_configENS1_27upper_bound_config_selectorIflEEZNS1_14transform_implILb0ES3_S5_N6thrust23THRUST_200600_302600_NS6detail15normal_iteratorINS8_7pointerIfNS8_11hip_rocprim5par_tENS8_11use_defaultESE_EEEENSA_INSB_IlSD_SE_SE_EEEEZNS1_13binary_searchIS3_S5_PfSG_SI_NS1_21upper_bound_search_opENS9_16wrapped_functionINS8_6system6detail7generic6detail18binary_search_lessEbEEEE10hipError_tPvRmT1_T2_T3_mmT4_T5_P12ihipStream_tbEUlRKfE_EEST_SX_SY_mSZ_S12_bEUlT_E_NS1_11comp_targetILNS1_3genE5ELNS1_11target_archE942ELNS1_3gpuE9ELNS1_3repE0EEENS1_30default_config_static_selectorELNS0_4arch9wavefront6targetE1EEEvSW_, .Lfunc_end173-_ZN7rocprim17ROCPRIM_400000_NS6detail17trampoline_kernelINS0_14default_configENS1_27upper_bound_config_selectorIflEEZNS1_14transform_implILb0ES3_S5_N6thrust23THRUST_200600_302600_NS6detail15normal_iteratorINS8_7pointerIfNS8_11hip_rocprim5par_tENS8_11use_defaultESE_EEEENSA_INSB_IlSD_SE_SE_EEEEZNS1_13binary_searchIS3_S5_PfSG_SI_NS1_21upper_bound_search_opENS9_16wrapped_functionINS8_6system6detail7generic6detail18binary_search_lessEbEEEE10hipError_tPvRmT1_T2_T3_mmT4_T5_P12ihipStream_tbEUlRKfE_EEST_SX_SY_mSZ_S12_bEUlT_E_NS1_11comp_targetILNS1_3genE5ELNS1_11target_archE942ELNS1_3gpuE9ELNS1_3repE0EEENS1_30default_config_static_selectorELNS0_4arch9wavefront6targetE1EEEvSW_
                                        ; -- End function
	.set _ZN7rocprim17ROCPRIM_400000_NS6detail17trampoline_kernelINS0_14default_configENS1_27upper_bound_config_selectorIflEEZNS1_14transform_implILb0ES3_S5_N6thrust23THRUST_200600_302600_NS6detail15normal_iteratorINS8_7pointerIfNS8_11hip_rocprim5par_tENS8_11use_defaultESE_EEEENSA_INSB_IlSD_SE_SE_EEEEZNS1_13binary_searchIS3_S5_PfSG_SI_NS1_21upper_bound_search_opENS9_16wrapped_functionINS8_6system6detail7generic6detail18binary_search_lessEbEEEE10hipError_tPvRmT1_T2_T3_mmT4_T5_P12ihipStream_tbEUlRKfE_EEST_SX_SY_mSZ_S12_bEUlT_E_NS1_11comp_targetILNS1_3genE5ELNS1_11target_archE942ELNS1_3gpuE9ELNS1_3repE0EEENS1_30default_config_static_selectorELNS0_4arch9wavefront6targetE1EEEvSW_.num_vgpr, 0
	.set _ZN7rocprim17ROCPRIM_400000_NS6detail17trampoline_kernelINS0_14default_configENS1_27upper_bound_config_selectorIflEEZNS1_14transform_implILb0ES3_S5_N6thrust23THRUST_200600_302600_NS6detail15normal_iteratorINS8_7pointerIfNS8_11hip_rocprim5par_tENS8_11use_defaultESE_EEEENSA_INSB_IlSD_SE_SE_EEEEZNS1_13binary_searchIS3_S5_PfSG_SI_NS1_21upper_bound_search_opENS9_16wrapped_functionINS8_6system6detail7generic6detail18binary_search_lessEbEEEE10hipError_tPvRmT1_T2_T3_mmT4_T5_P12ihipStream_tbEUlRKfE_EEST_SX_SY_mSZ_S12_bEUlT_E_NS1_11comp_targetILNS1_3genE5ELNS1_11target_archE942ELNS1_3gpuE9ELNS1_3repE0EEENS1_30default_config_static_selectorELNS0_4arch9wavefront6targetE1EEEvSW_.num_agpr, 0
	.set _ZN7rocprim17ROCPRIM_400000_NS6detail17trampoline_kernelINS0_14default_configENS1_27upper_bound_config_selectorIflEEZNS1_14transform_implILb0ES3_S5_N6thrust23THRUST_200600_302600_NS6detail15normal_iteratorINS8_7pointerIfNS8_11hip_rocprim5par_tENS8_11use_defaultESE_EEEENSA_INSB_IlSD_SE_SE_EEEEZNS1_13binary_searchIS3_S5_PfSG_SI_NS1_21upper_bound_search_opENS9_16wrapped_functionINS8_6system6detail7generic6detail18binary_search_lessEbEEEE10hipError_tPvRmT1_T2_T3_mmT4_T5_P12ihipStream_tbEUlRKfE_EEST_SX_SY_mSZ_S12_bEUlT_E_NS1_11comp_targetILNS1_3genE5ELNS1_11target_archE942ELNS1_3gpuE9ELNS1_3repE0EEENS1_30default_config_static_selectorELNS0_4arch9wavefront6targetE1EEEvSW_.numbered_sgpr, 0
	.set _ZN7rocprim17ROCPRIM_400000_NS6detail17trampoline_kernelINS0_14default_configENS1_27upper_bound_config_selectorIflEEZNS1_14transform_implILb0ES3_S5_N6thrust23THRUST_200600_302600_NS6detail15normal_iteratorINS8_7pointerIfNS8_11hip_rocprim5par_tENS8_11use_defaultESE_EEEENSA_INSB_IlSD_SE_SE_EEEEZNS1_13binary_searchIS3_S5_PfSG_SI_NS1_21upper_bound_search_opENS9_16wrapped_functionINS8_6system6detail7generic6detail18binary_search_lessEbEEEE10hipError_tPvRmT1_T2_T3_mmT4_T5_P12ihipStream_tbEUlRKfE_EEST_SX_SY_mSZ_S12_bEUlT_E_NS1_11comp_targetILNS1_3genE5ELNS1_11target_archE942ELNS1_3gpuE9ELNS1_3repE0EEENS1_30default_config_static_selectorELNS0_4arch9wavefront6targetE1EEEvSW_.num_named_barrier, 0
	.set _ZN7rocprim17ROCPRIM_400000_NS6detail17trampoline_kernelINS0_14default_configENS1_27upper_bound_config_selectorIflEEZNS1_14transform_implILb0ES3_S5_N6thrust23THRUST_200600_302600_NS6detail15normal_iteratorINS8_7pointerIfNS8_11hip_rocprim5par_tENS8_11use_defaultESE_EEEENSA_INSB_IlSD_SE_SE_EEEEZNS1_13binary_searchIS3_S5_PfSG_SI_NS1_21upper_bound_search_opENS9_16wrapped_functionINS8_6system6detail7generic6detail18binary_search_lessEbEEEE10hipError_tPvRmT1_T2_T3_mmT4_T5_P12ihipStream_tbEUlRKfE_EEST_SX_SY_mSZ_S12_bEUlT_E_NS1_11comp_targetILNS1_3genE5ELNS1_11target_archE942ELNS1_3gpuE9ELNS1_3repE0EEENS1_30default_config_static_selectorELNS0_4arch9wavefront6targetE1EEEvSW_.private_seg_size, 0
	.set _ZN7rocprim17ROCPRIM_400000_NS6detail17trampoline_kernelINS0_14default_configENS1_27upper_bound_config_selectorIflEEZNS1_14transform_implILb0ES3_S5_N6thrust23THRUST_200600_302600_NS6detail15normal_iteratorINS8_7pointerIfNS8_11hip_rocprim5par_tENS8_11use_defaultESE_EEEENSA_INSB_IlSD_SE_SE_EEEEZNS1_13binary_searchIS3_S5_PfSG_SI_NS1_21upper_bound_search_opENS9_16wrapped_functionINS8_6system6detail7generic6detail18binary_search_lessEbEEEE10hipError_tPvRmT1_T2_T3_mmT4_T5_P12ihipStream_tbEUlRKfE_EEST_SX_SY_mSZ_S12_bEUlT_E_NS1_11comp_targetILNS1_3genE5ELNS1_11target_archE942ELNS1_3gpuE9ELNS1_3repE0EEENS1_30default_config_static_selectorELNS0_4arch9wavefront6targetE1EEEvSW_.uses_vcc, 0
	.set _ZN7rocprim17ROCPRIM_400000_NS6detail17trampoline_kernelINS0_14default_configENS1_27upper_bound_config_selectorIflEEZNS1_14transform_implILb0ES3_S5_N6thrust23THRUST_200600_302600_NS6detail15normal_iteratorINS8_7pointerIfNS8_11hip_rocprim5par_tENS8_11use_defaultESE_EEEENSA_INSB_IlSD_SE_SE_EEEEZNS1_13binary_searchIS3_S5_PfSG_SI_NS1_21upper_bound_search_opENS9_16wrapped_functionINS8_6system6detail7generic6detail18binary_search_lessEbEEEE10hipError_tPvRmT1_T2_T3_mmT4_T5_P12ihipStream_tbEUlRKfE_EEST_SX_SY_mSZ_S12_bEUlT_E_NS1_11comp_targetILNS1_3genE5ELNS1_11target_archE942ELNS1_3gpuE9ELNS1_3repE0EEENS1_30default_config_static_selectorELNS0_4arch9wavefront6targetE1EEEvSW_.uses_flat_scratch, 0
	.set _ZN7rocprim17ROCPRIM_400000_NS6detail17trampoline_kernelINS0_14default_configENS1_27upper_bound_config_selectorIflEEZNS1_14transform_implILb0ES3_S5_N6thrust23THRUST_200600_302600_NS6detail15normal_iteratorINS8_7pointerIfNS8_11hip_rocprim5par_tENS8_11use_defaultESE_EEEENSA_INSB_IlSD_SE_SE_EEEEZNS1_13binary_searchIS3_S5_PfSG_SI_NS1_21upper_bound_search_opENS9_16wrapped_functionINS8_6system6detail7generic6detail18binary_search_lessEbEEEE10hipError_tPvRmT1_T2_T3_mmT4_T5_P12ihipStream_tbEUlRKfE_EEST_SX_SY_mSZ_S12_bEUlT_E_NS1_11comp_targetILNS1_3genE5ELNS1_11target_archE942ELNS1_3gpuE9ELNS1_3repE0EEENS1_30default_config_static_selectorELNS0_4arch9wavefront6targetE1EEEvSW_.has_dyn_sized_stack, 0
	.set _ZN7rocprim17ROCPRIM_400000_NS6detail17trampoline_kernelINS0_14default_configENS1_27upper_bound_config_selectorIflEEZNS1_14transform_implILb0ES3_S5_N6thrust23THRUST_200600_302600_NS6detail15normal_iteratorINS8_7pointerIfNS8_11hip_rocprim5par_tENS8_11use_defaultESE_EEEENSA_INSB_IlSD_SE_SE_EEEEZNS1_13binary_searchIS3_S5_PfSG_SI_NS1_21upper_bound_search_opENS9_16wrapped_functionINS8_6system6detail7generic6detail18binary_search_lessEbEEEE10hipError_tPvRmT1_T2_T3_mmT4_T5_P12ihipStream_tbEUlRKfE_EEST_SX_SY_mSZ_S12_bEUlT_E_NS1_11comp_targetILNS1_3genE5ELNS1_11target_archE942ELNS1_3gpuE9ELNS1_3repE0EEENS1_30default_config_static_selectorELNS0_4arch9wavefront6targetE1EEEvSW_.has_recursion, 0
	.set _ZN7rocprim17ROCPRIM_400000_NS6detail17trampoline_kernelINS0_14default_configENS1_27upper_bound_config_selectorIflEEZNS1_14transform_implILb0ES3_S5_N6thrust23THRUST_200600_302600_NS6detail15normal_iteratorINS8_7pointerIfNS8_11hip_rocprim5par_tENS8_11use_defaultESE_EEEENSA_INSB_IlSD_SE_SE_EEEEZNS1_13binary_searchIS3_S5_PfSG_SI_NS1_21upper_bound_search_opENS9_16wrapped_functionINS8_6system6detail7generic6detail18binary_search_lessEbEEEE10hipError_tPvRmT1_T2_T3_mmT4_T5_P12ihipStream_tbEUlRKfE_EEST_SX_SY_mSZ_S12_bEUlT_E_NS1_11comp_targetILNS1_3genE5ELNS1_11target_archE942ELNS1_3gpuE9ELNS1_3repE0EEENS1_30default_config_static_selectorELNS0_4arch9wavefront6targetE1EEEvSW_.has_indirect_call, 0
	.section	.AMDGPU.csdata,"",@progbits
; Kernel info:
; codeLenInByte = 0
; TotalNumSgprs: 4
; NumVgprs: 0
; ScratchSize: 0
; MemoryBound: 0
; FloatMode: 240
; IeeeMode: 1
; LDSByteSize: 0 bytes/workgroup (compile time only)
; SGPRBlocks: 0
; VGPRBlocks: 0
; NumSGPRsForWavesPerEU: 4
; NumVGPRsForWavesPerEU: 1
; Occupancy: 10
; WaveLimiterHint : 0
; COMPUTE_PGM_RSRC2:SCRATCH_EN: 0
; COMPUTE_PGM_RSRC2:USER_SGPR: 6
; COMPUTE_PGM_RSRC2:TRAP_HANDLER: 0
; COMPUTE_PGM_RSRC2:TGID_X_EN: 1
; COMPUTE_PGM_RSRC2:TGID_Y_EN: 0
; COMPUTE_PGM_RSRC2:TGID_Z_EN: 0
; COMPUTE_PGM_RSRC2:TIDIG_COMP_CNT: 0
	.section	.text._ZN7rocprim17ROCPRIM_400000_NS6detail17trampoline_kernelINS0_14default_configENS1_27upper_bound_config_selectorIflEEZNS1_14transform_implILb0ES3_S5_N6thrust23THRUST_200600_302600_NS6detail15normal_iteratorINS8_7pointerIfNS8_11hip_rocprim5par_tENS8_11use_defaultESE_EEEENSA_INSB_IlSD_SE_SE_EEEEZNS1_13binary_searchIS3_S5_PfSG_SI_NS1_21upper_bound_search_opENS9_16wrapped_functionINS8_6system6detail7generic6detail18binary_search_lessEbEEEE10hipError_tPvRmT1_T2_T3_mmT4_T5_P12ihipStream_tbEUlRKfE_EEST_SX_SY_mSZ_S12_bEUlT_E_NS1_11comp_targetILNS1_3genE4ELNS1_11target_archE910ELNS1_3gpuE8ELNS1_3repE0EEENS1_30default_config_static_selectorELNS0_4arch9wavefront6targetE1EEEvSW_,"axG",@progbits,_ZN7rocprim17ROCPRIM_400000_NS6detail17trampoline_kernelINS0_14default_configENS1_27upper_bound_config_selectorIflEEZNS1_14transform_implILb0ES3_S5_N6thrust23THRUST_200600_302600_NS6detail15normal_iteratorINS8_7pointerIfNS8_11hip_rocprim5par_tENS8_11use_defaultESE_EEEENSA_INSB_IlSD_SE_SE_EEEEZNS1_13binary_searchIS3_S5_PfSG_SI_NS1_21upper_bound_search_opENS9_16wrapped_functionINS8_6system6detail7generic6detail18binary_search_lessEbEEEE10hipError_tPvRmT1_T2_T3_mmT4_T5_P12ihipStream_tbEUlRKfE_EEST_SX_SY_mSZ_S12_bEUlT_E_NS1_11comp_targetILNS1_3genE4ELNS1_11target_archE910ELNS1_3gpuE8ELNS1_3repE0EEENS1_30default_config_static_selectorELNS0_4arch9wavefront6targetE1EEEvSW_,comdat
	.protected	_ZN7rocprim17ROCPRIM_400000_NS6detail17trampoline_kernelINS0_14default_configENS1_27upper_bound_config_selectorIflEEZNS1_14transform_implILb0ES3_S5_N6thrust23THRUST_200600_302600_NS6detail15normal_iteratorINS8_7pointerIfNS8_11hip_rocprim5par_tENS8_11use_defaultESE_EEEENSA_INSB_IlSD_SE_SE_EEEEZNS1_13binary_searchIS3_S5_PfSG_SI_NS1_21upper_bound_search_opENS9_16wrapped_functionINS8_6system6detail7generic6detail18binary_search_lessEbEEEE10hipError_tPvRmT1_T2_T3_mmT4_T5_P12ihipStream_tbEUlRKfE_EEST_SX_SY_mSZ_S12_bEUlT_E_NS1_11comp_targetILNS1_3genE4ELNS1_11target_archE910ELNS1_3gpuE8ELNS1_3repE0EEENS1_30default_config_static_selectorELNS0_4arch9wavefront6targetE1EEEvSW_ ; -- Begin function _ZN7rocprim17ROCPRIM_400000_NS6detail17trampoline_kernelINS0_14default_configENS1_27upper_bound_config_selectorIflEEZNS1_14transform_implILb0ES3_S5_N6thrust23THRUST_200600_302600_NS6detail15normal_iteratorINS8_7pointerIfNS8_11hip_rocprim5par_tENS8_11use_defaultESE_EEEENSA_INSB_IlSD_SE_SE_EEEEZNS1_13binary_searchIS3_S5_PfSG_SI_NS1_21upper_bound_search_opENS9_16wrapped_functionINS8_6system6detail7generic6detail18binary_search_lessEbEEEE10hipError_tPvRmT1_T2_T3_mmT4_T5_P12ihipStream_tbEUlRKfE_EEST_SX_SY_mSZ_S12_bEUlT_E_NS1_11comp_targetILNS1_3genE4ELNS1_11target_archE910ELNS1_3gpuE8ELNS1_3repE0EEENS1_30default_config_static_selectorELNS0_4arch9wavefront6targetE1EEEvSW_
	.globl	_ZN7rocprim17ROCPRIM_400000_NS6detail17trampoline_kernelINS0_14default_configENS1_27upper_bound_config_selectorIflEEZNS1_14transform_implILb0ES3_S5_N6thrust23THRUST_200600_302600_NS6detail15normal_iteratorINS8_7pointerIfNS8_11hip_rocprim5par_tENS8_11use_defaultESE_EEEENSA_INSB_IlSD_SE_SE_EEEEZNS1_13binary_searchIS3_S5_PfSG_SI_NS1_21upper_bound_search_opENS9_16wrapped_functionINS8_6system6detail7generic6detail18binary_search_lessEbEEEE10hipError_tPvRmT1_T2_T3_mmT4_T5_P12ihipStream_tbEUlRKfE_EEST_SX_SY_mSZ_S12_bEUlT_E_NS1_11comp_targetILNS1_3genE4ELNS1_11target_archE910ELNS1_3gpuE8ELNS1_3repE0EEENS1_30default_config_static_selectorELNS0_4arch9wavefront6targetE1EEEvSW_
	.p2align	8
	.type	_ZN7rocprim17ROCPRIM_400000_NS6detail17trampoline_kernelINS0_14default_configENS1_27upper_bound_config_selectorIflEEZNS1_14transform_implILb0ES3_S5_N6thrust23THRUST_200600_302600_NS6detail15normal_iteratorINS8_7pointerIfNS8_11hip_rocprim5par_tENS8_11use_defaultESE_EEEENSA_INSB_IlSD_SE_SE_EEEEZNS1_13binary_searchIS3_S5_PfSG_SI_NS1_21upper_bound_search_opENS9_16wrapped_functionINS8_6system6detail7generic6detail18binary_search_lessEbEEEE10hipError_tPvRmT1_T2_T3_mmT4_T5_P12ihipStream_tbEUlRKfE_EEST_SX_SY_mSZ_S12_bEUlT_E_NS1_11comp_targetILNS1_3genE4ELNS1_11target_archE910ELNS1_3gpuE8ELNS1_3repE0EEENS1_30default_config_static_selectorELNS0_4arch9wavefront6targetE1EEEvSW_,@function
_ZN7rocprim17ROCPRIM_400000_NS6detail17trampoline_kernelINS0_14default_configENS1_27upper_bound_config_selectorIflEEZNS1_14transform_implILb0ES3_S5_N6thrust23THRUST_200600_302600_NS6detail15normal_iteratorINS8_7pointerIfNS8_11hip_rocprim5par_tENS8_11use_defaultESE_EEEENSA_INSB_IlSD_SE_SE_EEEEZNS1_13binary_searchIS3_S5_PfSG_SI_NS1_21upper_bound_search_opENS9_16wrapped_functionINS8_6system6detail7generic6detail18binary_search_lessEbEEEE10hipError_tPvRmT1_T2_T3_mmT4_T5_P12ihipStream_tbEUlRKfE_EEST_SX_SY_mSZ_S12_bEUlT_E_NS1_11comp_targetILNS1_3genE4ELNS1_11target_archE910ELNS1_3gpuE8ELNS1_3repE0EEENS1_30default_config_static_selectorELNS0_4arch9wavefront6targetE1EEEvSW_: ; @_ZN7rocprim17ROCPRIM_400000_NS6detail17trampoline_kernelINS0_14default_configENS1_27upper_bound_config_selectorIflEEZNS1_14transform_implILb0ES3_S5_N6thrust23THRUST_200600_302600_NS6detail15normal_iteratorINS8_7pointerIfNS8_11hip_rocprim5par_tENS8_11use_defaultESE_EEEENSA_INSB_IlSD_SE_SE_EEEEZNS1_13binary_searchIS3_S5_PfSG_SI_NS1_21upper_bound_search_opENS9_16wrapped_functionINS8_6system6detail7generic6detail18binary_search_lessEbEEEE10hipError_tPvRmT1_T2_T3_mmT4_T5_P12ihipStream_tbEUlRKfE_EEST_SX_SY_mSZ_S12_bEUlT_E_NS1_11comp_targetILNS1_3genE4ELNS1_11target_archE910ELNS1_3gpuE8ELNS1_3repE0EEENS1_30default_config_static_selectorELNS0_4arch9wavefront6targetE1EEEvSW_
; %bb.0:
	.section	.rodata,"a",@progbits
	.p2align	6, 0x0
	.amdhsa_kernel _ZN7rocprim17ROCPRIM_400000_NS6detail17trampoline_kernelINS0_14default_configENS1_27upper_bound_config_selectorIflEEZNS1_14transform_implILb0ES3_S5_N6thrust23THRUST_200600_302600_NS6detail15normal_iteratorINS8_7pointerIfNS8_11hip_rocprim5par_tENS8_11use_defaultESE_EEEENSA_INSB_IlSD_SE_SE_EEEEZNS1_13binary_searchIS3_S5_PfSG_SI_NS1_21upper_bound_search_opENS9_16wrapped_functionINS8_6system6detail7generic6detail18binary_search_lessEbEEEE10hipError_tPvRmT1_T2_T3_mmT4_T5_P12ihipStream_tbEUlRKfE_EEST_SX_SY_mSZ_S12_bEUlT_E_NS1_11comp_targetILNS1_3genE4ELNS1_11target_archE910ELNS1_3gpuE8ELNS1_3repE0EEENS1_30default_config_static_selectorELNS0_4arch9wavefront6targetE1EEEvSW_
		.amdhsa_group_segment_fixed_size 0
		.amdhsa_private_segment_fixed_size 0
		.amdhsa_kernarg_size 56
		.amdhsa_user_sgpr_count 6
		.amdhsa_user_sgpr_private_segment_buffer 1
		.amdhsa_user_sgpr_dispatch_ptr 0
		.amdhsa_user_sgpr_queue_ptr 0
		.amdhsa_user_sgpr_kernarg_segment_ptr 1
		.amdhsa_user_sgpr_dispatch_id 0
		.amdhsa_user_sgpr_flat_scratch_init 0
		.amdhsa_user_sgpr_private_segment_size 0
		.amdhsa_uses_dynamic_stack 0
		.amdhsa_system_sgpr_private_segment_wavefront_offset 0
		.amdhsa_system_sgpr_workgroup_id_x 1
		.amdhsa_system_sgpr_workgroup_id_y 0
		.amdhsa_system_sgpr_workgroup_id_z 0
		.amdhsa_system_sgpr_workgroup_info 0
		.amdhsa_system_vgpr_workitem_id 0
		.amdhsa_next_free_vgpr 1
		.amdhsa_next_free_sgpr 0
		.amdhsa_reserve_vcc 0
		.amdhsa_reserve_flat_scratch 0
		.amdhsa_float_round_mode_32 0
		.amdhsa_float_round_mode_16_64 0
		.amdhsa_float_denorm_mode_32 3
		.amdhsa_float_denorm_mode_16_64 3
		.amdhsa_dx10_clamp 1
		.amdhsa_ieee_mode 1
		.amdhsa_fp16_overflow 0
		.amdhsa_exception_fp_ieee_invalid_op 0
		.amdhsa_exception_fp_denorm_src 0
		.amdhsa_exception_fp_ieee_div_zero 0
		.amdhsa_exception_fp_ieee_overflow 0
		.amdhsa_exception_fp_ieee_underflow 0
		.amdhsa_exception_fp_ieee_inexact 0
		.amdhsa_exception_int_div_zero 0
	.end_amdhsa_kernel
	.section	.text._ZN7rocprim17ROCPRIM_400000_NS6detail17trampoline_kernelINS0_14default_configENS1_27upper_bound_config_selectorIflEEZNS1_14transform_implILb0ES3_S5_N6thrust23THRUST_200600_302600_NS6detail15normal_iteratorINS8_7pointerIfNS8_11hip_rocprim5par_tENS8_11use_defaultESE_EEEENSA_INSB_IlSD_SE_SE_EEEEZNS1_13binary_searchIS3_S5_PfSG_SI_NS1_21upper_bound_search_opENS9_16wrapped_functionINS8_6system6detail7generic6detail18binary_search_lessEbEEEE10hipError_tPvRmT1_T2_T3_mmT4_T5_P12ihipStream_tbEUlRKfE_EEST_SX_SY_mSZ_S12_bEUlT_E_NS1_11comp_targetILNS1_3genE4ELNS1_11target_archE910ELNS1_3gpuE8ELNS1_3repE0EEENS1_30default_config_static_selectorELNS0_4arch9wavefront6targetE1EEEvSW_,"axG",@progbits,_ZN7rocprim17ROCPRIM_400000_NS6detail17trampoline_kernelINS0_14default_configENS1_27upper_bound_config_selectorIflEEZNS1_14transform_implILb0ES3_S5_N6thrust23THRUST_200600_302600_NS6detail15normal_iteratorINS8_7pointerIfNS8_11hip_rocprim5par_tENS8_11use_defaultESE_EEEENSA_INSB_IlSD_SE_SE_EEEEZNS1_13binary_searchIS3_S5_PfSG_SI_NS1_21upper_bound_search_opENS9_16wrapped_functionINS8_6system6detail7generic6detail18binary_search_lessEbEEEE10hipError_tPvRmT1_T2_T3_mmT4_T5_P12ihipStream_tbEUlRKfE_EEST_SX_SY_mSZ_S12_bEUlT_E_NS1_11comp_targetILNS1_3genE4ELNS1_11target_archE910ELNS1_3gpuE8ELNS1_3repE0EEENS1_30default_config_static_selectorELNS0_4arch9wavefront6targetE1EEEvSW_,comdat
.Lfunc_end174:
	.size	_ZN7rocprim17ROCPRIM_400000_NS6detail17trampoline_kernelINS0_14default_configENS1_27upper_bound_config_selectorIflEEZNS1_14transform_implILb0ES3_S5_N6thrust23THRUST_200600_302600_NS6detail15normal_iteratorINS8_7pointerIfNS8_11hip_rocprim5par_tENS8_11use_defaultESE_EEEENSA_INSB_IlSD_SE_SE_EEEEZNS1_13binary_searchIS3_S5_PfSG_SI_NS1_21upper_bound_search_opENS9_16wrapped_functionINS8_6system6detail7generic6detail18binary_search_lessEbEEEE10hipError_tPvRmT1_T2_T3_mmT4_T5_P12ihipStream_tbEUlRKfE_EEST_SX_SY_mSZ_S12_bEUlT_E_NS1_11comp_targetILNS1_3genE4ELNS1_11target_archE910ELNS1_3gpuE8ELNS1_3repE0EEENS1_30default_config_static_selectorELNS0_4arch9wavefront6targetE1EEEvSW_, .Lfunc_end174-_ZN7rocprim17ROCPRIM_400000_NS6detail17trampoline_kernelINS0_14default_configENS1_27upper_bound_config_selectorIflEEZNS1_14transform_implILb0ES3_S5_N6thrust23THRUST_200600_302600_NS6detail15normal_iteratorINS8_7pointerIfNS8_11hip_rocprim5par_tENS8_11use_defaultESE_EEEENSA_INSB_IlSD_SE_SE_EEEEZNS1_13binary_searchIS3_S5_PfSG_SI_NS1_21upper_bound_search_opENS9_16wrapped_functionINS8_6system6detail7generic6detail18binary_search_lessEbEEEE10hipError_tPvRmT1_T2_T3_mmT4_T5_P12ihipStream_tbEUlRKfE_EEST_SX_SY_mSZ_S12_bEUlT_E_NS1_11comp_targetILNS1_3genE4ELNS1_11target_archE910ELNS1_3gpuE8ELNS1_3repE0EEENS1_30default_config_static_selectorELNS0_4arch9wavefront6targetE1EEEvSW_
                                        ; -- End function
	.set _ZN7rocprim17ROCPRIM_400000_NS6detail17trampoline_kernelINS0_14default_configENS1_27upper_bound_config_selectorIflEEZNS1_14transform_implILb0ES3_S5_N6thrust23THRUST_200600_302600_NS6detail15normal_iteratorINS8_7pointerIfNS8_11hip_rocprim5par_tENS8_11use_defaultESE_EEEENSA_INSB_IlSD_SE_SE_EEEEZNS1_13binary_searchIS3_S5_PfSG_SI_NS1_21upper_bound_search_opENS9_16wrapped_functionINS8_6system6detail7generic6detail18binary_search_lessEbEEEE10hipError_tPvRmT1_T2_T3_mmT4_T5_P12ihipStream_tbEUlRKfE_EEST_SX_SY_mSZ_S12_bEUlT_E_NS1_11comp_targetILNS1_3genE4ELNS1_11target_archE910ELNS1_3gpuE8ELNS1_3repE0EEENS1_30default_config_static_selectorELNS0_4arch9wavefront6targetE1EEEvSW_.num_vgpr, 0
	.set _ZN7rocprim17ROCPRIM_400000_NS6detail17trampoline_kernelINS0_14default_configENS1_27upper_bound_config_selectorIflEEZNS1_14transform_implILb0ES3_S5_N6thrust23THRUST_200600_302600_NS6detail15normal_iteratorINS8_7pointerIfNS8_11hip_rocprim5par_tENS8_11use_defaultESE_EEEENSA_INSB_IlSD_SE_SE_EEEEZNS1_13binary_searchIS3_S5_PfSG_SI_NS1_21upper_bound_search_opENS9_16wrapped_functionINS8_6system6detail7generic6detail18binary_search_lessEbEEEE10hipError_tPvRmT1_T2_T3_mmT4_T5_P12ihipStream_tbEUlRKfE_EEST_SX_SY_mSZ_S12_bEUlT_E_NS1_11comp_targetILNS1_3genE4ELNS1_11target_archE910ELNS1_3gpuE8ELNS1_3repE0EEENS1_30default_config_static_selectorELNS0_4arch9wavefront6targetE1EEEvSW_.num_agpr, 0
	.set _ZN7rocprim17ROCPRIM_400000_NS6detail17trampoline_kernelINS0_14default_configENS1_27upper_bound_config_selectorIflEEZNS1_14transform_implILb0ES3_S5_N6thrust23THRUST_200600_302600_NS6detail15normal_iteratorINS8_7pointerIfNS8_11hip_rocprim5par_tENS8_11use_defaultESE_EEEENSA_INSB_IlSD_SE_SE_EEEEZNS1_13binary_searchIS3_S5_PfSG_SI_NS1_21upper_bound_search_opENS9_16wrapped_functionINS8_6system6detail7generic6detail18binary_search_lessEbEEEE10hipError_tPvRmT1_T2_T3_mmT4_T5_P12ihipStream_tbEUlRKfE_EEST_SX_SY_mSZ_S12_bEUlT_E_NS1_11comp_targetILNS1_3genE4ELNS1_11target_archE910ELNS1_3gpuE8ELNS1_3repE0EEENS1_30default_config_static_selectorELNS0_4arch9wavefront6targetE1EEEvSW_.numbered_sgpr, 0
	.set _ZN7rocprim17ROCPRIM_400000_NS6detail17trampoline_kernelINS0_14default_configENS1_27upper_bound_config_selectorIflEEZNS1_14transform_implILb0ES3_S5_N6thrust23THRUST_200600_302600_NS6detail15normal_iteratorINS8_7pointerIfNS8_11hip_rocprim5par_tENS8_11use_defaultESE_EEEENSA_INSB_IlSD_SE_SE_EEEEZNS1_13binary_searchIS3_S5_PfSG_SI_NS1_21upper_bound_search_opENS9_16wrapped_functionINS8_6system6detail7generic6detail18binary_search_lessEbEEEE10hipError_tPvRmT1_T2_T3_mmT4_T5_P12ihipStream_tbEUlRKfE_EEST_SX_SY_mSZ_S12_bEUlT_E_NS1_11comp_targetILNS1_3genE4ELNS1_11target_archE910ELNS1_3gpuE8ELNS1_3repE0EEENS1_30default_config_static_selectorELNS0_4arch9wavefront6targetE1EEEvSW_.num_named_barrier, 0
	.set _ZN7rocprim17ROCPRIM_400000_NS6detail17trampoline_kernelINS0_14default_configENS1_27upper_bound_config_selectorIflEEZNS1_14transform_implILb0ES3_S5_N6thrust23THRUST_200600_302600_NS6detail15normal_iteratorINS8_7pointerIfNS8_11hip_rocprim5par_tENS8_11use_defaultESE_EEEENSA_INSB_IlSD_SE_SE_EEEEZNS1_13binary_searchIS3_S5_PfSG_SI_NS1_21upper_bound_search_opENS9_16wrapped_functionINS8_6system6detail7generic6detail18binary_search_lessEbEEEE10hipError_tPvRmT1_T2_T3_mmT4_T5_P12ihipStream_tbEUlRKfE_EEST_SX_SY_mSZ_S12_bEUlT_E_NS1_11comp_targetILNS1_3genE4ELNS1_11target_archE910ELNS1_3gpuE8ELNS1_3repE0EEENS1_30default_config_static_selectorELNS0_4arch9wavefront6targetE1EEEvSW_.private_seg_size, 0
	.set _ZN7rocprim17ROCPRIM_400000_NS6detail17trampoline_kernelINS0_14default_configENS1_27upper_bound_config_selectorIflEEZNS1_14transform_implILb0ES3_S5_N6thrust23THRUST_200600_302600_NS6detail15normal_iteratorINS8_7pointerIfNS8_11hip_rocprim5par_tENS8_11use_defaultESE_EEEENSA_INSB_IlSD_SE_SE_EEEEZNS1_13binary_searchIS3_S5_PfSG_SI_NS1_21upper_bound_search_opENS9_16wrapped_functionINS8_6system6detail7generic6detail18binary_search_lessEbEEEE10hipError_tPvRmT1_T2_T3_mmT4_T5_P12ihipStream_tbEUlRKfE_EEST_SX_SY_mSZ_S12_bEUlT_E_NS1_11comp_targetILNS1_3genE4ELNS1_11target_archE910ELNS1_3gpuE8ELNS1_3repE0EEENS1_30default_config_static_selectorELNS0_4arch9wavefront6targetE1EEEvSW_.uses_vcc, 0
	.set _ZN7rocprim17ROCPRIM_400000_NS6detail17trampoline_kernelINS0_14default_configENS1_27upper_bound_config_selectorIflEEZNS1_14transform_implILb0ES3_S5_N6thrust23THRUST_200600_302600_NS6detail15normal_iteratorINS8_7pointerIfNS8_11hip_rocprim5par_tENS8_11use_defaultESE_EEEENSA_INSB_IlSD_SE_SE_EEEEZNS1_13binary_searchIS3_S5_PfSG_SI_NS1_21upper_bound_search_opENS9_16wrapped_functionINS8_6system6detail7generic6detail18binary_search_lessEbEEEE10hipError_tPvRmT1_T2_T3_mmT4_T5_P12ihipStream_tbEUlRKfE_EEST_SX_SY_mSZ_S12_bEUlT_E_NS1_11comp_targetILNS1_3genE4ELNS1_11target_archE910ELNS1_3gpuE8ELNS1_3repE0EEENS1_30default_config_static_selectorELNS0_4arch9wavefront6targetE1EEEvSW_.uses_flat_scratch, 0
	.set _ZN7rocprim17ROCPRIM_400000_NS6detail17trampoline_kernelINS0_14default_configENS1_27upper_bound_config_selectorIflEEZNS1_14transform_implILb0ES3_S5_N6thrust23THRUST_200600_302600_NS6detail15normal_iteratorINS8_7pointerIfNS8_11hip_rocprim5par_tENS8_11use_defaultESE_EEEENSA_INSB_IlSD_SE_SE_EEEEZNS1_13binary_searchIS3_S5_PfSG_SI_NS1_21upper_bound_search_opENS9_16wrapped_functionINS8_6system6detail7generic6detail18binary_search_lessEbEEEE10hipError_tPvRmT1_T2_T3_mmT4_T5_P12ihipStream_tbEUlRKfE_EEST_SX_SY_mSZ_S12_bEUlT_E_NS1_11comp_targetILNS1_3genE4ELNS1_11target_archE910ELNS1_3gpuE8ELNS1_3repE0EEENS1_30default_config_static_selectorELNS0_4arch9wavefront6targetE1EEEvSW_.has_dyn_sized_stack, 0
	.set _ZN7rocprim17ROCPRIM_400000_NS6detail17trampoline_kernelINS0_14default_configENS1_27upper_bound_config_selectorIflEEZNS1_14transform_implILb0ES3_S5_N6thrust23THRUST_200600_302600_NS6detail15normal_iteratorINS8_7pointerIfNS8_11hip_rocprim5par_tENS8_11use_defaultESE_EEEENSA_INSB_IlSD_SE_SE_EEEEZNS1_13binary_searchIS3_S5_PfSG_SI_NS1_21upper_bound_search_opENS9_16wrapped_functionINS8_6system6detail7generic6detail18binary_search_lessEbEEEE10hipError_tPvRmT1_T2_T3_mmT4_T5_P12ihipStream_tbEUlRKfE_EEST_SX_SY_mSZ_S12_bEUlT_E_NS1_11comp_targetILNS1_3genE4ELNS1_11target_archE910ELNS1_3gpuE8ELNS1_3repE0EEENS1_30default_config_static_selectorELNS0_4arch9wavefront6targetE1EEEvSW_.has_recursion, 0
	.set _ZN7rocprim17ROCPRIM_400000_NS6detail17trampoline_kernelINS0_14default_configENS1_27upper_bound_config_selectorIflEEZNS1_14transform_implILb0ES3_S5_N6thrust23THRUST_200600_302600_NS6detail15normal_iteratorINS8_7pointerIfNS8_11hip_rocprim5par_tENS8_11use_defaultESE_EEEENSA_INSB_IlSD_SE_SE_EEEEZNS1_13binary_searchIS3_S5_PfSG_SI_NS1_21upper_bound_search_opENS9_16wrapped_functionINS8_6system6detail7generic6detail18binary_search_lessEbEEEE10hipError_tPvRmT1_T2_T3_mmT4_T5_P12ihipStream_tbEUlRKfE_EEST_SX_SY_mSZ_S12_bEUlT_E_NS1_11comp_targetILNS1_3genE4ELNS1_11target_archE910ELNS1_3gpuE8ELNS1_3repE0EEENS1_30default_config_static_selectorELNS0_4arch9wavefront6targetE1EEEvSW_.has_indirect_call, 0
	.section	.AMDGPU.csdata,"",@progbits
; Kernel info:
; codeLenInByte = 0
; TotalNumSgprs: 4
; NumVgprs: 0
; ScratchSize: 0
; MemoryBound: 0
; FloatMode: 240
; IeeeMode: 1
; LDSByteSize: 0 bytes/workgroup (compile time only)
; SGPRBlocks: 0
; VGPRBlocks: 0
; NumSGPRsForWavesPerEU: 4
; NumVGPRsForWavesPerEU: 1
; Occupancy: 10
; WaveLimiterHint : 0
; COMPUTE_PGM_RSRC2:SCRATCH_EN: 0
; COMPUTE_PGM_RSRC2:USER_SGPR: 6
; COMPUTE_PGM_RSRC2:TRAP_HANDLER: 0
; COMPUTE_PGM_RSRC2:TGID_X_EN: 1
; COMPUTE_PGM_RSRC2:TGID_Y_EN: 0
; COMPUTE_PGM_RSRC2:TGID_Z_EN: 0
; COMPUTE_PGM_RSRC2:TIDIG_COMP_CNT: 0
	.section	.text._ZN7rocprim17ROCPRIM_400000_NS6detail17trampoline_kernelINS0_14default_configENS1_27upper_bound_config_selectorIflEEZNS1_14transform_implILb0ES3_S5_N6thrust23THRUST_200600_302600_NS6detail15normal_iteratorINS8_7pointerIfNS8_11hip_rocprim5par_tENS8_11use_defaultESE_EEEENSA_INSB_IlSD_SE_SE_EEEEZNS1_13binary_searchIS3_S5_PfSG_SI_NS1_21upper_bound_search_opENS9_16wrapped_functionINS8_6system6detail7generic6detail18binary_search_lessEbEEEE10hipError_tPvRmT1_T2_T3_mmT4_T5_P12ihipStream_tbEUlRKfE_EEST_SX_SY_mSZ_S12_bEUlT_E_NS1_11comp_targetILNS1_3genE3ELNS1_11target_archE908ELNS1_3gpuE7ELNS1_3repE0EEENS1_30default_config_static_selectorELNS0_4arch9wavefront6targetE1EEEvSW_,"axG",@progbits,_ZN7rocprim17ROCPRIM_400000_NS6detail17trampoline_kernelINS0_14default_configENS1_27upper_bound_config_selectorIflEEZNS1_14transform_implILb0ES3_S5_N6thrust23THRUST_200600_302600_NS6detail15normal_iteratorINS8_7pointerIfNS8_11hip_rocprim5par_tENS8_11use_defaultESE_EEEENSA_INSB_IlSD_SE_SE_EEEEZNS1_13binary_searchIS3_S5_PfSG_SI_NS1_21upper_bound_search_opENS9_16wrapped_functionINS8_6system6detail7generic6detail18binary_search_lessEbEEEE10hipError_tPvRmT1_T2_T3_mmT4_T5_P12ihipStream_tbEUlRKfE_EEST_SX_SY_mSZ_S12_bEUlT_E_NS1_11comp_targetILNS1_3genE3ELNS1_11target_archE908ELNS1_3gpuE7ELNS1_3repE0EEENS1_30default_config_static_selectorELNS0_4arch9wavefront6targetE1EEEvSW_,comdat
	.protected	_ZN7rocprim17ROCPRIM_400000_NS6detail17trampoline_kernelINS0_14default_configENS1_27upper_bound_config_selectorIflEEZNS1_14transform_implILb0ES3_S5_N6thrust23THRUST_200600_302600_NS6detail15normal_iteratorINS8_7pointerIfNS8_11hip_rocprim5par_tENS8_11use_defaultESE_EEEENSA_INSB_IlSD_SE_SE_EEEEZNS1_13binary_searchIS3_S5_PfSG_SI_NS1_21upper_bound_search_opENS9_16wrapped_functionINS8_6system6detail7generic6detail18binary_search_lessEbEEEE10hipError_tPvRmT1_T2_T3_mmT4_T5_P12ihipStream_tbEUlRKfE_EEST_SX_SY_mSZ_S12_bEUlT_E_NS1_11comp_targetILNS1_3genE3ELNS1_11target_archE908ELNS1_3gpuE7ELNS1_3repE0EEENS1_30default_config_static_selectorELNS0_4arch9wavefront6targetE1EEEvSW_ ; -- Begin function _ZN7rocprim17ROCPRIM_400000_NS6detail17trampoline_kernelINS0_14default_configENS1_27upper_bound_config_selectorIflEEZNS1_14transform_implILb0ES3_S5_N6thrust23THRUST_200600_302600_NS6detail15normal_iteratorINS8_7pointerIfNS8_11hip_rocprim5par_tENS8_11use_defaultESE_EEEENSA_INSB_IlSD_SE_SE_EEEEZNS1_13binary_searchIS3_S5_PfSG_SI_NS1_21upper_bound_search_opENS9_16wrapped_functionINS8_6system6detail7generic6detail18binary_search_lessEbEEEE10hipError_tPvRmT1_T2_T3_mmT4_T5_P12ihipStream_tbEUlRKfE_EEST_SX_SY_mSZ_S12_bEUlT_E_NS1_11comp_targetILNS1_3genE3ELNS1_11target_archE908ELNS1_3gpuE7ELNS1_3repE0EEENS1_30default_config_static_selectorELNS0_4arch9wavefront6targetE1EEEvSW_
	.globl	_ZN7rocprim17ROCPRIM_400000_NS6detail17trampoline_kernelINS0_14default_configENS1_27upper_bound_config_selectorIflEEZNS1_14transform_implILb0ES3_S5_N6thrust23THRUST_200600_302600_NS6detail15normal_iteratorINS8_7pointerIfNS8_11hip_rocprim5par_tENS8_11use_defaultESE_EEEENSA_INSB_IlSD_SE_SE_EEEEZNS1_13binary_searchIS3_S5_PfSG_SI_NS1_21upper_bound_search_opENS9_16wrapped_functionINS8_6system6detail7generic6detail18binary_search_lessEbEEEE10hipError_tPvRmT1_T2_T3_mmT4_T5_P12ihipStream_tbEUlRKfE_EEST_SX_SY_mSZ_S12_bEUlT_E_NS1_11comp_targetILNS1_3genE3ELNS1_11target_archE908ELNS1_3gpuE7ELNS1_3repE0EEENS1_30default_config_static_selectorELNS0_4arch9wavefront6targetE1EEEvSW_
	.p2align	8
	.type	_ZN7rocprim17ROCPRIM_400000_NS6detail17trampoline_kernelINS0_14default_configENS1_27upper_bound_config_selectorIflEEZNS1_14transform_implILb0ES3_S5_N6thrust23THRUST_200600_302600_NS6detail15normal_iteratorINS8_7pointerIfNS8_11hip_rocprim5par_tENS8_11use_defaultESE_EEEENSA_INSB_IlSD_SE_SE_EEEEZNS1_13binary_searchIS3_S5_PfSG_SI_NS1_21upper_bound_search_opENS9_16wrapped_functionINS8_6system6detail7generic6detail18binary_search_lessEbEEEE10hipError_tPvRmT1_T2_T3_mmT4_T5_P12ihipStream_tbEUlRKfE_EEST_SX_SY_mSZ_S12_bEUlT_E_NS1_11comp_targetILNS1_3genE3ELNS1_11target_archE908ELNS1_3gpuE7ELNS1_3repE0EEENS1_30default_config_static_selectorELNS0_4arch9wavefront6targetE1EEEvSW_,@function
_ZN7rocprim17ROCPRIM_400000_NS6detail17trampoline_kernelINS0_14default_configENS1_27upper_bound_config_selectorIflEEZNS1_14transform_implILb0ES3_S5_N6thrust23THRUST_200600_302600_NS6detail15normal_iteratorINS8_7pointerIfNS8_11hip_rocprim5par_tENS8_11use_defaultESE_EEEENSA_INSB_IlSD_SE_SE_EEEEZNS1_13binary_searchIS3_S5_PfSG_SI_NS1_21upper_bound_search_opENS9_16wrapped_functionINS8_6system6detail7generic6detail18binary_search_lessEbEEEE10hipError_tPvRmT1_T2_T3_mmT4_T5_P12ihipStream_tbEUlRKfE_EEST_SX_SY_mSZ_S12_bEUlT_E_NS1_11comp_targetILNS1_3genE3ELNS1_11target_archE908ELNS1_3gpuE7ELNS1_3repE0EEENS1_30default_config_static_selectorELNS0_4arch9wavefront6targetE1EEEvSW_: ; @_ZN7rocprim17ROCPRIM_400000_NS6detail17trampoline_kernelINS0_14default_configENS1_27upper_bound_config_selectorIflEEZNS1_14transform_implILb0ES3_S5_N6thrust23THRUST_200600_302600_NS6detail15normal_iteratorINS8_7pointerIfNS8_11hip_rocprim5par_tENS8_11use_defaultESE_EEEENSA_INSB_IlSD_SE_SE_EEEEZNS1_13binary_searchIS3_S5_PfSG_SI_NS1_21upper_bound_search_opENS9_16wrapped_functionINS8_6system6detail7generic6detail18binary_search_lessEbEEEE10hipError_tPvRmT1_T2_T3_mmT4_T5_P12ihipStream_tbEUlRKfE_EEST_SX_SY_mSZ_S12_bEUlT_E_NS1_11comp_targetILNS1_3genE3ELNS1_11target_archE908ELNS1_3gpuE7ELNS1_3repE0EEENS1_30default_config_static_selectorELNS0_4arch9wavefront6targetE1EEEvSW_
; %bb.0:
	.section	.rodata,"a",@progbits
	.p2align	6, 0x0
	.amdhsa_kernel _ZN7rocprim17ROCPRIM_400000_NS6detail17trampoline_kernelINS0_14default_configENS1_27upper_bound_config_selectorIflEEZNS1_14transform_implILb0ES3_S5_N6thrust23THRUST_200600_302600_NS6detail15normal_iteratorINS8_7pointerIfNS8_11hip_rocprim5par_tENS8_11use_defaultESE_EEEENSA_INSB_IlSD_SE_SE_EEEEZNS1_13binary_searchIS3_S5_PfSG_SI_NS1_21upper_bound_search_opENS9_16wrapped_functionINS8_6system6detail7generic6detail18binary_search_lessEbEEEE10hipError_tPvRmT1_T2_T3_mmT4_T5_P12ihipStream_tbEUlRKfE_EEST_SX_SY_mSZ_S12_bEUlT_E_NS1_11comp_targetILNS1_3genE3ELNS1_11target_archE908ELNS1_3gpuE7ELNS1_3repE0EEENS1_30default_config_static_selectorELNS0_4arch9wavefront6targetE1EEEvSW_
		.amdhsa_group_segment_fixed_size 0
		.amdhsa_private_segment_fixed_size 0
		.amdhsa_kernarg_size 56
		.amdhsa_user_sgpr_count 6
		.amdhsa_user_sgpr_private_segment_buffer 1
		.amdhsa_user_sgpr_dispatch_ptr 0
		.amdhsa_user_sgpr_queue_ptr 0
		.amdhsa_user_sgpr_kernarg_segment_ptr 1
		.amdhsa_user_sgpr_dispatch_id 0
		.amdhsa_user_sgpr_flat_scratch_init 0
		.amdhsa_user_sgpr_private_segment_size 0
		.amdhsa_uses_dynamic_stack 0
		.amdhsa_system_sgpr_private_segment_wavefront_offset 0
		.amdhsa_system_sgpr_workgroup_id_x 1
		.amdhsa_system_sgpr_workgroup_id_y 0
		.amdhsa_system_sgpr_workgroup_id_z 0
		.amdhsa_system_sgpr_workgroup_info 0
		.amdhsa_system_vgpr_workitem_id 0
		.amdhsa_next_free_vgpr 1
		.amdhsa_next_free_sgpr 0
		.amdhsa_reserve_vcc 0
		.amdhsa_reserve_flat_scratch 0
		.amdhsa_float_round_mode_32 0
		.amdhsa_float_round_mode_16_64 0
		.amdhsa_float_denorm_mode_32 3
		.amdhsa_float_denorm_mode_16_64 3
		.amdhsa_dx10_clamp 1
		.amdhsa_ieee_mode 1
		.amdhsa_fp16_overflow 0
		.amdhsa_exception_fp_ieee_invalid_op 0
		.amdhsa_exception_fp_denorm_src 0
		.amdhsa_exception_fp_ieee_div_zero 0
		.amdhsa_exception_fp_ieee_overflow 0
		.amdhsa_exception_fp_ieee_underflow 0
		.amdhsa_exception_fp_ieee_inexact 0
		.amdhsa_exception_int_div_zero 0
	.end_amdhsa_kernel
	.section	.text._ZN7rocprim17ROCPRIM_400000_NS6detail17trampoline_kernelINS0_14default_configENS1_27upper_bound_config_selectorIflEEZNS1_14transform_implILb0ES3_S5_N6thrust23THRUST_200600_302600_NS6detail15normal_iteratorINS8_7pointerIfNS8_11hip_rocprim5par_tENS8_11use_defaultESE_EEEENSA_INSB_IlSD_SE_SE_EEEEZNS1_13binary_searchIS3_S5_PfSG_SI_NS1_21upper_bound_search_opENS9_16wrapped_functionINS8_6system6detail7generic6detail18binary_search_lessEbEEEE10hipError_tPvRmT1_T2_T3_mmT4_T5_P12ihipStream_tbEUlRKfE_EEST_SX_SY_mSZ_S12_bEUlT_E_NS1_11comp_targetILNS1_3genE3ELNS1_11target_archE908ELNS1_3gpuE7ELNS1_3repE0EEENS1_30default_config_static_selectorELNS0_4arch9wavefront6targetE1EEEvSW_,"axG",@progbits,_ZN7rocprim17ROCPRIM_400000_NS6detail17trampoline_kernelINS0_14default_configENS1_27upper_bound_config_selectorIflEEZNS1_14transform_implILb0ES3_S5_N6thrust23THRUST_200600_302600_NS6detail15normal_iteratorINS8_7pointerIfNS8_11hip_rocprim5par_tENS8_11use_defaultESE_EEEENSA_INSB_IlSD_SE_SE_EEEEZNS1_13binary_searchIS3_S5_PfSG_SI_NS1_21upper_bound_search_opENS9_16wrapped_functionINS8_6system6detail7generic6detail18binary_search_lessEbEEEE10hipError_tPvRmT1_T2_T3_mmT4_T5_P12ihipStream_tbEUlRKfE_EEST_SX_SY_mSZ_S12_bEUlT_E_NS1_11comp_targetILNS1_3genE3ELNS1_11target_archE908ELNS1_3gpuE7ELNS1_3repE0EEENS1_30default_config_static_selectorELNS0_4arch9wavefront6targetE1EEEvSW_,comdat
.Lfunc_end175:
	.size	_ZN7rocprim17ROCPRIM_400000_NS6detail17trampoline_kernelINS0_14default_configENS1_27upper_bound_config_selectorIflEEZNS1_14transform_implILb0ES3_S5_N6thrust23THRUST_200600_302600_NS6detail15normal_iteratorINS8_7pointerIfNS8_11hip_rocprim5par_tENS8_11use_defaultESE_EEEENSA_INSB_IlSD_SE_SE_EEEEZNS1_13binary_searchIS3_S5_PfSG_SI_NS1_21upper_bound_search_opENS9_16wrapped_functionINS8_6system6detail7generic6detail18binary_search_lessEbEEEE10hipError_tPvRmT1_T2_T3_mmT4_T5_P12ihipStream_tbEUlRKfE_EEST_SX_SY_mSZ_S12_bEUlT_E_NS1_11comp_targetILNS1_3genE3ELNS1_11target_archE908ELNS1_3gpuE7ELNS1_3repE0EEENS1_30default_config_static_selectorELNS0_4arch9wavefront6targetE1EEEvSW_, .Lfunc_end175-_ZN7rocprim17ROCPRIM_400000_NS6detail17trampoline_kernelINS0_14default_configENS1_27upper_bound_config_selectorIflEEZNS1_14transform_implILb0ES3_S5_N6thrust23THRUST_200600_302600_NS6detail15normal_iteratorINS8_7pointerIfNS8_11hip_rocprim5par_tENS8_11use_defaultESE_EEEENSA_INSB_IlSD_SE_SE_EEEEZNS1_13binary_searchIS3_S5_PfSG_SI_NS1_21upper_bound_search_opENS9_16wrapped_functionINS8_6system6detail7generic6detail18binary_search_lessEbEEEE10hipError_tPvRmT1_T2_T3_mmT4_T5_P12ihipStream_tbEUlRKfE_EEST_SX_SY_mSZ_S12_bEUlT_E_NS1_11comp_targetILNS1_3genE3ELNS1_11target_archE908ELNS1_3gpuE7ELNS1_3repE0EEENS1_30default_config_static_selectorELNS0_4arch9wavefront6targetE1EEEvSW_
                                        ; -- End function
	.set _ZN7rocprim17ROCPRIM_400000_NS6detail17trampoline_kernelINS0_14default_configENS1_27upper_bound_config_selectorIflEEZNS1_14transform_implILb0ES3_S5_N6thrust23THRUST_200600_302600_NS6detail15normal_iteratorINS8_7pointerIfNS8_11hip_rocprim5par_tENS8_11use_defaultESE_EEEENSA_INSB_IlSD_SE_SE_EEEEZNS1_13binary_searchIS3_S5_PfSG_SI_NS1_21upper_bound_search_opENS9_16wrapped_functionINS8_6system6detail7generic6detail18binary_search_lessEbEEEE10hipError_tPvRmT1_T2_T3_mmT4_T5_P12ihipStream_tbEUlRKfE_EEST_SX_SY_mSZ_S12_bEUlT_E_NS1_11comp_targetILNS1_3genE3ELNS1_11target_archE908ELNS1_3gpuE7ELNS1_3repE0EEENS1_30default_config_static_selectorELNS0_4arch9wavefront6targetE1EEEvSW_.num_vgpr, 0
	.set _ZN7rocprim17ROCPRIM_400000_NS6detail17trampoline_kernelINS0_14default_configENS1_27upper_bound_config_selectorIflEEZNS1_14transform_implILb0ES3_S5_N6thrust23THRUST_200600_302600_NS6detail15normal_iteratorINS8_7pointerIfNS8_11hip_rocprim5par_tENS8_11use_defaultESE_EEEENSA_INSB_IlSD_SE_SE_EEEEZNS1_13binary_searchIS3_S5_PfSG_SI_NS1_21upper_bound_search_opENS9_16wrapped_functionINS8_6system6detail7generic6detail18binary_search_lessEbEEEE10hipError_tPvRmT1_T2_T3_mmT4_T5_P12ihipStream_tbEUlRKfE_EEST_SX_SY_mSZ_S12_bEUlT_E_NS1_11comp_targetILNS1_3genE3ELNS1_11target_archE908ELNS1_3gpuE7ELNS1_3repE0EEENS1_30default_config_static_selectorELNS0_4arch9wavefront6targetE1EEEvSW_.num_agpr, 0
	.set _ZN7rocprim17ROCPRIM_400000_NS6detail17trampoline_kernelINS0_14default_configENS1_27upper_bound_config_selectorIflEEZNS1_14transform_implILb0ES3_S5_N6thrust23THRUST_200600_302600_NS6detail15normal_iteratorINS8_7pointerIfNS8_11hip_rocprim5par_tENS8_11use_defaultESE_EEEENSA_INSB_IlSD_SE_SE_EEEEZNS1_13binary_searchIS3_S5_PfSG_SI_NS1_21upper_bound_search_opENS9_16wrapped_functionINS8_6system6detail7generic6detail18binary_search_lessEbEEEE10hipError_tPvRmT1_T2_T3_mmT4_T5_P12ihipStream_tbEUlRKfE_EEST_SX_SY_mSZ_S12_bEUlT_E_NS1_11comp_targetILNS1_3genE3ELNS1_11target_archE908ELNS1_3gpuE7ELNS1_3repE0EEENS1_30default_config_static_selectorELNS0_4arch9wavefront6targetE1EEEvSW_.numbered_sgpr, 0
	.set _ZN7rocprim17ROCPRIM_400000_NS6detail17trampoline_kernelINS0_14default_configENS1_27upper_bound_config_selectorIflEEZNS1_14transform_implILb0ES3_S5_N6thrust23THRUST_200600_302600_NS6detail15normal_iteratorINS8_7pointerIfNS8_11hip_rocprim5par_tENS8_11use_defaultESE_EEEENSA_INSB_IlSD_SE_SE_EEEEZNS1_13binary_searchIS3_S5_PfSG_SI_NS1_21upper_bound_search_opENS9_16wrapped_functionINS8_6system6detail7generic6detail18binary_search_lessEbEEEE10hipError_tPvRmT1_T2_T3_mmT4_T5_P12ihipStream_tbEUlRKfE_EEST_SX_SY_mSZ_S12_bEUlT_E_NS1_11comp_targetILNS1_3genE3ELNS1_11target_archE908ELNS1_3gpuE7ELNS1_3repE0EEENS1_30default_config_static_selectorELNS0_4arch9wavefront6targetE1EEEvSW_.num_named_barrier, 0
	.set _ZN7rocprim17ROCPRIM_400000_NS6detail17trampoline_kernelINS0_14default_configENS1_27upper_bound_config_selectorIflEEZNS1_14transform_implILb0ES3_S5_N6thrust23THRUST_200600_302600_NS6detail15normal_iteratorINS8_7pointerIfNS8_11hip_rocprim5par_tENS8_11use_defaultESE_EEEENSA_INSB_IlSD_SE_SE_EEEEZNS1_13binary_searchIS3_S5_PfSG_SI_NS1_21upper_bound_search_opENS9_16wrapped_functionINS8_6system6detail7generic6detail18binary_search_lessEbEEEE10hipError_tPvRmT1_T2_T3_mmT4_T5_P12ihipStream_tbEUlRKfE_EEST_SX_SY_mSZ_S12_bEUlT_E_NS1_11comp_targetILNS1_3genE3ELNS1_11target_archE908ELNS1_3gpuE7ELNS1_3repE0EEENS1_30default_config_static_selectorELNS0_4arch9wavefront6targetE1EEEvSW_.private_seg_size, 0
	.set _ZN7rocprim17ROCPRIM_400000_NS6detail17trampoline_kernelINS0_14default_configENS1_27upper_bound_config_selectorIflEEZNS1_14transform_implILb0ES3_S5_N6thrust23THRUST_200600_302600_NS6detail15normal_iteratorINS8_7pointerIfNS8_11hip_rocprim5par_tENS8_11use_defaultESE_EEEENSA_INSB_IlSD_SE_SE_EEEEZNS1_13binary_searchIS3_S5_PfSG_SI_NS1_21upper_bound_search_opENS9_16wrapped_functionINS8_6system6detail7generic6detail18binary_search_lessEbEEEE10hipError_tPvRmT1_T2_T3_mmT4_T5_P12ihipStream_tbEUlRKfE_EEST_SX_SY_mSZ_S12_bEUlT_E_NS1_11comp_targetILNS1_3genE3ELNS1_11target_archE908ELNS1_3gpuE7ELNS1_3repE0EEENS1_30default_config_static_selectorELNS0_4arch9wavefront6targetE1EEEvSW_.uses_vcc, 0
	.set _ZN7rocprim17ROCPRIM_400000_NS6detail17trampoline_kernelINS0_14default_configENS1_27upper_bound_config_selectorIflEEZNS1_14transform_implILb0ES3_S5_N6thrust23THRUST_200600_302600_NS6detail15normal_iteratorINS8_7pointerIfNS8_11hip_rocprim5par_tENS8_11use_defaultESE_EEEENSA_INSB_IlSD_SE_SE_EEEEZNS1_13binary_searchIS3_S5_PfSG_SI_NS1_21upper_bound_search_opENS9_16wrapped_functionINS8_6system6detail7generic6detail18binary_search_lessEbEEEE10hipError_tPvRmT1_T2_T3_mmT4_T5_P12ihipStream_tbEUlRKfE_EEST_SX_SY_mSZ_S12_bEUlT_E_NS1_11comp_targetILNS1_3genE3ELNS1_11target_archE908ELNS1_3gpuE7ELNS1_3repE0EEENS1_30default_config_static_selectorELNS0_4arch9wavefront6targetE1EEEvSW_.uses_flat_scratch, 0
	.set _ZN7rocprim17ROCPRIM_400000_NS6detail17trampoline_kernelINS0_14default_configENS1_27upper_bound_config_selectorIflEEZNS1_14transform_implILb0ES3_S5_N6thrust23THRUST_200600_302600_NS6detail15normal_iteratorINS8_7pointerIfNS8_11hip_rocprim5par_tENS8_11use_defaultESE_EEEENSA_INSB_IlSD_SE_SE_EEEEZNS1_13binary_searchIS3_S5_PfSG_SI_NS1_21upper_bound_search_opENS9_16wrapped_functionINS8_6system6detail7generic6detail18binary_search_lessEbEEEE10hipError_tPvRmT1_T2_T3_mmT4_T5_P12ihipStream_tbEUlRKfE_EEST_SX_SY_mSZ_S12_bEUlT_E_NS1_11comp_targetILNS1_3genE3ELNS1_11target_archE908ELNS1_3gpuE7ELNS1_3repE0EEENS1_30default_config_static_selectorELNS0_4arch9wavefront6targetE1EEEvSW_.has_dyn_sized_stack, 0
	.set _ZN7rocprim17ROCPRIM_400000_NS6detail17trampoline_kernelINS0_14default_configENS1_27upper_bound_config_selectorIflEEZNS1_14transform_implILb0ES3_S5_N6thrust23THRUST_200600_302600_NS6detail15normal_iteratorINS8_7pointerIfNS8_11hip_rocprim5par_tENS8_11use_defaultESE_EEEENSA_INSB_IlSD_SE_SE_EEEEZNS1_13binary_searchIS3_S5_PfSG_SI_NS1_21upper_bound_search_opENS9_16wrapped_functionINS8_6system6detail7generic6detail18binary_search_lessEbEEEE10hipError_tPvRmT1_T2_T3_mmT4_T5_P12ihipStream_tbEUlRKfE_EEST_SX_SY_mSZ_S12_bEUlT_E_NS1_11comp_targetILNS1_3genE3ELNS1_11target_archE908ELNS1_3gpuE7ELNS1_3repE0EEENS1_30default_config_static_selectorELNS0_4arch9wavefront6targetE1EEEvSW_.has_recursion, 0
	.set _ZN7rocprim17ROCPRIM_400000_NS6detail17trampoline_kernelINS0_14default_configENS1_27upper_bound_config_selectorIflEEZNS1_14transform_implILb0ES3_S5_N6thrust23THRUST_200600_302600_NS6detail15normal_iteratorINS8_7pointerIfNS8_11hip_rocprim5par_tENS8_11use_defaultESE_EEEENSA_INSB_IlSD_SE_SE_EEEEZNS1_13binary_searchIS3_S5_PfSG_SI_NS1_21upper_bound_search_opENS9_16wrapped_functionINS8_6system6detail7generic6detail18binary_search_lessEbEEEE10hipError_tPvRmT1_T2_T3_mmT4_T5_P12ihipStream_tbEUlRKfE_EEST_SX_SY_mSZ_S12_bEUlT_E_NS1_11comp_targetILNS1_3genE3ELNS1_11target_archE908ELNS1_3gpuE7ELNS1_3repE0EEENS1_30default_config_static_selectorELNS0_4arch9wavefront6targetE1EEEvSW_.has_indirect_call, 0
	.section	.AMDGPU.csdata,"",@progbits
; Kernel info:
; codeLenInByte = 0
; TotalNumSgprs: 4
; NumVgprs: 0
; ScratchSize: 0
; MemoryBound: 0
; FloatMode: 240
; IeeeMode: 1
; LDSByteSize: 0 bytes/workgroup (compile time only)
; SGPRBlocks: 0
; VGPRBlocks: 0
; NumSGPRsForWavesPerEU: 4
; NumVGPRsForWavesPerEU: 1
; Occupancy: 10
; WaveLimiterHint : 0
; COMPUTE_PGM_RSRC2:SCRATCH_EN: 0
; COMPUTE_PGM_RSRC2:USER_SGPR: 6
; COMPUTE_PGM_RSRC2:TRAP_HANDLER: 0
; COMPUTE_PGM_RSRC2:TGID_X_EN: 1
; COMPUTE_PGM_RSRC2:TGID_Y_EN: 0
; COMPUTE_PGM_RSRC2:TGID_Z_EN: 0
; COMPUTE_PGM_RSRC2:TIDIG_COMP_CNT: 0
	.section	.text._ZN7rocprim17ROCPRIM_400000_NS6detail17trampoline_kernelINS0_14default_configENS1_27upper_bound_config_selectorIflEEZNS1_14transform_implILb0ES3_S5_N6thrust23THRUST_200600_302600_NS6detail15normal_iteratorINS8_7pointerIfNS8_11hip_rocprim5par_tENS8_11use_defaultESE_EEEENSA_INSB_IlSD_SE_SE_EEEEZNS1_13binary_searchIS3_S5_PfSG_SI_NS1_21upper_bound_search_opENS9_16wrapped_functionINS8_6system6detail7generic6detail18binary_search_lessEbEEEE10hipError_tPvRmT1_T2_T3_mmT4_T5_P12ihipStream_tbEUlRKfE_EEST_SX_SY_mSZ_S12_bEUlT_E_NS1_11comp_targetILNS1_3genE2ELNS1_11target_archE906ELNS1_3gpuE6ELNS1_3repE0EEENS1_30default_config_static_selectorELNS0_4arch9wavefront6targetE1EEEvSW_,"axG",@progbits,_ZN7rocprim17ROCPRIM_400000_NS6detail17trampoline_kernelINS0_14default_configENS1_27upper_bound_config_selectorIflEEZNS1_14transform_implILb0ES3_S5_N6thrust23THRUST_200600_302600_NS6detail15normal_iteratorINS8_7pointerIfNS8_11hip_rocprim5par_tENS8_11use_defaultESE_EEEENSA_INSB_IlSD_SE_SE_EEEEZNS1_13binary_searchIS3_S5_PfSG_SI_NS1_21upper_bound_search_opENS9_16wrapped_functionINS8_6system6detail7generic6detail18binary_search_lessEbEEEE10hipError_tPvRmT1_T2_T3_mmT4_T5_P12ihipStream_tbEUlRKfE_EEST_SX_SY_mSZ_S12_bEUlT_E_NS1_11comp_targetILNS1_3genE2ELNS1_11target_archE906ELNS1_3gpuE6ELNS1_3repE0EEENS1_30default_config_static_selectorELNS0_4arch9wavefront6targetE1EEEvSW_,comdat
	.protected	_ZN7rocprim17ROCPRIM_400000_NS6detail17trampoline_kernelINS0_14default_configENS1_27upper_bound_config_selectorIflEEZNS1_14transform_implILb0ES3_S5_N6thrust23THRUST_200600_302600_NS6detail15normal_iteratorINS8_7pointerIfNS8_11hip_rocprim5par_tENS8_11use_defaultESE_EEEENSA_INSB_IlSD_SE_SE_EEEEZNS1_13binary_searchIS3_S5_PfSG_SI_NS1_21upper_bound_search_opENS9_16wrapped_functionINS8_6system6detail7generic6detail18binary_search_lessEbEEEE10hipError_tPvRmT1_T2_T3_mmT4_T5_P12ihipStream_tbEUlRKfE_EEST_SX_SY_mSZ_S12_bEUlT_E_NS1_11comp_targetILNS1_3genE2ELNS1_11target_archE906ELNS1_3gpuE6ELNS1_3repE0EEENS1_30default_config_static_selectorELNS0_4arch9wavefront6targetE1EEEvSW_ ; -- Begin function _ZN7rocprim17ROCPRIM_400000_NS6detail17trampoline_kernelINS0_14default_configENS1_27upper_bound_config_selectorIflEEZNS1_14transform_implILb0ES3_S5_N6thrust23THRUST_200600_302600_NS6detail15normal_iteratorINS8_7pointerIfNS8_11hip_rocprim5par_tENS8_11use_defaultESE_EEEENSA_INSB_IlSD_SE_SE_EEEEZNS1_13binary_searchIS3_S5_PfSG_SI_NS1_21upper_bound_search_opENS9_16wrapped_functionINS8_6system6detail7generic6detail18binary_search_lessEbEEEE10hipError_tPvRmT1_T2_T3_mmT4_T5_P12ihipStream_tbEUlRKfE_EEST_SX_SY_mSZ_S12_bEUlT_E_NS1_11comp_targetILNS1_3genE2ELNS1_11target_archE906ELNS1_3gpuE6ELNS1_3repE0EEENS1_30default_config_static_selectorELNS0_4arch9wavefront6targetE1EEEvSW_
	.globl	_ZN7rocprim17ROCPRIM_400000_NS6detail17trampoline_kernelINS0_14default_configENS1_27upper_bound_config_selectorIflEEZNS1_14transform_implILb0ES3_S5_N6thrust23THRUST_200600_302600_NS6detail15normal_iteratorINS8_7pointerIfNS8_11hip_rocprim5par_tENS8_11use_defaultESE_EEEENSA_INSB_IlSD_SE_SE_EEEEZNS1_13binary_searchIS3_S5_PfSG_SI_NS1_21upper_bound_search_opENS9_16wrapped_functionINS8_6system6detail7generic6detail18binary_search_lessEbEEEE10hipError_tPvRmT1_T2_T3_mmT4_T5_P12ihipStream_tbEUlRKfE_EEST_SX_SY_mSZ_S12_bEUlT_E_NS1_11comp_targetILNS1_3genE2ELNS1_11target_archE906ELNS1_3gpuE6ELNS1_3repE0EEENS1_30default_config_static_selectorELNS0_4arch9wavefront6targetE1EEEvSW_
	.p2align	8
	.type	_ZN7rocprim17ROCPRIM_400000_NS6detail17trampoline_kernelINS0_14default_configENS1_27upper_bound_config_selectorIflEEZNS1_14transform_implILb0ES3_S5_N6thrust23THRUST_200600_302600_NS6detail15normal_iteratorINS8_7pointerIfNS8_11hip_rocprim5par_tENS8_11use_defaultESE_EEEENSA_INSB_IlSD_SE_SE_EEEEZNS1_13binary_searchIS3_S5_PfSG_SI_NS1_21upper_bound_search_opENS9_16wrapped_functionINS8_6system6detail7generic6detail18binary_search_lessEbEEEE10hipError_tPvRmT1_T2_T3_mmT4_T5_P12ihipStream_tbEUlRKfE_EEST_SX_SY_mSZ_S12_bEUlT_E_NS1_11comp_targetILNS1_3genE2ELNS1_11target_archE906ELNS1_3gpuE6ELNS1_3repE0EEENS1_30default_config_static_selectorELNS0_4arch9wavefront6targetE1EEEvSW_,@function
_ZN7rocprim17ROCPRIM_400000_NS6detail17trampoline_kernelINS0_14default_configENS1_27upper_bound_config_selectorIflEEZNS1_14transform_implILb0ES3_S5_N6thrust23THRUST_200600_302600_NS6detail15normal_iteratorINS8_7pointerIfNS8_11hip_rocprim5par_tENS8_11use_defaultESE_EEEENSA_INSB_IlSD_SE_SE_EEEEZNS1_13binary_searchIS3_S5_PfSG_SI_NS1_21upper_bound_search_opENS9_16wrapped_functionINS8_6system6detail7generic6detail18binary_search_lessEbEEEE10hipError_tPvRmT1_T2_T3_mmT4_T5_P12ihipStream_tbEUlRKfE_EEST_SX_SY_mSZ_S12_bEUlT_E_NS1_11comp_targetILNS1_3genE2ELNS1_11target_archE906ELNS1_3gpuE6ELNS1_3repE0EEENS1_30default_config_static_selectorELNS0_4arch9wavefront6targetE1EEEvSW_: ; @_ZN7rocprim17ROCPRIM_400000_NS6detail17trampoline_kernelINS0_14default_configENS1_27upper_bound_config_selectorIflEEZNS1_14transform_implILb0ES3_S5_N6thrust23THRUST_200600_302600_NS6detail15normal_iteratorINS8_7pointerIfNS8_11hip_rocprim5par_tENS8_11use_defaultESE_EEEENSA_INSB_IlSD_SE_SE_EEEEZNS1_13binary_searchIS3_S5_PfSG_SI_NS1_21upper_bound_search_opENS9_16wrapped_functionINS8_6system6detail7generic6detail18binary_search_lessEbEEEE10hipError_tPvRmT1_T2_T3_mmT4_T5_P12ihipStream_tbEUlRKfE_EEST_SX_SY_mSZ_S12_bEUlT_E_NS1_11comp_targetILNS1_3genE2ELNS1_11target_archE906ELNS1_3gpuE6ELNS1_3repE0EEENS1_30default_config_static_selectorELNS0_4arch9wavefront6targetE1EEEvSW_
; %bb.0:
	s_load_dwordx4 s[16:19], s[4:5], 0x0
	s_load_dwordx4 s[8:11], s[4:5], 0x18
	s_load_dwordx2 s[12:13], s[4:5], 0x28
	s_load_dword s15, s[4:5], 0x38
	s_waitcnt lgkmcnt(0)
	s_lshl_b64 s[0:1], s[18:19], 2
	s_add_u32 s2, s16, s0
	s_addc_u32 s3, s17, s1
	s_lshl_b64 s[0:1], s[18:19], 3
	s_add_u32 s7, s8, s0
	s_addc_u32 s14, s9, s1
	s_lshl_b32 s8, s6, 8
	s_add_i32 s15, s15, -1
	s_mov_b32 s9, 0
	s_cmp_lg_u32 s6, s15
	s_mov_b64 s[0:1], -1
	s_cbranch_scc0 .LBB176_7
; %bb.1:
	s_cmp_eq_u64 s[12:13], 0
	s_mov_b64 s[0:1], 0
	s_cbranch_scc1 .LBB176_5
; %bb.2:
	s_lshl_b64 s[16:17], s[8:9], 2
	s_add_u32 s6, s2, s16
	s_addc_u32 s15, s3, s17
	v_lshlrev_b32_e32 v1, 2, v0
	v_mov_b32_e32 v2, s15
	v_add_co_u32_e32 v1, vcc, s6, v1
	v_addc_co_u32_e32 v2, vcc, 0, v2, vcc
	flat_load_dword v5, v[1:2]
	v_mov_b32_e32 v1, 0
	v_mov_b32_e32 v3, s12
	;; [unrolled: 1-line block ×5, first 2 shown]
.LBB176_3:                              ; =>This Inner Loop Header: Depth=1
	v_sub_co_u32_e32 v7, vcc, v3, v1
	v_subb_co_u32_e32 v8, vcc, v4, v2, vcc
	v_lshrrev_b64 v[9:10], 1, v[7:8]
	v_lshrrev_b64 v[7:8], 6, v[7:8]
	v_add_co_u32_e32 v9, vcc, v9, v1
	v_addc_co_u32_e32 v10, vcc, v10, v2, vcc
	v_add_co_u32_e32 v7, vcc, v9, v7
	v_addc_co_u32_e32 v8, vcc, v10, v8, vcc
	v_lshlrev_b64 v[9:10], 2, v[7:8]
	v_add_co_u32_e32 v9, vcc, s10, v9
	v_addc_co_u32_e32 v10, vcc, v6, v10, vcc
	global_load_dword v9, v[9:10], off
	v_add_co_u32_e32 v10, vcc, 1, v7
	v_addc_co_u32_e32 v11, vcc, 0, v8, vcc
	s_waitcnt vmcnt(0) lgkmcnt(0)
	v_cmp_lt_f32_e32 vcc, v5, v9
	v_cndmask_b32_e32 v4, v4, v8, vcc
	v_cndmask_b32_e32 v3, v3, v7, vcc
	;; [unrolled: 1-line block ×4, first 2 shown]
	v_cmp_ge_u64_e32 vcc, v[1:2], v[3:4]
	s_or_b64 s[0:1], vcc, s[0:1]
	s_andn2_b64 exec, exec, s[0:1]
	s_cbranch_execnz .LBB176_3
; %bb.4:
	s_or_b64 exec, exec, s[0:1]
	s_branch .LBB176_6
.LBB176_5:
	v_mov_b32_e32 v1, 0
	v_mov_b32_e32 v2, 0
.LBB176_6:
	s_lshl_b64 s[0:1], s[8:9], 3
	s_add_u32 s0, s7, s0
	s_addc_u32 s1, s14, s1
	v_lshlrev_b32_e32 v3, 3, v0
	v_mov_b32_e32 v4, s1
	v_add_co_u32_e32 v3, vcc, s0, v3
	v_addc_co_u32_e32 v4, vcc, 0, v4, vcc
	s_mov_b64 s[0:1], 0
	flat_store_dwordx2 v[3:4], v[1:2]
.LBB176_7:
	s_and_b64 vcc, exec, s[0:1]
	s_cbranch_vccz .LBB176_16
; %bb.8:
	s_load_dword s0, s[4:5], 0x10
                                        ; implicit-def: $vgpr5
	s_waitcnt lgkmcnt(0)
	s_sub_i32 s4, s0, s8
	v_cmp_le_u32_e64 s[0:1], s4, v0
	v_cmp_gt_u32_e32 vcc, s4, v0
	s_and_saveexec_b64 s[4:5], vcc
	s_cbranch_execz .LBB176_10
; %bb.9:
	s_lshl_b64 s[16:17], s[8:9], 2
	s_add_u32 s2, s2, s16
	s_addc_u32 s3, s3, s17
	v_lshlrev_b32_e32 v1, 2, v0
	v_mov_b32_e32 v2, s3
	v_add_co_u32_e64 v1, s[2:3], s2, v1
	v_addc_co_u32_e64 v2, s[2:3], 0, v2, s[2:3]
	flat_load_dword v5, v[1:2]
.LBB176_10:
	s_or_b64 exec, exec, s[4:5]
	s_cmp_lg_u64 s[12:13], 0
	s_cselect_b64 s[4:5], -1, 0
	s_xor_b64 s[0:1], s[0:1], -1
	v_mov_b32_e32 v1, 0
	s_mov_b64 s[2:3], 0
	v_mov_b32_e32 v2, 0
	s_and_b64 s[0:1], s[0:1], s[4:5]
	s_and_saveexec_b64 s[4:5], s[0:1]
	s_cbranch_execz .LBB176_14
; %bb.11:
	v_mov_b32_e32 v1, 0
	v_mov_b32_e32 v3, s12
	;; [unrolled: 1-line block ×5, first 2 shown]
.LBB176_12:                             ; =>This Inner Loop Header: Depth=1
	v_sub_co_u32_e64 v7, s[0:1], v3, v1
	v_subb_co_u32_e64 v8, s[0:1], v4, v2, s[0:1]
	v_lshrrev_b64 v[9:10], 1, v[7:8]
	v_lshrrev_b64 v[7:8], 6, v[7:8]
	v_add_co_u32_e64 v9, s[0:1], v9, v1
	v_addc_co_u32_e64 v10, s[0:1], v10, v2, s[0:1]
	v_add_co_u32_e64 v7, s[0:1], v9, v7
	v_addc_co_u32_e64 v8, s[0:1], v10, v8, s[0:1]
	v_lshlrev_b64 v[9:10], 2, v[7:8]
	v_add_co_u32_e64 v9, s[0:1], s10, v9
	v_addc_co_u32_e64 v10, s[0:1], v6, v10, s[0:1]
	global_load_dword v9, v[9:10], off
	v_add_co_u32_e64 v10, s[0:1], 1, v7
	v_addc_co_u32_e64 v11, s[0:1], 0, v8, s[0:1]
	s_waitcnt vmcnt(0) lgkmcnt(0)
	v_cmp_lt_f32_e64 s[0:1], v5, v9
	v_cndmask_b32_e64 v4, v4, v8, s[0:1]
	v_cndmask_b32_e64 v3, v3, v7, s[0:1]
	;; [unrolled: 1-line block ×4, first 2 shown]
	v_cmp_ge_u64_e64 s[0:1], v[1:2], v[3:4]
	s_or_b64 s[2:3], s[0:1], s[2:3]
	s_andn2_b64 exec, exec, s[2:3]
	s_cbranch_execnz .LBB176_12
; %bb.13:
	s_or_b64 exec, exec, s[2:3]
.LBB176_14:
	s_or_b64 exec, exec, s[4:5]
	s_and_saveexec_b64 s[0:1], vcc
	s_cbranch_execz .LBB176_16
; %bb.15:
	s_lshl_b64 s[0:1], s[8:9], 3
	s_add_u32 s0, s7, s0
	s_addc_u32 s1, s14, s1
	v_lshlrev_b32_e32 v0, 3, v0
	v_mov_b32_e32 v4, s1
	v_add_co_u32_e32 v3, vcc, s0, v0
	v_addc_co_u32_e32 v4, vcc, 0, v4, vcc
	flat_store_dwordx2 v[3:4], v[1:2]
.LBB176_16:
	s_endpgm
	.section	.rodata,"a",@progbits
	.p2align	6, 0x0
	.amdhsa_kernel _ZN7rocprim17ROCPRIM_400000_NS6detail17trampoline_kernelINS0_14default_configENS1_27upper_bound_config_selectorIflEEZNS1_14transform_implILb0ES3_S5_N6thrust23THRUST_200600_302600_NS6detail15normal_iteratorINS8_7pointerIfNS8_11hip_rocprim5par_tENS8_11use_defaultESE_EEEENSA_INSB_IlSD_SE_SE_EEEEZNS1_13binary_searchIS3_S5_PfSG_SI_NS1_21upper_bound_search_opENS9_16wrapped_functionINS8_6system6detail7generic6detail18binary_search_lessEbEEEE10hipError_tPvRmT1_T2_T3_mmT4_T5_P12ihipStream_tbEUlRKfE_EEST_SX_SY_mSZ_S12_bEUlT_E_NS1_11comp_targetILNS1_3genE2ELNS1_11target_archE906ELNS1_3gpuE6ELNS1_3repE0EEENS1_30default_config_static_selectorELNS0_4arch9wavefront6targetE1EEEvSW_
		.amdhsa_group_segment_fixed_size 0
		.amdhsa_private_segment_fixed_size 0
		.amdhsa_kernarg_size 312
		.amdhsa_user_sgpr_count 6
		.amdhsa_user_sgpr_private_segment_buffer 1
		.amdhsa_user_sgpr_dispatch_ptr 0
		.amdhsa_user_sgpr_queue_ptr 0
		.amdhsa_user_sgpr_kernarg_segment_ptr 1
		.amdhsa_user_sgpr_dispatch_id 0
		.amdhsa_user_sgpr_flat_scratch_init 0
		.amdhsa_user_sgpr_private_segment_size 0
		.amdhsa_uses_dynamic_stack 0
		.amdhsa_system_sgpr_private_segment_wavefront_offset 0
		.amdhsa_system_sgpr_workgroup_id_x 1
		.amdhsa_system_sgpr_workgroup_id_y 0
		.amdhsa_system_sgpr_workgroup_id_z 0
		.amdhsa_system_sgpr_workgroup_info 0
		.amdhsa_system_vgpr_workitem_id 0
		.amdhsa_next_free_vgpr 12
		.amdhsa_next_free_sgpr 20
		.amdhsa_reserve_vcc 1
		.amdhsa_reserve_flat_scratch 0
		.amdhsa_float_round_mode_32 0
		.amdhsa_float_round_mode_16_64 0
		.amdhsa_float_denorm_mode_32 3
		.amdhsa_float_denorm_mode_16_64 3
		.amdhsa_dx10_clamp 1
		.amdhsa_ieee_mode 1
		.amdhsa_fp16_overflow 0
		.amdhsa_exception_fp_ieee_invalid_op 0
		.amdhsa_exception_fp_denorm_src 0
		.amdhsa_exception_fp_ieee_div_zero 0
		.amdhsa_exception_fp_ieee_overflow 0
		.amdhsa_exception_fp_ieee_underflow 0
		.amdhsa_exception_fp_ieee_inexact 0
		.amdhsa_exception_int_div_zero 0
	.end_amdhsa_kernel
	.section	.text._ZN7rocprim17ROCPRIM_400000_NS6detail17trampoline_kernelINS0_14default_configENS1_27upper_bound_config_selectorIflEEZNS1_14transform_implILb0ES3_S5_N6thrust23THRUST_200600_302600_NS6detail15normal_iteratorINS8_7pointerIfNS8_11hip_rocprim5par_tENS8_11use_defaultESE_EEEENSA_INSB_IlSD_SE_SE_EEEEZNS1_13binary_searchIS3_S5_PfSG_SI_NS1_21upper_bound_search_opENS9_16wrapped_functionINS8_6system6detail7generic6detail18binary_search_lessEbEEEE10hipError_tPvRmT1_T2_T3_mmT4_T5_P12ihipStream_tbEUlRKfE_EEST_SX_SY_mSZ_S12_bEUlT_E_NS1_11comp_targetILNS1_3genE2ELNS1_11target_archE906ELNS1_3gpuE6ELNS1_3repE0EEENS1_30default_config_static_selectorELNS0_4arch9wavefront6targetE1EEEvSW_,"axG",@progbits,_ZN7rocprim17ROCPRIM_400000_NS6detail17trampoline_kernelINS0_14default_configENS1_27upper_bound_config_selectorIflEEZNS1_14transform_implILb0ES3_S5_N6thrust23THRUST_200600_302600_NS6detail15normal_iteratorINS8_7pointerIfNS8_11hip_rocprim5par_tENS8_11use_defaultESE_EEEENSA_INSB_IlSD_SE_SE_EEEEZNS1_13binary_searchIS3_S5_PfSG_SI_NS1_21upper_bound_search_opENS9_16wrapped_functionINS8_6system6detail7generic6detail18binary_search_lessEbEEEE10hipError_tPvRmT1_T2_T3_mmT4_T5_P12ihipStream_tbEUlRKfE_EEST_SX_SY_mSZ_S12_bEUlT_E_NS1_11comp_targetILNS1_3genE2ELNS1_11target_archE906ELNS1_3gpuE6ELNS1_3repE0EEENS1_30default_config_static_selectorELNS0_4arch9wavefront6targetE1EEEvSW_,comdat
.Lfunc_end176:
	.size	_ZN7rocprim17ROCPRIM_400000_NS6detail17trampoline_kernelINS0_14default_configENS1_27upper_bound_config_selectorIflEEZNS1_14transform_implILb0ES3_S5_N6thrust23THRUST_200600_302600_NS6detail15normal_iteratorINS8_7pointerIfNS8_11hip_rocprim5par_tENS8_11use_defaultESE_EEEENSA_INSB_IlSD_SE_SE_EEEEZNS1_13binary_searchIS3_S5_PfSG_SI_NS1_21upper_bound_search_opENS9_16wrapped_functionINS8_6system6detail7generic6detail18binary_search_lessEbEEEE10hipError_tPvRmT1_T2_T3_mmT4_T5_P12ihipStream_tbEUlRKfE_EEST_SX_SY_mSZ_S12_bEUlT_E_NS1_11comp_targetILNS1_3genE2ELNS1_11target_archE906ELNS1_3gpuE6ELNS1_3repE0EEENS1_30default_config_static_selectorELNS0_4arch9wavefront6targetE1EEEvSW_, .Lfunc_end176-_ZN7rocprim17ROCPRIM_400000_NS6detail17trampoline_kernelINS0_14default_configENS1_27upper_bound_config_selectorIflEEZNS1_14transform_implILb0ES3_S5_N6thrust23THRUST_200600_302600_NS6detail15normal_iteratorINS8_7pointerIfNS8_11hip_rocprim5par_tENS8_11use_defaultESE_EEEENSA_INSB_IlSD_SE_SE_EEEEZNS1_13binary_searchIS3_S5_PfSG_SI_NS1_21upper_bound_search_opENS9_16wrapped_functionINS8_6system6detail7generic6detail18binary_search_lessEbEEEE10hipError_tPvRmT1_T2_T3_mmT4_T5_P12ihipStream_tbEUlRKfE_EEST_SX_SY_mSZ_S12_bEUlT_E_NS1_11comp_targetILNS1_3genE2ELNS1_11target_archE906ELNS1_3gpuE6ELNS1_3repE0EEENS1_30default_config_static_selectorELNS0_4arch9wavefront6targetE1EEEvSW_
                                        ; -- End function
	.set _ZN7rocprim17ROCPRIM_400000_NS6detail17trampoline_kernelINS0_14default_configENS1_27upper_bound_config_selectorIflEEZNS1_14transform_implILb0ES3_S5_N6thrust23THRUST_200600_302600_NS6detail15normal_iteratorINS8_7pointerIfNS8_11hip_rocprim5par_tENS8_11use_defaultESE_EEEENSA_INSB_IlSD_SE_SE_EEEEZNS1_13binary_searchIS3_S5_PfSG_SI_NS1_21upper_bound_search_opENS9_16wrapped_functionINS8_6system6detail7generic6detail18binary_search_lessEbEEEE10hipError_tPvRmT1_T2_T3_mmT4_T5_P12ihipStream_tbEUlRKfE_EEST_SX_SY_mSZ_S12_bEUlT_E_NS1_11comp_targetILNS1_3genE2ELNS1_11target_archE906ELNS1_3gpuE6ELNS1_3repE0EEENS1_30default_config_static_selectorELNS0_4arch9wavefront6targetE1EEEvSW_.num_vgpr, 12
	.set _ZN7rocprim17ROCPRIM_400000_NS6detail17trampoline_kernelINS0_14default_configENS1_27upper_bound_config_selectorIflEEZNS1_14transform_implILb0ES3_S5_N6thrust23THRUST_200600_302600_NS6detail15normal_iteratorINS8_7pointerIfNS8_11hip_rocprim5par_tENS8_11use_defaultESE_EEEENSA_INSB_IlSD_SE_SE_EEEEZNS1_13binary_searchIS3_S5_PfSG_SI_NS1_21upper_bound_search_opENS9_16wrapped_functionINS8_6system6detail7generic6detail18binary_search_lessEbEEEE10hipError_tPvRmT1_T2_T3_mmT4_T5_P12ihipStream_tbEUlRKfE_EEST_SX_SY_mSZ_S12_bEUlT_E_NS1_11comp_targetILNS1_3genE2ELNS1_11target_archE906ELNS1_3gpuE6ELNS1_3repE0EEENS1_30default_config_static_selectorELNS0_4arch9wavefront6targetE1EEEvSW_.num_agpr, 0
	.set _ZN7rocprim17ROCPRIM_400000_NS6detail17trampoline_kernelINS0_14default_configENS1_27upper_bound_config_selectorIflEEZNS1_14transform_implILb0ES3_S5_N6thrust23THRUST_200600_302600_NS6detail15normal_iteratorINS8_7pointerIfNS8_11hip_rocprim5par_tENS8_11use_defaultESE_EEEENSA_INSB_IlSD_SE_SE_EEEEZNS1_13binary_searchIS3_S5_PfSG_SI_NS1_21upper_bound_search_opENS9_16wrapped_functionINS8_6system6detail7generic6detail18binary_search_lessEbEEEE10hipError_tPvRmT1_T2_T3_mmT4_T5_P12ihipStream_tbEUlRKfE_EEST_SX_SY_mSZ_S12_bEUlT_E_NS1_11comp_targetILNS1_3genE2ELNS1_11target_archE906ELNS1_3gpuE6ELNS1_3repE0EEENS1_30default_config_static_selectorELNS0_4arch9wavefront6targetE1EEEvSW_.numbered_sgpr, 20
	.set _ZN7rocprim17ROCPRIM_400000_NS6detail17trampoline_kernelINS0_14default_configENS1_27upper_bound_config_selectorIflEEZNS1_14transform_implILb0ES3_S5_N6thrust23THRUST_200600_302600_NS6detail15normal_iteratorINS8_7pointerIfNS8_11hip_rocprim5par_tENS8_11use_defaultESE_EEEENSA_INSB_IlSD_SE_SE_EEEEZNS1_13binary_searchIS3_S5_PfSG_SI_NS1_21upper_bound_search_opENS9_16wrapped_functionINS8_6system6detail7generic6detail18binary_search_lessEbEEEE10hipError_tPvRmT1_T2_T3_mmT4_T5_P12ihipStream_tbEUlRKfE_EEST_SX_SY_mSZ_S12_bEUlT_E_NS1_11comp_targetILNS1_3genE2ELNS1_11target_archE906ELNS1_3gpuE6ELNS1_3repE0EEENS1_30default_config_static_selectorELNS0_4arch9wavefront6targetE1EEEvSW_.num_named_barrier, 0
	.set _ZN7rocprim17ROCPRIM_400000_NS6detail17trampoline_kernelINS0_14default_configENS1_27upper_bound_config_selectorIflEEZNS1_14transform_implILb0ES3_S5_N6thrust23THRUST_200600_302600_NS6detail15normal_iteratorINS8_7pointerIfNS8_11hip_rocprim5par_tENS8_11use_defaultESE_EEEENSA_INSB_IlSD_SE_SE_EEEEZNS1_13binary_searchIS3_S5_PfSG_SI_NS1_21upper_bound_search_opENS9_16wrapped_functionINS8_6system6detail7generic6detail18binary_search_lessEbEEEE10hipError_tPvRmT1_T2_T3_mmT4_T5_P12ihipStream_tbEUlRKfE_EEST_SX_SY_mSZ_S12_bEUlT_E_NS1_11comp_targetILNS1_3genE2ELNS1_11target_archE906ELNS1_3gpuE6ELNS1_3repE0EEENS1_30default_config_static_selectorELNS0_4arch9wavefront6targetE1EEEvSW_.private_seg_size, 0
	.set _ZN7rocprim17ROCPRIM_400000_NS6detail17trampoline_kernelINS0_14default_configENS1_27upper_bound_config_selectorIflEEZNS1_14transform_implILb0ES3_S5_N6thrust23THRUST_200600_302600_NS6detail15normal_iteratorINS8_7pointerIfNS8_11hip_rocprim5par_tENS8_11use_defaultESE_EEEENSA_INSB_IlSD_SE_SE_EEEEZNS1_13binary_searchIS3_S5_PfSG_SI_NS1_21upper_bound_search_opENS9_16wrapped_functionINS8_6system6detail7generic6detail18binary_search_lessEbEEEE10hipError_tPvRmT1_T2_T3_mmT4_T5_P12ihipStream_tbEUlRKfE_EEST_SX_SY_mSZ_S12_bEUlT_E_NS1_11comp_targetILNS1_3genE2ELNS1_11target_archE906ELNS1_3gpuE6ELNS1_3repE0EEENS1_30default_config_static_selectorELNS0_4arch9wavefront6targetE1EEEvSW_.uses_vcc, 1
	.set _ZN7rocprim17ROCPRIM_400000_NS6detail17trampoline_kernelINS0_14default_configENS1_27upper_bound_config_selectorIflEEZNS1_14transform_implILb0ES3_S5_N6thrust23THRUST_200600_302600_NS6detail15normal_iteratorINS8_7pointerIfNS8_11hip_rocprim5par_tENS8_11use_defaultESE_EEEENSA_INSB_IlSD_SE_SE_EEEEZNS1_13binary_searchIS3_S5_PfSG_SI_NS1_21upper_bound_search_opENS9_16wrapped_functionINS8_6system6detail7generic6detail18binary_search_lessEbEEEE10hipError_tPvRmT1_T2_T3_mmT4_T5_P12ihipStream_tbEUlRKfE_EEST_SX_SY_mSZ_S12_bEUlT_E_NS1_11comp_targetILNS1_3genE2ELNS1_11target_archE906ELNS1_3gpuE6ELNS1_3repE0EEENS1_30default_config_static_selectorELNS0_4arch9wavefront6targetE1EEEvSW_.uses_flat_scratch, 0
	.set _ZN7rocprim17ROCPRIM_400000_NS6detail17trampoline_kernelINS0_14default_configENS1_27upper_bound_config_selectorIflEEZNS1_14transform_implILb0ES3_S5_N6thrust23THRUST_200600_302600_NS6detail15normal_iteratorINS8_7pointerIfNS8_11hip_rocprim5par_tENS8_11use_defaultESE_EEEENSA_INSB_IlSD_SE_SE_EEEEZNS1_13binary_searchIS3_S5_PfSG_SI_NS1_21upper_bound_search_opENS9_16wrapped_functionINS8_6system6detail7generic6detail18binary_search_lessEbEEEE10hipError_tPvRmT1_T2_T3_mmT4_T5_P12ihipStream_tbEUlRKfE_EEST_SX_SY_mSZ_S12_bEUlT_E_NS1_11comp_targetILNS1_3genE2ELNS1_11target_archE906ELNS1_3gpuE6ELNS1_3repE0EEENS1_30default_config_static_selectorELNS0_4arch9wavefront6targetE1EEEvSW_.has_dyn_sized_stack, 0
	.set _ZN7rocprim17ROCPRIM_400000_NS6detail17trampoline_kernelINS0_14default_configENS1_27upper_bound_config_selectorIflEEZNS1_14transform_implILb0ES3_S5_N6thrust23THRUST_200600_302600_NS6detail15normal_iteratorINS8_7pointerIfNS8_11hip_rocprim5par_tENS8_11use_defaultESE_EEEENSA_INSB_IlSD_SE_SE_EEEEZNS1_13binary_searchIS3_S5_PfSG_SI_NS1_21upper_bound_search_opENS9_16wrapped_functionINS8_6system6detail7generic6detail18binary_search_lessEbEEEE10hipError_tPvRmT1_T2_T3_mmT4_T5_P12ihipStream_tbEUlRKfE_EEST_SX_SY_mSZ_S12_bEUlT_E_NS1_11comp_targetILNS1_3genE2ELNS1_11target_archE906ELNS1_3gpuE6ELNS1_3repE0EEENS1_30default_config_static_selectorELNS0_4arch9wavefront6targetE1EEEvSW_.has_recursion, 0
	.set _ZN7rocprim17ROCPRIM_400000_NS6detail17trampoline_kernelINS0_14default_configENS1_27upper_bound_config_selectorIflEEZNS1_14transform_implILb0ES3_S5_N6thrust23THRUST_200600_302600_NS6detail15normal_iteratorINS8_7pointerIfNS8_11hip_rocprim5par_tENS8_11use_defaultESE_EEEENSA_INSB_IlSD_SE_SE_EEEEZNS1_13binary_searchIS3_S5_PfSG_SI_NS1_21upper_bound_search_opENS9_16wrapped_functionINS8_6system6detail7generic6detail18binary_search_lessEbEEEE10hipError_tPvRmT1_T2_T3_mmT4_T5_P12ihipStream_tbEUlRKfE_EEST_SX_SY_mSZ_S12_bEUlT_E_NS1_11comp_targetILNS1_3genE2ELNS1_11target_archE906ELNS1_3gpuE6ELNS1_3repE0EEENS1_30default_config_static_selectorELNS0_4arch9wavefront6targetE1EEEvSW_.has_indirect_call, 0
	.section	.AMDGPU.csdata,"",@progbits
; Kernel info:
; codeLenInByte = 700
; TotalNumSgprs: 24
; NumVgprs: 12
; ScratchSize: 0
; MemoryBound: 0
; FloatMode: 240
; IeeeMode: 1
; LDSByteSize: 0 bytes/workgroup (compile time only)
; SGPRBlocks: 2
; VGPRBlocks: 2
; NumSGPRsForWavesPerEU: 24
; NumVGPRsForWavesPerEU: 12
; Occupancy: 10
; WaveLimiterHint : 0
; COMPUTE_PGM_RSRC2:SCRATCH_EN: 0
; COMPUTE_PGM_RSRC2:USER_SGPR: 6
; COMPUTE_PGM_RSRC2:TRAP_HANDLER: 0
; COMPUTE_PGM_RSRC2:TGID_X_EN: 1
; COMPUTE_PGM_RSRC2:TGID_Y_EN: 0
; COMPUTE_PGM_RSRC2:TGID_Z_EN: 0
; COMPUTE_PGM_RSRC2:TIDIG_COMP_CNT: 0
	.section	.text._ZN7rocprim17ROCPRIM_400000_NS6detail17trampoline_kernelINS0_14default_configENS1_27upper_bound_config_selectorIflEEZNS1_14transform_implILb0ES3_S5_N6thrust23THRUST_200600_302600_NS6detail15normal_iteratorINS8_7pointerIfNS8_11hip_rocprim5par_tENS8_11use_defaultESE_EEEENSA_INSB_IlSD_SE_SE_EEEEZNS1_13binary_searchIS3_S5_PfSG_SI_NS1_21upper_bound_search_opENS9_16wrapped_functionINS8_6system6detail7generic6detail18binary_search_lessEbEEEE10hipError_tPvRmT1_T2_T3_mmT4_T5_P12ihipStream_tbEUlRKfE_EEST_SX_SY_mSZ_S12_bEUlT_E_NS1_11comp_targetILNS1_3genE10ELNS1_11target_archE1201ELNS1_3gpuE5ELNS1_3repE0EEENS1_30default_config_static_selectorELNS0_4arch9wavefront6targetE1EEEvSW_,"axG",@progbits,_ZN7rocprim17ROCPRIM_400000_NS6detail17trampoline_kernelINS0_14default_configENS1_27upper_bound_config_selectorIflEEZNS1_14transform_implILb0ES3_S5_N6thrust23THRUST_200600_302600_NS6detail15normal_iteratorINS8_7pointerIfNS8_11hip_rocprim5par_tENS8_11use_defaultESE_EEEENSA_INSB_IlSD_SE_SE_EEEEZNS1_13binary_searchIS3_S5_PfSG_SI_NS1_21upper_bound_search_opENS9_16wrapped_functionINS8_6system6detail7generic6detail18binary_search_lessEbEEEE10hipError_tPvRmT1_T2_T3_mmT4_T5_P12ihipStream_tbEUlRKfE_EEST_SX_SY_mSZ_S12_bEUlT_E_NS1_11comp_targetILNS1_3genE10ELNS1_11target_archE1201ELNS1_3gpuE5ELNS1_3repE0EEENS1_30default_config_static_selectorELNS0_4arch9wavefront6targetE1EEEvSW_,comdat
	.protected	_ZN7rocprim17ROCPRIM_400000_NS6detail17trampoline_kernelINS0_14default_configENS1_27upper_bound_config_selectorIflEEZNS1_14transform_implILb0ES3_S5_N6thrust23THRUST_200600_302600_NS6detail15normal_iteratorINS8_7pointerIfNS8_11hip_rocprim5par_tENS8_11use_defaultESE_EEEENSA_INSB_IlSD_SE_SE_EEEEZNS1_13binary_searchIS3_S5_PfSG_SI_NS1_21upper_bound_search_opENS9_16wrapped_functionINS8_6system6detail7generic6detail18binary_search_lessEbEEEE10hipError_tPvRmT1_T2_T3_mmT4_T5_P12ihipStream_tbEUlRKfE_EEST_SX_SY_mSZ_S12_bEUlT_E_NS1_11comp_targetILNS1_3genE10ELNS1_11target_archE1201ELNS1_3gpuE5ELNS1_3repE0EEENS1_30default_config_static_selectorELNS0_4arch9wavefront6targetE1EEEvSW_ ; -- Begin function _ZN7rocprim17ROCPRIM_400000_NS6detail17trampoline_kernelINS0_14default_configENS1_27upper_bound_config_selectorIflEEZNS1_14transform_implILb0ES3_S5_N6thrust23THRUST_200600_302600_NS6detail15normal_iteratorINS8_7pointerIfNS8_11hip_rocprim5par_tENS8_11use_defaultESE_EEEENSA_INSB_IlSD_SE_SE_EEEEZNS1_13binary_searchIS3_S5_PfSG_SI_NS1_21upper_bound_search_opENS9_16wrapped_functionINS8_6system6detail7generic6detail18binary_search_lessEbEEEE10hipError_tPvRmT1_T2_T3_mmT4_T5_P12ihipStream_tbEUlRKfE_EEST_SX_SY_mSZ_S12_bEUlT_E_NS1_11comp_targetILNS1_3genE10ELNS1_11target_archE1201ELNS1_3gpuE5ELNS1_3repE0EEENS1_30default_config_static_selectorELNS0_4arch9wavefront6targetE1EEEvSW_
	.globl	_ZN7rocprim17ROCPRIM_400000_NS6detail17trampoline_kernelINS0_14default_configENS1_27upper_bound_config_selectorIflEEZNS1_14transform_implILb0ES3_S5_N6thrust23THRUST_200600_302600_NS6detail15normal_iteratorINS8_7pointerIfNS8_11hip_rocprim5par_tENS8_11use_defaultESE_EEEENSA_INSB_IlSD_SE_SE_EEEEZNS1_13binary_searchIS3_S5_PfSG_SI_NS1_21upper_bound_search_opENS9_16wrapped_functionINS8_6system6detail7generic6detail18binary_search_lessEbEEEE10hipError_tPvRmT1_T2_T3_mmT4_T5_P12ihipStream_tbEUlRKfE_EEST_SX_SY_mSZ_S12_bEUlT_E_NS1_11comp_targetILNS1_3genE10ELNS1_11target_archE1201ELNS1_3gpuE5ELNS1_3repE0EEENS1_30default_config_static_selectorELNS0_4arch9wavefront6targetE1EEEvSW_
	.p2align	8
	.type	_ZN7rocprim17ROCPRIM_400000_NS6detail17trampoline_kernelINS0_14default_configENS1_27upper_bound_config_selectorIflEEZNS1_14transform_implILb0ES3_S5_N6thrust23THRUST_200600_302600_NS6detail15normal_iteratorINS8_7pointerIfNS8_11hip_rocprim5par_tENS8_11use_defaultESE_EEEENSA_INSB_IlSD_SE_SE_EEEEZNS1_13binary_searchIS3_S5_PfSG_SI_NS1_21upper_bound_search_opENS9_16wrapped_functionINS8_6system6detail7generic6detail18binary_search_lessEbEEEE10hipError_tPvRmT1_T2_T3_mmT4_T5_P12ihipStream_tbEUlRKfE_EEST_SX_SY_mSZ_S12_bEUlT_E_NS1_11comp_targetILNS1_3genE10ELNS1_11target_archE1201ELNS1_3gpuE5ELNS1_3repE0EEENS1_30default_config_static_selectorELNS0_4arch9wavefront6targetE1EEEvSW_,@function
_ZN7rocprim17ROCPRIM_400000_NS6detail17trampoline_kernelINS0_14default_configENS1_27upper_bound_config_selectorIflEEZNS1_14transform_implILb0ES3_S5_N6thrust23THRUST_200600_302600_NS6detail15normal_iteratorINS8_7pointerIfNS8_11hip_rocprim5par_tENS8_11use_defaultESE_EEEENSA_INSB_IlSD_SE_SE_EEEEZNS1_13binary_searchIS3_S5_PfSG_SI_NS1_21upper_bound_search_opENS9_16wrapped_functionINS8_6system6detail7generic6detail18binary_search_lessEbEEEE10hipError_tPvRmT1_T2_T3_mmT4_T5_P12ihipStream_tbEUlRKfE_EEST_SX_SY_mSZ_S12_bEUlT_E_NS1_11comp_targetILNS1_3genE10ELNS1_11target_archE1201ELNS1_3gpuE5ELNS1_3repE0EEENS1_30default_config_static_selectorELNS0_4arch9wavefront6targetE1EEEvSW_: ; @_ZN7rocprim17ROCPRIM_400000_NS6detail17trampoline_kernelINS0_14default_configENS1_27upper_bound_config_selectorIflEEZNS1_14transform_implILb0ES3_S5_N6thrust23THRUST_200600_302600_NS6detail15normal_iteratorINS8_7pointerIfNS8_11hip_rocprim5par_tENS8_11use_defaultESE_EEEENSA_INSB_IlSD_SE_SE_EEEEZNS1_13binary_searchIS3_S5_PfSG_SI_NS1_21upper_bound_search_opENS9_16wrapped_functionINS8_6system6detail7generic6detail18binary_search_lessEbEEEE10hipError_tPvRmT1_T2_T3_mmT4_T5_P12ihipStream_tbEUlRKfE_EEST_SX_SY_mSZ_S12_bEUlT_E_NS1_11comp_targetILNS1_3genE10ELNS1_11target_archE1201ELNS1_3gpuE5ELNS1_3repE0EEENS1_30default_config_static_selectorELNS0_4arch9wavefront6targetE1EEEvSW_
; %bb.0:
	.section	.rodata,"a",@progbits
	.p2align	6, 0x0
	.amdhsa_kernel _ZN7rocprim17ROCPRIM_400000_NS6detail17trampoline_kernelINS0_14default_configENS1_27upper_bound_config_selectorIflEEZNS1_14transform_implILb0ES3_S5_N6thrust23THRUST_200600_302600_NS6detail15normal_iteratorINS8_7pointerIfNS8_11hip_rocprim5par_tENS8_11use_defaultESE_EEEENSA_INSB_IlSD_SE_SE_EEEEZNS1_13binary_searchIS3_S5_PfSG_SI_NS1_21upper_bound_search_opENS9_16wrapped_functionINS8_6system6detail7generic6detail18binary_search_lessEbEEEE10hipError_tPvRmT1_T2_T3_mmT4_T5_P12ihipStream_tbEUlRKfE_EEST_SX_SY_mSZ_S12_bEUlT_E_NS1_11comp_targetILNS1_3genE10ELNS1_11target_archE1201ELNS1_3gpuE5ELNS1_3repE0EEENS1_30default_config_static_selectorELNS0_4arch9wavefront6targetE1EEEvSW_
		.amdhsa_group_segment_fixed_size 0
		.amdhsa_private_segment_fixed_size 0
		.amdhsa_kernarg_size 56
		.amdhsa_user_sgpr_count 6
		.amdhsa_user_sgpr_private_segment_buffer 1
		.amdhsa_user_sgpr_dispatch_ptr 0
		.amdhsa_user_sgpr_queue_ptr 0
		.amdhsa_user_sgpr_kernarg_segment_ptr 1
		.amdhsa_user_sgpr_dispatch_id 0
		.amdhsa_user_sgpr_flat_scratch_init 0
		.amdhsa_user_sgpr_private_segment_size 0
		.amdhsa_uses_dynamic_stack 0
		.amdhsa_system_sgpr_private_segment_wavefront_offset 0
		.amdhsa_system_sgpr_workgroup_id_x 1
		.amdhsa_system_sgpr_workgroup_id_y 0
		.amdhsa_system_sgpr_workgroup_id_z 0
		.amdhsa_system_sgpr_workgroup_info 0
		.amdhsa_system_vgpr_workitem_id 0
		.amdhsa_next_free_vgpr 1
		.amdhsa_next_free_sgpr 0
		.amdhsa_reserve_vcc 0
		.amdhsa_reserve_flat_scratch 0
		.amdhsa_float_round_mode_32 0
		.amdhsa_float_round_mode_16_64 0
		.amdhsa_float_denorm_mode_32 3
		.amdhsa_float_denorm_mode_16_64 3
		.amdhsa_dx10_clamp 1
		.amdhsa_ieee_mode 1
		.amdhsa_fp16_overflow 0
		.amdhsa_exception_fp_ieee_invalid_op 0
		.amdhsa_exception_fp_denorm_src 0
		.amdhsa_exception_fp_ieee_div_zero 0
		.amdhsa_exception_fp_ieee_overflow 0
		.amdhsa_exception_fp_ieee_underflow 0
		.amdhsa_exception_fp_ieee_inexact 0
		.amdhsa_exception_int_div_zero 0
	.end_amdhsa_kernel
	.section	.text._ZN7rocprim17ROCPRIM_400000_NS6detail17trampoline_kernelINS0_14default_configENS1_27upper_bound_config_selectorIflEEZNS1_14transform_implILb0ES3_S5_N6thrust23THRUST_200600_302600_NS6detail15normal_iteratorINS8_7pointerIfNS8_11hip_rocprim5par_tENS8_11use_defaultESE_EEEENSA_INSB_IlSD_SE_SE_EEEEZNS1_13binary_searchIS3_S5_PfSG_SI_NS1_21upper_bound_search_opENS9_16wrapped_functionINS8_6system6detail7generic6detail18binary_search_lessEbEEEE10hipError_tPvRmT1_T2_T3_mmT4_T5_P12ihipStream_tbEUlRKfE_EEST_SX_SY_mSZ_S12_bEUlT_E_NS1_11comp_targetILNS1_3genE10ELNS1_11target_archE1201ELNS1_3gpuE5ELNS1_3repE0EEENS1_30default_config_static_selectorELNS0_4arch9wavefront6targetE1EEEvSW_,"axG",@progbits,_ZN7rocprim17ROCPRIM_400000_NS6detail17trampoline_kernelINS0_14default_configENS1_27upper_bound_config_selectorIflEEZNS1_14transform_implILb0ES3_S5_N6thrust23THRUST_200600_302600_NS6detail15normal_iteratorINS8_7pointerIfNS8_11hip_rocprim5par_tENS8_11use_defaultESE_EEEENSA_INSB_IlSD_SE_SE_EEEEZNS1_13binary_searchIS3_S5_PfSG_SI_NS1_21upper_bound_search_opENS9_16wrapped_functionINS8_6system6detail7generic6detail18binary_search_lessEbEEEE10hipError_tPvRmT1_T2_T3_mmT4_T5_P12ihipStream_tbEUlRKfE_EEST_SX_SY_mSZ_S12_bEUlT_E_NS1_11comp_targetILNS1_3genE10ELNS1_11target_archE1201ELNS1_3gpuE5ELNS1_3repE0EEENS1_30default_config_static_selectorELNS0_4arch9wavefront6targetE1EEEvSW_,comdat
.Lfunc_end177:
	.size	_ZN7rocprim17ROCPRIM_400000_NS6detail17trampoline_kernelINS0_14default_configENS1_27upper_bound_config_selectorIflEEZNS1_14transform_implILb0ES3_S5_N6thrust23THRUST_200600_302600_NS6detail15normal_iteratorINS8_7pointerIfNS8_11hip_rocprim5par_tENS8_11use_defaultESE_EEEENSA_INSB_IlSD_SE_SE_EEEEZNS1_13binary_searchIS3_S5_PfSG_SI_NS1_21upper_bound_search_opENS9_16wrapped_functionINS8_6system6detail7generic6detail18binary_search_lessEbEEEE10hipError_tPvRmT1_T2_T3_mmT4_T5_P12ihipStream_tbEUlRKfE_EEST_SX_SY_mSZ_S12_bEUlT_E_NS1_11comp_targetILNS1_3genE10ELNS1_11target_archE1201ELNS1_3gpuE5ELNS1_3repE0EEENS1_30default_config_static_selectorELNS0_4arch9wavefront6targetE1EEEvSW_, .Lfunc_end177-_ZN7rocprim17ROCPRIM_400000_NS6detail17trampoline_kernelINS0_14default_configENS1_27upper_bound_config_selectorIflEEZNS1_14transform_implILb0ES3_S5_N6thrust23THRUST_200600_302600_NS6detail15normal_iteratorINS8_7pointerIfNS8_11hip_rocprim5par_tENS8_11use_defaultESE_EEEENSA_INSB_IlSD_SE_SE_EEEEZNS1_13binary_searchIS3_S5_PfSG_SI_NS1_21upper_bound_search_opENS9_16wrapped_functionINS8_6system6detail7generic6detail18binary_search_lessEbEEEE10hipError_tPvRmT1_T2_T3_mmT4_T5_P12ihipStream_tbEUlRKfE_EEST_SX_SY_mSZ_S12_bEUlT_E_NS1_11comp_targetILNS1_3genE10ELNS1_11target_archE1201ELNS1_3gpuE5ELNS1_3repE0EEENS1_30default_config_static_selectorELNS0_4arch9wavefront6targetE1EEEvSW_
                                        ; -- End function
	.set _ZN7rocprim17ROCPRIM_400000_NS6detail17trampoline_kernelINS0_14default_configENS1_27upper_bound_config_selectorIflEEZNS1_14transform_implILb0ES3_S5_N6thrust23THRUST_200600_302600_NS6detail15normal_iteratorINS8_7pointerIfNS8_11hip_rocprim5par_tENS8_11use_defaultESE_EEEENSA_INSB_IlSD_SE_SE_EEEEZNS1_13binary_searchIS3_S5_PfSG_SI_NS1_21upper_bound_search_opENS9_16wrapped_functionINS8_6system6detail7generic6detail18binary_search_lessEbEEEE10hipError_tPvRmT1_T2_T3_mmT4_T5_P12ihipStream_tbEUlRKfE_EEST_SX_SY_mSZ_S12_bEUlT_E_NS1_11comp_targetILNS1_3genE10ELNS1_11target_archE1201ELNS1_3gpuE5ELNS1_3repE0EEENS1_30default_config_static_selectorELNS0_4arch9wavefront6targetE1EEEvSW_.num_vgpr, 0
	.set _ZN7rocprim17ROCPRIM_400000_NS6detail17trampoline_kernelINS0_14default_configENS1_27upper_bound_config_selectorIflEEZNS1_14transform_implILb0ES3_S5_N6thrust23THRUST_200600_302600_NS6detail15normal_iteratorINS8_7pointerIfNS8_11hip_rocprim5par_tENS8_11use_defaultESE_EEEENSA_INSB_IlSD_SE_SE_EEEEZNS1_13binary_searchIS3_S5_PfSG_SI_NS1_21upper_bound_search_opENS9_16wrapped_functionINS8_6system6detail7generic6detail18binary_search_lessEbEEEE10hipError_tPvRmT1_T2_T3_mmT4_T5_P12ihipStream_tbEUlRKfE_EEST_SX_SY_mSZ_S12_bEUlT_E_NS1_11comp_targetILNS1_3genE10ELNS1_11target_archE1201ELNS1_3gpuE5ELNS1_3repE0EEENS1_30default_config_static_selectorELNS0_4arch9wavefront6targetE1EEEvSW_.num_agpr, 0
	.set _ZN7rocprim17ROCPRIM_400000_NS6detail17trampoline_kernelINS0_14default_configENS1_27upper_bound_config_selectorIflEEZNS1_14transform_implILb0ES3_S5_N6thrust23THRUST_200600_302600_NS6detail15normal_iteratorINS8_7pointerIfNS8_11hip_rocprim5par_tENS8_11use_defaultESE_EEEENSA_INSB_IlSD_SE_SE_EEEEZNS1_13binary_searchIS3_S5_PfSG_SI_NS1_21upper_bound_search_opENS9_16wrapped_functionINS8_6system6detail7generic6detail18binary_search_lessEbEEEE10hipError_tPvRmT1_T2_T3_mmT4_T5_P12ihipStream_tbEUlRKfE_EEST_SX_SY_mSZ_S12_bEUlT_E_NS1_11comp_targetILNS1_3genE10ELNS1_11target_archE1201ELNS1_3gpuE5ELNS1_3repE0EEENS1_30default_config_static_selectorELNS0_4arch9wavefront6targetE1EEEvSW_.numbered_sgpr, 0
	.set _ZN7rocprim17ROCPRIM_400000_NS6detail17trampoline_kernelINS0_14default_configENS1_27upper_bound_config_selectorIflEEZNS1_14transform_implILb0ES3_S5_N6thrust23THRUST_200600_302600_NS6detail15normal_iteratorINS8_7pointerIfNS8_11hip_rocprim5par_tENS8_11use_defaultESE_EEEENSA_INSB_IlSD_SE_SE_EEEEZNS1_13binary_searchIS3_S5_PfSG_SI_NS1_21upper_bound_search_opENS9_16wrapped_functionINS8_6system6detail7generic6detail18binary_search_lessEbEEEE10hipError_tPvRmT1_T2_T3_mmT4_T5_P12ihipStream_tbEUlRKfE_EEST_SX_SY_mSZ_S12_bEUlT_E_NS1_11comp_targetILNS1_3genE10ELNS1_11target_archE1201ELNS1_3gpuE5ELNS1_3repE0EEENS1_30default_config_static_selectorELNS0_4arch9wavefront6targetE1EEEvSW_.num_named_barrier, 0
	.set _ZN7rocprim17ROCPRIM_400000_NS6detail17trampoline_kernelINS0_14default_configENS1_27upper_bound_config_selectorIflEEZNS1_14transform_implILb0ES3_S5_N6thrust23THRUST_200600_302600_NS6detail15normal_iteratorINS8_7pointerIfNS8_11hip_rocprim5par_tENS8_11use_defaultESE_EEEENSA_INSB_IlSD_SE_SE_EEEEZNS1_13binary_searchIS3_S5_PfSG_SI_NS1_21upper_bound_search_opENS9_16wrapped_functionINS8_6system6detail7generic6detail18binary_search_lessEbEEEE10hipError_tPvRmT1_T2_T3_mmT4_T5_P12ihipStream_tbEUlRKfE_EEST_SX_SY_mSZ_S12_bEUlT_E_NS1_11comp_targetILNS1_3genE10ELNS1_11target_archE1201ELNS1_3gpuE5ELNS1_3repE0EEENS1_30default_config_static_selectorELNS0_4arch9wavefront6targetE1EEEvSW_.private_seg_size, 0
	.set _ZN7rocprim17ROCPRIM_400000_NS6detail17trampoline_kernelINS0_14default_configENS1_27upper_bound_config_selectorIflEEZNS1_14transform_implILb0ES3_S5_N6thrust23THRUST_200600_302600_NS6detail15normal_iteratorINS8_7pointerIfNS8_11hip_rocprim5par_tENS8_11use_defaultESE_EEEENSA_INSB_IlSD_SE_SE_EEEEZNS1_13binary_searchIS3_S5_PfSG_SI_NS1_21upper_bound_search_opENS9_16wrapped_functionINS8_6system6detail7generic6detail18binary_search_lessEbEEEE10hipError_tPvRmT1_T2_T3_mmT4_T5_P12ihipStream_tbEUlRKfE_EEST_SX_SY_mSZ_S12_bEUlT_E_NS1_11comp_targetILNS1_3genE10ELNS1_11target_archE1201ELNS1_3gpuE5ELNS1_3repE0EEENS1_30default_config_static_selectorELNS0_4arch9wavefront6targetE1EEEvSW_.uses_vcc, 0
	.set _ZN7rocprim17ROCPRIM_400000_NS6detail17trampoline_kernelINS0_14default_configENS1_27upper_bound_config_selectorIflEEZNS1_14transform_implILb0ES3_S5_N6thrust23THRUST_200600_302600_NS6detail15normal_iteratorINS8_7pointerIfNS8_11hip_rocprim5par_tENS8_11use_defaultESE_EEEENSA_INSB_IlSD_SE_SE_EEEEZNS1_13binary_searchIS3_S5_PfSG_SI_NS1_21upper_bound_search_opENS9_16wrapped_functionINS8_6system6detail7generic6detail18binary_search_lessEbEEEE10hipError_tPvRmT1_T2_T3_mmT4_T5_P12ihipStream_tbEUlRKfE_EEST_SX_SY_mSZ_S12_bEUlT_E_NS1_11comp_targetILNS1_3genE10ELNS1_11target_archE1201ELNS1_3gpuE5ELNS1_3repE0EEENS1_30default_config_static_selectorELNS0_4arch9wavefront6targetE1EEEvSW_.uses_flat_scratch, 0
	.set _ZN7rocprim17ROCPRIM_400000_NS6detail17trampoline_kernelINS0_14default_configENS1_27upper_bound_config_selectorIflEEZNS1_14transform_implILb0ES3_S5_N6thrust23THRUST_200600_302600_NS6detail15normal_iteratorINS8_7pointerIfNS8_11hip_rocprim5par_tENS8_11use_defaultESE_EEEENSA_INSB_IlSD_SE_SE_EEEEZNS1_13binary_searchIS3_S5_PfSG_SI_NS1_21upper_bound_search_opENS9_16wrapped_functionINS8_6system6detail7generic6detail18binary_search_lessEbEEEE10hipError_tPvRmT1_T2_T3_mmT4_T5_P12ihipStream_tbEUlRKfE_EEST_SX_SY_mSZ_S12_bEUlT_E_NS1_11comp_targetILNS1_3genE10ELNS1_11target_archE1201ELNS1_3gpuE5ELNS1_3repE0EEENS1_30default_config_static_selectorELNS0_4arch9wavefront6targetE1EEEvSW_.has_dyn_sized_stack, 0
	.set _ZN7rocprim17ROCPRIM_400000_NS6detail17trampoline_kernelINS0_14default_configENS1_27upper_bound_config_selectorIflEEZNS1_14transform_implILb0ES3_S5_N6thrust23THRUST_200600_302600_NS6detail15normal_iteratorINS8_7pointerIfNS8_11hip_rocprim5par_tENS8_11use_defaultESE_EEEENSA_INSB_IlSD_SE_SE_EEEEZNS1_13binary_searchIS3_S5_PfSG_SI_NS1_21upper_bound_search_opENS9_16wrapped_functionINS8_6system6detail7generic6detail18binary_search_lessEbEEEE10hipError_tPvRmT1_T2_T3_mmT4_T5_P12ihipStream_tbEUlRKfE_EEST_SX_SY_mSZ_S12_bEUlT_E_NS1_11comp_targetILNS1_3genE10ELNS1_11target_archE1201ELNS1_3gpuE5ELNS1_3repE0EEENS1_30default_config_static_selectorELNS0_4arch9wavefront6targetE1EEEvSW_.has_recursion, 0
	.set _ZN7rocprim17ROCPRIM_400000_NS6detail17trampoline_kernelINS0_14default_configENS1_27upper_bound_config_selectorIflEEZNS1_14transform_implILb0ES3_S5_N6thrust23THRUST_200600_302600_NS6detail15normal_iteratorINS8_7pointerIfNS8_11hip_rocprim5par_tENS8_11use_defaultESE_EEEENSA_INSB_IlSD_SE_SE_EEEEZNS1_13binary_searchIS3_S5_PfSG_SI_NS1_21upper_bound_search_opENS9_16wrapped_functionINS8_6system6detail7generic6detail18binary_search_lessEbEEEE10hipError_tPvRmT1_T2_T3_mmT4_T5_P12ihipStream_tbEUlRKfE_EEST_SX_SY_mSZ_S12_bEUlT_E_NS1_11comp_targetILNS1_3genE10ELNS1_11target_archE1201ELNS1_3gpuE5ELNS1_3repE0EEENS1_30default_config_static_selectorELNS0_4arch9wavefront6targetE1EEEvSW_.has_indirect_call, 0
	.section	.AMDGPU.csdata,"",@progbits
; Kernel info:
; codeLenInByte = 0
; TotalNumSgprs: 4
; NumVgprs: 0
; ScratchSize: 0
; MemoryBound: 0
; FloatMode: 240
; IeeeMode: 1
; LDSByteSize: 0 bytes/workgroup (compile time only)
; SGPRBlocks: 0
; VGPRBlocks: 0
; NumSGPRsForWavesPerEU: 4
; NumVGPRsForWavesPerEU: 1
; Occupancy: 10
; WaveLimiterHint : 0
; COMPUTE_PGM_RSRC2:SCRATCH_EN: 0
; COMPUTE_PGM_RSRC2:USER_SGPR: 6
; COMPUTE_PGM_RSRC2:TRAP_HANDLER: 0
; COMPUTE_PGM_RSRC2:TGID_X_EN: 1
; COMPUTE_PGM_RSRC2:TGID_Y_EN: 0
; COMPUTE_PGM_RSRC2:TGID_Z_EN: 0
; COMPUTE_PGM_RSRC2:TIDIG_COMP_CNT: 0
	.section	.text._ZN7rocprim17ROCPRIM_400000_NS6detail17trampoline_kernelINS0_14default_configENS1_27upper_bound_config_selectorIflEEZNS1_14transform_implILb0ES3_S5_N6thrust23THRUST_200600_302600_NS6detail15normal_iteratorINS8_7pointerIfNS8_11hip_rocprim5par_tENS8_11use_defaultESE_EEEENSA_INSB_IlSD_SE_SE_EEEEZNS1_13binary_searchIS3_S5_PfSG_SI_NS1_21upper_bound_search_opENS9_16wrapped_functionINS8_6system6detail7generic6detail18binary_search_lessEbEEEE10hipError_tPvRmT1_T2_T3_mmT4_T5_P12ihipStream_tbEUlRKfE_EEST_SX_SY_mSZ_S12_bEUlT_E_NS1_11comp_targetILNS1_3genE10ELNS1_11target_archE1200ELNS1_3gpuE4ELNS1_3repE0EEENS1_30default_config_static_selectorELNS0_4arch9wavefront6targetE1EEEvSW_,"axG",@progbits,_ZN7rocprim17ROCPRIM_400000_NS6detail17trampoline_kernelINS0_14default_configENS1_27upper_bound_config_selectorIflEEZNS1_14transform_implILb0ES3_S5_N6thrust23THRUST_200600_302600_NS6detail15normal_iteratorINS8_7pointerIfNS8_11hip_rocprim5par_tENS8_11use_defaultESE_EEEENSA_INSB_IlSD_SE_SE_EEEEZNS1_13binary_searchIS3_S5_PfSG_SI_NS1_21upper_bound_search_opENS9_16wrapped_functionINS8_6system6detail7generic6detail18binary_search_lessEbEEEE10hipError_tPvRmT1_T2_T3_mmT4_T5_P12ihipStream_tbEUlRKfE_EEST_SX_SY_mSZ_S12_bEUlT_E_NS1_11comp_targetILNS1_3genE10ELNS1_11target_archE1200ELNS1_3gpuE4ELNS1_3repE0EEENS1_30default_config_static_selectorELNS0_4arch9wavefront6targetE1EEEvSW_,comdat
	.protected	_ZN7rocprim17ROCPRIM_400000_NS6detail17trampoline_kernelINS0_14default_configENS1_27upper_bound_config_selectorIflEEZNS1_14transform_implILb0ES3_S5_N6thrust23THRUST_200600_302600_NS6detail15normal_iteratorINS8_7pointerIfNS8_11hip_rocprim5par_tENS8_11use_defaultESE_EEEENSA_INSB_IlSD_SE_SE_EEEEZNS1_13binary_searchIS3_S5_PfSG_SI_NS1_21upper_bound_search_opENS9_16wrapped_functionINS8_6system6detail7generic6detail18binary_search_lessEbEEEE10hipError_tPvRmT1_T2_T3_mmT4_T5_P12ihipStream_tbEUlRKfE_EEST_SX_SY_mSZ_S12_bEUlT_E_NS1_11comp_targetILNS1_3genE10ELNS1_11target_archE1200ELNS1_3gpuE4ELNS1_3repE0EEENS1_30default_config_static_selectorELNS0_4arch9wavefront6targetE1EEEvSW_ ; -- Begin function _ZN7rocprim17ROCPRIM_400000_NS6detail17trampoline_kernelINS0_14default_configENS1_27upper_bound_config_selectorIflEEZNS1_14transform_implILb0ES3_S5_N6thrust23THRUST_200600_302600_NS6detail15normal_iteratorINS8_7pointerIfNS8_11hip_rocprim5par_tENS8_11use_defaultESE_EEEENSA_INSB_IlSD_SE_SE_EEEEZNS1_13binary_searchIS3_S5_PfSG_SI_NS1_21upper_bound_search_opENS9_16wrapped_functionINS8_6system6detail7generic6detail18binary_search_lessEbEEEE10hipError_tPvRmT1_T2_T3_mmT4_T5_P12ihipStream_tbEUlRKfE_EEST_SX_SY_mSZ_S12_bEUlT_E_NS1_11comp_targetILNS1_3genE10ELNS1_11target_archE1200ELNS1_3gpuE4ELNS1_3repE0EEENS1_30default_config_static_selectorELNS0_4arch9wavefront6targetE1EEEvSW_
	.globl	_ZN7rocprim17ROCPRIM_400000_NS6detail17trampoline_kernelINS0_14default_configENS1_27upper_bound_config_selectorIflEEZNS1_14transform_implILb0ES3_S5_N6thrust23THRUST_200600_302600_NS6detail15normal_iteratorINS8_7pointerIfNS8_11hip_rocprim5par_tENS8_11use_defaultESE_EEEENSA_INSB_IlSD_SE_SE_EEEEZNS1_13binary_searchIS3_S5_PfSG_SI_NS1_21upper_bound_search_opENS9_16wrapped_functionINS8_6system6detail7generic6detail18binary_search_lessEbEEEE10hipError_tPvRmT1_T2_T3_mmT4_T5_P12ihipStream_tbEUlRKfE_EEST_SX_SY_mSZ_S12_bEUlT_E_NS1_11comp_targetILNS1_3genE10ELNS1_11target_archE1200ELNS1_3gpuE4ELNS1_3repE0EEENS1_30default_config_static_selectorELNS0_4arch9wavefront6targetE1EEEvSW_
	.p2align	8
	.type	_ZN7rocprim17ROCPRIM_400000_NS6detail17trampoline_kernelINS0_14default_configENS1_27upper_bound_config_selectorIflEEZNS1_14transform_implILb0ES3_S5_N6thrust23THRUST_200600_302600_NS6detail15normal_iteratorINS8_7pointerIfNS8_11hip_rocprim5par_tENS8_11use_defaultESE_EEEENSA_INSB_IlSD_SE_SE_EEEEZNS1_13binary_searchIS3_S5_PfSG_SI_NS1_21upper_bound_search_opENS9_16wrapped_functionINS8_6system6detail7generic6detail18binary_search_lessEbEEEE10hipError_tPvRmT1_T2_T3_mmT4_T5_P12ihipStream_tbEUlRKfE_EEST_SX_SY_mSZ_S12_bEUlT_E_NS1_11comp_targetILNS1_3genE10ELNS1_11target_archE1200ELNS1_3gpuE4ELNS1_3repE0EEENS1_30default_config_static_selectorELNS0_4arch9wavefront6targetE1EEEvSW_,@function
_ZN7rocprim17ROCPRIM_400000_NS6detail17trampoline_kernelINS0_14default_configENS1_27upper_bound_config_selectorIflEEZNS1_14transform_implILb0ES3_S5_N6thrust23THRUST_200600_302600_NS6detail15normal_iteratorINS8_7pointerIfNS8_11hip_rocprim5par_tENS8_11use_defaultESE_EEEENSA_INSB_IlSD_SE_SE_EEEEZNS1_13binary_searchIS3_S5_PfSG_SI_NS1_21upper_bound_search_opENS9_16wrapped_functionINS8_6system6detail7generic6detail18binary_search_lessEbEEEE10hipError_tPvRmT1_T2_T3_mmT4_T5_P12ihipStream_tbEUlRKfE_EEST_SX_SY_mSZ_S12_bEUlT_E_NS1_11comp_targetILNS1_3genE10ELNS1_11target_archE1200ELNS1_3gpuE4ELNS1_3repE0EEENS1_30default_config_static_selectorELNS0_4arch9wavefront6targetE1EEEvSW_: ; @_ZN7rocprim17ROCPRIM_400000_NS6detail17trampoline_kernelINS0_14default_configENS1_27upper_bound_config_selectorIflEEZNS1_14transform_implILb0ES3_S5_N6thrust23THRUST_200600_302600_NS6detail15normal_iteratorINS8_7pointerIfNS8_11hip_rocprim5par_tENS8_11use_defaultESE_EEEENSA_INSB_IlSD_SE_SE_EEEEZNS1_13binary_searchIS3_S5_PfSG_SI_NS1_21upper_bound_search_opENS9_16wrapped_functionINS8_6system6detail7generic6detail18binary_search_lessEbEEEE10hipError_tPvRmT1_T2_T3_mmT4_T5_P12ihipStream_tbEUlRKfE_EEST_SX_SY_mSZ_S12_bEUlT_E_NS1_11comp_targetILNS1_3genE10ELNS1_11target_archE1200ELNS1_3gpuE4ELNS1_3repE0EEENS1_30default_config_static_selectorELNS0_4arch9wavefront6targetE1EEEvSW_
; %bb.0:
	.section	.rodata,"a",@progbits
	.p2align	6, 0x0
	.amdhsa_kernel _ZN7rocprim17ROCPRIM_400000_NS6detail17trampoline_kernelINS0_14default_configENS1_27upper_bound_config_selectorIflEEZNS1_14transform_implILb0ES3_S5_N6thrust23THRUST_200600_302600_NS6detail15normal_iteratorINS8_7pointerIfNS8_11hip_rocprim5par_tENS8_11use_defaultESE_EEEENSA_INSB_IlSD_SE_SE_EEEEZNS1_13binary_searchIS3_S5_PfSG_SI_NS1_21upper_bound_search_opENS9_16wrapped_functionINS8_6system6detail7generic6detail18binary_search_lessEbEEEE10hipError_tPvRmT1_T2_T3_mmT4_T5_P12ihipStream_tbEUlRKfE_EEST_SX_SY_mSZ_S12_bEUlT_E_NS1_11comp_targetILNS1_3genE10ELNS1_11target_archE1200ELNS1_3gpuE4ELNS1_3repE0EEENS1_30default_config_static_selectorELNS0_4arch9wavefront6targetE1EEEvSW_
		.amdhsa_group_segment_fixed_size 0
		.amdhsa_private_segment_fixed_size 0
		.amdhsa_kernarg_size 56
		.amdhsa_user_sgpr_count 6
		.amdhsa_user_sgpr_private_segment_buffer 1
		.amdhsa_user_sgpr_dispatch_ptr 0
		.amdhsa_user_sgpr_queue_ptr 0
		.amdhsa_user_sgpr_kernarg_segment_ptr 1
		.amdhsa_user_sgpr_dispatch_id 0
		.amdhsa_user_sgpr_flat_scratch_init 0
		.amdhsa_user_sgpr_private_segment_size 0
		.amdhsa_uses_dynamic_stack 0
		.amdhsa_system_sgpr_private_segment_wavefront_offset 0
		.amdhsa_system_sgpr_workgroup_id_x 1
		.amdhsa_system_sgpr_workgroup_id_y 0
		.amdhsa_system_sgpr_workgroup_id_z 0
		.amdhsa_system_sgpr_workgroup_info 0
		.amdhsa_system_vgpr_workitem_id 0
		.amdhsa_next_free_vgpr 1
		.amdhsa_next_free_sgpr 0
		.amdhsa_reserve_vcc 0
		.amdhsa_reserve_flat_scratch 0
		.amdhsa_float_round_mode_32 0
		.amdhsa_float_round_mode_16_64 0
		.amdhsa_float_denorm_mode_32 3
		.amdhsa_float_denorm_mode_16_64 3
		.amdhsa_dx10_clamp 1
		.amdhsa_ieee_mode 1
		.amdhsa_fp16_overflow 0
		.amdhsa_exception_fp_ieee_invalid_op 0
		.amdhsa_exception_fp_denorm_src 0
		.amdhsa_exception_fp_ieee_div_zero 0
		.amdhsa_exception_fp_ieee_overflow 0
		.amdhsa_exception_fp_ieee_underflow 0
		.amdhsa_exception_fp_ieee_inexact 0
		.amdhsa_exception_int_div_zero 0
	.end_amdhsa_kernel
	.section	.text._ZN7rocprim17ROCPRIM_400000_NS6detail17trampoline_kernelINS0_14default_configENS1_27upper_bound_config_selectorIflEEZNS1_14transform_implILb0ES3_S5_N6thrust23THRUST_200600_302600_NS6detail15normal_iteratorINS8_7pointerIfNS8_11hip_rocprim5par_tENS8_11use_defaultESE_EEEENSA_INSB_IlSD_SE_SE_EEEEZNS1_13binary_searchIS3_S5_PfSG_SI_NS1_21upper_bound_search_opENS9_16wrapped_functionINS8_6system6detail7generic6detail18binary_search_lessEbEEEE10hipError_tPvRmT1_T2_T3_mmT4_T5_P12ihipStream_tbEUlRKfE_EEST_SX_SY_mSZ_S12_bEUlT_E_NS1_11comp_targetILNS1_3genE10ELNS1_11target_archE1200ELNS1_3gpuE4ELNS1_3repE0EEENS1_30default_config_static_selectorELNS0_4arch9wavefront6targetE1EEEvSW_,"axG",@progbits,_ZN7rocprim17ROCPRIM_400000_NS6detail17trampoline_kernelINS0_14default_configENS1_27upper_bound_config_selectorIflEEZNS1_14transform_implILb0ES3_S5_N6thrust23THRUST_200600_302600_NS6detail15normal_iteratorINS8_7pointerIfNS8_11hip_rocprim5par_tENS8_11use_defaultESE_EEEENSA_INSB_IlSD_SE_SE_EEEEZNS1_13binary_searchIS3_S5_PfSG_SI_NS1_21upper_bound_search_opENS9_16wrapped_functionINS8_6system6detail7generic6detail18binary_search_lessEbEEEE10hipError_tPvRmT1_T2_T3_mmT4_T5_P12ihipStream_tbEUlRKfE_EEST_SX_SY_mSZ_S12_bEUlT_E_NS1_11comp_targetILNS1_3genE10ELNS1_11target_archE1200ELNS1_3gpuE4ELNS1_3repE0EEENS1_30default_config_static_selectorELNS0_4arch9wavefront6targetE1EEEvSW_,comdat
.Lfunc_end178:
	.size	_ZN7rocprim17ROCPRIM_400000_NS6detail17trampoline_kernelINS0_14default_configENS1_27upper_bound_config_selectorIflEEZNS1_14transform_implILb0ES3_S5_N6thrust23THRUST_200600_302600_NS6detail15normal_iteratorINS8_7pointerIfNS8_11hip_rocprim5par_tENS8_11use_defaultESE_EEEENSA_INSB_IlSD_SE_SE_EEEEZNS1_13binary_searchIS3_S5_PfSG_SI_NS1_21upper_bound_search_opENS9_16wrapped_functionINS8_6system6detail7generic6detail18binary_search_lessEbEEEE10hipError_tPvRmT1_T2_T3_mmT4_T5_P12ihipStream_tbEUlRKfE_EEST_SX_SY_mSZ_S12_bEUlT_E_NS1_11comp_targetILNS1_3genE10ELNS1_11target_archE1200ELNS1_3gpuE4ELNS1_3repE0EEENS1_30default_config_static_selectorELNS0_4arch9wavefront6targetE1EEEvSW_, .Lfunc_end178-_ZN7rocprim17ROCPRIM_400000_NS6detail17trampoline_kernelINS0_14default_configENS1_27upper_bound_config_selectorIflEEZNS1_14transform_implILb0ES3_S5_N6thrust23THRUST_200600_302600_NS6detail15normal_iteratorINS8_7pointerIfNS8_11hip_rocprim5par_tENS8_11use_defaultESE_EEEENSA_INSB_IlSD_SE_SE_EEEEZNS1_13binary_searchIS3_S5_PfSG_SI_NS1_21upper_bound_search_opENS9_16wrapped_functionINS8_6system6detail7generic6detail18binary_search_lessEbEEEE10hipError_tPvRmT1_T2_T3_mmT4_T5_P12ihipStream_tbEUlRKfE_EEST_SX_SY_mSZ_S12_bEUlT_E_NS1_11comp_targetILNS1_3genE10ELNS1_11target_archE1200ELNS1_3gpuE4ELNS1_3repE0EEENS1_30default_config_static_selectorELNS0_4arch9wavefront6targetE1EEEvSW_
                                        ; -- End function
	.set _ZN7rocprim17ROCPRIM_400000_NS6detail17trampoline_kernelINS0_14default_configENS1_27upper_bound_config_selectorIflEEZNS1_14transform_implILb0ES3_S5_N6thrust23THRUST_200600_302600_NS6detail15normal_iteratorINS8_7pointerIfNS8_11hip_rocprim5par_tENS8_11use_defaultESE_EEEENSA_INSB_IlSD_SE_SE_EEEEZNS1_13binary_searchIS3_S5_PfSG_SI_NS1_21upper_bound_search_opENS9_16wrapped_functionINS8_6system6detail7generic6detail18binary_search_lessEbEEEE10hipError_tPvRmT1_T2_T3_mmT4_T5_P12ihipStream_tbEUlRKfE_EEST_SX_SY_mSZ_S12_bEUlT_E_NS1_11comp_targetILNS1_3genE10ELNS1_11target_archE1200ELNS1_3gpuE4ELNS1_3repE0EEENS1_30default_config_static_selectorELNS0_4arch9wavefront6targetE1EEEvSW_.num_vgpr, 0
	.set _ZN7rocprim17ROCPRIM_400000_NS6detail17trampoline_kernelINS0_14default_configENS1_27upper_bound_config_selectorIflEEZNS1_14transform_implILb0ES3_S5_N6thrust23THRUST_200600_302600_NS6detail15normal_iteratorINS8_7pointerIfNS8_11hip_rocprim5par_tENS8_11use_defaultESE_EEEENSA_INSB_IlSD_SE_SE_EEEEZNS1_13binary_searchIS3_S5_PfSG_SI_NS1_21upper_bound_search_opENS9_16wrapped_functionINS8_6system6detail7generic6detail18binary_search_lessEbEEEE10hipError_tPvRmT1_T2_T3_mmT4_T5_P12ihipStream_tbEUlRKfE_EEST_SX_SY_mSZ_S12_bEUlT_E_NS1_11comp_targetILNS1_3genE10ELNS1_11target_archE1200ELNS1_3gpuE4ELNS1_3repE0EEENS1_30default_config_static_selectorELNS0_4arch9wavefront6targetE1EEEvSW_.num_agpr, 0
	.set _ZN7rocprim17ROCPRIM_400000_NS6detail17trampoline_kernelINS0_14default_configENS1_27upper_bound_config_selectorIflEEZNS1_14transform_implILb0ES3_S5_N6thrust23THRUST_200600_302600_NS6detail15normal_iteratorINS8_7pointerIfNS8_11hip_rocprim5par_tENS8_11use_defaultESE_EEEENSA_INSB_IlSD_SE_SE_EEEEZNS1_13binary_searchIS3_S5_PfSG_SI_NS1_21upper_bound_search_opENS9_16wrapped_functionINS8_6system6detail7generic6detail18binary_search_lessEbEEEE10hipError_tPvRmT1_T2_T3_mmT4_T5_P12ihipStream_tbEUlRKfE_EEST_SX_SY_mSZ_S12_bEUlT_E_NS1_11comp_targetILNS1_3genE10ELNS1_11target_archE1200ELNS1_3gpuE4ELNS1_3repE0EEENS1_30default_config_static_selectorELNS0_4arch9wavefront6targetE1EEEvSW_.numbered_sgpr, 0
	.set _ZN7rocprim17ROCPRIM_400000_NS6detail17trampoline_kernelINS0_14default_configENS1_27upper_bound_config_selectorIflEEZNS1_14transform_implILb0ES3_S5_N6thrust23THRUST_200600_302600_NS6detail15normal_iteratorINS8_7pointerIfNS8_11hip_rocprim5par_tENS8_11use_defaultESE_EEEENSA_INSB_IlSD_SE_SE_EEEEZNS1_13binary_searchIS3_S5_PfSG_SI_NS1_21upper_bound_search_opENS9_16wrapped_functionINS8_6system6detail7generic6detail18binary_search_lessEbEEEE10hipError_tPvRmT1_T2_T3_mmT4_T5_P12ihipStream_tbEUlRKfE_EEST_SX_SY_mSZ_S12_bEUlT_E_NS1_11comp_targetILNS1_3genE10ELNS1_11target_archE1200ELNS1_3gpuE4ELNS1_3repE0EEENS1_30default_config_static_selectorELNS0_4arch9wavefront6targetE1EEEvSW_.num_named_barrier, 0
	.set _ZN7rocprim17ROCPRIM_400000_NS6detail17trampoline_kernelINS0_14default_configENS1_27upper_bound_config_selectorIflEEZNS1_14transform_implILb0ES3_S5_N6thrust23THRUST_200600_302600_NS6detail15normal_iteratorINS8_7pointerIfNS8_11hip_rocprim5par_tENS8_11use_defaultESE_EEEENSA_INSB_IlSD_SE_SE_EEEEZNS1_13binary_searchIS3_S5_PfSG_SI_NS1_21upper_bound_search_opENS9_16wrapped_functionINS8_6system6detail7generic6detail18binary_search_lessEbEEEE10hipError_tPvRmT1_T2_T3_mmT4_T5_P12ihipStream_tbEUlRKfE_EEST_SX_SY_mSZ_S12_bEUlT_E_NS1_11comp_targetILNS1_3genE10ELNS1_11target_archE1200ELNS1_3gpuE4ELNS1_3repE0EEENS1_30default_config_static_selectorELNS0_4arch9wavefront6targetE1EEEvSW_.private_seg_size, 0
	.set _ZN7rocprim17ROCPRIM_400000_NS6detail17trampoline_kernelINS0_14default_configENS1_27upper_bound_config_selectorIflEEZNS1_14transform_implILb0ES3_S5_N6thrust23THRUST_200600_302600_NS6detail15normal_iteratorINS8_7pointerIfNS8_11hip_rocprim5par_tENS8_11use_defaultESE_EEEENSA_INSB_IlSD_SE_SE_EEEEZNS1_13binary_searchIS3_S5_PfSG_SI_NS1_21upper_bound_search_opENS9_16wrapped_functionINS8_6system6detail7generic6detail18binary_search_lessEbEEEE10hipError_tPvRmT1_T2_T3_mmT4_T5_P12ihipStream_tbEUlRKfE_EEST_SX_SY_mSZ_S12_bEUlT_E_NS1_11comp_targetILNS1_3genE10ELNS1_11target_archE1200ELNS1_3gpuE4ELNS1_3repE0EEENS1_30default_config_static_selectorELNS0_4arch9wavefront6targetE1EEEvSW_.uses_vcc, 0
	.set _ZN7rocprim17ROCPRIM_400000_NS6detail17trampoline_kernelINS0_14default_configENS1_27upper_bound_config_selectorIflEEZNS1_14transform_implILb0ES3_S5_N6thrust23THRUST_200600_302600_NS6detail15normal_iteratorINS8_7pointerIfNS8_11hip_rocprim5par_tENS8_11use_defaultESE_EEEENSA_INSB_IlSD_SE_SE_EEEEZNS1_13binary_searchIS3_S5_PfSG_SI_NS1_21upper_bound_search_opENS9_16wrapped_functionINS8_6system6detail7generic6detail18binary_search_lessEbEEEE10hipError_tPvRmT1_T2_T3_mmT4_T5_P12ihipStream_tbEUlRKfE_EEST_SX_SY_mSZ_S12_bEUlT_E_NS1_11comp_targetILNS1_3genE10ELNS1_11target_archE1200ELNS1_3gpuE4ELNS1_3repE0EEENS1_30default_config_static_selectorELNS0_4arch9wavefront6targetE1EEEvSW_.uses_flat_scratch, 0
	.set _ZN7rocprim17ROCPRIM_400000_NS6detail17trampoline_kernelINS0_14default_configENS1_27upper_bound_config_selectorIflEEZNS1_14transform_implILb0ES3_S5_N6thrust23THRUST_200600_302600_NS6detail15normal_iteratorINS8_7pointerIfNS8_11hip_rocprim5par_tENS8_11use_defaultESE_EEEENSA_INSB_IlSD_SE_SE_EEEEZNS1_13binary_searchIS3_S5_PfSG_SI_NS1_21upper_bound_search_opENS9_16wrapped_functionINS8_6system6detail7generic6detail18binary_search_lessEbEEEE10hipError_tPvRmT1_T2_T3_mmT4_T5_P12ihipStream_tbEUlRKfE_EEST_SX_SY_mSZ_S12_bEUlT_E_NS1_11comp_targetILNS1_3genE10ELNS1_11target_archE1200ELNS1_3gpuE4ELNS1_3repE0EEENS1_30default_config_static_selectorELNS0_4arch9wavefront6targetE1EEEvSW_.has_dyn_sized_stack, 0
	.set _ZN7rocprim17ROCPRIM_400000_NS6detail17trampoline_kernelINS0_14default_configENS1_27upper_bound_config_selectorIflEEZNS1_14transform_implILb0ES3_S5_N6thrust23THRUST_200600_302600_NS6detail15normal_iteratorINS8_7pointerIfNS8_11hip_rocprim5par_tENS8_11use_defaultESE_EEEENSA_INSB_IlSD_SE_SE_EEEEZNS1_13binary_searchIS3_S5_PfSG_SI_NS1_21upper_bound_search_opENS9_16wrapped_functionINS8_6system6detail7generic6detail18binary_search_lessEbEEEE10hipError_tPvRmT1_T2_T3_mmT4_T5_P12ihipStream_tbEUlRKfE_EEST_SX_SY_mSZ_S12_bEUlT_E_NS1_11comp_targetILNS1_3genE10ELNS1_11target_archE1200ELNS1_3gpuE4ELNS1_3repE0EEENS1_30default_config_static_selectorELNS0_4arch9wavefront6targetE1EEEvSW_.has_recursion, 0
	.set _ZN7rocprim17ROCPRIM_400000_NS6detail17trampoline_kernelINS0_14default_configENS1_27upper_bound_config_selectorIflEEZNS1_14transform_implILb0ES3_S5_N6thrust23THRUST_200600_302600_NS6detail15normal_iteratorINS8_7pointerIfNS8_11hip_rocprim5par_tENS8_11use_defaultESE_EEEENSA_INSB_IlSD_SE_SE_EEEEZNS1_13binary_searchIS3_S5_PfSG_SI_NS1_21upper_bound_search_opENS9_16wrapped_functionINS8_6system6detail7generic6detail18binary_search_lessEbEEEE10hipError_tPvRmT1_T2_T3_mmT4_T5_P12ihipStream_tbEUlRKfE_EEST_SX_SY_mSZ_S12_bEUlT_E_NS1_11comp_targetILNS1_3genE10ELNS1_11target_archE1200ELNS1_3gpuE4ELNS1_3repE0EEENS1_30default_config_static_selectorELNS0_4arch9wavefront6targetE1EEEvSW_.has_indirect_call, 0
	.section	.AMDGPU.csdata,"",@progbits
; Kernel info:
; codeLenInByte = 0
; TotalNumSgprs: 4
; NumVgprs: 0
; ScratchSize: 0
; MemoryBound: 0
; FloatMode: 240
; IeeeMode: 1
; LDSByteSize: 0 bytes/workgroup (compile time only)
; SGPRBlocks: 0
; VGPRBlocks: 0
; NumSGPRsForWavesPerEU: 4
; NumVGPRsForWavesPerEU: 1
; Occupancy: 10
; WaveLimiterHint : 0
; COMPUTE_PGM_RSRC2:SCRATCH_EN: 0
; COMPUTE_PGM_RSRC2:USER_SGPR: 6
; COMPUTE_PGM_RSRC2:TRAP_HANDLER: 0
; COMPUTE_PGM_RSRC2:TGID_X_EN: 1
; COMPUTE_PGM_RSRC2:TGID_Y_EN: 0
; COMPUTE_PGM_RSRC2:TGID_Z_EN: 0
; COMPUTE_PGM_RSRC2:TIDIG_COMP_CNT: 0
	.section	.text._ZN7rocprim17ROCPRIM_400000_NS6detail17trampoline_kernelINS0_14default_configENS1_27upper_bound_config_selectorIflEEZNS1_14transform_implILb0ES3_S5_N6thrust23THRUST_200600_302600_NS6detail15normal_iteratorINS8_7pointerIfNS8_11hip_rocprim5par_tENS8_11use_defaultESE_EEEENSA_INSB_IlSD_SE_SE_EEEEZNS1_13binary_searchIS3_S5_PfSG_SI_NS1_21upper_bound_search_opENS9_16wrapped_functionINS8_6system6detail7generic6detail18binary_search_lessEbEEEE10hipError_tPvRmT1_T2_T3_mmT4_T5_P12ihipStream_tbEUlRKfE_EEST_SX_SY_mSZ_S12_bEUlT_E_NS1_11comp_targetILNS1_3genE9ELNS1_11target_archE1100ELNS1_3gpuE3ELNS1_3repE0EEENS1_30default_config_static_selectorELNS0_4arch9wavefront6targetE1EEEvSW_,"axG",@progbits,_ZN7rocprim17ROCPRIM_400000_NS6detail17trampoline_kernelINS0_14default_configENS1_27upper_bound_config_selectorIflEEZNS1_14transform_implILb0ES3_S5_N6thrust23THRUST_200600_302600_NS6detail15normal_iteratorINS8_7pointerIfNS8_11hip_rocprim5par_tENS8_11use_defaultESE_EEEENSA_INSB_IlSD_SE_SE_EEEEZNS1_13binary_searchIS3_S5_PfSG_SI_NS1_21upper_bound_search_opENS9_16wrapped_functionINS8_6system6detail7generic6detail18binary_search_lessEbEEEE10hipError_tPvRmT1_T2_T3_mmT4_T5_P12ihipStream_tbEUlRKfE_EEST_SX_SY_mSZ_S12_bEUlT_E_NS1_11comp_targetILNS1_3genE9ELNS1_11target_archE1100ELNS1_3gpuE3ELNS1_3repE0EEENS1_30default_config_static_selectorELNS0_4arch9wavefront6targetE1EEEvSW_,comdat
	.protected	_ZN7rocprim17ROCPRIM_400000_NS6detail17trampoline_kernelINS0_14default_configENS1_27upper_bound_config_selectorIflEEZNS1_14transform_implILb0ES3_S5_N6thrust23THRUST_200600_302600_NS6detail15normal_iteratorINS8_7pointerIfNS8_11hip_rocprim5par_tENS8_11use_defaultESE_EEEENSA_INSB_IlSD_SE_SE_EEEEZNS1_13binary_searchIS3_S5_PfSG_SI_NS1_21upper_bound_search_opENS9_16wrapped_functionINS8_6system6detail7generic6detail18binary_search_lessEbEEEE10hipError_tPvRmT1_T2_T3_mmT4_T5_P12ihipStream_tbEUlRKfE_EEST_SX_SY_mSZ_S12_bEUlT_E_NS1_11comp_targetILNS1_3genE9ELNS1_11target_archE1100ELNS1_3gpuE3ELNS1_3repE0EEENS1_30default_config_static_selectorELNS0_4arch9wavefront6targetE1EEEvSW_ ; -- Begin function _ZN7rocprim17ROCPRIM_400000_NS6detail17trampoline_kernelINS0_14default_configENS1_27upper_bound_config_selectorIflEEZNS1_14transform_implILb0ES3_S5_N6thrust23THRUST_200600_302600_NS6detail15normal_iteratorINS8_7pointerIfNS8_11hip_rocprim5par_tENS8_11use_defaultESE_EEEENSA_INSB_IlSD_SE_SE_EEEEZNS1_13binary_searchIS3_S5_PfSG_SI_NS1_21upper_bound_search_opENS9_16wrapped_functionINS8_6system6detail7generic6detail18binary_search_lessEbEEEE10hipError_tPvRmT1_T2_T3_mmT4_T5_P12ihipStream_tbEUlRKfE_EEST_SX_SY_mSZ_S12_bEUlT_E_NS1_11comp_targetILNS1_3genE9ELNS1_11target_archE1100ELNS1_3gpuE3ELNS1_3repE0EEENS1_30default_config_static_selectorELNS0_4arch9wavefront6targetE1EEEvSW_
	.globl	_ZN7rocprim17ROCPRIM_400000_NS6detail17trampoline_kernelINS0_14default_configENS1_27upper_bound_config_selectorIflEEZNS1_14transform_implILb0ES3_S5_N6thrust23THRUST_200600_302600_NS6detail15normal_iteratorINS8_7pointerIfNS8_11hip_rocprim5par_tENS8_11use_defaultESE_EEEENSA_INSB_IlSD_SE_SE_EEEEZNS1_13binary_searchIS3_S5_PfSG_SI_NS1_21upper_bound_search_opENS9_16wrapped_functionINS8_6system6detail7generic6detail18binary_search_lessEbEEEE10hipError_tPvRmT1_T2_T3_mmT4_T5_P12ihipStream_tbEUlRKfE_EEST_SX_SY_mSZ_S12_bEUlT_E_NS1_11comp_targetILNS1_3genE9ELNS1_11target_archE1100ELNS1_3gpuE3ELNS1_3repE0EEENS1_30default_config_static_selectorELNS0_4arch9wavefront6targetE1EEEvSW_
	.p2align	8
	.type	_ZN7rocprim17ROCPRIM_400000_NS6detail17trampoline_kernelINS0_14default_configENS1_27upper_bound_config_selectorIflEEZNS1_14transform_implILb0ES3_S5_N6thrust23THRUST_200600_302600_NS6detail15normal_iteratorINS8_7pointerIfNS8_11hip_rocprim5par_tENS8_11use_defaultESE_EEEENSA_INSB_IlSD_SE_SE_EEEEZNS1_13binary_searchIS3_S5_PfSG_SI_NS1_21upper_bound_search_opENS9_16wrapped_functionINS8_6system6detail7generic6detail18binary_search_lessEbEEEE10hipError_tPvRmT1_T2_T3_mmT4_T5_P12ihipStream_tbEUlRKfE_EEST_SX_SY_mSZ_S12_bEUlT_E_NS1_11comp_targetILNS1_3genE9ELNS1_11target_archE1100ELNS1_3gpuE3ELNS1_3repE0EEENS1_30default_config_static_selectorELNS0_4arch9wavefront6targetE1EEEvSW_,@function
_ZN7rocprim17ROCPRIM_400000_NS6detail17trampoline_kernelINS0_14default_configENS1_27upper_bound_config_selectorIflEEZNS1_14transform_implILb0ES3_S5_N6thrust23THRUST_200600_302600_NS6detail15normal_iteratorINS8_7pointerIfNS8_11hip_rocprim5par_tENS8_11use_defaultESE_EEEENSA_INSB_IlSD_SE_SE_EEEEZNS1_13binary_searchIS3_S5_PfSG_SI_NS1_21upper_bound_search_opENS9_16wrapped_functionINS8_6system6detail7generic6detail18binary_search_lessEbEEEE10hipError_tPvRmT1_T2_T3_mmT4_T5_P12ihipStream_tbEUlRKfE_EEST_SX_SY_mSZ_S12_bEUlT_E_NS1_11comp_targetILNS1_3genE9ELNS1_11target_archE1100ELNS1_3gpuE3ELNS1_3repE0EEENS1_30default_config_static_selectorELNS0_4arch9wavefront6targetE1EEEvSW_: ; @_ZN7rocprim17ROCPRIM_400000_NS6detail17trampoline_kernelINS0_14default_configENS1_27upper_bound_config_selectorIflEEZNS1_14transform_implILb0ES3_S5_N6thrust23THRUST_200600_302600_NS6detail15normal_iteratorINS8_7pointerIfNS8_11hip_rocprim5par_tENS8_11use_defaultESE_EEEENSA_INSB_IlSD_SE_SE_EEEEZNS1_13binary_searchIS3_S5_PfSG_SI_NS1_21upper_bound_search_opENS9_16wrapped_functionINS8_6system6detail7generic6detail18binary_search_lessEbEEEE10hipError_tPvRmT1_T2_T3_mmT4_T5_P12ihipStream_tbEUlRKfE_EEST_SX_SY_mSZ_S12_bEUlT_E_NS1_11comp_targetILNS1_3genE9ELNS1_11target_archE1100ELNS1_3gpuE3ELNS1_3repE0EEENS1_30default_config_static_selectorELNS0_4arch9wavefront6targetE1EEEvSW_
; %bb.0:
	.section	.rodata,"a",@progbits
	.p2align	6, 0x0
	.amdhsa_kernel _ZN7rocprim17ROCPRIM_400000_NS6detail17trampoline_kernelINS0_14default_configENS1_27upper_bound_config_selectorIflEEZNS1_14transform_implILb0ES3_S5_N6thrust23THRUST_200600_302600_NS6detail15normal_iteratorINS8_7pointerIfNS8_11hip_rocprim5par_tENS8_11use_defaultESE_EEEENSA_INSB_IlSD_SE_SE_EEEEZNS1_13binary_searchIS3_S5_PfSG_SI_NS1_21upper_bound_search_opENS9_16wrapped_functionINS8_6system6detail7generic6detail18binary_search_lessEbEEEE10hipError_tPvRmT1_T2_T3_mmT4_T5_P12ihipStream_tbEUlRKfE_EEST_SX_SY_mSZ_S12_bEUlT_E_NS1_11comp_targetILNS1_3genE9ELNS1_11target_archE1100ELNS1_3gpuE3ELNS1_3repE0EEENS1_30default_config_static_selectorELNS0_4arch9wavefront6targetE1EEEvSW_
		.amdhsa_group_segment_fixed_size 0
		.amdhsa_private_segment_fixed_size 0
		.amdhsa_kernarg_size 56
		.amdhsa_user_sgpr_count 6
		.amdhsa_user_sgpr_private_segment_buffer 1
		.amdhsa_user_sgpr_dispatch_ptr 0
		.amdhsa_user_sgpr_queue_ptr 0
		.amdhsa_user_sgpr_kernarg_segment_ptr 1
		.amdhsa_user_sgpr_dispatch_id 0
		.amdhsa_user_sgpr_flat_scratch_init 0
		.amdhsa_user_sgpr_private_segment_size 0
		.amdhsa_uses_dynamic_stack 0
		.amdhsa_system_sgpr_private_segment_wavefront_offset 0
		.amdhsa_system_sgpr_workgroup_id_x 1
		.amdhsa_system_sgpr_workgroup_id_y 0
		.amdhsa_system_sgpr_workgroup_id_z 0
		.amdhsa_system_sgpr_workgroup_info 0
		.amdhsa_system_vgpr_workitem_id 0
		.amdhsa_next_free_vgpr 1
		.amdhsa_next_free_sgpr 0
		.amdhsa_reserve_vcc 0
		.amdhsa_reserve_flat_scratch 0
		.amdhsa_float_round_mode_32 0
		.amdhsa_float_round_mode_16_64 0
		.amdhsa_float_denorm_mode_32 3
		.amdhsa_float_denorm_mode_16_64 3
		.amdhsa_dx10_clamp 1
		.amdhsa_ieee_mode 1
		.amdhsa_fp16_overflow 0
		.amdhsa_exception_fp_ieee_invalid_op 0
		.amdhsa_exception_fp_denorm_src 0
		.amdhsa_exception_fp_ieee_div_zero 0
		.amdhsa_exception_fp_ieee_overflow 0
		.amdhsa_exception_fp_ieee_underflow 0
		.amdhsa_exception_fp_ieee_inexact 0
		.amdhsa_exception_int_div_zero 0
	.end_amdhsa_kernel
	.section	.text._ZN7rocprim17ROCPRIM_400000_NS6detail17trampoline_kernelINS0_14default_configENS1_27upper_bound_config_selectorIflEEZNS1_14transform_implILb0ES3_S5_N6thrust23THRUST_200600_302600_NS6detail15normal_iteratorINS8_7pointerIfNS8_11hip_rocprim5par_tENS8_11use_defaultESE_EEEENSA_INSB_IlSD_SE_SE_EEEEZNS1_13binary_searchIS3_S5_PfSG_SI_NS1_21upper_bound_search_opENS9_16wrapped_functionINS8_6system6detail7generic6detail18binary_search_lessEbEEEE10hipError_tPvRmT1_T2_T3_mmT4_T5_P12ihipStream_tbEUlRKfE_EEST_SX_SY_mSZ_S12_bEUlT_E_NS1_11comp_targetILNS1_3genE9ELNS1_11target_archE1100ELNS1_3gpuE3ELNS1_3repE0EEENS1_30default_config_static_selectorELNS0_4arch9wavefront6targetE1EEEvSW_,"axG",@progbits,_ZN7rocprim17ROCPRIM_400000_NS6detail17trampoline_kernelINS0_14default_configENS1_27upper_bound_config_selectorIflEEZNS1_14transform_implILb0ES3_S5_N6thrust23THRUST_200600_302600_NS6detail15normal_iteratorINS8_7pointerIfNS8_11hip_rocprim5par_tENS8_11use_defaultESE_EEEENSA_INSB_IlSD_SE_SE_EEEEZNS1_13binary_searchIS3_S5_PfSG_SI_NS1_21upper_bound_search_opENS9_16wrapped_functionINS8_6system6detail7generic6detail18binary_search_lessEbEEEE10hipError_tPvRmT1_T2_T3_mmT4_T5_P12ihipStream_tbEUlRKfE_EEST_SX_SY_mSZ_S12_bEUlT_E_NS1_11comp_targetILNS1_3genE9ELNS1_11target_archE1100ELNS1_3gpuE3ELNS1_3repE0EEENS1_30default_config_static_selectorELNS0_4arch9wavefront6targetE1EEEvSW_,comdat
.Lfunc_end179:
	.size	_ZN7rocprim17ROCPRIM_400000_NS6detail17trampoline_kernelINS0_14default_configENS1_27upper_bound_config_selectorIflEEZNS1_14transform_implILb0ES3_S5_N6thrust23THRUST_200600_302600_NS6detail15normal_iteratorINS8_7pointerIfNS8_11hip_rocprim5par_tENS8_11use_defaultESE_EEEENSA_INSB_IlSD_SE_SE_EEEEZNS1_13binary_searchIS3_S5_PfSG_SI_NS1_21upper_bound_search_opENS9_16wrapped_functionINS8_6system6detail7generic6detail18binary_search_lessEbEEEE10hipError_tPvRmT1_T2_T3_mmT4_T5_P12ihipStream_tbEUlRKfE_EEST_SX_SY_mSZ_S12_bEUlT_E_NS1_11comp_targetILNS1_3genE9ELNS1_11target_archE1100ELNS1_3gpuE3ELNS1_3repE0EEENS1_30default_config_static_selectorELNS0_4arch9wavefront6targetE1EEEvSW_, .Lfunc_end179-_ZN7rocprim17ROCPRIM_400000_NS6detail17trampoline_kernelINS0_14default_configENS1_27upper_bound_config_selectorIflEEZNS1_14transform_implILb0ES3_S5_N6thrust23THRUST_200600_302600_NS6detail15normal_iteratorINS8_7pointerIfNS8_11hip_rocprim5par_tENS8_11use_defaultESE_EEEENSA_INSB_IlSD_SE_SE_EEEEZNS1_13binary_searchIS3_S5_PfSG_SI_NS1_21upper_bound_search_opENS9_16wrapped_functionINS8_6system6detail7generic6detail18binary_search_lessEbEEEE10hipError_tPvRmT1_T2_T3_mmT4_T5_P12ihipStream_tbEUlRKfE_EEST_SX_SY_mSZ_S12_bEUlT_E_NS1_11comp_targetILNS1_3genE9ELNS1_11target_archE1100ELNS1_3gpuE3ELNS1_3repE0EEENS1_30default_config_static_selectorELNS0_4arch9wavefront6targetE1EEEvSW_
                                        ; -- End function
	.set _ZN7rocprim17ROCPRIM_400000_NS6detail17trampoline_kernelINS0_14default_configENS1_27upper_bound_config_selectorIflEEZNS1_14transform_implILb0ES3_S5_N6thrust23THRUST_200600_302600_NS6detail15normal_iteratorINS8_7pointerIfNS8_11hip_rocprim5par_tENS8_11use_defaultESE_EEEENSA_INSB_IlSD_SE_SE_EEEEZNS1_13binary_searchIS3_S5_PfSG_SI_NS1_21upper_bound_search_opENS9_16wrapped_functionINS8_6system6detail7generic6detail18binary_search_lessEbEEEE10hipError_tPvRmT1_T2_T3_mmT4_T5_P12ihipStream_tbEUlRKfE_EEST_SX_SY_mSZ_S12_bEUlT_E_NS1_11comp_targetILNS1_3genE9ELNS1_11target_archE1100ELNS1_3gpuE3ELNS1_3repE0EEENS1_30default_config_static_selectorELNS0_4arch9wavefront6targetE1EEEvSW_.num_vgpr, 0
	.set _ZN7rocprim17ROCPRIM_400000_NS6detail17trampoline_kernelINS0_14default_configENS1_27upper_bound_config_selectorIflEEZNS1_14transform_implILb0ES3_S5_N6thrust23THRUST_200600_302600_NS6detail15normal_iteratorINS8_7pointerIfNS8_11hip_rocprim5par_tENS8_11use_defaultESE_EEEENSA_INSB_IlSD_SE_SE_EEEEZNS1_13binary_searchIS3_S5_PfSG_SI_NS1_21upper_bound_search_opENS9_16wrapped_functionINS8_6system6detail7generic6detail18binary_search_lessEbEEEE10hipError_tPvRmT1_T2_T3_mmT4_T5_P12ihipStream_tbEUlRKfE_EEST_SX_SY_mSZ_S12_bEUlT_E_NS1_11comp_targetILNS1_3genE9ELNS1_11target_archE1100ELNS1_3gpuE3ELNS1_3repE0EEENS1_30default_config_static_selectorELNS0_4arch9wavefront6targetE1EEEvSW_.num_agpr, 0
	.set _ZN7rocprim17ROCPRIM_400000_NS6detail17trampoline_kernelINS0_14default_configENS1_27upper_bound_config_selectorIflEEZNS1_14transform_implILb0ES3_S5_N6thrust23THRUST_200600_302600_NS6detail15normal_iteratorINS8_7pointerIfNS8_11hip_rocprim5par_tENS8_11use_defaultESE_EEEENSA_INSB_IlSD_SE_SE_EEEEZNS1_13binary_searchIS3_S5_PfSG_SI_NS1_21upper_bound_search_opENS9_16wrapped_functionINS8_6system6detail7generic6detail18binary_search_lessEbEEEE10hipError_tPvRmT1_T2_T3_mmT4_T5_P12ihipStream_tbEUlRKfE_EEST_SX_SY_mSZ_S12_bEUlT_E_NS1_11comp_targetILNS1_3genE9ELNS1_11target_archE1100ELNS1_3gpuE3ELNS1_3repE0EEENS1_30default_config_static_selectorELNS0_4arch9wavefront6targetE1EEEvSW_.numbered_sgpr, 0
	.set _ZN7rocprim17ROCPRIM_400000_NS6detail17trampoline_kernelINS0_14default_configENS1_27upper_bound_config_selectorIflEEZNS1_14transform_implILb0ES3_S5_N6thrust23THRUST_200600_302600_NS6detail15normal_iteratorINS8_7pointerIfNS8_11hip_rocprim5par_tENS8_11use_defaultESE_EEEENSA_INSB_IlSD_SE_SE_EEEEZNS1_13binary_searchIS3_S5_PfSG_SI_NS1_21upper_bound_search_opENS9_16wrapped_functionINS8_6system6detail7generic6detail18binary_search_lessEbEEEE10hipError_tPvRmT1_T2_T3_mmT4_T5_P12ihipStream_tbEUlRKfE_EEST_SX_SY_mSZ_S12_bEUlT_E_NS1_11comp_targetILNS1_3genE9ELNS1_11target_archE1100ELNS1_3gpuE3ELNS1_3repE0EEENS1_30default_config_static_selectorELNS0_4arch9wavefront6targetE1EEEvSW_.num_named_barrier, 0
	.set _ZN7rocprim17ROCPRIM_400000_NS6detail17trampoline_kernelINS0_14default_configENS1_27upper_bound_config_selectorIflEEZNS1_14transform_implILb0ES3_S5_N6thrust23THRUST_200600_302600_NS6detail15normal_iteratorINS8_7pointerIfNS8_11hip_rocprim5par_tENS8_11use_defaultESE_EEEENSA_INSB_IlSD_SE_SE_EEEEZNS1_13binary_searchIS3_S5_PfSG_SI_NS1_21upper_bound_search_opENS9_16wrapped_functionINS8_6system6detail7generic6detail18binary_search_lessEbEEEE10hipError_tPvRmT1_T2_T3_mmT4_T5_P12ihipStream_tbEUlRKfE_EEST_SX_SY_mSZ_S12_bEUlT_E_NS1_11comp_targetILNS1_3genE9ELNS1_11target_archE1100ELNS1_3gpuE3ELNS1_3repE0EEENS1_30default_config_static_selectorELNS0_4arch9wavefront6targetE1EEEvSW_.private_seg_size, 0
	.set _ZN7rocprim17ROCPRIM_400000_NS6detail17trampoline_kernelINS0_14default_configENS1_27upper_bound_config_selectorIflEEZNS1_14transform_implILb0ES3_S5_N6thrust23THRUST_200600_302600_NS6detail15normal_iteratorINS8_7pointerIfNS8_11hip_rocprim5par_tENS8_11use_defaultESE_EEEENSA_INSB_IlSD_SE_SE_EEEEZNS1_13binary_searchIS3_S5_PfSG_SI_NS1_21upper_bound_search_opENS9_16wrapped_functionINS8_6system6detail7generic6detail18binary_search_lessEbEEEE10hipError_tPvRmT1_T2_T3_mmT4_T5_P12ihipStream_tbEUlRKfE_EEST_SX_SY_mSZ_S12_bEUlT_E_NS1_11comp_targetILNS1_3genE9ELNS1_11target_archE1100ELNS1_3gpuE3ELNS1_3repE0EEENS1_30default_config_static_selectorELNS0_4arch9wavefront6targetE1EEEvSW_.uses_vcc, 0
	.set _ZN7rocprim17ROCPRIM_400000_NS6detail17trampoline_kernelINS0_14default_configENS1_27upper_bound_config_selectorIflEEZNS1_14transform_implILb0ES3_S5_N6thrust23THRUST_200600_302600_NS6detail15normal_iteratorINS8_7pointerIfNS8_11hip_rocprim5par_tENS8_11use_defaultESE_EEEENSA_INSB_IlSD_SE_SE_EEEEZNS1_13binary_searchIS3_S5_PfSG_SI_NS1_21upper_bound_search_opENS9_16wrapped_functionINS8_6system6detail7generic6detail18binary_search_lessEbEEEE10hipError_tPvRmT1_T2_T3_mmT4_T5_P12ihipStream_tbEUlRKfE_EEST_SX_SY_mSZ_S12_bEUlT_E_NS1_11comp_targetILNS1_3genE9ELNS1_11target_archE1100ELNS1_3gpuE3ELNS1_3repE0EEENS1_30default_config_static_selectorELNS0_4arch9wavefront6targetE1EEEvSW_.uses_flat_scratch, 0
	.set _ZN7rocprim17ROCPRIM_400000_NS6detail17trampoline_kernelINS0_14default_configENS1_27upper_bound_config_selectorIflEEZNS1_14transform_implILb0ES3_S5_N6thrust23THRUST_200600_302600_NS6detail15normal_iteratorINS8_7pointerIfNS8_11hip_rocprim5par_tENS8_11use_defaultESE_EEEENSA_INSB_IlSD_SE_SE_EEEEZNS1_13binary_searchIS3_S5_PfSG_SI_NS1_21upper_bound_search_opENS9_16wrapped_functionINS8_6system6detail7generic6detail18binary_search_lessEbEEEE10hipError_tPvRmT1_T2_T3_mmT4_T5_P12ihipStream_tbEUlRKfE_EEST_SX_SY_mSZ_S12_bEUlT_E_NS1_11comp_targetILNS1_3genE9ELNS1_11target_archE1100ELNS1_3gpuE3ELNS1_3repE0EEENS1_30default_config_static_selectorELNS0_4arch9wavefront6targetE1EEEvSW_.has_dyn_sized_stack, 0
	.set _ZN7rocprim17ROCPRIM_400000_NS6detail17trampoline_kernelINS0_14default_configENS1_27upper_bound_config_selectorIflEEZNS1_14transform_implILb0ES3_S5_N6thrust23THRUST_200600_302600_NS6detail15normal_iteratorINS8_7pointerIfNS8_11hip_rocprim5par_tENS8_11use_defaultESE_EEEENSA_INSB_IlSD_SE_SE_EEEEZNS1_13binary_searchIS3_S5_PfSG_SI_NS1_21upper_bound_search_opENS9_16wrapped_functionINS8_6system6detail7generic6detail18binary_search_lessEbEEEE10hipError_tPvRmT1_T2_T3_mmT4_T5_P12ihipStream_tbEUlRKfE_EEST_SX_SY_mSZ_S12_bEUlT_E_NS1_11comp_targetILNS1_3genE9ELNS1_11target_archE1100ELNS1_3gpuE3ELNS1_3repE0EEENS1_30default_config_static_selectorELNS0_4arch9wavefront6targetE1EEEvSW_.has_recursion, 0
	.set _ZN7rocprim17ROCPRIM_400000_NS6detail17trampoline_kernelINS0_14default_configENS1_27upper_bound_config_selectorIflEEZNS1_14transform_implILb0ES3_S5_N6thrust23THRUST_200600_302600_NS6detail15normal_iteratorINS8_7pointerIfNS8_11hip_rocprim5par_tENS8_11use_defaultESE_EEEENSA_INSB_IlSD_SE_SE_EEEEZNS1_13binary_searchIS3_S5_PfSG_SI_NS1_21upper_bound_search_opENS9_16wrapped_functionINS8_6system6detail7generic6detail18binary_search_lessEbEEEE10hipError_tPvRmT1_T2_T3_mmT4_T5_P12ihipStream_tbEUlRKfE_EEST_SX_SY_mSZ_S12_bEUlT_E_NS1_11comp_targetILNS1_3genE9ELNS1_11target_archE1100ELNS1_3gpuE3ELNS1_3repE0EEENS1_30default_config_static_selectorELNS0_4arch9wavefront6targetE1EEEvSW_.has_indirect_call, 0
	.section	.AMDGPU.csdata,"",@progbits
; Kernel info:
; codeLenInByte = 0
; TotalNumSgprs: 4
; NumVgprs: 0
; ScratchSize: 0
; MemoryBound: 0
; FloatMode: 240
; IeeeMode: 1
; LDSByteSize: 0 bytes/workgroup (compile time only)
; SGPRBlocks: 0
; VGPRBlocks: 0
; NumSGPRsForWavesPerEU: 4
; NumVGPRsForWavesPerEU: 1
; Occupancy: 10
; WaveLimiterHint : 0
; COMPUTE_PGM_RSRC2:SCRATCH_EN: 0
; COMPUTE_PGM_RSRC2:USER_SGPR: 6
; COMPUTE_PGM_RSRC2:TRAP_HANDLER: 0
; COMPUTE_PGM_RSRC2:TGID_X_EN: 1
; COMPUTE_PGM_RSRC2:TGID_Y_EN: 0
; COMPUTE_PGM_RSRC2:TGID_Z_EN: 0
; COMPUTE_PGM_RSRC2:TIDIG_COMP_CNT: 0
	.section	.text._ZN7rocprim17ROCPRIM_400000_NS6detail17trampoline_kernelINS0_14default_configENS1_27upper_bound_config_selectorIflEEZNS1_14transform_implILb0ES3_S5_N6thrust23THRUST_200600_302600_NS6detail15normal_iteratorINS8_7pointerIfNS8_11hip_rocprim5par_tENS8_11use_defaultESE_EEEENSA_INSB_IlSD_SE_SE_EEEEZNS1_13binary_searchIS3_S5_PfSG_SI_NS1_21upper_bound_search_opENS9_16wrapped_functionINS8_6system6detail7generic6detail18binary_search_lessEbEEEE10hipError_tPvRmT1_T2_T3_mmT4_T5_P12ihipStream_tbEUlRKfE_EEST_SX_SY_mSZ_S12_bEUlT_E_NS1_11comp_targetILNS1_3genE8ELNS1_11target_archE1030ELNS1_3gpuE2ELNS1_3repE0EEENS1_30default_config_static_selectorELNS0_4arch9wavefront6targetE1EEEvSW_,"axG",@progbits,_ZN7rocprim17ROCPRIM_400000_NS6detail17trampoline_kernelINS0_14default_configENS1_27upper_bound_config_selectorIflEEZNS1_14transform_implILb0ES3_S5_N6thrust23THRUST_200600_302600_NS6detail15normal_iteratorINS8_7pointerIfNS8_11hip_rocprim5par_tENS8_11use_defaultESE_EEEENSA_INSB_IlSD_SE_SE_EEEEZNS1_13binary_searchIS3_S5_PfSG_SI_NS1_21upper_bound_search_opENS9_16wrapped_functionINS8_6system6detail7generic6detail18binary_search_lessEbEEEE10hipError_tPvRmT1_T2_T3_mmT4_T5_P12ihipStream_tbEUlRKfE_EEST_SX_SY_mSZ_S12_bEUlT_E_NS1_11comp_targetILNS1_3genE8ELNS1_11target_archE1030ELNS1_3gpuE2ELNS1_3repE0EEENS1_30default_config_static_selectorELNS0_4arch9wavefront6targetE1EEEvSW_,comdat
	.protected	_ZN7rocprim17ROCPRIM_400000_NS6detail17trampoline_kernelINS0_14default_configENS1_27upper_bound_config_selectorIflEEZNS1_14transform_implILb0ES3_S5_N6thrust23THRUST_200600_302600_NS6detail15normal_iteratorINS8_7pointerIfNS8_11hip_rocprim5par_tENS8_11use_defaultESE_EEEENSA_INSB_IlSD_SE_SE_EEEEZNS1_13binary_searchIS3_S5_PfSG_SI_NS1_21upper_bound_search_opENS9_16wrapped_functionINS8_6system6detail7generic6detail18binary_search_lessEbEEEE10hipError_tPvRmT1_T2_T3_mmT4_T5_P12ihipStream_tbEUlRKfE_EEST_SX_SY_mSZ_S12_bEUlT_E_NS1_11comp_targetILNS1_3genE8ELNS1_11target_archE1030ELNS1_3gpuE2ELNS1_3repE0EEENS1_30default_config_static_selectorELNS0_4arch9wavefront6targetE1EEEvSW_ ; -- Begin function _ZN7rocprim17ROCPRIM_400000_NS6detail17trampoline_kernelINS0_14default_configENS1_27upper_bound_config_selectorIflEEZNS1_14transform_implILb0ES3_S5_N6thrust23THRUST_200600_302600_NS6detail15normal_iteratorINS8_7pointerIfNS8_11hip_rocprim5par_tENS8_11use_defaultESE_EEEENSA_INSB_IlSD_SE_SE_EEEEZNS1_13binary_searchIS3_S5_PfSG_SI_NS1_21upper_bound_search_opENS9_16wrapped_functionINS8_6system6detail7generic6detail18binary_search_lessEbEEEE10hipError_tPvRmT1_T2_T3_mmT4_T5_P12ihipStream_tbEUlRKfE_EEST_SX_SY_mSZ_S12_bEUlT_E_NS1_11comp_targetILNS1_3genE8ELNS1_11target_archE1030ELNS1_3gpuE2ELNS1_3repE0EEENS1_30default_config_static_selectorELNS0_4arch9wavefront6targetE1EEEvSW_
	.globl	_ZN7rocprim17ROCPRIM_400000_NS6detail17trampoline_kernelINS0_14default_configENS1_27upper_bound_config_selectorIflEEZNS1_14transform_implILb0ES3_S5_N6thrust23THRUST_200600_302600_NS6detail15normal_iteratorINS8_7pointerIfNS8_11hip_rocprim5par_tENS8_11use_defaultESE_EEEENSA_INSB_IlSD_SE_SE_EEEEZNS1_13binary_searchIS3_S5_PfSG_SI_NS1_21upper_bound_search_opENS9_16wrapped_functionINS8_6system6detail7generic6detail18binary_search_lessEbEEEE10hipError_tPvRmT1_T2_T3_mmT4_T5_P12ihipStream_tbEUlRKfE_EEST_SX_SY_mSZ_S12_bEUlT_E_NS1_11comp_targetILNS1_3genE8ELNS1_11target_archE1030ELNS1_3gpuE2ELNS1_3repE0EEENS1_30default_config_static_selectorELNS0_4arch9wavefront6targetE1EEEvSW_
	.p2align	8
	.type	_ZN7rocprim17ROCPRIM_400000_NS6detail17trampoline_kernelINS0_14default_configENS1_27upper_bound_config_selectorIflEEZNS1_14transform_implILb0ES3_S5_N6thrust23THRUST_200600_302600_NS6detail15normal_iteratorINS8_7pointerIfNS8_11hip_rocprim5par_tENS8_11use_defaultESE_EEEENSA_INSB_IlSD_SE_SE_EEEEZNS1_13binary_searchIS3_S5_PfSG_SI_NS1_21upper_bound_search_opENS9_16wrapped_functionINS8_6system6detail7generic6detail18binary_search_lessEbEEEE10hipError_tPvRmT1_T2_T3_mmT4_T5_P12ihipStream_tbEUlRKfE_EEST_SX_SY_mSZ_S12_bEUlT_E_NS1_11comp_targetILNS1_3genE8ELNS1_11target_archE1030ELNS1_3gpuE2ELNS1_3repE0EEENS1_30default_config_static_selectorELNS0_4arch9wavefront6targetE1EEEvSW_,@function
_ZN7rocprim17ROCPRIM_400000_NS6detail17trampoline_kernelINS0_14default_configENS1_27upper_bound_config_selectorIflEEZNS1_14transform_implILb0ES3_S5_N6thrust23THRUST_200600_302600_NS6detail15normal_iteratorINS8_7pointerIfNS8_11hip_rocprim5par_tENS8_11use_defaultESE_EEEENSA_INSB_IlSD_SE_SE_EEEEZNS1_13binary_searchIS3_S5_PfSG_SI_NS1_21upper_bound_search_opENS9_16wrapped_functionINS8_6system6detail7generic6detail18binary_search_lessEbEEEE10hipError_tPvRmT1_T2_T3_mmT4_T5_P12ihipStream_tbEUlRKfE_EEST_SX_SY_mSZ_S12_bEUlT_E_NS1_11comp_targetILNS1_3genE8ELNS1_11target_archE1030ELNS1_3gpuE2ELNS1_3repE0EEENS1_30default_config_static_selectorELNS0_4arch9wavefront6targetE1EEEvSW_: ; @_ZN7rocprim17ROCPRIM_400000_NS6detail17trampoline_kernelINS0_14default_configENS1_27upper_bound_config_selectorIflEEZNS1_14transform_implILb0ES3_S5_N6thrust23THRUST_200600_302600_NS6detail15normal_iteratorINS8_7pointerIfNS8_11hip_rocprim5par_tENS8_11use_defaultESE_EEEENSA_INSB_IlSD_SE_SE_EEEEZNS1_13binary_searchIS3_S5_PfSG_SI_NS1_21upper_bound_search_opENS9_16wrapped_functionINS8_6system6detail7generic6detail18binary_search_lessEbEEEE10hipError_tPvRmT1_T2_T3_mmT4_T5_P12ihipStream_tbEUlRKfE_EEST_SX_SY_mSZ_S12_bEUlT_E_NS1_11comp_targetILNS1_3genE8ELNS1_11target_archE1030ELNS1_3gpuE2ELNS1_3repE0EEENS1_30default_config_static_selectorELNS0_4arch9wavefront6targetE1EEEvSW_
; %bb.0:
	.section	.rodata,"a",@progbits
	.p2align	6, 0x0
	.amdhsa_kernel _ZN7rocprim17ROCPRIM_400000_NS6detail17trampoline_kernelINS0_14default_configENS1_27upper_bound_config_selectorIflEEZNS1_14transform_implILb0ES3_S5_N6thrust23THRUST_200600_302600_NS6detail15normal_iteratorINS8_7pointerIfNS8_11hip_rocprim5par_tENS8_11use_defaultESE_EEEENSA_INSB_IlSD_SE_SE_EEEEZNS1_13binary_searchIS3_S5_PfSG_SI_NS1_21upper_bound_search_opENS9_16wrapped_functionINS8_6system6detail7generic6detail18binary_search_lessEbEEEE10hipError_tPvRmT1_T2_T3_mmT4_T5_P12ihipStream_tbEUlRKfE_EEST_SX_SY_mSZ_S12_bEUlT_E_NS1_11comp_targetILNS1_3genE8ELNS1_11target_archE1030ELNS1_3gpuE2ELNS1_3repE0EEENS1_30default_config_static_selectorELNS0_4arch9wavefront6targetE1EEEvSW_
		.amdhsa_group_segment_fixed_size 0
		.amdhsa_private_segment_fixed_size 0
		.amdhsa_kernarg_size 56
		.amdhsa_user_sgpr_count 6
		.amdhsa_user_sgpr_private_segment_buffer 1
		.amdhsa_user_sgpr_dispatch_ptr 0
		.amdhsa_user_sgpr_queue_ptr 0
		.amdhsa_user_sgpr_kernarg_segment_ptr 1
		.amdhsa_user_sgpr_dispatch_id 0
		.amdhsa_user_sgpr_flat_scratch_init 0
		.amdhsa_user_sgpr_private_segment_size 0
		.amdhsa_uses_dynamic_stack 0
		.amdhsa_system_sgpr_private_segment_wavefront_offset 0
		.amdhsa_system_sgpr_workgroup_id_x 1
		.amdhsa_system_sgpr_workgroup_id_y 0
		.amdhsa_system_sgpr_workgroup_id_z 0
		.amdhsa_system_sgpr_workgroup_info 0
		.amdhsa_system_vgpr_workitem_id 0
		.amdhsa_next_free_vgpr 1
		.amdhsa_next_free_sgpr 0
		.amdhsa_reserve_vcc 0
		.amdhsa_reserve_flat_scratch 0
		.amdhsa_float_round_mode_32 0
		.amdhsa_float_round_mode_16_64 0
		.amdhsa_float_denorm_mode_32 3
		.amdhsa_float_denorm_mode_16_64 3
		.amdhsa_dx10_clamp 1
		.amdhsa_ieee_mode 1
		.amdhsa_fp16_overflow 0
		.amdhsa_exception_fp_ieee_invalid_op 0
		.amdhsa_exception_fp_denorm_src 0
		.amdhsa_exception_fp_ieee_div_zero 0
		.amdhsa_exception_fp_ieee_overflow 0
		.amdhsa_exception_fp_ieee_underflow 0
		.amdhsa_exception_fp_ieee_inexact 0
		.amdhsa_exception_int_div_zero 0
	.end_amdhsa_kernel
	.section	.text._ZN7rocprim17ROCPRIM_400000_NS6detail17trampoline_kernelINS0_14default_configENS1_27upper_bound_config_selectorIflEEZNS1_14transform_implILb0ES3_S5_N6thrust23THRUST_200600_302600_NS6detail15normal_iteratorINS8_7pointerIfNS8_11hip_rocprim5par_tENS8_11use_defaultESE_EEEENSA_INSB_IlSD_SE_SE_EEEEZNS1_13binary_searchIS3_S5_PfSG_SI_NS1_21upper_bound_search_opENS9_16wrapped_functionINS8_6system6detail7generic6detail18binary_search_lessEbEEEE10hipError_tPvRmT1_T2_T3_mmT4_T5_P12ihipStream_tbEUlRKfE_EEST_SX_SY_mSZ_S12_bEUlT_E_NS1_11comp_targetILNS1_3genE8ELNS1_11target_archE1030ELNS1_3gpuE2ELNS1_3repE0EEENS1_30default_config_static_selectorELNS0_4arch9wavefront6targetE1EEEvSW_,"axG",@progbits,_ZN7rocprim17ROCPRIM_400000_NS6detail17trampoline_kernelINS0_14default_configENS1_27upper_bound_config_selectorIflEEZNS1_14transform_implILb0ES3_S5_N6thrust23THRUST_200600_302600_NS6detail15normal_iteratorINS8_7pointerIfNS8_11hip_rocprim5par_tENS8_11use_defaultESE_EEEENSA_INSB_IlSD_SE_SE_EEEEZNS1_13binary_searchIS3_S5_PfSG_SI_NS1_21upper_bound_search_opENS9_16wrapped_functionINS8_6system6detail7generic6detail18binary_search_lessEbEEEE10hipError_tPvRmT1_T2_T3_mmT4_T5_P12ihipStream_tbEUlRKfE_EEST_SX_SY_mSZ_S12_bEUlT_E_NS1_11comp_targetILNS1_3genE8ELNS1_11target_archE1030ELNS1_3gpuE2ELNS1_3repE0EEENS1_30default_config_static_selectorELNS0_4arch9wavefront6targetE1EEEvSW_,comdat
.Lfunc_end180:
	.size	_ZN7rocprim17ROCPRIM_400000_NS6detail17trampoline_kernelINS0_14default_configENS1_27upper_bound_config_selectorIflEEZNS1_14transform_implILb0ES3_S5_N6thrust23THRUST_200600_302600_NS6detail15normal_iteratorINS8_7pointerIfNS8_11hip_rocprim5par_tENS8_11use_defaultESE_EEEENSA_INSB_IlSD_SE_SE_EEEEZNS1_13binary_searchIS3_S5_PfSG_SI_NS1_21upper_bound_search_opENS9_16wrapped_functionINS8_6system6detail7generic6detail18binary_search_lessEbEEEE10hipError_tPvRmT1_T2_T3_mmT4_T5_P12ihipStream_tbEUlRKfE_EEST_SX_SY_mSZ_S12_bEUlT_E_NS1_11comp_targetILNS1_3genE8ELNS1_11target_archE1030ELNS1_3gpuE2ELNS1_3repE0EEENS1_30default_config_static_selectorELNS0_4arch9wavefront6targetE1EEEvSW_, .Lfunc_end180-_ZN7rocprim17ROCPRIM_400000_NS6detail17trampoline_kernelINS0_14default_configENS1_27upper_bound_config_selectorIflEEZNS1_14transform_implILb0ES3_S5_N6thrust23THRUST_200600_302600_NS6detail15normal_iteratorINS8_7pointerIfNS8_11hip_rocprim5par_tENS8_11use_defaultESE_EEEENSA_INSB_IlSD_SE_SE_EEEEZNS1_13binary_searchIS3_S5_PfSG_SI_NS1_21upper_bound_search_opENS9_16wrapped_functionINS8_6system6detail7generic6detail18binary_search_lessEbEEEE10hipError_tPvRmT1_T2_T3_mmT4_T5_P12ihipStream_tbEUlRKfE_EEST_SX_SY_mSZ_S12_bEUlT_E_NS1_11comp_targetILNS1_3genE8ELNS1_11target_archE1030ELNS1_3gpuE2ELNS1_3repE0EEENS1_30default_config_static_selectorELNS0_4arch9wavefront6targetE1EEEvSW_
                                        ; -- End function
	.set _ZN7rocprim17ROCPRIM_400000_NS6detail17trampoline_kernelINS0_14default_configENS1_27upper_bound_config_selectorIflEEZNS1_14transform_implILb0ES3_S5_N6thrust23THRUST_200600_302600_NS6detail15normal_iteratorINS8_7pointerIfNS8_11hip_rocprim5par_tENS8_11use_defaultESE_EEEENSA_INSB_IlSD_SE_SE_EEEEZNS1_13binary_searchIS3_S5_PfSG_SI_NS1_21upper_bound_search_opENS9_16wrapped_functionINS8_6system6detail7generic6detail18binary_search_lessEbEEEE10hipError_tPvRmT1_T2_T3_mmT4_T5_P12ihipStream_tbEUlRKfE_EEST_SX_SY_mSZ_S12_bEUlT_E_NS1_11comp_targetILNS1_3genE8ELNS1_11target_archE1030ELNS1_3gpuE2ELNS1_3repE0EEENS1_30default_config_static_selectorELNS0_4arch9wavefront6targetE1EEEvSW_.num_vgpr, 0
	.set _ZN7rocprim17ROCPRIM_400000_NS6detail17trampoline_kernelINS0_14default_configENS1_27upper_bound_config_selectorIflEEZNS1_14transform_implILb0ES3_S5_N6thrust23THRUST_200600_302600_NS6detail15normal_iteratorINS8_7pointerIfNS8_11hip_rocprim5par_tENS8_11use_defaultESE_EEEENSA_INSB_IlSD_SE_SE_EEEEZNS1_13binary_searchIS3_S5_PfSG_SI_NS1_21upper_bound_search_opENS9_16wrapped_functionINS8_6system6detail7generic6detail18binary_search_lessEbEEEE10hipError_tPvRmT1_T2_T3_mmT4_T5_P12ihipStream_tbEUlRKfE_EEST_SX_SY_mSZ_S12_bEUlT_E_NS1_11comp_targetILNS1_3genE8ELNS1_11target_archE1030ELNS1_3gpuE2ELNS1_3repE0EEENS1_30default_config_static_selectorELNS0_4arch9wavefront6targetE1EEEvSW_.num_agpr, 0
	.set _ZN7rocprim17ROCPRIM_400000_NS6detail17trampoline_kernelINS0_14default_configENS1_27upper_bound_config_selectorIflEEZNS1_14transform_implILb0ES3_S5_N6thrust23THRUST_200600_302600_NS6detail15normal_iteratorINS8_7pointerIfNS8_11hip_rocprim5par_tENS8_11use_defaultESE_EEEENSA_INSB_IlSD_SE_SE_EEEEZNS1_13binary_searchIS3_S5_PfSG_SI_NS1_21upper_bound_search_opENS9_16wrapped_functionINS8_6system6detail7generic6detail18binary_search_lessEbEEEE10hipError_tPvRmT1_T2_T3_mmT4_T5_P12ihipStream_tbEUlRKfE_EEST_SX_SY_mSZ_S12_bEUlT_E_NS1_11comp_targetILNS1_3genE8ELNS1_11target_archE1030ELNS1_3gpuE2ELNS1_3repE0EEENS1_30default_config_static_selectorELNS0_4arch9wavefront6targetE1EEEvSW_.numbered_sgpr, 0
	.set _ZN7rocprim17ROCPRIM_400000_NS6detail17trampoline_kernelINS0_14default_configENS1_27upper_bound_config_selectorIflEEZNS1_14transform_implILb0ES3_S5_N6thrust23THRUST_200600_302600_NS6detail15normal_iteratorINS8_7pointerIfNS8_11hip_rocprim5par_tENS8_11use_defaultESE_EEEENSA_INSB_IlSD_SE_SE_EEEEZNS1_13binary_searchIS3_S5_PfSG_SI_NS1_21upper_bound_search_opENS9_16wrapped_functionINS8_6system6detail7generic6detail18binary_search_lessEbEEEE10hipError_tPvRmT1_T2_T3_mmT4_T5_P12ihipStream_tbEUlRKfE_EEST_SX_SY_mSZ_S12_bEUlT_E_NS1_11comp_targetILNS1_3genE8ELNS1_11target_archE1030ELNS1_3gpuE2ELNS1_3repE0EEENS1_30default_config_static_selectorELNS0_4arch9wavefront6targetE1EEEvSW_.num_named_barrier, 0
	.set _ZN7rocprim17ROCPRIM_400000_NS6detail17trampoline_kernelINS0_14default_configENS1_27upper_bound_config_selectorIflEEZNS1_14transform_implILb0ES3_S5_N6thrust23THRUST_200600_302600_NS6detail15normal_iteratorINS8_7pointerIfNS8_11hip_rocprim5par_tENS8_11use_defaultESE_EEEENSA_INSB_IlSD_SE_SE_EEEEZNS1_13binary_searchIS3_S5_PfSG_SI_NS1_21upper_bound_search_opENS9_16wrapped_functionINS8_6system6detail7generic6detail18binary_search_lessEbEEEE10hipError_tPvRmT1_T2_T3_mmT4_T5_P12ihipStream_tbEUlRKfE_EEST_SX_SY_mSZ_S12_bEUlT_E_NS1_11comp_targetILNS1_3genE8ELNS1_11target_archE1030ELNS1_3gpuE2ELNS1_3repE0EEENS1_30default_config_static_selectorELNS0_4arch9wavefront6targetE1EEEvSW_.private_seg_size, 0
	.set _ZN7rocprim17ROCPRIM_400000_NS6detail17trampoline_kernelINS0_14default_configENS1_27upper_bound_config_selectorIflEEZNS1_14transform_implILb0ES3_S5_N6thrust23THRUST_200600_302600_NS6detail15normal_iteratorINS8_7pointerIfNS8_11hip_rocprim5par_tENS8_11use_defaultESE_EEEENSA_INSB_IlSD_SE_SE_EEEEZNS1_13binary_searchIS3_S5_PfSG_SI_NS1_21upper_bound_search_opENS9_16wrapped_functionINS8_6system6detail7generic6detail18binary_search_lessEbEEEE10hipError_tPvRmT1_T2_T3_mmT4_T5_P12ihipStream_tbEUlRKfE_EEST_SX_SY_mSZ_S12_bEUlT_E_NS1_11comp_targetILNS1_3genE8ELNS1_11target_archE1030ELNS1_3gpuE2ELNS1_3repE0EEENS1_30default_config_static_selectorELNS0_4arch9wavefront6targetE1EEEvSW_.uses_vcc, 0
	.set _ZN7rocprim17ROCPRIM_400000_NS6detail17trampoline_kernelINS0_14default_configENS1_27upper_bound_config_selectorIflEEZNS1_14transform_implILb0ES3_S5_N6thrust23THRUST_200600_302600_NS6detail15normal_iteratorINS8_7pointerIfNS8_11hip_rocprim5par_tENS8_11use_defaultESE_EEEENSA_INSB_IlSD_SE_SE_EEEEZNS1_13binary_searchIS3_S5_PfSG_SI_NS1_21upper_bound_search_opENS9_16wrapped_functionINS8_6system6detail7generic6detail18binary_search_lessEbEEEE10hipError_tPvRmT1_T2_T3_mmT4_T5_P12ihipStream_tbEUlRKfE_EEST_SX_SY_mSZ_S12_bEUlT_E_NS1_11comp_targetILNS1_3genE8ELNS1_11target_archE1030ELNS1_3gpuE2ELNS1_3repE0EEENS1_30default_config_static_selectorELNS0_4arch9wavefront6targetE1EEEvSW_.uses_flat_scratch, 0
	.set _ZN7rocprim17ROCPRIM_400000_NS6detail17trampoline_kernelINS0_14default_configENS1_27upper_bound_config_selectorIflEEZNS1_14transform_implILb0ES3_S5_N6thrust23THRUST_200600_302600_NS6detail15normal_iteratorINS8_7pointerIfNS8_11hip_rocprim5par_tENS8_11use_defaultESE_EEEENSA_INSB_IlSD_SE_SE_EEEEZNS1_13binary_searchIS3_S5_PfSG_SI_NS1_21upper_bound_search_opENS9_16wrapped_functionINS8_6system6detail7generic6detail18binary_search_lessEbEEEE10hipError_tPvRmT1_T2_T3_mmT4_T5_P12ihipStream_tbEUlRKfE_EEST_SX_SY_mSZ_S12_bEUlT_E_NS1_11comp_targetILNS1_3genE8ELNS1_11target_archE1030ELNS1_3gpuE2ELNS1_3repE0EEENS1_30default_config_static_selectorELNS0_4arch9wavefront6targetE1EEEvSW_.has_dyn_sized_stack, 0
	.set _ZN7rocprim17ROCPRIM_400000_NS6detail17trampoline_kernelINS0_14default_configENS1_27upper_bound_config_selectorIflEEZNS1_14transform_implILb0ES3_S5_N6thrust23THRUST_200600_302600_NS6detail15normal_iteratorINS8_7pointerIfNS8_11hip_rocprim5par_tENS8_11use_defaultESE_EEEENSA_INSB_IlSD_SE_SE_EEEEZNS1_13binary_searchIS3_S5_PfSG_SI_NS1_21upper_bound_search_opENS9_16wrapped_functionINS8_6system6detail7generic6detail18binary_search_lessEbEEEE10hipError_tPvRmT1_T2_T3_mmT4_T5_P12ihipStream_tbEUlRKfE_EEST_SX_SY_mSZ_S12_bEUlT_E_NS1_11comp_targetILNS1_3genE8ELNS1_11target_archE1030ELNS1_3gpuE2ELNS1_3repE0EEENS1_30default_config_static_selectorELNS0_4arch9wavefront6targetE1EEEvSW_.has_recursion, 0
	.set _ZN7rocprim17ROCPRIM_400000_NS6detail17trampoline_kernelINS0_14default_configENS1_27upper_bound_config_selectorIflEEZNS1_14transform_implILb0ES3_S5_N6thrust23THRUST_200600_302600_NS6detail15normal_iteratorINS8_7pointerIfNS8_11hip_rocprim5par_tENS8_11use_defaultESE_EEEENSA_INSB_IlSD_SE_SE_EEEEZNS1_13binary_searchIS3_S5_PfSG_SI_NS1_21upper_bound_search_opENS9_16wrapped_functionINS8_6system6detail7generic6detail18binary_search_lessEbEEEE10hipError_tPvRmT1_T2_T3_mmT4_T5_P12ihipStream_tbEUlRKfE_EEST_SX_SY_mSZ_S12_bEUlT_E_NS1_11comp_targetILNS1_3genE8ELNS1_11target_archE1030ELNS1_3gpuE2ELNS1_3repE0EEENS1_30default_config_static_selectorELNS0_4arch9wavefront6targetE1EEEvSW_.has_indirect_call, 0
	.section	.AMDGPU.csdata,"",@progbits
; Kernel info:
; codeLenInByte = 0
; TotalNumSgprs: 4
; NumVgprs: 0
; ScratchSize: 0
; MemoryBound: 0
; FloatMode: 240
; IeeeMode: 1
; LDSByteSize: 0 bytes/workgroup (compile time only)
; SGPRBlocks: 0
; VGPRBlocks: 0
; NumSGPRsForWavesPerEU: 4
; NumVGPRsForWavesPerEU: 1
; Occupancy: 10
; WaveLimiterHint : 0
; COMPUTE_PGM_RSRC2:SCRATCH_EN: 0
; COMPUTE_PGM_RSRC2:USER_SGPR: 6
; COMPUTE_PGM_RSRC2:TRAP_HANDLER: 0
; COMPUTE_PGM_RSRC2:TGID_X_EN: 1
; COMPUTE_PGM_RSRC2:TGID_Y_EN: 0
; COMPUTE_PGM_RSRC2:TGID_Z_EN: 0
; COMPUTE_PGM_RSRC2:TIDIG_COMP_CNT: 0
	.section	.text._Z18upper_bound_kernelIyEvmPT_Pl,"axG",@progbits,_Z18upper_bound_kernelIyEvmPT_Pl,comdat
	.protected	_Z18upper_bound_kernelIyEvmPT_Pl ; -- Begin function _Z18upper_bound_kernelIyEvmPT_Pl
	.globl	_Z18upper_bound_kernelIyEvmPT_Pl
	.p2align	8
	.type	_Z18upper_bound_kernelIyEvmPT_Pl,@function
_Z18upper_bound_kernelIyEvmPT_Pl:       ; @_Z18upper_bound_kernelIyEvmPT_Pl
; %bb.0:
	s_load_dwordx4 s[0:3], s[4:5], 0x0
	s_load_dwordx2 s[6:7], s[4:5], 0x10
	s_mov_b64 s[8:9], -1
	s_waitcnt lgkmcnt(0)
	s_lshl_b64 s[0:1], s[0:1], 3
	s_add_u32 s0, s2, s0
	s_addc_u32 s1, s3, s1
	s_sub_u32 s0, s0, s2
	s_subb_u32 s1, s1, s3
	s_ashr_i64 s[4:5], s[0:1], 3
	v_cmp_lt_i64_e64 s[0:1], s[4:5], 1
	s_and_b64 s[0:1], exec, s[0:1]
	s_mov_b64 vcc, s[0:1]
	s_cbranch_vccz .LBB181_2
; %bb.1:
	v_mov_b32_e32 v0, 0
	v_mov_b32_e32 v1, v0
	global_store_dwordx2 v0, v[0:1], s[6:7]
	s_mov_b64 s[8:9], 0
.LBB181_2:
	s_andn2_b64 vcc, exec, s[8:9]
	s_mov_b64 s[8:9], 0
	s_cbranch_vccnz .LBB181_7
; %bb.3:
	s_mov_b64 s[10:11], s[4:5]
.LBB181_4:                              ; =>This Inner Loop Header: Depth=1
	s_sub_u32 s12, s10, s8
	s_subb_u32 s13, s11, s9
	s_lshr_b64 s[12:13], s[12:13], 1
	s_add_u32 s12, s12, s8
	s_addc_u32 s13, s13, s9
	s_lshl_b64 s[14:15], s[12:13], 3
	s_add_u32 s14, s2, s14
	s_addc_u32 s15, s3, s15
	s_load_dwordx2 s[14:15], s[14:15], 0x0
	s_add_u32 s16, s12, 1
	s_addc_u32 s17, s13, 0
	s_waitcnt lgkmcnt(0)
	s_cmp_eq_u64 s[14:15], 0
	s_cselect_b32 s10, s10, s12
	s_cselect_b32 s11, s11, s13
	v_mov_b32_e32 v0, s10
	s_cselect_b32 s9, s17, s9
	s_cselect_b32 s8, s16, s8
	v_mov_b32_e32 v1, s11
	v_cmp_lt_i64_e32 vcc, s[8:9], v[0:1]
	s_cbranch_vccnz .LBB181_4
; %bb.5:
	s_lshl_b64 s[8:9], s[8:9], 3
	s_add_u32 s8, s2, s8
	s_addc_u32 s9, s3, s9
	s_sub_u32 s8, s8, s2
	s_subb_u32 s9, s9, s3
	s_ashr_i64 s[8:9], s[8:9], 3
	v_mov_b32_e32 v0, s8
	v_mov_b32_e32 v2, 0
	;; [unrolled: 1-line block ×3, first 2 shown]
	s_mov_b64 s[8:9], 0
	s_mov_b64 s[10:11], s[4:5]
	global_store_dwordx2 v2, v[0:1], s[6:7]
.LBB181_6:                              ; =>This Inner Loop Header: Depth=1
	s_sub_u32 s12, s10, s8
	s_subb_u32 s13, s11, s9
	s_lshr_b64 s[12:13], s[12:13], 1
	s_add_u32 s12, s12, s8
	s_addc_u32 s13, s13, s9
	s_lshl_b64 s[14:15], s[12:13], 3
	s_add_u32 s14, s2, s14
	s_addc_u32 s15, s3, s15
	s_load_dwordx2 s[14:15], s[14:15], 0x0
	s_add_u32 s16, s12, 1
	s_addc_u32 s17, s13, 0
	s_waitcnt lgkmcnt(0)
	v_cmp_gt_u64_e64 s[14:15], s[14:15], 1
	s_and_b64 s[14:15], s[14:15], exec
	s_cselect_b32 s10, s12, s10
	s_cselect_b32 s11, s13, s11
	v_mov_b32_e32 v0, s10
	s_cselect_b32 s9, s9, s17
	s_cselect_b32 s8, s8, s16
	v_mov_b32_e32 v1, s11
	v_cmp_ge_i64_e32 vcc, s[8:9], v[0:1]
	s_cbranch_vccz .LBB181_6
.LBB181_7:
	s_lshl_b64 s[8:9], s[8:9], 3
	s_add_u32 s8, s2, s8
	s_addc_u32 s9, s3, s9
	s_sub_u32 s8, s8, s2
	s_subb_u32 s9, s9, s3
	s_ashr_i64 s[8:9], s[8:9], 3
	v_mov_b32_e32 v1, s8
	v_mov_b32_e32 v0, 0
	;; [unrolled: 1-line block ×3, first 2 shown]
	s_mov_b64 s[8:9], -1
	s_mov_b64 vcc, s[0:1]
	global_store_dwordx2 v0, v[1:2], s[6:7] offset:8
	s_cbranch_vccz .LBB181_9
; %bb.8:
	v_mov_b32_e32 v1, v0
	global_store_dwordx2 v0, v[0:1], s[6:7] offset:16
	s_mov_b64 s[8:9], 0
.LBB181_9:
	s_andn2_b64 vcc, exec, s[8:9]
	s_mov_b64 s[8:9], 0
	s_cbranch_vccnz .LBB181_14
; %bb.10:
	s_mov_b64 s[10:11], s[4:5]
.LBB181_11:                             ; =>This Inner Loop Header: Depth=1
	s_sub_u32 s12, s10, s8
	s_subb_u32 s13, s11, s9
	s_lshr_b64 s[12:13], s[12:13], 1
	s_add_u32 s12, s12, s8
	s_addc_u32 s13, s13, s9
	s_lshl_b64 s[14:15], s[12:13], 3
	s_add_u32 s14, s2, s14
	s_addc_u32 s15, s3, s15
	s_load_dwordx2 s[14:15], s[14:15], 0x0
	s_add_u32 s16, s12, 1
	s_addc_u32 s17, s13, 0
	s_waitcnt lgkmcnt(0)
	v_cmp_gt_u64_e64 s[14:15], s[14:15], 2
	s_and_b64 s[14:15], s[14:15], exec
	s_cselect_b32 s10, s12, s10
	s_cselect_b32 s11, s13, s11
	v_mov_b32_e32 v0, s10
	s_cselect_b32 s9, s9, s17
	s_cselect_b32 s8, s8, s16
	v_mov_b32_e32 v1, s11
	v_cmp_lt_i64_e32 vcc, s[8:9], v[0:1]
	s_cbranch_vccnz .LBB181_11
; %bb.12:
	s_lshl_b64 s[8:9], s[8:9], 3
	s_add_u32 s8, s2, s8
	s_addc_u32 s9, s3, s9
	s_sub_u32 s8, s8, s2
	s_subb_u32 s9, s9, s3
	s_ashr_i64 s[8:9], s[8:9], 3
	v_mov_b32_e32 v0, s8
	v_mov_b32_e32 v2, 0
	;; [unrolled: 1-line block ×3, first 2 shown]
	s_mov_b64 s[8:9], 0
	s_mov_b64 s[10:11], s[4:5]
	global_store_dwordx2 v2, v[0:1], s[6:7] offset:16
.LBB181_13:                             ; =>This Inner Loop Header: Depth=1
	s_sub_u32 s12, s10, s8
	s_subb_u32 s13, s11, s9
	s_lshr_b64 s[12:13], s[12:13], 1
	s_add_u32 s12, s12, s8
	s_addc_u32 s13, s13, s9
	s_lshl_b64 s[14:15], s[12:13], 3
	s_add_u32 s14, s2, s14
	s_addc_u32 s15, s3, s15
	s_load_dwordx2 s[14:15], s[14:15], 0x0
	s_add_u32 s16, s12, 1
	s_addc_u32 s17, s13, 0
	s_waitcnt lgkmcnt(0)
	v_cmp_gt_u64_e64 s[14:15], s[14:15], 3
	s_and_b64 s[14:15], s[14:15], exec
	s_cselect_b32 s10, s12, s10
	s_cselect_b32 s11, s13, s11
	v_mov_b32_e32 v0, s10
	s_cselect_b32 s9, s9, s17
	s_cselect_b32 s8, s8, s16
	v_mov_b32_e32 v1, s11
	v_cmp_ge_i64_e32 vcc, s[8:9], v[0:1]
	s_cbranch_vccz .LBB181_13
.LBB181_14:
	s_lshl_b64 s[8:9], s[8:9], 3
	s_add_u32 s8, s2, s8
	s_addc_u32 s9, s3, s9
	s_sub_u32 s8, s8, s2
	s_subb_u32 s9, s9, s3
	s_ashr_i64 s[8:9], s[8:9], 3
	v_mov_b32_e32 v1, s8
	v_mov_b32_e32 v0, 0
	;; [unrolled: 1-line block ×3, first 2 shown]
	s_mov_b64 s[8:9], -1
	s_mov_b64 vcc, s[0:1]
	global_store_dwordx2 v0, v[1:2], s[6:7] offset:24
	s_cbranch_vccz .LBB181_16
; %bb.15:
	v_mov_b32_e32 v1, v0
	global_store_dwordx2 v0, v[0:1], s[6:7] offset:32
	s_mov_b64 s[8:9], 0
.LBB181_16:
	s_andn2_b64 vcc, exec, s[8:9]
	s_mov_b64 s[8:9], 0
	s_cbranch_vccnz .LBB181_21
; %bb.17:
	s_mov_b64 s[10:11], s[4:5]
.LBB181_18:                             ; =>This Inner Loop Header: Depth=1
	s_sub_u32 s12, s10, s8
	s_subb_u32 s13, s11, s9
	s_lshr_b64 s[12:13], s[12:13], 1
	s_add_u32 s12, s12, s8
	s_addc_u32 s13, s13, s9
	s_lshl_b64 s[14:15], s[12:13], 3
	s_add_u32 s14, s2, s14
	s_addc_u32 s15, s3, s15
	s_load_dwordx2 s[14:15], s[14:15], 0x0
	s_add_u32 s16, s12, 1
	s_addc_u32 s17, s13, 0
	s_waitcnt lgkmcnt(0)
	v_cmp_gt_u64_e64 s[14:15], s[14:15], 4
	s_and_b64 s[14:15], s[14:15], exec
	s_cselect_b32 s10, s12, s10
	s_cselect_b32 s11, s13, s11
	v_mov_b32_e32 v0, s10
	s_cselect_b32 s9, s9, s17
	s_cselect_b32 s8, s8, s16
	v_mov_b32_e32 v1, s11
	v_cmp_lt_i64_e32 vcc, s[8:9], v[0:1]
	s_cbranch_vccnz .LBB181_18
; %bb.19:
	s_lshl_b64 s[8:9], s[8:9], 3
	s_add_u32 s8, s2, s8
	s_addc_u32 s9, s3, s9
	s_sub_u32 s8, s8, s2
	s_subb_u32 s9, s9, s3
	s_ashr_i64 s[8:9], s[8:9], 3
	v_mov_b32_e32 v0, s8
	v_mov_b32_e32 v2, 0
	;; [unrolled: 1-line block ×3, first 2 shown]
	s_mov_b64 s[8:9], 0
	s_mov_b64 s[10:11], s[4:5]
	global_store_dwordx2 v2, v[0:1], s[6:7] offset:32
.LBB181_20:                             ; =>This Inner Loop Header: Depth=1
	s_sub_u32 s12, s10, s8
	s_subb_u32 s13, s11, s9
	s_lshr_b64 s[12:13], s[12:13], 1
	s_add_u32 s12, s12, s8
	s_addc_u32 s13, s13, s9
	s_lshl_b64 s[14:15], s[12:13], 3
	s_add_u32 s14, s2, s14
	s_addc_u32 s15, s3, s15
	s_load_dwordx2 s[14:15], s[14:15], 0x0
	s_add_u32 s16, s12, 1
	s_addc_u32 s17, s13, 0
	s_waitcnt lgkmcnt(0)
	v_cmp_gt_u64_e64 s[14:15], s[14:15], 5
	s_and_b64 s[14:15], s[14:15], exec
	s_cselect_b32 s10, s12, s10
	s_cselect_b32 s11, s13, s11
	v_mov_b32_e32 v0, s10
	s_cselect_b32 s9, s9, s17
	s_cselect_b32 s8, s8, s16
	v_mov_b32_e32 v1, s11
	v_cmp_ge_i64_e32 vcc, s[8:9], v[0:1]
	s_cbranch_vccz .LBB181_20
.LBB181_21:
	s_lshl_b64 s[8:9], s[8:9], 3
	s_add_u32 s8, s2, s8
	s_addc_u32 s9, s3, s9
	s_sub_u32 s8, s8, s2
	s_subb_u32 s9, s9, s3
	s_ashr_i64 s[8:9], s[8:9], 3
	v_mov_b32_e32 v1, s8
	v_mov_b32_e32 v0, 0
	;; [unrolled: 1-line block ×3, first 2 shown]
	s_mov_b64 s[8:9], -1
	s_mov_b64 vcc, s[0:1]
	global_store_dwordx2 v0, v[1:2], s[6:7] offset:40
	s_cbranch_vccz .LBB181_23
; %bb.22:
	v_mov_b32_e32 v1, v0
	global_store_dwordx2 v0, v[0:1], s[6:7] offset:48
	s_mov_b64 s[8:9], 0
.LBB181_23:
	s_andn2_b64 vcc, exec, s[8:9]
	s_mov_b64 s[8:9], 0
	s_cbranch_vccnz .LBB181_28
; %bb.24:
	s_mov_b64 s[10:11], s[4:5]
.LBB181_25:                             ; =>This Inner Loop Header: Depth=1
	s_sub_u32 s12, s10, s8
	s_subb_u32 s13, s11, s9
	s_lshr_b64 s[12:13], s[12:13], 1
	s_add_u32 s12, s12, s8
	s_addc_u32 s13, s13, s9
	s_lshl_b64 s[14:15], s[12:13], 3
	s_add_u32 s14, s2, s14
	s_addc_u32 s15, s3, s15
	s_load_dwordx2 s[14:15], s[14:15], 0x0
	s_add_u32 s16, s12, 1
	s_addc_u32 s17, s13, 0
	s_waitcnt lgkmcnt(0)
	v_cmp_gt_u64_e64 s[14:15], s[14:15], 6
	s_and_b64 s[14:15], s[14:15], exec
	s_cselect_b32 s10, s12, s10
	s_cselect_b32 s11, s13, s11
	v_mov_b32_e32 v0, s10
	s_cselect_b32 s9, s9, s17
	s_cselect_b32 s8, s8, s16
	v_mov_b32_e32 v1, s11
	v_cmp_lt_i64_e32 vcc, s[8:9], v[0:1]
	s_cbranch_vccnz .LBB181_25
; %bb.26:
	s_lshl_b64 s[8:9], s[8:9], 3
	s_add_u32 s8, s2, s8
	s_addc_u32 s9, s3, s9
	s_sub_u32 s8, s8, s2
	s_subb_u32 s9, s9, s3
	s_ashr_i64 s[8:9], s[8:9], 3
	v_mov_b32_e32 v0, s8
	v_mov_b32_e32 v2, 0
	;; [unrolled: 1-line block ×3, first 2 shown]
	s_mov_b64 s[8:9], 0
	s_mov_b64 s[10:11], s[4:5]
	global_store_dwordx2 v2, v[0:1], s[6:7] offset:48
.LBB181_27:                             ; =>This Inner Loop Header: Depth=1
	s_sub_u32 s12, s10, s8
	s_subb_u32 s13, s11, s9
	s_lshr_b64 s[12:13], s[12:13], 1
	s_add_u32 s12, s12, s8
	s_addc_u32 s13, s13, s9
	s_lshl_b64 s[14:15], s[12:13], 3
	s_add_u32 s14, s2, s14
	s_addc_u32 s15, s3, s15
	s_load_dwordx2 s[14:15], s[14:15], 0x0
	s_add_u32 s16, s12, 1
	s_addc_u32 s17, s13, 0
	s_waitcnt lgkmcnt(0)
	v_cmp_gt_u64_e64 s[14:15], s[14:15], 7
	s_and_b64 s[14:15], s[14:15], exec
	s_cselect_b32 s10, s12, s10
	s_cselect_b32 s11, s13, s11
	v_mov_b32_e32 v0, s10
	s_cselect_b32 s9, s9, s17
	s_cselect_b32 s8, s8, s16
	v_mov_b32_e32 v1, s11
	v_cmp_ge_i64_e32 vcc, s[8:9], v[0:1]
	s_cbranch_vccz .LBB181_27
.LBB181_28:
	s_lshl_b64 s[8:9], s[8:9], 3
	s_add_u32 s8, s2, s8
	s_addc_u32 s9, s3, s9
	s_sub_u32 s8, s8, s2
	s_subb_u32 s9, s9, s3
	s_ashr_i64 s[8:9], s[8:9], 3
	v_mov_b32_e32 v1, s8
	v_mov_b32_e32 v0, 0
	;; [unrolled: 1-line block ×3, first 2 shown]
	s_mov_b64 s[8:9], -1
	s_mov_b64 vcc, s[0:1]
	global_store_dwordx2 v0, v[1:2], s[6:7] offset:56
	s_cbranch_vccz .LBB181_30
; %bb.29:
	v_mov_b32_e32 v1, v0
	global_store_dwordx2 v0, v[0:1], s[6:7] offset:64
	s_mov_b64 s[8:9], 0
.LBB181_30:
	s_andn2_b64 vcc, exec, s[8:9]
	s_mov_b64 s[0:1], 0
	s_cbranch_vccnz .LBB181_35
; %bb.31:
	s_mov_b64 s[8:9], s[4:5]
.LBB181_32:                             ; =>This Inner Loop Header: Depth=1
	s_sub_u32 s10, s8, s0
	s_subb_u32 s11, s9, s1
	s_lshr_b64 s[10:11], s[10:11], 1
	s_add_u32 s10, s10, s0
	s_addc_u32 s11, s11, s1
	s_lshl_b64 s[12:13], s[10:11], 3
	s_add_u32 s12, s2, s12
	s_addc_u32 s13, s3, s13
	s_load_dwordx2 s[12:13], s[12:13], 0x0
	s_add_u32 s14, s10, 1
	s_addc_u32 s15, s11, 0
	s_waitcnt lgkmcnt(0)
	v_cmp_gt_u64_e64 s[12:13], s[12:13], 8
	s_and_b64 s[12:13], s[12:13], exec
	s_cselect_b32 s8, s10, s8
	s_cselect_b32 s9, s11, s9
	v_mov_b32_e32 v0, s8
	s_cselect_b32 s1, s1, s15
	s_cselect_b32 s0, s0, s14
	v_mov_b32_e32 v1, s9
	v_cmp_lt_i64_e32 vcc, s[0:1], v[0:1]
	s_cbranch_vccnz .LBB181_32
; %bb.33:
	s_lshl_b64 s[0:1], s[0:1], 3
	s_add_u32 s0, s2, s0
	s_addc_u32 s1, s3, s1
	s_sub_u32 s0, s0, s2
	s_subb_u32 s1, s1, s3
	s_ashr_i64 s[0:1], s[0:1], 3
	v_mov_b32_e32 v0, s0
	v_mov_b32_e32 v2, 0
	;; [unrolled: 1-line block ×3, first 2 shown]
	s_mov_b64 s[0:1], 0
	global_store_dwordx2 v2, v[0:1], s[6:7] offset:64
.LBB181_34:                             ; =>This Inner Loop Header: Depth=1
	s_sub_u32 s8, s4, s0
	s_subb_u32 s9, s5, s1
	s_lshr_b64 s[8:9], s[8:9], 1
	s_add_u32 s8, s8, s0
	s_addc_u32 s9, s9, s1
	s_lshl_b64 s[10:11], s[8:9], 3
	s_add_u32 s10, s2, s10
	s_addc_u32 s11, s3, s11
	s_load_dwordx2 s[10:11], s[10:11], 0x0
	s_add_u32 s12, s8, 1
	s_addc_u32 s13, s9, 0
	s_waitcnt lgkmcnt(0)
	v_cmp_gt_u64_e64 s[10:11], s[10:11], 9
	s_and_b64 s[10:11], s[10:11], exec
	s_cselect_b32 s4, s8, s4
	s_cselect_b32 s5, s9, s5
	v_mov_b32_e32 v0, s4
	s_cselect_b32 s1, s1, s13
	s_cselect_b32 s0, s0, s12
	v_mov_b32_e32 v1, s5
	v_cmp_ge_i64_e32 vcc, s[0:1], v[0:1]
	s_cbranch_vccz .LBB181_34
.LBB181_35:
	s_lshl_b64 s[0:1], s[0:1], 3
	s_add_u32 s0, s2, s0
	s_addc_u32 s1, s3, s1
	s_sub_u32 s0, s0, s2
	s_subb_u32 s1, s1, s3
	s_ashr_i64 s[0:1], s[0:1], 3
	v_mov_b32_e32 v0, s0
	v_mov_b32_e32 v2, 0
	;; [unrolled: 1-line block ×3, first 2 shown]
	global_store_dwordx2 v2, v[0:1], s[6:7] offset:72
	s_endpgm
	.section	.rodata,"a",@progbits
	.p2align	6, 0x0
	.amdhsa_kernel _Z18upper_bound_kernelIyEvmPT_Pl
		.amdhsa_group_segment_fixed_size 0
		.amdhsa_private_segment_fixed_size 0
		.amdhsa_kernarg_size 24
		.amdhsa_user_sgpr_count 6
		.amdhsa_user_sgpr_private_segment_buffer 1
		.amdhsa_user_sgpr_dispatch_ptr 0
		.amdhsa_user_sgpr_queue_ptr 0
		.amdhsa_user_sgpr_kernarg_segment_ptr 1
		.amdhsa_user_sgpr_dispatch_id 0
		.amdhsa_user_sgpr_flat_scratch_init 0
		.amdhsa_user_sgpr_private_segment_size 0
		.amdhsa_uses_dynamic_stack 0
		.amdhsa_system_sgpr_private_segment_wavefront_offset 0
		.amdhsa_system_sgpr_workgroup_id_x 1
		.amdhsa_system_sgpr_workgroup_id_y 0
		.amdhsa_system_sgpr_workgroup_id_z 0
		.amdhsa_system_sgpr_workgroup_info 0
		.amdhsa_system_vgpr_workitem_id 0
		.amdhsa_next_free_vgpr 3
		.amdhsa_next_free_sgpr 18
		.amdhsa_reserve_vcc 1
		.amdhsa_reserve_flat_scratch 0
		.amdhsa_float_round_mode_32 0
		.amdhsa_float_round_mode_16_64 0
		.amdhsa_float_denorm_mode_32 3
		.amdhsa_float_denorm_mode_16_64 3
		.amdhsa_dx10_clamp 1
		.amdhsa_ieee_mode 1
		.amdhsa_fp16_overflow 0
		.amdhsa_exception_fp_ieee_invalid_op 0
		.amdhsa_exception_fp_denorm_src 0
		.amdhsa_exception_fp_ieee_div_zero 0
		.amdhsa_exception_fp_ieee_overflow 0
		.amdhsa_exception_fp_ieee_underflow 0
		.amdhsa_exception_fp_ieee_inexact 0
		.amdhsa_exception_int_div_zero 0
	.end_amdhsa_kernel
	.section	.text._Z18upper_bound_kernelIyEvmPT_Pl,"axG",@progbits,_Z18upper_bound_kernelIyEvmPT_Pl,comdat
.Lfunc_end181:
	.size	_Z18upper_bound_kernelIyEvmPT_Pl, .Lfunc_end181-_Z18upper_bound_kernelIyEvmPT_Pl
                                        ; -- End function
	.set _Z18upper_bound_kernelIyEvmPT_Pl.num_vgpr, 3
	.set _Z18upper_bound_kernelIyEvmPT_Pl.num_agpr, 0
	.set _Z18upper_bound_kernelIyEvmPT_Pl.numbered_sgpr, 18
	.set _Z18upper_bound_kernelIyEvmPT_Pl.num_named_barrier, 0
	.set _Z18upper_bound_kernelIyEvmPT_Pl.private_seg_size, 0
	.set _Z18upper_bound_kernelIyEvmPT_Pl.uses_vcc, 1
	.set _Z18upper_bound_kernelIyEvmPT_Pl.uses_flat_scratch, 0
	.set _Z18upper_bound_kernelIyEvmPT_Pl.has_dyn_sized_stack, 0
	.set _Z18upper_bound_kernelIyEvmPT_Pl.has_recursion, 0
	.set _Z18upper_bound_kernelIyEvmPT_Pl.has_indirect_call, 0
	.section	.AMDGPU.csdata,"",@progbits
; Kernel info:
; codeLenInByte = 1712
; TotalNumSgprs: 22
; NumVgprs: 3
; ScratchSize: 0
; MemoryBound: 0
; FloatMode: 240
; IeeeMode: 1
; LDSByteSize: 0 bytes/workgroup (compile time only)
; SGPRBlocks: 2
; VGPRBlocks: 0
; NumSGPRsForWavesPerEU: 22
; NumVGPRsForWavesPerEU: 3
; Occupancy: 10
; WaveLimiterHint : 0
; COMPUTE_PGM_RSRC2:SCRATCH_EN: 0
; COMPUTE_PGM_RSRC2:USER_SGPR: 6
; COMPUTE_PGM_RSRC2:TRAP_HANDLER: 0
; COMPUTE_PGM_RSRC2:TGID_X_EN: 1
; COMPUTE_PGM_RSRC2:TGID_Y_EN: 0
; COMPUTE_PGM_RSRC2:TGID_Z_EN: 0
; COMPUTE_PGM_RSRC2:TIDIG_COMP_CNT: 0
	.section	.text._ZN7rocprim17ROCPRIM_400000_NS6detail17trampoline_kernelINS0_14default_configENS1_27upper_bound_config_selectorIylEEZNS1_14transform_implILb0ES3_S5_N6thrust23THRUST_200600_302600_NS6detail15normal_iteratorINS8_7pointerIyNS8_11hip_rocprim5par_tENS8_11use_defaultESE_EEEENSA_INSB_IlSD_SE_SE_EEEEZNS1_13binary_searchIS3_S5_PySG_SI_NS1_21upper_bound_search_opENS9_16wrapped_functionINS8_6system6detail7generic6detail18binary_search_lessEbEEEE10hipError_tPvRmT1_T2_T3_mmT4_T5_P12ihipStream_tbEUlRKyE_EEST_SX_SY_mSZ_S12_bEUlT_E_NS1_11comp_targetILNS1_3genE0ELNS1_11target_archE4294967295ELNS1_3gpuE0ELNS1_3repE0EEENS1_30default_config_static_selectorELNS0_4arch9wavefront6targetE1EEEvSW_,"axG",@progbits,_ZN7rocprim17ROCPRIM_400000_NS6detail17trampoline_kernelINS0_14default_configENS1_27upper_bound_config_selectorIylEEZNS1_14transform_implILb0ES3_S5_N6thrust23THRUST_200600_302600_NS6detail15normal_iteratorINS8_7pointerIyNS8_11hip_rocprim5par_tENS8_11use_defaultESE_EEEENSA_INSB_IlSD_SE_SE_EEEEZNS1_13binary_searchIS3_S5_PySG_SI_NS1_21upper_bound_search_opENS9_16wrapped_functionINS8_6system6detail7generic6detail18binary_search_lessEbEEEE10hipError_tPvRmT1_T2_T3_mmT4_T5_P12ihipStream_tbEUlRKyE_EEST_SX_SY_mSZ_S12_bEUlT_E_NS1_11comp_targetILNS1_3genE0ELNS1_11target_archE4294967295ELNS1_3gpuE0ELNS1_3repE0EEENS1_30default_config_static_selectorELNS0_4arch9wavefront6targetE1EEEvSW_,comdat
	.protected	_ZN7rocprim17ROCPRIM_400000_NS6detail17trampoline_kernelINS0_14default_configENS1_27upper_bound_config_selectorIylEEZNS1_14transform_implILb0ES3_S5_N6thrust23THRUST_200600_302600_NS6detail15normal_iteratorINS8_7pointerIyNS8_11hip_rocprim5par_tENS8_11use_defaultESE_EEEENSA_INSB_IlSD_SE_SE_EEEEZNS1_13binary_searchIS3_S5_PySG_SI_NS1_21upper_bound_search_opENS9_16wrapped_functionINS8_6system6detail7generic6detail18binary_search_lessEbEEEE10hipError_tPvRmT1_T2_T3_mmT4_T5_P12ihipStream_tbEUlRKyE_EEST_SX_SY_mSZ_S12_bEUlT_E_NS1_11comp_targetILNS1_3genE0ELNS1_11target_archE4294967295ELNS1_3gpuE0ELNS1_3repE0EEENS1_30default_config_static_selectorELNS0_4arch9wavefront6targetE1EEEvSW_ ; -- Begin function _ZN7rocprim17ROCPRIM_400000_NS6detail17trampoline_kernelINS0_14default_configENS1_27upper_bound_config_selectorIylEEZNS1_14transform_implILb0ES3_S5_N6thrust23THRUST_200600_302600_NS6detail15normal_iteratorINS8_7pointerIyNS8_11hip_rocprim5par_tENS8_11use_defaultESE_EEEENSA_INSB_IlSD_SE_SE_EEEEZNS1_13binary_searchIS3_S5_PySG_SI_NS1_21upper_bound_search_opENS9_16wrapped_functionINS8_6system6detail7generic6detail18binary_search_lessEbEEEE10hipError_tPvRmT1_T2_T3_mmT4_T5_P12ihipStream_tbEUlRKyE_EEST_SX_SY_mSZ_S12_bEUlT_E_NS1_11comp_targetILNS1_3genE0ELNS1_11target_archE4294967295ELNS1_3gpuE0ELNS1_3repE0EEENS1_30default_config_static_selectorELNS0_4arch9wavefront6targetE1EEEvSW_
	.globl	_ZN7rocprim17ROCPRIM_400000_NS6detail17trampoline_kernelINS0_14default_configENS1_27upper_bound_config_selectorIylEEZNS1_14transform_implILb0ES3_S5_N6thrust23THRUST_200600_302600_NS6detail15normal_iteratorINS8_7pointerIyNS8_11hip_rocprim5par_tENS8_11use_defaultESE_EEEENSA_INSB_IlSD_SE_SE_EEEEZNS1_13binary_searchIS3_S5_PySG_SI_NS1_21upper_bound_search_opENS9_16wrapped_functionINS8_6system6detail7generic6detail18binary_search_lessEbEEEE10hipError_tPvRmT1_T2_T3_mmT4_T5_P12ihipStream_tbEUlRKyE_EEST_SX_SY_mSZ_S12_bEUlT_E_NS1_11comp_targetILNS1_3genE0ELNS1_11target_archE4294967295ELNS1_3gpuE0ELNS1_3repE0EEENS1_30default_config_static_selectorELNS0_4arch9wavefront6targetE1EEEvSW_
	.p2align	8
	.type	_ZN7rocprim17ROCPRIM_400000_NS6detail17trampoline_kernelINS0_14default_configENS1_27upper_bound_config_selectorIylEEZNS1_14transform_implILb0ES3_S5_N6thrust23THRUST_200600_302600_NS6detail15normal_iteratorINS8_7pointerIyNS8_11hip_rocprim5par_tENS8_11use_defaultESE_EEEENSA_INSB_IlSD_SE_SE_EEEEZNS1_13binary_searchIS3_S5_PySG_SI_NS1_21upper_bound_search_opENS9_16wrapped_functionINS8_6system6detail7generic6detail18binary_search_lessEbEEEE10hipError_tPvRmT1_T2_T3_mmT4_T5_P12ihipStream_tbEUlRKyE_EEST_SX_SY_mSZ_S12_bEUlT_E_NS1_11comp_targetILNS1_3genE0ELNS1_11target_archE4294967295ELNS1_3gpuE0ELNS1_3repE0EEENS1_30default_config_static_selectorELNS0_4arch9wavefront6targetE1EEEvSW_,@function
_ZN7rocprim17ROCPRIM_400000_NS6detail17trampoline_kernelINS0_14default_configENS1_27upper_bound_config_selectorIylEEZNS1_14transform_implILb0ES3_S5_N6thrust23THRUST_200600_302600_NS6detail15normal_iteratorINS8_7pointerIyNS8_11hip_rocprim5par_tENS8_11use_defaultESE_EEEENSA_INSB_IlSD_SE_SE_EEEEZNS1_13binary_searchIS3_S5_PySG_SI_NS1_21upper_bound_search_opENS9_16wrapped_functionINS8_6system6detail7generic6detail18binary_search_lessEbEEEE10hipError_tPvRmT1_T2_T3_mmT4_T5_P12ihipStream_tbEUlRKyE_EEST_SX_SY_mSZ_S12_bEUlT_E_NS1_11comp_targetILNS1_3genE0ELNS1_11target_archE4294967295ELNS1_3gpuE0ELNS1_3repE0EEENS1_30default_config_static_selectorELNS0_4arch9wavefront6targetE1EEEvSW_: ; @_ZN7rocprim17ROCPRIM_400000_NS6detail17trampoline_kernelINS0_14default_configENS1_27upper_bound_config_selectorIylEEZNS1_14transform_implILb0ES3_S5_N6thrust23THRUST_200600_302600_NS6detail15normal_iteratorINS8_7pointerIyNS8_11hip_rocprim5par_tENS8_11use_defaultESE_EEEENSA_INSB_IlSD_SE_SE_EEEEZNS1_13binary_searchIS3_S5_PySG_SI_NS1_21upper_bound_search_opENS9_16wrapped_functionINS8_6system6detail7generic6detail18binary_search_lessEbEEEE10hipError_tPvRmT1_T2_T3_mmT4_T5_P12ihipStream_tbEUlRKyE_EEST_SX_SY_mSZ_S12_bEUlT_E_NS1_11comp_targetILNS1_3genE0ELNS1_11target_archE4294967295ELNS1_3gpuE0ELNS1_3repE0EEENS1_30default_config_static_selectorELNS0_4arch9wavefront6targetE1EEEvSW_
; %bb.0:
	.section	.rodata,"a",@progbits
	.p2align	6, 0x0
	.amdhsa_kernel _ZN7rocprim17ROCPRIM_400000_NS6detail17trampoline_kernelINS0_14default_configENS1_27upper_bound_config_selectorIylEEZNS1_14transform_implILb0ES3_S5_N6thrust23THRUST_200600_302600_NS6detail15normal_iteratorINS8_7pointerIyNS8_11hip_rocprim5par_tENS8_11use_defaultESE_EEEENSA_INSB_IlSD_SE_SE_EEEEZNS1_13binary_searchIS3_S5_PySG_SI_NS1_21upper_bound_search_opENS9_16wrapped_functionINS8_6system6detail7generic6detail18binary_search_lessEbEEEE10hipError_tPvRmT1_T2_T3_mmT4_T5_P12ihipStream_tbEUlRKyE_EEST_SX_SY_mSZ_S12_bEUlT_E_NS1_11comp_targetILNS1_3genE0ELNS1_11target_archE4294967295ELNS1_3gpuE0ELNS1_3repE0EEENS1_30default_config_static_selectorELNS0_4arch9wavefront6targetE1EEEvSW_
		.amdhsa_group_segment_fixed_size 0
		.amdhsa_private_segment_fixed_size 0
		.amdhsa_kernarg_size 56
		.amdhsa_user_sgpr_count 6
		.amdhsa_user_sgpr_private_segment_buffer 1
		.amdhsa_user_sgpr_dispatch_ptr 0
		.amdhsa_user_sgpr_queue_ptr 0
		.amdhsa_user_sgpr_kernarg_segment_ptr 1
		.amdhsa_user_sgpr_dispatch_id 0
		.amdhsa_user_sgpr_flat_scratch_init 0
		.amdhsa_user_sgpr_private_segment_size 0
		.amdhsa_uses_dynamic_stack 0
		.amdhsa_system_sgpr_private_segment_wavefront_offset 0
		.amdhsa_system_sgpr_workgroup_id_x 1
		.amdhsa_system_sgpr_workgroup_id_y 0
		.amdhsa_system_sgpr_workgroup_id_z 0
		.amdhsa_system_sgpr_workgroup_info 0
		.amdhsa_system_vgpr_workitem_id 0
		.amdhsa_next_free_vgpr 1
		.amdhsa_next_free_sgpr 0
		.amdhsa_reserve_vcc 0
		.amdhsa_reserve_flat_scratch 0
		.amdhsa_float_round_mode_32 0
		.amdhsa_float_round_mode_16_64 0
		.amdhsa_float_denorm_mode_32 3
		.amdhsa_float_denorm_mode_16_64 3
		.amdhsa_dx10_clamp 1
		.amdhsa_ieee_mode 1
		.amdhsa_fp16_overflow 0
		.amdhsa_exception_fp_ieee_invalid_op 0
		.amdhsa_exception_fp_denorm_src 0
		.amdhsa_exception_fp_ieee_div_zero 0
		.amdhsa_exception_fp_ieee_overflow 0
		.amdhsa_exception_fp_ieee_underflow 0
		.amdhsa_exception_fp_ieee_inexact 0
		.amdhsa_exception_int_div_zero 0
	.end_amdhsa_kernel
	.section	.text._ZN7rocprim17ROCPRIM_400000_NS6detail17trampoline_kernelINS0_14default_configENS1_27upper_bound_config_selectorIylEEZNS1_14transform_implILb0ES3_S5_N6thrust23THRUST_200600_302600_NS6detail15normal_iteratorINS8_7pointerIyNS8_11hip_rocprim5par_tENS8_11use_defaultESE_EEEENSA_INSB_IlSD_SE_SE_EEEEZNS1_13binary_searchIS3_S5_PySG_SI_NS1_21upper_bound_search_opENS9_16wrapped_functionINS8_6system6detail7generic6detail18binary_search_lessEbEEEE10hipError_tPvRmT1_T2_T3_mmT4_T5_P12ihipStream_tbEUlRKyE_EEST_SX_SY_mSZ_S12_bEUlT_E_NS1_11comp_targetILNS1_3genE0ELNS1_11target_archE4294967295ELNS1_3gpuE0ELNS1_3repE0EEENS1_30default_config_static_selectorELNS0_4arch9wavefront6targetE1EEEvSW_,"axG",@progbits,_ZN7rocprim17ROCPRIM_400000_NS6detail17trampoline_kernelINS0_14default_configENS1_27upper_bound_config_selectorIylEEZNS1_14transform_implILb0ES3_S5_N6thrust23THRUST_200600_302600_NS6detail15normal_iteratorINS8_7pointerIyNS8_11hip_rocprim5par_tENS8_11use_defaultESE_EEEENSA_INSB_IlSD_SE_SE_EEEEZNS1_13binary_searchIS3_S5_PySG_SI_NS1_21upper_bound_search_opENS9_16wrapped_functionINS8_6system6detail7generic6detail18binary_search_lessEbEEEE10hipError_tPvRmT1_T2_T3_mmT4_T5_P12ihipStream_tbEUlRKyE_EEST_SX_SY_mSZ_S12_bEUlT_E_NS1_11comp_targetILNS1_3genE0ELNS1_11target_archE4294967295ELNS1_3gpuE0ELNS1_3repE0EEENS1_30default_config_static_selectorELNS0_4arch9wavefront6targetE1EEEvSW_,comdat
.Lfunc_end182:
	.size	_ZN7rocprim17ROCPRIM_400000_NS6detail17trampoline_kernelINS0_14default_configENS1_27upper_bound_config_selectorIylEEZNS1_14transform_implILb0ES3_S5_N6thrust23THRUST_200600_302600_NS6detail15normal_iteratorINS8_7pointerIyNS8_11hip_rocprim5par_tENS8_11use_defaultESE_EEEENSA_INSB_IlSD_SE_SE_EEEEZNS1_13binary_searchIS3_S5_PySG_SI_NS1_21upper_bound_search_opENS9_16wrapped_functionINS8_6system6detail7generic6detail18binary_search_lessEbEEEE10hipError_tPvRmT1_T2_T3_mmT4_T5_P12ihipStream_tbEUlRKyE_EEST_SX_SY_mSZ_S12_bEUlT_E_NS1_11comp_targetILNS1_3genE0ELNS1_11target_archE4294967295ELNS1_3gpuE0ELNS1_3repE0EEENS1_30default_config_static_selectorELNS0_4arch9wavefront6targetE1EEEvSW_, .Lfunc_end182-_ZN7rocprim17ROCPRIM_400000_NS6detail17trampoline_kernelINS0_14default_configENS1_27upper_bound_config_selectorIylEEZNS1_14transform_implILb0ES3_S5_N6thrust23THRUST_200600_302600_NS6detail15normal_iteratorINS8_7pointerIyNS8_11hip_rocprim5par_tENS8_11use_defaultESE_EEEENSA_INSB_IlSD_SE_SE_EEEEZNS1_13binary_searchIS3_S5_PySG_SI_NS1_21upper_bound_search_opENS9_16wrapped_functionINS8_6system6detail7generic6detail18binary_search_lessEbEEEE10hipError_tPvRmT1_T2_T3_mmT4_T5_P12ihipStream_tbEUlRKyE_EEST_SX_SY_mSZ_S12_bEUlT_E_NS1_11comp_targetILNS1_3genE0ELNS1_11target_archE4294967295ELNS1_3gpuE0ELNS1_3repE0EEENS1_30default_config_static_selectorELNS0_4arch9wavefront6targetE1EEEvSW_
                                        ; -- End function
	.set _ZN7rocprim17ROCPRIM_400000_NS6detail17trampoline_kernelINS0_14default_configENS1_27upper_bound_config_selectorIylEEZNS1_14transform_implILb0ES3_S5_N6thrust23THRUST_200600_302600_NS6detail15normal_iteratorINS8_7pointerIyNS8_11hip_rocprim5par_tENS8_11use_defaultESE_EEEENSA_INSB_IlSD_SE_SE_EEEEZNS1_13binary_searchIS3_S5_PySG_SI_NS1_21upper_bound_search_opENS9_16wrapped_functionINS8_6system6detail7generic6detail18binary_search_lessEbEEEE10hipError_tPvRmT1_T2_T3_mmT4_T5_P12ihipStream_tbEUlRKyE_EEST_SX_SY_mSZ_S12_bEUlT_E_NS1_11comp_targetILNS1_3genE0ELNS1_11target_archE4294967295ELNS1_3gpuE0ELNS1_3repE0EEENS1_30default_config_static_selectorELNS0_4arch9wavefront6targetE1EEEvSW_.num_vgpr, 0
	.set _ZN7rocprim17ROCPRIM_400000_NS6detail17trampoline_kernelINS0_14default_configENS1_27upper_bound_config_selectorIylEEZNS1_14transform_implILb0ES3_S5_N6thrust23THRUST_200600_302600_NS6detail15normal_iteratorINS8_7pointerIyNS8_11hip_rocprim5par_tENS8_11use_defaultESE_EEEENSA_INSB_IlSD_SE_SE_EEEEZNS1_13binary_searchIS3_S5_PySG_SI_NS1_21upper_bound_search_opENS9_16wrapped_functionINS8_6system6detail7generic6detail18binary_search_lessEbEEEE10hipError_tPvRmT1_T2_T3_mmT4_T5_P12ihipStream_tbEUlRKyE_EEST_SX_SY_mSZ_S12_bEUlT_E_NS1_11comp_targetILNS1_3genE0ELNS1_11target_archE4294967295ELNS1_3gpuE0ELNS1_3repE0EEENS1_30default_config_static_selectorELNS0_4arch9wavefront6targetE1EEEvSW_.num_agpr, 0
	.set _ZN7rocprim17ROCPRIM_400000_NS6detail17trampoline_kernelINS0_14default_configENS1_27upper_bound_config_selectorIylEEZNS1_14transform_implILb0ES3_S5_N6thrust23THRUST_200600_302600_NS6detail15normal_iteratorINS8_7pointerIyNS8_11hip_rocprim5par_tENS8_11use_defaultESE_EEEENSA_INSB_IlSD_SE_SE_EEEEZNS1_13binary_searchIS3_S5_PySG_SI_NS1_21upper_bound_search_opENS9_16wrapped_functionINS8_6system6detail7generic6detail18binary_search_lessEbEEEE10hipError_tPvRmT1_T2_T3_mmT4_T5_P12ihipStream_tbEUlRKyE_EEST_SX_SY_mSZ_S12_bEUlT_E_NS1_11comp_targetILNS1_3genE0ELNS1_11target_archE4294967295ELNS1_3gpuE0ELNS1_3repE0EEENS1_30default_config_static_selectorELNS0_4arch9wavefront6targetE1EEEvSW_.numbered_sgpr, 0
	.set _ZN7rocprim17ROCPRIM_400000_NS6detail17trampoline_kernelINS0_14default_configENS1_27upper_bound_config_selectorIylEEZNS1_14transform_implILb0ES3_S5_N6thrust23THRUST_200600_302600_NS6detail15normal_iteratorINS8_7pointerIyNS8_11hip_rocprim5par_tENS8_11use_defaultESE_EEEENSA_INSB_IlSD_SE_SE_EEEEZNS1_13binary_searchIS3_S5_PySG_SI_NS1_21upper_bound_search_opENS9_16wrapped_functionINS8_6system6detail7generic6detail18binary_search_lessEbEEEE10hipError_tPvRmT1_T2_T3_mmT4_T5_P12ihipStream_tbEUlRKyE_EEST_SX_SY_mSZ_S12_bEUlT_E_NS1_11comp_targetILNS1_3genE0ELNS1_11target_archE4294967295ELNS1_3gpuE0ELNS1_3repE0EEENS1_30default_config_static_selectorELNS0_4arch9wavefront6targetE1EEEvSW_.num_named_barrier, 0
	.set _ZN7rocprim17ROCPRIM_400000_NS6detail17trampoline_kernelINS0_14default_configENS1_27upper_bound_config_selectorIylEEZNS1_14transform_implILb0ES3_S5_N6thrust23THRUST_200600_302600_NS6detail15normal_iteratorINS8_7pointerIyNS8_11hip_rocprim5par_tENS8_11use_defaultESE_EEEENSA_INSB_IlSD_SE_SE_EEEEZNS1_13binary_searchIS3_S5_PySG_SI_NS1_21upper_bound_search_opENS9_16wrapped_functionINS8_6system6detail7generic6detail18binary_search_lessEbEEEE10hipError_tPvRmT1_T2_T3_mmT4_T5_P12ihipStream_tbEUlRKyE_EEST_SX_SY_mSZ_S12_bEUlT_E_NS1_11comp_targetILNS1_3genE0ELNS1_11target_archE4294967295ELNS1_3gpuE0ELNS1_3repE0EEENS1_30default_config_static_selectorELNS0_4arch9wavefront6targetE1EEEvSW_.private_seg_size, 0
	.set _ZN7rocprim17ROCPRIM_400000_NS6detail17trampoline_kernelINS0_14default_configENS1_27upper_bound_config_selectorIylEEZNS1_14transform_implILb0ES3_S5_N6thrust23THRUST_200600_302600_NS6detail15normal_iteratorINS8_7pointerIyNS8_11hip_rocprim5par_tENS8_11use_defaultESE_EEEENSA_INSB_IlSD_SE_SE_EEEEZNS1_13binary_searchIS3_S5_PySG_SI_NS1_21upper_bound_search_opENS9_16wrapped_functionINS8_6system6detail7generic6detail18binary_search_lessEbEEEE10hipError_tPvRmT1_T2_T3_mmT4_T5_P12ihipStream_tbEUlRKyE_EEST_SX_SY_mSZ_S12_bEUlT_E_NS1_11comp_targetILNS1_3genE0ELNS1_11target_archE4294967295ELNS1_3gpuE0ELNS1_3repE0EEENS1_30default_config_static_selectorELNS0_4arch9wavefront6targetE1EEEvSW_.uses_vcc, 0
	.set _ZN7rocprim17ROCPRIM_400000_NS6detail17trampoline_kernelINS0_14default_configENS1_27upper_bound_config_selectorIylEEZNS1_14transform_implILb0ES3_S5_N6thrust23THRUST_200600_302600_NS6detail15normal_iteratorINS8_7pointerIyNS8_11hip_rocprim5par_tENS8_11use_defaultESE_EEEENSA_INSB_IlSD_SE_SE_EEEEZNS1_13binary_searchIS3_S5_PySG_SI_NS1_21upper_bound_search_opENS9_16wrapped_functionINS8_6system6detail7generic6detail18binary_search_lessEbEEEE10hipError_tPvRmT1_T2_T3_mmT4_T5_P12ihipStream_tbEUlRKyE_EEST_SX_SY_mSZ_S12_bEUlT_E_NS1_11comp_targetILNS1_3genE0ELNS1_11target_archE4294967295ELNS1_3gpuE0ELNS1_3repE0EEENS1_30default_config_static_selectorELNS0_4arch9wavefront6targetE1EEEvSW_.uses_flat_scratch, 0
	.set _ZN7rocprim17ROCPRIM_400000_NS6detail17trampoline_kernelINS0_14default_configENS1_27upper_bound_config_selectorIylEEZNS1_14transform_implILb0ES3_S5_N6thrust23THRUST_200600_302600_NS6detail15normal_iteratorINS8_7pointerIyNS8_11hip_rocprim5par_tENS8_11use_defaultESE_EEEENSA_INSB_IlSD_SE_SE_EEEEZNS1_13binary_searchIS3_S5_PySG_SI_NS1_21upper_bound_search_opENS9_16wrapped_functionINS8_6system6detail7generic6detail18binary_search_lessEbEEEE10hipError_tPvRmT1_T2_T3_mmT4_T5_P12ihipStream_tbEUlRKyE_EEST_SX_SY_mSZ_S12_bEUlT_E_NS1_11comp_targetILNS1_3genE0ELNS1_11target_archE4294967295ELNS1_3gpuE0ELNS1_3repE0EEENS1_30default_config_static_selectorELNS0_4arch9wavefront6targetE1EEEvSW_.has_dyn_sized_stack, 0
	.set _ZN7rocprim17ROCPRIM_400000_NS6detail17trampoline_kernelINS0_14default_configENS1_27upper_bound_config_selectorIylEEZNS1_14transform_implILb0ES3_S5_N6thrust23THRUST_200600_302600_NS6detail15normal_iteratorINS8_7pointerIyNS8_11hip_rocprim5par_tENS8_11use_defaultESE_EEEENSA_INSB_IlSD_SE_SE_EEEEZNS1_13binary_searchIS3_S5_PySG_SI_NS1_21upper_bound_search_opENS9_16wrapped_functionINS8_6system6detail7generic6detail18binary_search_lessEbEEEE10hipError_tPvRmT1_T2_T3_mmT4_T5_P12ihipStream_tbEUlRKyE_EEST_SX_SY_mSZ_S12_bEUlT_E_NS1_11comp_targetILNS1_3genE0ELNS1_11target_archE4294967295ELNS1_3gpuE0ELNS1_3repE0EEENS1_30default_config_static_selectorELNS0_4arch9wavefront6targetE1EEEvSW_.has_recursion, 0
	.set _ZN7rocprim17ROCPRIM_400000_NS6detail17trampoline_kernelINS0_14default_configENS1_27upper_bound_config_selectorIylEEZNS1_14transform_implILb0ES3_S5_N6thrust23THRUST_200600_302600_NS6detail15normal_iteratorINS8_7pointerIyNS8_11hip_rocprim5par_tENS8_11use_defaultESE_EEEENSA_INSB_IlSD_SE_SE_EEEEZNS1_13binary_searchIS3_S5_PySG_SI_NS1_21upper_bound_search_opENS9_16wrapped_functionINS8_6system6detail7generic6detail18binary_search_lessEbEEEE10hipError_tPvRmT1_T2_T3_mmT4_T5_P12ihipStream_tbEUlRKyE_EEST_SX_SY_mSZ_S12_bEUlT_E_NS1_11comp_targetILNS1_3genE0ELNS1_11target_archE4294967295ELNS1_3gpuE0ELNS1_3repE0EEENS1_30default_config_static_selectorELNS0_4arch9wavefront6targetE1EEEvSW_.has_indirect_call, 0
	.section	.AMDGPU.csdata,"",@progbits
; Kernel info:
; codeLenInByte = 0
; TotalNumSgprs: 4
; NumVgprs: 0
; ScratchSize: 0
; MemoryBound: 0
; FloatMode: 240
; IeeeMode: 1
; LDSByteSize: 0 bytes/workgroup (compile time only)
; SGPRBlocks: 0
; VGPRBlocks: 0
; NumSGPRsForWavesPerEU: 4
; NumVGPRsForWavesPerEU: 1
; Occupancy: 10
; WaveLimiterHint : 0
; COMPUTE_PGM_RSRC2:SCRATCH_EN: 0
; COMPUTE_PGM_RSRC2:USER_SGPR: 6
; COMPUTE_PGM_RSRC2:TRAP_HANDLER: 0
; COMPUTE_PGM_RSRC2:TGID_X_EN: 1
; COMPUTE_PGM_RSRC2:TGID_Y_EN: 0
; COMPUTE_PGM_RSRC2:TGID_Z_EN: 0
; COMPUTE_PGM_RSRC2:TIDIG_COMP_CNT: 0
	.section	.text._ZN7rocprim17ROCPRIM_400000_NS6detail17trampoline_kernelINS0_14default_configENS1_27upper_bound_config_selectorIylEEZNS1_14transform_implILb0ES3_S5_N6thrust23THRUST_200600_302600_NS6detail15normal_iteratorINS8_7pointerIyNS8_11hip_rocprim5par_tENS8_11use_defaultESE_EEEENSA_INSB_IlSD_SE_SE_EEEEZNS1_13binary_searchIS3_S5_PySG_SI_NS1_21upper_bound_search_opENS9_16wrapped_functionINS8_6system6detail7generic6detail18binary_search_lessEbEEEE10hipError_tPvRmT1_T2_T3_mmT4_T5_P12ihipStream_tbEUlRKyE_EEST_SX_SY_mSZ_S12_bEUlT_E_NS1_11comp_targetILNS1_3genE5ELNS1_11target_archE942ELNS1_3gpuE9ELNS1_3repE0EEENS1_30default_config_static_selectorELNS0_4arch9wavefront6targetE1EEEvSW_,"axG",@progbits,_ZN7rocprim17ROCPRIM_400000_NS6detail17trampoline_kernelINS0_14default_configENS1_27upper_bound_config_selectorIylEEZNS1_14transform_implILb0ES3_S5_N6thrust23THRUST_200600_302600_NS6detail15normal_iteratorINS8_7pointerIyNS8_11hip_rocprim5par_tENS8_11use_defaultESE_EEEENSA_INSB_IlSD_SE_SE_EEEEZNS1_13binary_searchIS3_S5_PySG_SI_NS1_21upper_bound_search_opENS9_16wrapped_functionINS8_6system6detail7generic6detail18binary_search_lessEbEEEE10hipError_tPvRmT1_T2_T3_mmT4_T5_P12ihipStream_tbEUlRKyE_EEST_SX_SY_mSZ_S12_bEUlT_E_NS1_11comp_targetILNS1_3genE5ELNS1_11target_archE942ELNS1_3gpuE9ELNS1_3repE0EEENS1_30default_config_static_selectorELNS0_4arch9wavefront6targetE1EEEvSW_,comdat
	.protected	_ZN7rocprim17ROCPRIM_400000_NS6detail17trampoline_kernelINS0_14default_configENS1_27upper_bound_config_selectorIylEEZNS1_14transform_implILb0ES3_S5_N6thrust23THRUST_200600_302600_NS6detail15normal_iteratorINS8_7pointerIyNS8_11hip_rocprim5par_tENS8_11use_defaultESE_EEEENSA_INSB_IlSD_SE_SE_EEEEZNS1_13binary_searchIS3_S5_PySG_SI_NS1_21upper_bound_search_opENS9_16wrapped_functionINS8_6system6detail7generic6detail18binary_search_lessEbEEEE10hipError_tPvRmT1_T2_T3_mmT4_T5_P12ihipStream_tbEUlRKyE_EEST_SX_SY_mSZ_S12_bEUlT_E_NS1_11comp_targetILNS1_3genE5ELNS1_11target_archE942ELNS1_3gpuE9ELNS1_3repE0EEENS1_30default_config_static_selectorELNS0_4arch9wavefront6targetE1EEEvSW_ ; -- Begin function _ZN7rocprim17ROCPRIM_400000_NS6detail17trampoline_kernelINS0_14default_configENS1_27upper_bound_config_selectorIylEEZNS1_14transform_implILb0ES3_S5_N6thrust23THRUST_200600_302600_NS6detail15normal_iteratorINS8_7pointerIyNS8_11hip_rocprim5par_tENS8_11use_defaultESE_EEEENSA_INSB_IlSD_SE_SE_EEEEZNS1_13binary_searchIS3_S5_PySG_SI_NS1_21upper_bound_search_opENS9_16wrapped_functionINS8_6system6detail7generic6detail18binary_search_lessEbEEEE10hipError_tPvRmT1_T2_T3_mmT4_T5_P12ihipStream_tbEUlRKyE_EEST_SX_SY_mSZ_S12_bEUlT_E_NS1_11comp_targetILNS1_3genE5ELNS1_11target_archE942ELNS1_3gpuE9ELNS1_3repE0EEENS1_30default_config_static_selectorELNS0_4arch9wavefront6targetE1EEEvSW_
	.globl	_ZN7rocprim17ROCPRIM_400000_NS6detail17trampoline_kernelINS0_14default_configENS1_27upper_bound_config_selectorIylEEZNS1_14transform_implILb0ES3_S5_N6thrust23THRUST_200600_302600_NS6detail15normal_iteratorINS8_7pointerIyNS8_11hip_rocprim5par_tENS8_11use_defaultESE_EEEENSA_INSB_IlSD_SE_SE_EEEEZNS1_13binary_searchIS3_S5_PySG_SI_NS1_21upper_bound_search_opENS9_16wrapped_functionINS8_6system6detail7generic6detail18binary_search_lessEbEEEE10hipError_tPvRmT1_T2_T3_mmT4_T5_P12ihipStream_tbEUlRKyE_EEST_SX_SY_mSZ_S12_bEUlT_E_NS1_11comp_targetILNS1_3genE5ELNS1_11target_archE942ELNS1_3gpuE9ELNS1_3repE0EEENS1_30default_config_static_selectorELNS0_4arch9wavefront6targetE1EEEvSW_
	.p2align	8
	.type	_ZN7rocprim17ROCPRIM_400000_NS6detail17trampoline_kernelINS0_14default_configENS1_27upper_bound_config_selectorIylEEZNS1_14transform_implILb0ES3_S5_N6thrust23THRUST_200600_302600_NS6detail15normal_iteratorINS8_7pointerIyNS8_11hip_rocprim5par_tENS8_11use_defaultESE_EEEENSA_INSB_IlSD_SE_SE_EEEEZNS1_13binary_searchIS3_S5_PySG_SI_NS1_21upper_bound_search_opENS9_16wrapped_functionINS8_6system6detail7generic6detail18binary_search_lessEbEEEE10hipError_tPvRmT1_T2_T3_mmT4_T5_P12ihipStream_tbEUlRKyE_EEST_SX_SY_mSZ_S12_bEUlT_E_NS1_11comp_targetILNS1_3genE5ELNS1_11target_archE942ELNS1_3gpuE9ELNS1_3repE0EEENS1_30default_config_static_selectorELNS0_4arch9wavefront6targetE1EEEvSW_,@function
_ZN7rocprim17ROCPRIM_400000_NS6detail17trampoline_kernelINS0_14default_configENS1_27upper_bound_config_selectorIylEEZNS1_14transform_implILb0ES3_S5_N6thrust23THRUST_200600_302600_NS6detail15normal_iteratorINS8_7pointerIyNS8_11hip_rocprim5par_tENS8_11use_defaultESE_EEEENSA_INSB_IlSD_SE_SE_EEEEZNS1_13binary_searchIS3_S5_PySG_SI_NS1_21upper_bound_search_opENS9_16wrapped_functionINS8_6system6detail7generic6detail18binary_search_lessEbEEEE10hipError_tPvRmT1_T2_T3_mmT4_T5_P12ihipStream_tbEUlRKyE_EEST_SX_SY_mSZ_S12_bEUlT_E_NS1_11comp_targetILNS1_3genE5ELNS1_11target_archE942ELNS1_3gpuE9ELNS1_3repE0EEENS1_30default_config_static_selectorELNS0_4arch9wavefront6targetE1EEEvSW_: ; @_ZN7rocprim17ROCPRIM_400000_NS6detail17trampoline_kernelINS0_14default_configENS1_27upper_bound_config_selectorIylEEZNS1_14transform_implILb0ES3_S5_N6thrust23THRUST_200600_302600_NS6detail15normal_iteratorINS8_7pointerIyNS8_11hip_rocprim5par_tENS8_11use_defaultESE_EEEENSA_INSB_IlSD_SE_SE_EEEEZNS1_13binary_searchIS3_S5_PySG_SI_NS1_21upper_bound_search_opENS9_16wrapped_functionINS8_6system6detail7generic6detail18binary_search_lessEbEEEE10hipError_tPvRmT1_T2_T3_mmT4_T5_P12ihipStream_tbEUlRKyE_EEST_SX_SY_mSZ_S12_bEUlT_E_NS1_11comp_targetILNS1_3genE5ELNS1_11target_archE942ELNS1_3gpuE9ELNS1_3repE0EEENS1_30default_config_static_selectorELNS0_4arch9wavefront6targetE1EEEvSW_
; %bb.0:
	.section	.rodata,"a",@progbits
	.p2align	6, 0x0
	.amdhsa_kernel _ZN7rocprim17ROCPRIM_400000_NS6detail17trampoline_kernelINS0_14default_configENS1_27upper_bound_config_selectorIylEEZNS1_14transform_implILb0ES3_S5_N6thrust23THRUST_200600_302600_NS6detail15normal_iteratorINS8_7pointerIyNS8_11hip_rocprim5par_tENS8_11use_defaultESE_EEEENSA_INSB_IlSD_SE_SE_EEEEZNS1_13binary_searchIS3_S5_PySG_SI_NS1_21upper_bound_search_opENS9_16wrapped_functionINS8_6system6detail7generic6detail18binary_search_lessEbEEEE10hipError_tPvRmT1_T2_T3_mmT4_T5_P12ihipStream_tbEUlRKyE_EEST_SX_SY_mSZ_S12_bEUlT_E_NS1_11comp_targetILNS1_3genE5ELNS1_11target_archE942ELNS1_3gpuE9ELNS1_3repE0EEENS1_30default_config_static_selectorELNS0_4arch9wavefront6targetE1EEEvSW_
		.amdhsa_group_segment_fixed_size 0
		.amdhsa_private_segment_fixed_size 0
		.amdhsa_kernarg_size 56
		.amdhsa_user_sgpr_count 6
		.amdhsa_user_sgpr_private_segment_buffer 1
		.amdhsa_user_sgpr_dispatch_ptr 0
		.amdhsa_user_sgpr_queue_ptr 0
		.amdhsa_user_sgpr_kernarg_segment_ptr 1
		.amdhsa_user_sgpr_dispatch_id 0
		.amdhsa_user_sgpr_flat_scratch_init 0
		.amdhsa_user_sgpr_private_segment_size 0
		.amdhsa_uses_dynamic_stack 0
		.amdhsa_system_sgpr_private_segment_wavefront_offset 0
		.amdhsa_system_sgpr_workgroup_id_x 1
		.amdhsa_system_sgpr_workgroup_id_y 0
		.amdhsa_system_sgpr_workgroup_id_z 0
		.amdhsa_system_sgpr_workgroup_info 0
		.amdhsa_system_vgpr_workitem_id 0
		.amdhsa_next_free_vgpr 1
		.amdhsa_next_free_sgpr 0
		.amdhsa_reserve_vcc 0
		.amdhsa_reserve_flat_scratch 0
		.amdhsa_float_round_mode_32 0
		.amdhsa_float_round_mode_16_64 0
		.amdhsa_float_denorm_mode_32 3
		.amdhsa_float_denorm_mode_16_64 3
		.amdhsa_dx10_clamp 1
		.amdhsa_ieee_mode 1
		.amdhsa_fp16_overflow 0
		.amdhsa_exception_fp_ieee_invalid_op 0
		.amdhsa_exception_fp_denorm_src 0
		.amdhsa_exception_fp_ieee_div_zero 0
		.amdhsa_exception_fp_ieee_overflow 0
		.amdhsa_exception_fp_ieee_underflow 0
		.amdhsa_exception_fp_ieee_inexact 0
		.amdhsa_exception_int_div_zero 0
	.end_amdhsa_kernel
	.section	.text._ZN7rocprim17ROCPRIM_400000_NS6detail17trampoline_kernelINS0_14default_configENS1_27upper_bound_config_selectorIylEEZNS1_14transform_implILb0ES3_S5_N6thrust23THRUST_200600_302600_NS6detail15normal_iteratorINS8_7pointerIyNS8_11hip_rocprim5par_tENS8_11use_defaultESE_EEEENSA_INSB_IlSD_SE_SE_EEEEZNS1_13binary_searchIS3_S5_PySG_SI_NS1_21upper_bound_search_opENS9_16wrapped_functionINS8_6system6detail7generic6detail18binary_search_lessEbEEEE10hipError_tPvRmT1_T2_T3_mmT4_T5_P12ihipStream_tbEUlRKyE_EEST_SX_SY_mSZ_S12_bEUlT_E_NS1_11comp_targetILNS1_3genE5ELNS1_11target_archE942ELNS1_3gpuE9ELNS1_3repE0EEENS1_30default_config_static_selectorELNS0_4arch9wavefront6targetE1EEEvSW_,"axG",@progbits,_ZN7rocprim17ROCPRIM_400000_NS6detail17trampoline_kernelINS0_14default_configENS1_27upper_bound_config_selectorIylEEZNS1_14transform_implILb0ES3_S5_N6thrust23THRUST_200600_302600_NS6detail15normal_iteratorINS8_7pointerIyNS8_11hip_rocprim5par_tENS8_11use_defaultESE_EEEENSA_INSB_IlSD_SE_SE_EEEEZNS1_13binary_searchIS3_S5_PySG_SI_NS1_21upper_bound_search_opENS9_16wrapped_functionINS8_6system6detail7generic6detail18binary_search_lessEbEEEE10hipError_tPvRmT1_T2_T3_mmT4_T5_P12ihipStream_tbEUlRKyE_EEST_SX_SY_mSZ_S12_bEUlT_E_NS1_11comp_targetILNS1_3genE5ELNS1_11target_archE942ELNS1_3gpuE9ELNS1_3repE0EEENS1_30default_config_static_selectorELNS0_4arch9wavefront6targetE1EEEvSW_,comdat
.Lfunc_end183:
	.size	_ZN7rocprim17ROCPRIM_400000_NS6detail17trampoline_kernelINS0_14default_configENS1_27upper_bound_config_selectorIylEEZNS1_14transform_implILb0ES3_S5_N6thrust23THRUST_200600_302600_NS6detail15normal_iteratorINS8_7pointerIyNS8_11hip_rocprim5par_tENS8_11use_defaultESE_EEEENSA_INSB_IlSD_SE_SE_EEEEZNS1_13binary_searchIS3_S5_PySG_SI_NS1_21upper_bound_search_opENS9_16wrapped_functionINS8_6system6detail7generic6detail18binary_search_lessEbEEEE10hipError_tPvRmT1_T2_T3_mmT4_T5_P12ihipStream_tbEUlRKyE_EEST_SX_SY_mSZ_S12_bEUlT_E_NS1_11comp_targetILNS1_3genE5ELNS1_11target_archE942ELNS1_3gpuE9ELNS1_3repE0EEENS1_30default_config_static_selectorELNS0_4arch9wavefront6targetE1EEEvSW_, .Lfunc_end183-_ZN7rocprim17ROCPRIM_400000_NS6detail17trampoline_kernelINS0_14default_configENS1_27upper_bound_config_selectorIylEEZNS1_14transform_implILb0ES3_S5_N6thrust23THRUST_200600_302600_NS6detail15normal_iteratorINS8_7pointerIyNS8_11hip_rocprim5par_tENS8_11use_defaultESE_EEEENSA_INSB_IlSD_SE_SE_EEEEZNS1_13binary_searchIS3_S5_PySG_SI_NS1_21upper_bound_search_opENS9_16wrapped_functionINS8_6system6detail7generic6detail18binary_search_lessEbEEEE10hipError_tPvRmT1_T2_T3_mmT4_T5_P12ihipStream_tbEUlRKyE_EEST_SX_SY_mSZ_S12_bEUlT_E_NS1_11comp_targetILNS1_3genE5ELNS1_11target_archE942ELNS1_3gpuE9ELNS1_3repE0EEENS1_30default_config_static_selectorELNS0_4arch9wavefront6targetE1EEEvSW_
                                        ; -- End function
	.set _ZN7rocprim17ROCPRIM_400000_NS6detail17trampoline_kernelINS0_14default_configENS1_27upper_bound_config_selectorIylEEZNS1_14transform_implILb0ES3_S5_N6thrust23THRUST_200600_302600_NS6detail15normal_iteratorINS8_7pointerIyNS8_11hip_rocprim5par_tENS8_11use_defaultESE_EEEENSA_INSB_IlSD_SE_SE_EEEEZNS1_13binary_searchIS3_S5_PySG_SI_NS1_21upper_bound_search_opENS9_16wrapped_functionINS8_6system6detail7generic6detail18binary_search_lessEbEEEE10hipError_tPvRmT1_T2_T3_mmT4_T5_P12ihipStream_tbEUlRKyE_EEST_SX_SY_mSZ_S12_bEUlT_E_NS1_11comp_targetILNS1_3genE5ELNS1_11target_archE942ELNS1_3gpuE9ELNS1_3repE0EEENS1_30default_config_static_selectorELNS0_4arch9wavefront6targetE1EEEvSW_.num_vgpr, 0
	.set _ZN7rocprim17ROCPRIM_400000_NS6detail17trampoline_kernelINS0_14default_configENS1_27upper_bound_config_selectorIylEEZNS1_14transform_implILb0ES3_S5_N6thrust23THRUST_200600_302600_NS6detail15normal_iteratorINS8_7pointerIyNS8_11hip_rocprim5par_tENS8_11use_defaultESE_EEEENSA_INSB_IlSD_SE_SE_EEEEZNS1_13binary_searchIS3_S5_PySG_SI_NS1_21upper_bound_search_opENS9_16wrapped_functionINS8_6system6detail7generic6detail18binary_search_lessEbEEEE10hipError_tPvRmT1_T2_T3_mmT4_T5_P12ihipStream_tbEUlRKyE_EEST_SX_SY_mSZ_S12_bEUlT_E_NS1_11comp_targetILNS1_3genE5ELNS1_11target_archE942ELNS1_3gpuE9ELNS1_3repE0EEENS1_30default_config_static_selectorELNS0_4arch9wavefront6targetE1EEEvSW_.num_agpr, 0
	.set _ZN7rocprim17ROCPRIM_400000_NS6detail17trampoline_kernelINS0_14default_configENS1_27upper_bound_config_selectorIylEEZNS1_14transform_implILb0ES3_S5_N6thrust23THRUST_200600_302600_NS6detail15normal_iteratorINS8_7pointerIyNS8_11hip_rocprim5par_tENS8_11use_defaultESE_EEEENSA_INSB_IlSD_SE_SE_EEEEZNS1_13binary_searchIS3_S5_PySG_SI_NS1_21upper_bound_search_opENS9_16wrapped_functionINS8_6system6detail7generic6detail18binary_search_lessEbEEEE10hipError_tPvRmT1_T2_T3_mmT4_T5_P12ihipStream_tbEUlRKyE_EEST_SX_SY_mSZ_S12_bEUlT_E_NS1_11comp_targetILNS1_3genE5ELNS1_11target_archE942ELNS1_3gpuE9ELNS1_3repE0EEENS1_30default_config_static_selectorELNS0_4arch9wavefront6targetE1EEEvSW_.numbered_sgpr, 0
	.set _ZN7rocprim17ROCPRIM_400000_NS6detail17trampoline_kernelINS0_14default_configENS1_27upper_bound_config_selectorIylEEZNS1_14transform_implILb0ES3_S5_N6thrust23THRUST_200600_302600_NS6detail15normal_iteratorINS8_7pointerIyNS8_11hip_rocprim5par_tENS8_11use_defaultESE_EEEENSA_INSB_IlSD_SE_SE_EEEEZNS1_13binary_searchIS3_S5_PySG_SI_NS1_21upper_bound_search_opENS9_16wrapped_functionINS8_6system6detail7generic6detail18binary_search_lessEbEEEE10hipError_tPvRmT1_T2_T3_mmT4_T5_P12ihipStream_tbEUlRKyE_EEST_SX_SY_mSZ_S12_bEUlT_E_NS1_11comp_targetILNS1_3genE5ELNS1_11target_archE942ELNS1_3gpuE9ELNS1_3repE0EEENS1_30default_config_static_selectorELNS0_4arch9wavefront6targetE1EEEvSW_.num_named_barrier, 0
	.set _ZN7rocprim17ROCPRIM_400000_NS6detail17trampoline_kernelINS0_14default_configENS1_27upper_bound_config_selectorIylEEZNS1_14transform_implILb0ES3_S5_N6thrust23THRUST_200600_302600_NS6detail15normal_iteratorINS8_7pointerIyNS8_11hip_rocprim5par_tENS8_11use_defaultESE_EEEENSA_INSB_IlSD_SE_SE_EEEEZNS1_13binary_searchIS3_S5_PySG_SI_NS1_21upper_bound_search_opENS9_16wrapped_functionINS8_6system6detail7generic6detail18binary_search_lessEbEEEE10hipError_tPvRmT1_T2_T3_mmT4_T5_P12ihipStream_tbEUlRKyE_EEST_SX_SY_mSZ_S12_bEUlT_E_NS1_11comp_targetILNS1_3genE5ELNS1_11target_archE942ELNS1_3gpuE9ELNS1_3repE0EEENS1_30default_config_static_selectorELNS0_4arch9wavefront6targetE1EEEvSW_.private_seg_size, 0
	.set _ZN7rocprim17ROCPRIM_400000_NS6detail17trampoline_kernelINS0_14default_configENS1_27upper_bound_config_selectorIylEEZNS1_14transform_implILb0ES3_S5_N6thrust23THRUST_200600_302600_NS6detail15normal_iteratorINS8_7pointerIyNS8_11hip_rocprim5par_tENS8_11use_defaultESE_EEEENSA_INSB_IlSD_SE_SE_EEEEZNS1_13binary_searchIS3_S5_PySG_SI_NS1_21upper_bound_search_opENS9_16wrapped_functionINS8_6system6detail7generic6detail18binary_search_lessEbEEEE10hipError_tPvRmT1_T2_T3_mmT4_T5_P12ihipStream_tbEUlRKyE_EEST_SX_SY_mSZ_S12_bEUlT_E_NS1_11comp_targetILNS1_3genE5ELNS1_11target_archE942ELNS1_3gpuE9ELNS1_3repE0EEENS1_30default_config_static_selectorELNS0_4arch9wavefront6targetE1EEEvSW_.uses_vcc, 0
	.set _ZN7rocprim17ROCPRIM_400000_NS6detail17trampoline_kernelINS0_14default_configENS1_27upper_bound_config_selectorIylEEZNS1_14transform_implILb0ES3_S5_N6thrust23THRUST_200600_302600_NS6detail15normal_iteratorINS8_7pointerIyNS8_11hip_rocprim5par_tENS8_11use_defaultESE_EEEENSA_INSB_IlSD_SE_SE_EEEEZNS1_13binary_searchIS3_S5_PySG_SI_NS1_21upper_bound_search_opENS9_16wrapped_functionINS8_6system6detail7generic6detail18binary_search_lessEbEEEE10hipError_tPvRmT1_T2_T3_mmT4_T5_P12ihipStream_tbEUlRKyE_EEST_SX_SY_mSZ_S12_bEUlT_E_NS1_11comp_targetILNS1_3genE5ELNS1_11target_archE942ELNS1_3gpuE9ELNS1_3repE0EEENS1_30default_config_static_selectorELNS0_4arch9wavefront6targetE1EEEvSW_.uses_flat_scratch, 0
	.set _ZN7rocprim17ROCPRIM_400000_NS6detail17trampoline_kernelINS0_14default_configENS1_27upper_bound_config_selectorIylEEZNS1_14transform_implILb0ES3_S5_N6thrust23THRUST_200600_302600_NS6detail15normal_iteratorINS8_7pointerIyNS8_11hip_rocprim5par_tENS8_11use_defaultESE_EEEENSA_INSB_IlSD_SE_SE_EEEEZNS1_13binary_searchIS3_S5_PySG_SI_NS1_21upper_bound_search_opENS9_16wrapped_functionINS8_6system6detail7generic6detail18binary_search_lessEbEEEE10hipError_tPvRmT1_T2_T3_mmT4_T5_P12ihipStream_tbEUlRKyE_EEST_SX_SY_mSZ_S12_bEUlT_E_NS1_11comp_targetILNS1_3genE5ELNS1_11target_archE942ELNS1_3gpuE9ELNS1_3repE0EEENS1_30default_config_static_selectorELNS0_4arch9wavefront6targetE1EEEvSW_.has_dyn_sized_stack, 0
	.set _ZN7rocprim17ROCPRIM_400000_NS6detail17trampoline_kernelINS0_14default_configENS1_27upper_bound_config_selectorIylEEZNS1_14transform_implILb0ES3_S5_N6thrust23THRUST_200600_302600_NS6detail15normal_iteratorINS8_7pointerIyNS8_11hip_rocprim5par_tENS8_11use_defaultESE_EEEENSA_INSB_IlSD_SE_SE_EEEEZNS1_13binary_searchIS3_S5_PySG_SI_NS1_21upper_bound_search_opENS9_16wrapped_functionINS8_6system6detail7generic6detail18binary_search_lessEbEEEE10hipError_tPvRmT1_T2_T3_mmT4_T5_P12ihipStream_tbEUlRKyE_EEST_SX_SY_mSZ_S12_bEUlT_E_NS1_11comp_targetILNS1_3genE5ELNS1_11target_archE942ELNS1_3gpuE9ELNS1_3repE0EEENS1_30default_config_static_selectorELNS0_4arch9wavefront6targetE1EEEvSW_.has_recursion, 0
	.set _ZN7rocprim17ROCPRIM_400000_NS6detail17trampoline_kernelINS0_14default_configENS1_27upper_bound_config_selectorIylEEZNS1_14transform_implILb0ES3_S5_N6thrust23THRUST_200600_302600_NS6detail15normal_iteratorINS8_7pointerIyNS8_11hip_rocprim5par_tENS8_11use_defaultESE_EEEENSA_INSB_IlSD_SE_SE_EEEEZNS1_13binary_searchIS3_S5_PySG_SI_NS1_21upper_bound_search_opENS9_16wrapped_functionINS8_6system6detail7generic6detail18binary_search_lessEbEEEE10hipError_tPvRmT1_T2_T3_mmT4_T5_P12ihipStream_tbEUlRKyE_EEST_SX_SY_mSZ_S12_bEUlT_E_NS1_11comp_targetILNS1_3genE5ELNS1_11target_archE942ELNS1_3gpuE9ELNS1_3repE0EEENS1_30default_config_static_selectorELNS0_4arch9wavefront6targetE1EEEvSW_.has_indirect_call, 0
	.section	.AMDGPU.csdata,"",@progbits
; Kernel info:
; codeLenInByte = 0
; TotalNumSgprs: 4
; NumVgprs: 0
; ScratchSize: 0
; MemoryBound: 0
; FloatMode: 240
; IeeeMode: 1
; LDSByteSize: 0 bytes/workgroup (compile time only)
; SGPRBlocks: 0
; VGPRBlocks: 0
; NumSGPRsForWavesPerEU: 4
; NumVGPRsForWavesPerEU: 1
; Occupancy: 10
; WaveLimiterHint : 0
; COMPUTE_PGM_RSRC2:SCRATCH_EN: 0
; COMPUTE_PGM_RSRC2:USER_SGPR: 6
; COMPUTE_PGM_RSRC2:TRAP_HANDLER: 0
; COMPUTE_PGM_RSRC2:TGID_X_EN: 1
; COMPUTE_PGM_RSRC2:TGID_Y_EN: 0
; COMPUTE_PGM_RSRC2:TGID_Z_EN: 0
; COMPUTE_PGM_RSRC2:TIDIG_COMP_CNT: 0
	.section	.text._ZN7rocprim17ROCPRIM_400000_NS6detail17trampoline_kernelINS0_14default_configENS1_27upper_bound_config_selectorIylEEZNS1_14transform_implILb0ES3_S5_N6thrust23THRUST_200600_302600_NS6detail15normal_iteratorINS8_7pointerIyNS8_11hip_rocprim5par_tENS8_11use_defaultESE_EEEENSA_INSB_IlSD_SE_SE_EEEEZNS1_13binary_searchIS3_S5_PySG_SI_NS1_21upper_bound_search_opENS9_16wrapped_functionINS8_6system6detail7generic6detail18binary_search_lessEbEEEE10hipError_tPvRmT1_T2_T3_mmT4_T5_P12ihipStream_tbEUlRKyE_EEST_SX_SY_mSZ_S12_bEUlT_E_NS1_11comp_targetILNS1_3genE4ELNS1_11target_archE910ELNS1_3gpuE8ELNS1_3repE0EEENS1_30default_config_static_selectorELNS0_4arch9wavefront6targetE1EEEvSW_,"axG",@progbits,_ZN7rocprim17ROCPRIM_400000_NS6detail17trampoline_kernelINS0_14default_configENS1_27upper_bound_config_selectorIylEEZNS1_14transform_implILb0ES3_S5_N6thrust23THRUST_200600_302600_NS6detail15normal_iteratorINS8_7pointerIyNS8_11hip_rocprim5par_tENS8_11use_defaultESE_EEEENSA_INSB_IlSD_SE_SE_EEEEZNS1_13binary_searchIS3_S5_PySG_SI_NS1_21upper_bound_search_opENS9_16wrapped_functionINS8_6system6detail7generic6detail18binary_search_lessEbEEEE10hipError_tPvRmT1_T2_T3_mmT4_T5_P12ihipStream_tbEUlRKyE_EEST_SX_SY_mSZ_S12_bEUlT_E_NS1_11comp_targetILNS1_3genE4ELNS1_11target_archE910ELNS1_3gpuE8ELNS1_3repE0EEENS1_30default_config_static_selectorELNS0_4arch9wavefront6targetE1EEEvSW_,comdat
	.protected	_ZN7rocprim17ROCPRIM_400000_NS6detail17trampoline_kernelINS0_14default_configENS1_27upper_bound_config_selectorIylEEZNS1_14transform_implILb0ES3_S5_N6thrust23THRUST_200600_302600_NS6detail15normal_iteratorINS8_7pointerIyNS8_11hip_rocprim5par_tENS8_11use_defaultESE_EEEENSA_INSB_IlSD_SE_SE_EEEEZNS1_13binary_searchIS3_S5_PySG_SI_NS1_21upper_bound_search_opENS9_16wrapped_functionINS8_6system6detail7generic6detail18binary_search_lessEbEEEE10hipError_tPvRmT1_T2_T3_mmT4_T5_P12ihipStream_tbEUlRKyE_EEST_SX_SY_mSZ_S12_bEUlT_E_NS1_11comp_targetILNS1_3genE4ELNS1_11target_archE910ELNS1_3gpuE8ELNS1_3repE0EEENS1_30default_config_static_selectorELNS0_4arch9wavefront6targetE1EEEvSW_ ; -- Begin function _ZN7rocprim17ROCPRIM_400000_NS6detail17trampoline_kernelINS0_14default_configENS1_27upper_bound_config_selectorIylEEZNS1_14transform_implILb0ES3_S5_N6thrust23THRUST_200600_302600_NS6detail15normal_iteratorINS8_7pointerIyNS8_11hip_rocprim5par_tENS8_11use_defaultESE_EEEENSA_INSB_IlSD_SE_SE_EEEEZNS1_13binary_searchIS3_S5_PySG_SI_NS1_21upper_bound_search_opENS9_16wrapped_functionINS8_6system6detail7generic6detail18binary_search_lessEbEEEE10hipError_tPvRmT1_T2_T3_mmT4_T5_P12ihipStream_tbEUlRKyE_EEST_SX_SY_mSZ_S12_bEUlT_E_NS1_11comp_targetILNS1_3genE4ELNS1_11target_archE910ELNS1_3gpuE8ELNS1_3repE0EEENS1_30default_config_static_selectorELNS0_4arch9wavefront6targetE1EEEvSW_
	.globl	_ZN7rocprim17ROCPRIM_400000_NS6detail17trampoline_kernelINS0_14default_configENS1_27upper_bound_config_selectorIylEEZNS1_14transform_implILb0ES3_S5_N6thrust23THRUST_200600_302600_NS6detail15normal_iteratorINS8_7pointerIyNS8_11hip_rocprim5par_tENS8_11use_defaultESE_EEEENSA_INSB_IlSD_SE_SE_EEEEZNS1_13binary_searchIS3_S5_PySG_SI_NS1_21upper_bound_search_opENS9_16wrapped_functionINS8_6system6detail7generic6detail18binary_search_lessEbEEEE10hipError_tPvRmT1_T2_T3_mmT4_T5_P12ihipStream_tbEUlRKyE_EEST_SX_SY_mSZ_S12_bEUlT_E_NS1_11comp_targetILNS1_3genE4ELNS1_11target_archE910ELNS1_3gpuE8ELNS1_3repE0EEENS1_30default_config_static_selectorELNS0_4arch9wavefront6targetE1EEEvSW_
	.p2align	8
	.type	_ZN7rocprim17ROCPRIM_400000_NS6detail17trampoline_kernelINS0_14default_configENS1_27upper_bound_config_selectorIylEEZNS1_14transform_implILb0ES3_S5_N6thrust23THRUST_200600_302600_NS6detail15normal_iteratorINS8_7pointerIyNS8_11hip_rocprim5par_tENS8_11use_defaultESE_EEEENSA_INSB_IlSD_SE_SE_EEEEZNS1_13binary_searchIS3_S5_PySG_SI_NS1_21upper_bound_search_opENS9_16wrapped_functionINS8_6system6detail7generic6detail18binary_search_lessEbEEEE10hipError_tPvRmT1_T2_T3_mmT4_T5_P12ihipStream_tbEUlRKyE_EEST_SX_SY_mSZ_S12_bEUlT_E_NS1_11comp_targetILNS1_3genE4ELNS1_11target_archE910ELNS1_3gpuE8ELNS1_3repE0EEENS1_30default_config_static_selectorELNS0_4arch9wavefront6targetE1EEEvSW_,@function
_ZN7rocprim17ROCPRIM_400000_NS6detail17trampoline_kernelINS0_14default_configENS1_27upper_bound_config_selectorIylEEZNS1_14transform_implILb0ES3_S5_N6thrust23THRUST_200600_302600_NS6detail15normal_iteratorINS8_7pointerIyNS8_11hip_rocprim5par_tENS8_11use_defaultESE_EEEENSA_INSB_IlSD_SE_SE_EEEEZNS1_13binary_searchIS3_S5_PySG_SI_NS1_21upper_bound_search_opENS9_16wrapped_functionINS8_6system6detail7generic6detail18binary_search_lessEbEEEE10hipError_tPvRmT1_T2_T3_mmT4_T5_P12ihipStream_tbEUlRKyE_EEST_SX_SY_mSZ_S12_bEUlT_E_NS1_11comp_targetILNS1_3genE4ELNS1_11target_archE910ELNS1_3gpuE8ELNS1_3repE0EEENS1_30default_config_static_selectorELNS0_4arch9wavefront6targetE1EEEvSW_: ; @_ZN7rocprim17ROCPRIM_400000_NS6detail17trampoline_kernelINS0_14default_configENS1_27upper_bound_config_selectorIylEEZNS1_14transform_implILb0ES3_S5_N6thrust23THRUST_200600_302600_NS6detail15normal_iteratorINS8_7pointerIyNS8_11hip_rocprim5par_tENS8_11use_defaultESE_EEEENSA_INSB_IlSD_SE_SE_EEEEZNS1_13binary_searchIS3_S5_PySG_SI_NS1_21upper_bound_search_opENS9_16wrapped_functionINS8_6system6detail7generic6detail18binary_search_lessEbEEEE10hipError_tPvRmT1_T2_T3_mmT4_T5_P12ihipStream_tbEUlRKyE_EEST_SX_SY_mSZ_S12_bEUlT_E_NS1_11comp_targetILNS1_3genE4ELNS1_11target_archE910ELNS1_3gpuE8ELNS1_3repE0EEENS1_30default_config_static_selectorELNS0_4arch9wavefront6targetE1EEEvSW_
; %bb.0:
	.section	.rodata,"a",@progbits
	.p2align	6, 0x0
	.amdhsa_kernel _ZN7rocprim17ROCPRIM_400000_NS6detail17trampoline_kernelINS0_14default_configENS1_27upper_bound_config_selectorIylEEZNS1_14transform_implILb0ES3_S5_N6thrust23THRUST_200600_302600_NS6detail15normal_iteratorINS8_7pointerIyNS8_11hip_rocprim5par_tENS8_11use_defaultESE_EEEENSA_INSB_IlSD_SE_SE_EEEEZNS1_13binary_searchIS3_S5_PySG_SI_NS1_21upper_bound_search_opENS9_16wrapped_functionINS8_6system6detail7generic6detail18binary_search_lessEbEEEE10hipError_tPvRmT1_T2_T3_mmT4_T5_P12ihipStream_tbEUlRKyE_EEST_SX_SY_mSZ_S12_bEUlT_E_NS1_11comp_targetILNS1_3genE4ELNS1_11target_archE910ELNS1_3gpuE8ELNS1_3repE0EEENS1_30default_config_static_selectorELNS0_4arch9wavefront6targetE1EEEvSW_
		.amdhsa_group_segment_fixed_size 0
		.amdhsa_private_segment_fixed_size 0
		.amdhsa_kernarg_size 56
		.amdhsa_user_sgpr_count 6
		.amdhsa_user_sgpr_private_segment_buffer 1
		.amdhsa_user_sgpr_dispatch_ptr 0
		.amdhsa_user_sgpr_queue_ptr 0
		.amdhsa_user_sgpr_kernarg_segment_ptr 1
		.amdhsa_user_sgpr_dispatch_id 0
		.amdhsa_user_sgpr_flat_scratch_init 0
		.amdhsa_user_sgpr_private_segment_size 0
		.amdhsa_uses_dynamic_stack 0
		.amdhsa_system_sgpr_private_segment_wavefront_offset 0
		.amdhsa_system_sgpr_workgroup_id_x 1
		.amdhsa_system_sgpr_workgroup_id_y 0
		.amdhsa_system_sgpr_workgroup_id_z 0
		.amdhsa_system_sgpr_workgroup_info 0
		.amdhsa_system_vgpr_workitem_id 0
		.amdhsa_next_free_vgpr 1
		.amdhsa_next_free_sgpr 0
		.amdhsa_reserve_vcc 0
		.amdhsa_reserve_flat_scratch 0
		.amdhsa_float_round_mode_32 0
		.amdhsa_float_round_mode_16_64 0
		.amdhsa_float_denorm_mode_32 3
		.amdhsa_float_denorm_mode_16_64 3
		.amdhsa_dx10_clamp 1
		.amdhsa_ieee_mode 1
		.amdhsa_fp16_overflow 0
		.amdhsa_exception_fp_ieee_invalid_op 0
		.amdhsa_exception_fp_denorm_src 0
		.amdhsa_exception_fp_ieee_div_zero 0
		.amdhsa_exception_fp_ieee_overflow 0
		.amdhsa_exception_fp_ieee_underflow 0
		.amdhsa_exception_fp_ieee_inexact 0
		.amdhsa_exception_int_div_zero 0
	.end_amdhsa_kernel
	.section	.text._ZN7rocprim17ROCPRIM_400000_NS6detail17trampoline_kernelINS0_14default_configENS1_27upper_bound_config_selectorIylEEZNS1_14transform_implILb0ES3_S5_N6thrust23THRUST_200600_302600_NS6detail15normal_iteratorINS8_7pointerIyNS8_11hip_rocprim5par_tENS8_11use_defaultESE_EEEENSA_INSB_IlSD_SE_SE_EEEEZNS1_13binary_searchIS3_S5_PySG_SI_NS1_21upper_bound_search_opENS9_16wrapped_functionINS8_6system6detail7generic6detail18binary_search_lessEbEEEE10hipError_tPvRmT1_T2_T3_mmT4_T5_P12ihipStream_tbEUlRKyE_EEST_SX_SY_mSZ_S12_bEUlT_E_NS1_11comp_targetILNS1_3genE4ELNS1_11target_archE910ELNS1_3gpuE8ELNS1_3repE0EEENS1_30default_config_static_selectorELNS0_4arch9wavefront6targetE1EEEvSW_,"axG",@progbits,_ZN7rocprim17ROCPRIM_400000_NS6detail17trampoline_kernelINS0_14default_configENS1_27upper_bound_config_selectorIylEEZNS1_14transform_implILb0ES3_S5_N6thrust23THRUST_200600_302600_NS6detail15normal_iteratorINS8_7pointerIyNS8_11hip_rocprim5par_tENS8_11use_defaultESE_EEEENSA_INSB_IlSD_SE_SE_EEEEZNS1_13binary_searchIS3_S5_PySG_SI_NS1_21upper_bound_search_opENS9_16wrapped_functionINS8_6system6detail7generic6detail18binary_search_lessEbEEEE10hipError_tPvRmT1_T2_T3_mmT4_T5_P12ihipStream_tbEUlRKyE_EEST_SX_SY_mSZ_S12_bEUlT_E_NS1_11comp_targetILNS1_3genE4ELNS1_11target_archE910ELNS1_3gpuE8ELNS1_3repE0EEENS1_30default_config_static_selectorELNS0_4arch9wavefront6targetE1EEEvSW_,comdat
.Lfunc_end184:
	.size	_ZN7rocprim17ROCPRIM_400000_NS6detail17trampoline_kernelINS0_14default_configENS1_27upper_bound_config_selectorIylEEZNS1_14transform_implILb0ES3_S5_N6thrust23THRUST_200600_302600_NS6detail15normal_iteratorINS8_7pointerIyNS8_11hip_rocprim5par_tENS8_11use_defaultESE_EEEENSA_INSB_IlSD_SE_SE_EEEEZNS1_13binary_searchIS3_S5_PySG_SI_NS1_21upper_bound_search_opENS9_16wrapped_functionINS8_6system6detail7generic6detail18binary_search_lessEbEEEE10hipError_tPvRmT1_T2_T3_mmT4_T5_P12ihipStream_tbEUlRKyE_EEST_SX_SY_mSZ_S12_bEUlT_E_NS1_11comp_targetILNS1_3genE4ELNS1_11target_archE910ELNS1_3gpuE8ELNS1_3repE0EEENS1_30default_config_static_selectorELNS0_4arch9wavefront6targetE1EEEvSW_, .Lfunc_end184-_ZN7rocprim17ROCPRIM_400000_NS6detail17trampoline_kernelINS0_14default_configENS1_27upper_bound_config_selectorIylEEZNS1_14transform_implILb0ES3_S5_N6thrust23THRUST_200600_302600_NS6detail15normal_iteratorINS8_7pointerIyNS8_11hip_rocprim5par_tENS8_11use_defaultESE_EEEENSA_INSB_IlSD_SE_SE_EEEEZNS1_13binary_searchIS3_S5_PySG_SI_NS1_21upper_bound_search_opENS9_16wrapped_functionINS8_6system6detail7generic6detail18binary_search_lessEbEEEE10hipError_tPvRmT1_T2_T3_mmT4_T5_P12ihipStream_tbEUlRKyE_EEST_SX_SY_mSZ_S12_bEUlT_E_NS1_11comp_targetILNS1_3genE4ELNS1_11target_archE910ELNS1_3gpuE8ELNS1_3repE0EEENS1_30default_config_static_selectorELNS0_4arch9wavefront6targetE1EEEvSW_
                                        ; -- End function
	.set _ZN7rocprim17ROCPRIM_400000_NS6detail17trampoline_kernelINS0_14default_configENS1_27upper_bound_config_selectorIylEEZNS1_14transform_implILb0ES3_S5_N6thrust23THRUST_200600_302600_NS6detail15normal_iteratorINS8_7pointerIyNS8_11hip_rocprim5par_tENS8_11use_defaultESE_EEEENSA_INSB_IlSD_SE_SE_EEEEZNS1_13binary_searchIS3_S5_PySG_SI_NS1_21upper_bound_search_opENS9_16wrapped_functionINS8_6system6detail7generic6detail18binary_search_lessEbEEEE10hipError_tPvRmT1_T2_T3_mmT4_T5_P12ihipStream_tbEUlRKyE_EEST_SX_SY_mSZ_S12_bEUlT_E_NS1_11comp_targetILNS1_3genE4ELNS1_11target_archE910ELNS1_3gpuE8ELNS1_3repE0EEENS1_30default_config_static_selectorELNS0_4arch9wavefront6targetE1EEEvSW_.num_vgpr, 0
	.set _ZN7rocprim17ROCPRIM_400000_NS6detail17trampoline_kernelINS0_14default_configENS1_27upper_bound_config_selectorIylEEZNS1_14transform_implILb0ES3_S5_N6thrust23THRUST_200600_302600_NS6detail15normal_iteratorINS8_7pointerIyNS8_11hip_rocprim5par_tENS8_11use_defaultESE_EEEENSA_INSB_IlSD_SE_SE_EEEEZNS1_13binary_searchIS3_S5_PySG_SI_NS1_21upper_bound_search_opENS9_16wrapped_functionINS8_6system6detail7generic6detail18binary_search_lessEbEEEE10hipError_tPvRmT1_T2_T3_mmT4_T5_P12ihipStream_tbEUlRKyE_EEST_SX_SY_mSZ_S12_bEUlT_E_NS1_11comp_targetILNS1_3genE4ELNS1_11target_archE910ELNS1_3gpuE8ELNS1_3repE0EEENS1_30default_config_static_selectorELNS0_4arch9wavefront6targetE1EEEvSW_.num_agpr, 0
	.set _ZN7rocprim17ROCPRIM_400000_NS6detail17trampoline_kernelINS0_14default_configENS1_27upper_bound_config_selectorIylEEZNS1_14transform_implILb0ES3_S5_N6thrust23THRUST_200600_302600_NS6detail15normal_iteratorINS8_7pointerIyNS8_11hip_rocprim5par_tENS8_11use_defaultESE_EEEENSA_INSB_IlSD_SE_SE_EEEEZNS1_13binary_searchIS3_S5_PySG_SI_NS1_21upper_bound_search_opENS9_16wrapped_functionINS8_6system6detail7generic6detail18binary_search_lessEbEEEE10hipError_tPvRmT1_T2_T3_mmT4_T5_P12ihipStream_tbEUlRKyE_EEST_SX_SY_mSZ_S12_bEUlT_E_NS1_11comp_targetILNS1_3genE4ELNS1_11target_archE910ELNS1_3gpuE8ELNS1_3repE0EEENS1_30default_config_static_selectorELNS0_4arch9wavefront6targetE1EEEvSW_.numbered_sgpr, 0
	.set _ZN7rocprim17ROCPRIM_400000_NS6detail17trampoline_kernelINS0_14default_configENS1_27upper_bound_config_selectorIylEEZNS1_14transform_implILb0ES3_S5_N6thrust23THRUST_200600_302600_NS6detail15normal_iteratorINS8_7pointerIyNS8_11hip_rocprim5par_tENS8_11use_defaultESE_EEEENSA_INSB_IlSD_SE_SE_EEEEZNS1_13binary_searchIS3_S5_PySG_SI_NS1_21upper_bound_search_opENS9_16wrapped_functionINS8_6system6detail7generic6detail18binary_search_lessEbEEEE10hipError_tPvRmT1_T2_T3_mmT4_T5_P12ihipStream_tbEUlRKyE_EEST_SX_SY_mSZ_S12_bEUlT_E_NS1_11comp_targetILNS1_3genE4ELNS1_11target_archE910ELNS1_3gpuE8ELNS1_3repE0EEENS1_30default_config_static_selectorELNS0_4arch9wavefront6targetE1EEEvSW_.num_named_barrier, 0
	.set _ZN7rocprim17ROCPRIM_400000_NS6detail17trampoline_kernelINS0_14default_configENS1_27upper_bound_config_selectorIylEEZNS1_14transform_implILb0ES3_S5_N6thrust23THRUST_200600_302600_NS6detail15normal_iteratorINS8_7pointerIyNS8_11hip_rocprim5par_tENS8_11use_defaultESE_EEEENSA_INSB_IlSD_SE_SE_EEEEZNS1_13binary_searchIS3_S5_PySG_SI_NS1_21upper_bound_search_opENS9_16wrapped_functionINS8_6system6detail7generic6detail18binary_search_lessEbEEEE10hipError_tPvRmT1_T2_T3_mmT4_T5_P12ihipStream_tbEUlRKyE_EEST_SX_SY_mSZ_S12_bEUlT_E_NS1_11comp_targetILNS1_3genE4ELNS1_11target_archE910ELNS1_3gpuE8ELNS1_3repE0EEENS1_30default_config_static_selectorELNS0_4arch9wavefront6targetE1EEEvSW_.private_seg_size, 0
	.set _ZN7rocprim17ROCPRIM_400000_NS6detail17trampoline_kernelINS0_14default_configENS1_27upper_bound_config_selectorIylEEZNS1_14transform_implILb0ES3_S5_N6thrust23THRUST_200600_302600_NS6detail15normal_iteratorINS8_7pointerIyNS8_11hip_rocprim5par_tENS8_11use_defaultESE_EEEENSA_INSB_IlSD_SE_SE_EEEEZNS1_13binary_searchIS3_S5_PySG_SI_NS1_21upper_bound_search_opENS9_16wrapped_functionINS8_6system6detail7generic6detail18binary_search_lessEbEEEE10hipError_tPvRmT1_T2_T3_mmT4_T5_P12ihipStream_tbEUlRKyE_EEST_SX_SY_mSZ_S12_bEUlT_E_NS1_11comp_targetILNS1_3genE4ELNS1_11target_archE910ELNS1_3gpuE8ELNS1_3repE0EEENS1_30default_config_static_selectorELNS0_4arch9wavefront6targetE1EEEvSW_.uses_vcc, 0
	.set _ZN7rocprim17ROCPRIM_400000_NS6detail17trampoline_kernelINS0_14default_configENS1_27upper_bound_config_selectorIylEEZNS1_14transform_implILb0ES3_S5_N6thrust23THRUST_200600_302600_NS6detail15normal_iteratorINS8_7pointerIyNS8_11hip_rocprim5par_tENS8_11use_defaultESE_EEEENSA_INSB_IlSD_SE_SE_EEEEZNS1_13binary_searchIS3_S5_PySG_SI_NS1_21upper_bound_search_opENS9_16wrapped_functionINS8_6system6detail7generic6detail18binary_search_lessEbEEEE10hipError_tPvRmT1_T2_T3_mmT4_T5_P12ihipStream_tbEUlRKyE_EEST_SX_SY_mSZ_S12_bEUlT_E_NS1_11comp_targetILNS1_3genE4ELNS1_11target_archE910ELNS1_3gpuE8ELNS1_3repE0EEENS1_30default_config_static_selectorELNS0_4arch9wavefront6targetE1EEEvSW_.uses_flat_scratch, 0
	.set _ZN7rocprim17ROCPRIM_400000_NS6detail17trampoline_kernelINS0_14default_configENS1_27upper_bound_config_selectorIylEEZNS1_14transform_implILb0ES3_S5_N6thrust23THRUST_200600_302600_NS6detail15normal_iteratorINS8_7pointerIyNS8_11hip_rocprim5par_tENS8_11use_defaultESE_EEEENSA_INSB_IlSD_SE_SE_EEEEZNS1_13binary_searchIS3_S5_PySG_SI_NS1_21upper_bound_search_opENS9_16wrapped_functionINS8_6system6detail7generic6detail18binary_search_lessEbEEEE10hipError_tPvRmT1_T2_T3_mmT4_T5_P12ihipStream_tbEUlRKyE_EEST_SX_SY_mSZ_S12_bEUlT_E_NS1_11comp_targetILNS1_3genE4ELNS1_11target_archE910ELNS1_3gpuE8ELNS1_3repE0EEENS1_30default_config_static_selectorELNS0_4arch9wavefront6targetE1EEEvSW_.has_dyn_sized_stack, 0
	.set _ZN7rocprim17ROCPRIM_400000_NS6detail17trampoline_kernelINS0_14default_configENS1_27upper_bound_config_selectorIylEEZNS1_14transform_implILb0ES3_S5_N6thrust23THRUST_200600_302600_NS6detail15normal_iteratorINS8_7pointerIyNS8_11hip_rocprim5par_tENS8_11use_defaultESE_EEEENSA_INSB_IlSD_SE_SE_EEEEZNS1_13binary_searchIS3_S5_PySG_SI_NS1_21upper_bound_search_opENS9_16wrapped_functionINS8_6system6detail7generic6detail18binary_search_lessEbEEEE10hipError_tPvRmT1_T2_T3_mmT4_T5_P12ihipStream_tbEUlRKyE_EEST_SX_SY_mSZ_S12_bEUlT_E_NS1_11comp_targetILNS1_3genE4ELNS1_11target_archE910ELNS1_3gpuE8ELNS1_3repE0EEENS1_30default_config_static_selectorELNS0_4arch9wavefront6targetE1EEEvSW_.has_recursion, 0
	.set _ZN7rocprim17ROCPRIM_400000_NS6detail17trampoline_kernelINS0_14default_configENS1_27upper_bound_config_selectorIylEEZNS1_14transform_implILb0ES3_S5_N6thrust23THRUST_200600_302600_NS6detail15normal_iteratorINS8_7pointerIyNS8_11hip_rocprim5par_tENS8_11use_defaultESE_EEEENSA_INSB_IlSD_SE_SE_EEEEZNS1_13binary_searchIS3_S5_PySG_SI_NS1_21upper_bound_search_opENS9_16wrapped_functionINS8_6system6detail7generic6detail18binary_search_lessEbEEEE10hipError_tPvRmT1_T2_T3_mmT4_T5_P12ihipStream_tbEUlRKyE_EEST_SX_SY_mSZ_S12_bEUlT_E_NS1_11comp_targetILNS1_3genE4ELNS1_11target_archE910ELNS1_3gpuE8ELNS1_3repE0EEENS1_30default_config_static_selectorELNS0_4arch9wavefront6targetE1EEEvSW_.has_indirect_call, 0
	.section	.AMDGPU.csdata,"",@progbits
; Kernel info:
; codeLenInByte = 0
; TotalNumSgprs: 4
; NumVgprs: 0
; ScratchSize: 0
; MemoryBound: 0
; FloatMode: 240
; IeeeMode: 1
; LDSByteSize: 0 bytes/workgroup (compile time only)
; SGPRBlocks: 0
; VGPRBlocks: 0
; NumSGPRsForWavesPerEU: 4
; NumVGPRsForWavesPerEU: 1
; Occupancy: 10
; WaveLimiterHint : 0
; COMPUTE_PGM_RSRC2:SCRATCH_EN: 0
; COMPUTE_PGM_RSRC2:USER_SGPR: 6
; COMPUTE_PGM_RSRC2:TRAP_HANDLER: 0
; COMPUTE_PGM_RSRC2:TGID_X_EN: 1
; COMPUTE_PGM_RSRC2:TGID_Y_EN: 0
; COMPUTE_PGM_RSRC2:TGID_Z_EN: 0
; COMPUTE_PGM_RSRC2:TIDIG_COMP_CNT: 0
	.section	.text._ZN7rocprim17ROCPRIM_400000_NS6detail17trampoline_kernelINS0_14default_configENS1_27upper_bound_config_selectorIylEEZNS1_14transform_implILb0ES3_S5_N6thrust23THRUST_200600_302600_NS6detail15normal_iteratorINS8_7pointerIyNS8_11hip_rocprim5par_tENS8_11use_defaultESE_EEEENSA_INSB_IlSD_SE_SE_EEEEZNS1_13binary_searchIS3_S5_PySG_SI_NS1_21upper_bound_search_opENS9_16wrapped_functionINS8_6system6detail7generic6detail18binary_search_lessEbEEEE10hipError_tPvRmT1_T2_T3_mmT4_T5_P12ihipStream_tbEUlRKyE_EEST_SX_SY_mSZ_S12_bEUlT_E_NS1_11comp_targetILNS1_3genE3ELNS1_11target_archE908ELNS1_3gpuE7ELNS1_3repE0EEENS1_30default_config_static_selectorELNS0_4arch9wavefront6targetE1EEEvSW_,"axG",@progbits,_ZN7rocprim17ROCPRIM_400000_NS6detail17trampoline_kernelINS0_14default_configENS1_27upper_bound_config_selectorIylEEZNS1_14transform_implILb0ES3_S5_N6thrust23THRUST_200600_302600_NS6detail15normal_iteratorINS8_7pointerIyNS8_11hip_rocprim5par_tENS8_11use_defaultESE_EEEENSA_INSB_IlSD_SE_SE_EEEEZNS1_13binary_searchIS3_S5_PySG_SI_NS1_21upper_bound_search_opENS9_16wrapped_functionINS8_6system6detail7generic6detail18binary_search_lessEbEEEE10hipError_tPvRmT1_T2_T3_mmT4_T5_P12ihipStream_tbEUlRKyE_EEST_SX_SY_mSZ_S12_bEUlT_E_NS1_11comp_targetILNS1_3genE3ELNS1_11target_archE908ELNS1_3gpuE7ELNS1_3repE0EEENS1_30default_config_static_selectorELNS0_4arch9wavefront6targetE1EEEvSW_,comdat
	.protected	_ZN7rocprim17ROCPRIM_400000_NS6detail17trampoline_kernelINS0_14default_configENS1_27upper_bound_config_selectorIylEEZNS1_14transform_implILb0ES3_S5_N6thrust23THRUST_200600_302600_NS6detail15normal_iteratorINS8_7pointerIyNS8_11hip_rocprim5par_tENS8_11use_defaultESE_EEEENSA_INSB_IlSD_SE_SE_EEEEZNS1_13binary_searchIS3_S5_PySG_SI_NS1_21upper_bound_search_opENS9_16wrapped_functionINS8_6system6detail7generic6detail18binary_search_lessEbEEEE10hipError_tPvRmT1_T2_T3_mmT4_T5_P12ihipStream_tbEUlRKyE_EEST_SX_SY_mSZ_S12_bEUlT_E_NS1_11comp_targetILNS1_3genE3ELNS1_11target_archE908ELNS1_3gpuE7ELNS1_3repE0EEENS1_30default_config_static_selectorELNS0_4arch9wavefront6targetE1EEEvSW_ ; -- Begin function _ZN7rocprim17ROCPRIM_400000_NS6detail17trampoline_kernelINS0_14default_configENS1_27upper_bound_config_selectorIylEEZNS1_14transform_implILb0ES3_S5_N6thrust23THRUST_200600_302600_NS6detail15normal_iteratorINS8_7pointerIyNS8_11hip_rocprim5par_tENS8_11use_defaultESE_EEEENSA_INSB_IlSD_SE_SE_EEEEZNS1_13binary_searchIS3_S5_PySG_SI_NS1_21upper_bound_search_opENS9_16wrapped_functionINS8_6system6detail7generic6detail18binary_search_lessEbEEEE10hipError_tPvRmT1_T2_T3_mmT4_T5_P12ihipStream_tbEUlRKyE_EEST_SX_SY_mSZ_S12_bEUlT_E_NS1_11comp_targetILNS1_3genE3ELNS1_11target_archE908ELNS1_3gpuE7ELNS1_3repE0EEENS1_30default_config_static_selectorELNS0_4arch9wavefront6targetE1EEEvSW_
	.globl	_ZN7rocprim17ROCPRIM_400000_NS6detail17trampoline_kernelINS0_14default_configENS1_27upper_bound_config_selectorIylEEZNS1_14transform_implILb0ES3_S5_N6thrust23THRUST_200600_302600_NS6detail15normal_iteratorINS8_7pointerIyNS8_11hip_rocprim5par_tENS8_11use_defaultESE_EEEENSA_INSB_IlSD_SE_SE_EEEEZNS1_13binary_searchIS3_S5_PySG_SI_NS1_21upper_bound_search_opENS9_16wrapped_functionINS8_6system6detail7generic6detail18binary_search_lessEbEEEE10hipError_tPvRmT1_T2_T3_mmT4_T5_P12ihipStream_tbEUlRKyE_EEST_SX_SY_mSZ_S12_bEUlT_E_NS1_11comp_targetILNS1_3genE3ELNS1_11target_archE908ELNS1_3gpuE7ELNS1_3repE0EEENS1_30default_config_static_selectorELNS0_4arch9wavefront6targetE1EEEvSW_
	.p2align	8
	.type	_ZN7rocprim17ROCPRIM_400000_NS6detail17trampoline_kernelINS0_14default_configENS1_27upper_bound_config_selectorIylEEZNS1_14transform_implILb0ES3_S5_N6thrust23THRUST_200600_302600_NS6detail15normal_iteratorINS8_7pointerIyNS8_11hip_rocprim5par_tENS8_11use_defaultESE_EEEENSA_INSB_IlSD_SE_SE_EEEEZNS1_13binary_searchIS3_S5_PySG_SI_NS1_21upper_bound_search_opENS9_16wrapped_functionINS8_6system6detail7generic6detail18binary_search_lessEbEEEE10hipError_tPvRmT1_T2_T3_mmT4_T5_P12ihipStream_tbEUlRKyE_EEST_SX_SY_mSZ_S12_bEUlT_E_NS1_11comp_targetILNS1_3genE3ELNS1_11target_archE908ELNS1_3gpuE7ELNS1_3repE0EEENS1_30default_config_static_selectorELNS0_4arch9wavefront6targetE1EEEvSW_,@function
_ZN7rocprim17ROCPRIM_400000_NS6detail17trampoline_kernelINS0_14default_configENS1_27upper_bound_config_selectorIylEEZNS1_14transform_implILb0ES3_S5_N6thrust23THRUST_200600_302600_NS6detail15normal_iteratorINS8_7pointerIyNS8_11hip_rocprim5par_tENS8_11use_defaultESE_EEEENSA_INSB_IlSD_SE_SE_EEEEZNS1_13binary_searchIS3_S5_PySG_SI_NS1_21upper_bound_search_opENS9_16wrapped_functionINS8_6system6detail7generic6detail18binary_search_lessEbEEEE10hipError_tPvRmT1_T2_T3_mmT4_T5_P12ihipStream_tbEUlRKyE_EEST_SX_SY_mSZ_S12_bEUlT_E_NS1_11comp_targetILNS1_3genE3ELNS1_11target_archE908ELNS1_3gpuE7ELNS1_3repE0EEENS1_30default_config_static_selectorELNS0_4arch9wavefront6targetE1EEEvSW_: ; @_ZN7rocprim17ROCPRIM_400000_NS6detail17trampoline_kernelINS0_14default_configENS1_27upper_bound_config_selectorIylEEZNS1_14transform_implILb0ES3_S5_N6thrust23THRUST_200600_302600_NS6detail15normal_iteratorINS8_7pointerIyNS8_11hip_rocprim5par_tENS8_11use_defaultESE_EEEENSA_INSB_IlSD_SE_SE_EEEEZNS1_13binary_searchIS3_S5_PySG_SI_NS1_21upper_bound_search_opENS9_16wrapped_functionINS8_6system6detail7generic6detail18binary_search_lessEbEEEE10hipError_tPvRmT1_T2_T3_mmT4_T5_P12ihipStream_tbEUlRKyE_EEST_SX_SY_mSZ_S12_bEUlT_E_NS1_11comp_targetILNS1_3genE3ELNS1_11target_archE908ELNS1_3gpuE7ELNS1_3repE0EEENS1_30default_config_static_selectorELNS0_4arch9wavefront6targetE1EEEvSW_
; %bb.0:
	.section	.rodata,"a",@progbits
	.p2align	6, 0x0
	.amdhsa_kernel _ZN7rocprim17ROCPRIM_400000_NS6detail17trampoline_kernelINS0_14default_configENS1_27upper_bound_config_selectorIylEEZNS1_14transform_implILb0ES3_S5_N6thrust23THRUST_200600_302600_NS6detail15normal_iteratorINS8_7pointerIyNS8_11hip_rocprim5par_tENS8_11use_defaultESE_EEEENSA_INSB_IlSD_SE_SE_EEEEZNS1_13binary_searchIS3_S5_PySG_SI_NS1_21upper_bound_search_opENS9_16wrapped_functionINS8_6system6detail7generic6detail18binary_search_lessEbEEEE10hipError_tPvRmT1_T2_T3_mmT4_T5_P12ihipStream_tbEUlRKyE_EEST_SX_SY_mSZ_S12_bEUlT_E_NS1_11comp_targetILNS1_3genE3ELNS1_11target_archE908ELNS1_3gpuE7ELNS1_3repE0EEENS1_30default_config_static_selectorELNS0_4arch9wavefront6targetE1EEEvSW_
		.amdhsa_group_segment_fixed_size 0
		.amdhsa_private_segment_fixed_size 0
		.amdhsa_kernarg_size 56
		.amdhsa_user_sgpr_count 6
		.amdhsa_user_sgpr_private_segment_buffer 1
		.amdhsa_user_sgpr_dispatch_ptr 0
		.amdhsa_user_sgpr_queue_ptr 0
		.amdhsa_user_sgpr_kernarg_segment_ptr 1
		.amdhsa_user_sgpr_dispatch_id 0
		.amdhsa_user_sgpr_flat_scratch_init 0
		.amdhsa_user_sgpr_private_segment_size 0
		.amdhsa_uses_dynamic_stack 0
		.amdhsa_system_sgpr_private_segment_wavefront_offset 0
		.amdhsa_system_sgpr_workgroup_id_x 1
		.amdhsa_system_sgpr_workgroup_id_y 0
		.amdhsa_system_sgpr_workgroup_id_z 0
		.amdhsa_system_sgpr_workgroup_info 0
		.amdhsa_system_vgpr_workitem_id 0
		.amdhsa_next_free_vgpr 1
		.amdhsa_next_free_sgpr 0
		.amdhsa_reserve_vcc 0
		.amdhsa_reserve_flat_scratch 0
		.amdhsa_float_round_mode_32 0
		.amdhsa_float_round_mode_16_64 0
		.amdhsa_float_denorm_mode_32 3
		.amdhsa_float_denorm_mode_16_64 3
		.amdhsa_dx10_clamp 1
		.amdhsa_ieee_mode 1
		.amdhsa_fp16_overflow 0
		.amdhsa_exception_fp_ieee_invalid_op 0
		.amdhsa_exception_fp_denorm_src 0
		.amdhsa_exception_fp_ieee_div_zero 0
		.amdhsa_exception_fp_ieee_overflow 0
		.amdhsa_exception_fp_ieee_underflow 0
		.amdhsa_exception_fp_ieee_inexact 0
		.amdhsa_exception_int_div_zero 0
	.end_amdhsa_kernel
	.section	.text._ZN7rocprim17ROCPRIM_400000_NS6detail17trampoline_kernelINS0_14default_configENS1_27upper_bound_config_selectorIylEEZNS1_14transform_implILb0ES3_S5_N6thrust23THRUST_200600_302600_NS6detail15normal_iteratorINS8_7pointerIyNS8_11hip_rocprim5par_tENS8_11use_defaultESE_EEEENSA_INSB_IlSD_SE_SE_EEEEZNS1_13binary_searchIS3_S5_PySG_SI_NS1_21upper_bound_search_opENS9_16wrapped_functionINS8_6system6detail7generic6detail18binary_search_lessEbEEEE10hipError_tPvRmT1_T2_T3_mmT4_T5_P12ihipStream_tbEUlRKyE_EEST_SX_SY_mSZ_S12_bEUlT_E_NS1_11comp_targetILNS1_3genE3ELNS1_11target_archE908ELNS1_3gpuE7ELNS1_3repE0EEENS1_30default_config_static_selectorELNS0_4arch9wavefront6targetE1EEEvSW_,"axG",@progbits,_ZN7rocprim17ROCPRIM_400000_NS6detail17trampoline_kernelINS0_14default_configENS1_27upper_bound_config_selectorIylEEZNS1_14transform_implILb0ES3_S5_N6thrust23THRUST_200600_302600_NS6detail15normal_iteratorINS8_7pointerIyNS8_11hip_rocprim5par_tENS8_11use_defaultESE_EEEENSA_INSB_IlSD_SE_SE_EEEEZNS1_13binary_searchIS3_S5_PySG_SI_NS1_21upper_bound_search_opENS9_16wrapped_functionINS8_6system6detail7generic6detail18binary_search_lessEbEEEE10hipError_tPvRmT1_T2_T3_mmT4_T5_P12ihipStream_tbEUlRKyE_EEST_SX_SY_mSZ_S12_bEUlT_E_NS1_11comp_targetILNS1_3genE3ELNS1_11target_archE908ELNS1_3gpuE7ELNS1_3repE0EEENS1_30default_config_static_selectorELNS0_4arch9wavefront6targetE1EEEvSW_,comdat
.Lfunc_end185:
	.size	_ZN7rocprim17ROCPRIM_400000_NS6detail17trampoline_kernelINS0_14default_configENS1_27upper_bound_config_selectorIylEEZNS1_14transform_implILb0ES3_S5_N6thrust23THRUST_200600_302600_NS6detail15normal_iteratorINS8_7pointerIyNS8_11hip_rocprim5par_tENS8_11use_defaultESE_EEEENSA_INSB_IlSD_SE_SE_EEEEZNS1_13binary_searchIS3_S5_PySG_SI_NS1_21upper_bound_search_opENS9_16wrapped_functionINS8_6system6detail7generic6detail18binary_search_lessEbEEEE10hipError_tPvRmT1_T2_T3_mmT4_T5_P12ihipStream_tbEUlRKyE_EEST_SX_SY_mSZ_S12_bEUlT_E_NS1_11comp_targetILNS1_3genE3ELNS1_11target_archE908ELNS1_3gpuE7ELNS1_3repE0EEENS1_30default_config_static_selectorELNS0_4arch9wavefront6targetE1EEEvSW_, .Lfunc_end185-_ZN7rocprim17ROCPRIM_400000_NS6detail17trampoline_kernelINS0_14default_configENS1_27upper_bound_config_selectorIylEEZNS1_14transform_implILb0ES3_S5_N6thrust23THRUST_200600_302600_NS6detail15normal_iteratorINS8_7pointerIyNS8_11hip_rocprim5par_tENS8_11use_defaultESE_EEEENSA_INSB_IlSD_SE_SE_EEEEZNS1_13binary_searchIS3_S5_PySG_SI_NS1_21upper_bound_search_opENS9_16wrapped_functionINS8_6system6detail7generic6detail18binary_search_lessEbEEEE10hipError_tPvRmT1_T2_T3_mmT4_T5_P12ihipStream_tbEUlRKyE_EEST_SX_SY_mSZ_S12_bEUlT_E_NS1_11comp_targetILNS1_3genE3ELNS1_11target_archE908ELNS1_3gpuE7ELNS1_3repE0EEENS1_30default_config_static_selectorELNS0_4arch9wavefront6targetE1EEEvSW_
                                        ; -- End function
	.set _ZN7rocprim17ROCPRIM_400000_NS6detail17trampoline_kernelINS0_14default_configENS1_27upper_bound_config_selectorIylEEZNS1_14transform_implILb0ES3_S5_N6thrust23THRUST_200600_302600_NS6detail15normal_iteratorINS8_7pointerIyNS8_11hip_rocprim5par_tENS8_11use_defaultESE_EEEENSA_INSB_IlSD_SE_SE_EEEEZNS1_13binary_searchIS3_S5_PySG_SI_NS1_21upper_bound_search_opENS9_16wrapped_functionINS8_6system6detail7generic6detail18binary_search_lessEbEEEE10hipError_tPvRmT1_T2_T3_mmT4_T5_P12ihipStream_tbEUlRKyE_EEST_SX_SY_mSZ_S12_bEUlT_E_NS1_11comp_targetILNS1_3genE3ELNS1_11target_archE908ELNS1_3gpuE7ELNS1_3repE0EEENS1_30default_config_static_selectorELNS0_4arch9wavefront6targetE1EEEvSW_.num_vgpr, 0
	.set _ZN7rocprim17ROCPRIM_400000_NS6detail17trampoline_kernelINS0_14default_configENS1_27upper_bound_config_selectorIylEEZNS1_14transform_implILb0ES3_S5_N6thrust23THRUST_200600_302600_NS6detail15normal_iteratorINS8_7pointerIyNS8_11hip_rocprim5par_tENS8_11use_defaultESE_EEEENSA_INSB_IlSD_SE_SE_EEEEZNS1_13binary_searchIS3_S5_PySG_SI_NS1_21upper_bound_search_opENS9_16wrapped_functionINS8_6system6detail7generic6detail18binary_search_lessEbEEEE10hipError_tPvRmT1_T2_T3_mmT4_T5_P12ihipStream_tbEUlRKyE_EEST_SX_SY_mSZ_S12_bEUlT_E_NS1_11comp_targetILNS1_3genE3ELNS1_11target_archE908ELNS1_3gpuE7ELNS1_3repE0EEENS1_30default_config_static_selectorELNS0_4arch9wavefront6targetE1EEEvSW_.num_agpr, 0
	.set _ZN7rocprim17ROCPRIM_400000_NS6detail17trampoline_kernelINS0_14default_configENS1_27upper_bound_config_selectorIylEEZNS1_14transform_implILb0ES3_S5_N6thrust23THRUST_200600_302600_NS6detail15normal_iteratorINS8_7pointerIyNS8_11hip_rocprim5par_tENS8_11use_defaultESE_EEEENSA_INSB_IlSD_SE_SE_EEEEZNS1_13binary_searchIS3_S5_PySG_SI_NS1_21upper_bound_search_opENS9_16wrapped_functionINS8_6system6detail7generic6detail18binary_search_lessEbEEEE10hipError_tPvRmT1_T2_T3_mmT4_T5_P12ihipStream_tbEUlRKyE_EEST_SX_SY_mSZ_S12_bEUlT_E_NS1_11comp_targetILNS1_3genE3ELNS1_11target_archE908ELNS1_3gpuE7ELNS1_3repE0EEENS1_30default_config_static_selectorELNS0_4arch9wavefront6targetE1EEEvSW_.numbered_sgpr, 0
	.set _ZN7rocprim17ROCPRIM_400000_NS6detail17trampoline_kernelINS0_14default_configENS1_27upper_bound_config_selectorIylEEZNS1_14transform_implILb0ES3_S5_N6thrust23THRUST_200600_302600_NS6detail15normal_iteratorINS8_7pointerIyNS8_11hip_rocprim5par_tENS8_11use_defaultESE_EEEENSA_INSB_IlSD_SE_SE_EEEEZNS1_13binary_searchIS3_S5_PySG_SI_NS1_21upper_bound_search_opENS9_16wrapped_functionINS8_6system6detail7generic6detail18binary_search_lessEbEEEE10hipError_tPvRmT1_T2_T3_mmT4_T5_P12ihipStream_tbEUlRKyE_EEST_SX_SY_mSZ_S12_bEUlT_E_NS1_11comp_targetILNS1_3genE3ELNS1_11target_archE908ELNS1_3gpuE7ELNS1_3repE0EEENS1_30default_config_static_selectorELNS0_4arch9wavefront6targetE1EEEvSW_.num_named_barrier, 0
	.set _ZN7rocprim17ROCPRIM_400000_NS6detail17trampoline_kernelINS0_14default_configENS1_27upper_bound_config_selectorIylEEZNS1_14transform_implILb0ES3_S5_N6thrust23THRUST_200600_302600_NS6detail15normal_iteratorINS8_7pointerIyNS8_11hip_rocprim5par_tENS8_11use_defaultESE_EEEENSA_INSB_IlSD_SE_SE_EEEEZNS1_13binary_searchIS3_S5_PySG_SI_NS1_21upper_bound_search_opENS9_16wrapped_functionINS8_6system6detail7generic6detail18binary_search_lessEbEEEE10hipError_tPvRmT1_T2_T3_mmT4_T5_P12ihipStream_tbEUlRKyE_EEST_SX_SY_mSZ_S12_bEUlT_E_NS1_11comp_targetILNS1_3genE3ELNS1_11target_archE908ELNS1_3gpuE7ELNS1_3repE0EEENS1_30default_config_static_selectorELNS0_4arch9wavefront6targetE1EEEvSW_.private_seg_size, 0
	.set _ZN7rocprim17ROCPRIM_400000_NS6detail17trampoline_kernelINS0_14default_configENS1_27upper_bound_config_selectorIylEEZNS1_14transform_implILb0ES3_S5_N6thrust23THRUST_200600_302600_NS6detail15normal_iteratorINS8_7pointerIyNS8_11hip_rocprim5par_tENS8_11use_defaultESE_EEEENSA_INSB_IlSD_SE_SE_EEEEZNS1_13binary_searchIS3_S5_PySG_SI_NS1_21upper_bound_search_opENS9_16wrapped_functionINS8_6system6detail7generic6detail18binary_search_lessEbEEEE10hipError_tPvRmT1_T2_T3_mmT4_T5_P12ihipStream_tbEUlRKyE_EEST_SX_SY_mSZ_S12_bEUlT_E_NS1_11comp_targetILNS1_3genE3ELNS1_11target_archE908ELNS1_3gpuE7ELNS1_3repE0EEENS1_30default_config_static_selectorELNS0_4arch9wavefront6targetE1EEEvSW_.uses_vcc, 0
	.set _ZN7rocprim17ROCPRIM_400000_NS6detail17trampoline_kernelINS0_14default_configENS1_27upper_bound_config_selectorIylEEZNS1_14transform_implILb0ES3_S5_N6thrust23THRUST_200600_302600_NS6detail15normal_iteratorINS8_7pointerIyNS8_11hip_rocprim5par_tENS8_11use_defaultESE_EEEENSA_INSB_IlSD_SE_SE_EEEEZNS1_13binary_searchIS3_S5_PySG_SI_NS1_21upper_bound_search_opENS9_16wrapped_functionINS8_6system6detail7generic6detail18binary_search_lessEbEEEE10hipError_tPvRmT1_T2_T3_mmT4_T5_P12ihipStream_tbEUlRKyE_EEST_SX_SY_mSZ_S12_bEUlT_E_NS1_11comp_targetILNS1_3genE3ELNS1_11target_archE908ELNS1_3gpuE7ELNS1_3repE0EEENS1_30default_config_static_selectorELNS0_4arch9wavefront6targetE1EEEvSW_.uses_flat_scratch, 0
	.set _ZN7rocprim17ROCPRIM_400000_NS6detail17trampoline_kernelINS0_14default_configENS1_27upper_bound_config_selectorIylEEZNS1_14transform_implILb0ES3_S5_N6thrust23THRUST_200600_302600_NS6detail15normal_iteratorINS8_7pointerIyNS8_11hip_rocprim5par_tENS8_11use_defaultESE_EEEENSA_INSB_IlSD_SE_SE_EEEEZNS1_13binary_searchIS3_S5_PySG_SI_NS1_21upper_bound_search_opENS9_16wrapped_functionINS8_6system6detail7generic6detail18binary_search_lessEbEEEE10hipError_tPvRmT1_T2_T3_mmT4_T5_P12ihipStream_tbEUlRKyE_EEST_SX_SY_mSZ_S12_bEUlT_E_NS1_11comp_targetILNS1_3genE3ELNS1_11target_archE908ELNS1_3gpuE7ELNS1_3repE0EEENS1_30default_config_static_selectorELNS0_4arch9wavefront6targetE1EEEvSW_.has_dyn_sized_stack, 0
	.set _ZN7rocprim17ROCPRIM_400000_NS6detail17trampoline_kernelINS0_14default_configENS1_27upper_bound_config_selectorIylEEZNS1_14transform_implILb0ES3_S5_N6thrust23THRUST_200600_302600_NS6detail15normal_iteratorINS8_7pointerIyNS8_11hip_rocprim5par_tENS8_11use_defaultESE_EEEENSA_INSB_IlSD_SE_SE_EEEEZNS1_13binary_searchIS3_S5_PySG_SI_NS1_21upper_bound_search_opENS9_16wrapped_functionINS8_6system6detail7generic6detail18binary_search_lessEbEEEE10hipError_tPvRmT1_T2_T3_mmT4_T5_P12ihipStream_tbEUlRKyE_EEST_SX_SY_mSZ_S12_bEUlT_E_NS1_11comp_targetILNS1_3genE3ELNS1_11target_archE908ELNS1_3gpuE7ELNS1_3repE0EEENS1_30default_config_static_selectorELNS0_4arch9wavefront6targetE1EEEvSW_.has_recursion, 0
	.set _ZN7rocprim17ROCPRIM_400000_NS6detail17trampoline_kernelINS0_14default_configENS1_27upper_bound_config_selectorIylEEZNS1_14transform_implILb0ES3_S5_N6thrust23THRUST_200600_302600_NS6detail15normal_iteratorINS8_7pointerIyNS8_11hip_rocprim5par_tENS8_11use_defaultESE_EEEENSA_INSB_IlSD_SE_SE_EEEEZNS1_13binary_searchIS3_S5_PySG_SI_NS1_21upper_bound_search_opENS9_16wrapped_functionINS8_6system6detail7generic6detail18binary_search_lessEbEEEE10hipError_tPvRmT1_T2_T3_mmT4_T5_P12ihipStream_tbEUlRKyE_EEST_SX_SY_mSZ_S12_bEUlT_E_NS1_11comp_targetILNS1_3genE3ELNS1_11target_archE908ELNS1_3gpuE7ELNS1_3repE0EEENS1_30default_config_static_selectorELNS0_4arch9wavefront6targetE1EEEvSW_.has_indirect_call, 0
	.section	.AMDGPU.csdata,"",@progbits
; Kernel info:
; codeLenInByte = 0
; TotalNumSgprs: 4
; NumVgprs: 0
; ScratchSize: 0
; MemoryBound: 0
; FloatMode: 240
; IeeeMode: 1
; LDSByteSize: 0 bytes/workgroup (compile time only)
; SGPRBlocks: 0
; VGPRBlocks: 0
; NumSGPRsForWavesPerEU: 4
; NumVGPRsForWavesPerEU: 1
; Occupancy: 10
; WaveLimiterHint : 0
; COMPUTE_PGM_RSRC2:SCRATCH_EN: 0
; COMPUTE_PGM_RSRC2:USER_SGPR: 6
; COMPUTE_PGM_RSRC2:TRAP_HANDLER: 0
; COMPUTE_PGM_RSRC2:TGID_X_EN: 1
; COMPUTE_PGM_RSRC2:TGID_Y_EN: 0
; COMPUTE_PGM_RSRC2:TGID_Z_EN: 0
; COMPUTE_PGM_RSRC2:TIDIG_COMP_CNT: 0
	.section	.text._ZN7rocprim17ROCPRIM_400000_NS6detail17trampoline_kernelINS0_14default_configENS1_27upper_bound_config_selectorIylEEZNS1_14transform_implILb0ES3_S5_N6thrust23THRUST_200600_302600_NS6detail15normal_iteratorINS8_7pointerIyNS8_11hip_rocprim5par_tENS8_11use_defaultESE_EEEENSA_INSB_IlSD_SE_SE_EEEEZNS1_13binary_searchIS3_S5_PySG_SI_NS1_21upper_bound_search_opENS9_16wrapped_functionINS8_6system6detail7generic6detail18binary_search_lessEbEEEE10hipError_tPvRmT1_T2_T3_mmT4_T5_P12ihipStream_tbEUlRKyE_EEST_SX_SY_mSZ_S12_bEUlT_E_NS1_11comp_targetILNS1_3genE2ELNS1_11target_archE906ELNS1_3gpuE6ELNS1_3repE0EEENS1_30default_config_static_selectorELNS0_4arch9wavefront6targetE1EEEvSW_,"axG",@progbits,_ZN7rocprim17ROCPRIM_400000_NS6detail17trampoline_kernelINS0_14default_configENS1_27upper_bound_config_selectorIylEEZNS1_14transform_implILb0ES3_S5_N6thrust23THRUST_200600_302600_NS6detail15normal_iteratorINS8_7pointerIyNS8_11hip_rocprim5par_tENS8_11use_defaultESE_EEEENSA_INSB_IlSD_SE_SE_EEEEZNS1_13binary_searchIS3_S5_PySG_SI_NS1_21upper_bound_search_opENS9_16wrapped_functionINS8_6system6detail7generic6detail18binary_search_lessEbEEEE10hipError_tPvRmT1_T2_T3_mmT4_T5_P12ihipStream_tbEUlRKyE_EEST_SX_SY_mSZ_S12_bEUlT_E_NS1_11comp_targetILNS1_3genE2ELNS1_11target_archE906ELNS1_3gpuE6ELNS1_3repE0EEENS1_30default_config_static_selectorELNS0_4arch9wavefront6targetE1EEEvSW_,comdat
	.protected	_ZN7rocprim17ROCPRIM_400000_NS6detail17trampoline_kernelINS0_14default_configENS1_27upper_bound_config_selectorIylEEZNS1_14transform_implILb0ES3_S5_N6thrust23THRUST_200600_302600_NS6detail15normal_iteratorINS8_7pointerIyNS8_11hip_rocprim5par_tENS8_11use_defaultESE_EEEENSA_INSB_IlSD_SE_SE_EEEEZNS1_13binary_searchIS3_S5_PySG_SI_NS1_21upper_bound_search_opENS9_16wrapped_functionINS8_6system6detail7generic6detail18binary_search_lessEbEEEE10hipError_tPvRmT1_T2_T3_mmT4_T5_P12ihipStream_tbEUlRKyE_EEST_SX_SY_mSZ_S12_bEUlT_E_NS1_11comp_targetILNS1_3genE2ELNS1_11target_archE906ELNS1_3gpuE6ELNS1_3repE0EEENS1_30default_config_static_selectorELNS0_4arch9wavefront6targetE1EEEvSW_ ; -- Begin function _ZN7rocprim17ROCPRIM_400000_NS6detail17trampoline_kernelINS0_14default_configENS1_27upper_bound_config_selectorIylEEZNS1_14transform_implILb0ES3_S5_N6thrust23THRUST_200600_302600_NS6detail15normal_iteratorINS8_7pointerIyNS8_11hip_rocprim5par_tENS8_11use_defaultESE_EEEENSA_INSB_IlSD_SE_SE_EEEEZNS1_13binary_searchIS3_S5_PySG_SI_NS1_21upper_bound_search_opENS9_16wrapped_functionINS8_6system6detail7generic6detail18binary_search_lessEbEEEE10hipError_tPvRmT1_T2_T3_mmT4_T5_P12ihipStream_tbEUlRKyE_EEST_SX_SY_mSZ_S12_bEUlT_E_NS1_11comp_targetILNS1_3genE2ELNS1_11target_archE906ELNS1_3gpuE6ELNS1_3repE0EEENS1_30default_config_static_selectorELNS0_4arch9wavefront6targetE1EEEvSW_
	.globl	_ZN7rocprim17ROCPRIM_400000_NS6detail17trampoline_kernelINS0_14default_configENS1_27upper_bound_config_selectorIylEEZNS1_14transform_implILb0ES3_S5_N6thrust23THRUST_200600_302600_NS6detail15normal_iteratorINS8_7pointerIyNS8_11hip_rocprim5par_tENS8_11use_defaultESE_EEEENSA_INSB_IlSD_SE_SE_EEEEZNS1_13binary_searchIS3_S5_PySG_SI_NS1_21upper_bound_search_opENS9_16wrapped_functionINS8_6system6detail7generic6detail18binary_search_lessEbEEEE10hipError_tPvRmT1_T2_T3_mmT4_T5_P12ihipStream_tbEUlRKyE_EEST_SX_SY_mSZ_S12_bEUlT_E_NS1_11comp_targetILNS1_3genE2ELNS1_11target_archE906ELNS1_3gpuE6ELNS1_3repE0EEENS1_30default_config_static_selectorELNS0_4arch9wavefront6targetE1EEEvSW_
	.p2align	8
	.type	_ZN7rocprim17ROCPRIM_400000_NS6detail17trampoline_kernelINS0_14default_configENS1_27upper_bound_config_selectorIylEEZNS1_14transform_implILb0ES3_S5_N6thrust23THRUST_200600_302600_NS6detail15normal_iteratorINS8_7pointerIyNS8_11hip_rocprim5par_tENS8_11use_defaultESE_EEEENSA_INSB_IlSD_SE_SE_EEEEZNS1_13binary_searchIS3_S5_PySG_SI_NS1_21upper_bound_search_opENS9_16wrapped_functionINS8_6system6detail7generic6detail18binary_search_lessEbEEEE10hipError_tPvRmT1_T2_T3_mmT4_T5_P12ihipStream_tbEUlRKyE_EEST_SX_SY_mSZ_S12_bEUlT_E_NS1_11comp_targetILNS1_3genE2ELNS1_11target_archE906ELNS1_3gpuE6ELNS1_3repE0EEENS1_30default_config_static_selectorELNS0_4arch9wavefront6targetE1EEEvSW_,@function
_ZN7rocprim17ROCPRIM_400000_NS6detail17trampoline_kernelINS0_14default_configENS1_27upper_bound_config_selectorIylEEZNS1_14transform_implILb0ES3_S5_N6thrust23THRUST_200600_302600_NS6detail15normal_iteratorINS8_7pointerIyNS8_11hip_rocprim5par_tENS8_11use_defaultESE_EEEENSA_INSB_IlSD_SE_SE_EEEEZNS1_13binary_searchIS3_S5_PySG_SI_NS1_21upper_bound_search_opENS9_16wrapped_functionINS8_6system6detail7generic6detail18binary_search_lessEbEEEE10hipError_tPvRmT1_T2_T3_mmT4_T5_P12ihipStream_tbEUlRKyE_EEST_SX_SY_mSZ_S12_bEUlT_E_NS1_11comp_targetILNS1_3genE2ELNS1_11target_archE906ELNS1_3gpuE6ELNS1_3repE0EEENS1_30default_config_static_selectorELNS0_4arch9wavefront6targetE1EEEvSW_: ; @_ZN7rocprim17ROCPRIM_400000_NS6detail17trampoline_kernelINS0_14default_configENS1_27upper_bound_config_selectorIylEEZNS1_14transform_implILb0ES3_S5_N6thrust23THRUST_200600_302600_NS6detail15normal_iteratorINS8_7pointerIyNS8_11hip_rocprim5par_tENS8_11use_defaultESE_EEEENSA_INSB_IlSD_SE_SE_EEEEZNS1_13binary_searchIS3_S5_PySG_SI_NS1_21upper_bound_search_opENS9_16wrapped_functionINS8_6system6detail7generic6detail18binary_search_lessEbEEEE10hipError_tPvRmT1_T2_T3_mmT4_T5_P12ihipStream_tbEUlRKyE_EEST_SX_SY_mSZ_S12_bEUlT_E_NS1_11comp_targetILNS1_3genE2ELNS1_11target_archE906ELNS1_3gpuE6ELNS1_3repE0EEENS1_30default_config_static_selectorELNS0_4arch9wavefront6targetE1EEEvSW_
; %bb.0:
	s_load_dwordx4 s[0:3], s[4:5], 0x0
	s_load_dwordx4 s[8:11], s[4:5], 0x18
	s_load_dwordx2 s[12:13], s[4:5], 0x28
	s_load_dword s16, s[4:5], 0x38
	s_waitcnt lgkmcnt(0)
	s_lshl_b64 s[14:15], s[2:3], 3
	s_add_u32 s2, s0, s14
	s_addc_u32 s3, s1, s15
	s_add_u32 s7, s8, s14
	s_addc_u32 s14, s9, s15
	s_lshl_b32 s8, s6, 8
	s_add_i32 s16, s16, -1
	s_mov_b32 s9, 0
	s_cmp_lg_u32 s6, s16
	s_mov_b64 s[0:1], -1
	s_cbranch_scc0 .LBB186_7
; %bb.1:
	s_cmp_eq_u64 s[12:13], 0
	s_mov_b64 s[0:1], 0
	s_cbranch_scc1 .LBB186_5
; %bb.2:
	s_lshl_b64 s[16:17], s[8:9], 3
	s_add_u32 s6, s2, s16
	s_addc_u32 s15, s3, s17
	v_lshlrev_b32_e32 v1, 3, v0
	v_mov_b32_e32 v2, s15
	v_add_co_u32_e32 v1, vcc, s6, v1
	v_addc_co_u32_e32 v2, vcc, 0, v2, vcc
	flat_load_dwordx2 v[3:4], v[1:2]
	v_mov_b32_e32 v1, 0
	v_mov_b32_e32 v5, s12
	;; [unrolled: 1-line block ×5, first 2 shown]
.LBB186_3:                              ; =>This Inner Loop Header: Depth=1
	v_sub_co_u32_e32 v8, vcc, v5, v1
	v_subb_co_u32_e32 v9, vcc, v6, v2, vcc
	v_lshrrev_b64 v[10:11], 1, v[8:9]
	v_lshrrev_b64 v[8:9], 6, v[8:9]
	v_add_co_u32_e32 v10, vcc, v10, v1
	v_addc_co_u32_e32 v11, vcc, v11, v2, vcc
	v_add_co_u32_e32 v8, vcc, v10, v8
	v_addc_co_u32_e32 v9, vcc, v11, v9, vcc
	v_lshlrev_b64 v[10:11], 3, v[8:9]
	v_add_co_u32_e32 v10, vcc, s10, v10
	v_addc_co_u32_e32 v11, vcc, v7, v11, vcc
	global_load_dwordx2 v[10:11], v[10:11], off
	v_add_co_u32_e32 v12, vcc, 1, v8
	v_addc_co_u32_e32 v13, vcc, 0, v9, vcc
	s_waitcnt vmcnt(0) lgkmcnt(0)
	v_cmp_lt_u64_e32 vcc, v[3:4], v[10:11]
	v_cndmask_b32_e32 v6, v6, v9, vcc
	v_cndmask_b32_e32 v5, v5, v8, vcc
	;; [unrolled: 1-line block ×4, first 2 shown]
	v_cmp_ge_u64_e32 vcc, v[1:2], v[5:6]
	s_or_b64 s[0:1], vcc, s[0:1]
	s_andn2_b64 exec, exec, s[0:1]
	s_cbranch_execnz .LBB186_3
; %bb.4:
	s_or_b64 exec, exec, s[0:1]
	s_branch .LBB186_6
.LBB186_5:
	v_mov_b32_e32 v1, 0
	v_mov_b32_e32 v2, 0
.LBB186_6:
	s_lshl_b64 s[0:1], s[8:9], 3
	s_add_u32 s0, s7, s0
	s_addc_u32 s1, s14, s1
	v_lshlrev_b32_e32 v3, 3, v0
	v_mov_b32_e32 v4, s1
	v_add_co_u32_e32 v3, vcc, s0, v3
	v_addc_co_u32_e32 v4, vcc, 0, v4, vcc
	s_mov_b64 s[0:1], 0
	flat_store_dwordx2 v[3:4], v[1:2]
.LBB186_7:
	s_and_b64 vcc, exec, s[0:1]
	s_cbranch_vccz .LBB186_16
; %bb.8:
	s_load_dword s0, s[4:5], 0x10
                                        ; implicit-def: $vgpr3_vgpr4
	s_waitcnt lgkmcnt(0)
	s_sub_i32 s4, s0, s8
	v_cmp_le_u32_e64 s[0:1], s4, v0
	v_cmp_gt_u32_e32 vcc, s4, v0
	s_and_saveexec_b64 s[4:5], vcc
	s_cbranch_execz .LBB186_10
; %bb.9:
	s_lshl_b64 s[16:17], s[8:9], 3
	s_add_u32 s2, s2, s16
	s_addc_u32 s3, s3, s17
	v_lshlrev_b32_e32 v1, 3, v0
	v_mov_b32_e32 v2, s3
	v_add_co_u32_e64 v1, s[2:3], s2, v1
	v_addc_co_u32_e64 v2, s[2:3], 0, v2, s[2:3]
	flat_load_dwordx2 v[3:4], v[1:2]
.LBB186_10:
	s_or_b64 exec, exec, s[4:5]
	s_cmp_lg_u64 s[12:13], 0
	s_cselect_b64 s[4:5], -1, 0
	s_xor_b64 s[0:1], s[0:1], -1
	v_mov_b32_e32 v1, 0
	s_mov_b64 s[2:3], 0
	v_mov_b32_e32 v2, 0
	s_and_b64 s[0:1], s[0:1], s[4:5]
	s_and_saveexec_b64 s[4:5], s[0:1]
	s_cbranch_execz .LBB186_14
; %bb.11:
	v_mov_b32_e32 v1, 0
	v_mov_b32_e32 v5, s12
	;; [unrolled: 1-line block ×5, first 2 shown]
.LBB186_12:                             ; =>This Inner Loop Header: Depth=1
	v_sub_co_u32_e64 v8, s[0:1], v5, v1
	v_subb_co_u32_e64 v9, s[0:1], v6, v2, s[0:1]
	v_lshrrev_b64 v[10:11], 1, v[8:9]
	v_lshrrev_b64 v[8:9], 6, v[8:9]
	v_add_co_u32_e64 v10, s[0:1], v10, v1
	v_addc_co_u32_e64 v11, s[0:1], v11, v2, s[0:1]
	v_add_co_u32_e64 v8, s[0:1], v10, v8
	v_addc_co_u32_e64 v9, s[0:1], v11, v9, s[0:1]
	v_lshlrev_b64 v[10:11], 3, v[8:9]
	v_add_co_u32_e64 v10, s[0:1], s10, v10
	v_addc_co_u32_e64 v11, s[0:1], v7, v11, s[0:1]
	global_load_dwordx2 v[10:11], v[10:11], off
	v_add_co_u32_e64 v12, s[0:1], 1, v8
	v_addc_co_u32_e64 v13, s[0:1], 0, v9, s[0:1]
	s_waitcnt vmcnt(0) lgkmcnt(0)
	v_cmp_lt_u64_e64 s[0:1], v[3:4], v[10:11]
	v_cndmask_b32_e64 v6, v6, v9, s[0:1]
	v_cndmask_b32_e64 v5, v5, v8, s[0:1]
	;; [unrolled: 1-line block ×4, first 2 shown]
	v_cmp_ge_u64_e64 s[0:1], v[1:2], v[5:6]
	s_or_b64 s[2:3], s[0:1], s[2:3]
	s_andn2_b64 exec, exec, s[2:3]
	s_cbranch_execnz .LBB186_12
; %bb.13:
	s_or_b64 exec, exec, s[2:3]
.LBB186_14:
	s_or_b64 exec, exec, s[4:5]
	s_and_saveexec_b64 s[0:1], vcc
	s_cbranch_execz .LBB186_16
; %bb.15:
	s_lshl_b64 s[0:1], s[8:9], 3
	s_add_u32 s0, s7, s0
	s_addc_u32 s1, s14, s1
	v_lshlrev_b32_e32 v0, 3, v0
	s_waitcnt vmcnt(0) lgkmcnt(0)
	v_mov_b32_e32 v4, s1
	v_add_co_u32_e32 v3, vcc, s0, v0
	v_addc_co_u32_e32 v4, vcc, 0, v4, vcc
	flat_store_dwordx2 v[3:4], v[1:2]
.LBB186_16:
	s_endpgm
	.section	.rodata,"a",@progbits
	.p2align	6, 0x0
	.amdhsa_kernel _ZN7rocprim17ROCPRIM_400000_NS6detail17trampoline_kernelINS0_14default_configENS1_27upper_bound_config_selectorIylEEZNS1_14transform_implILb0ES3_S5_N6thrust23THRUST_200600_302600_NS6detail15normal_iteratorINS8_7pointerIyNS8_11hip_rocprim5par_tENS8_11use_defaultESE_EEEENSA_INSB_IlSD_SE_SE_EEEEZNS1_13binary_searchIS3_S5_PySG_SI_NS1_21upper_bound_search_opENS9_16wrapped_functionINS8_6system6detail7generic6detail18binary_search_lessEbEEEE10hipError_tPvRmT1_T2_T3_mmT4_T5_P12ihipStream_tbEUlRKyE_EEST_SX_SY_mSZ_S12_bEUlT_E_NS1_11comp_targetILNS1_3genE2ELNS1_11target_archE906ELNS1_3gpuE6ELNS1_3repE0EEENS1_30default_config_static_selectorELNS0_4arch9wavefront6targetE1EEEvSW_
		.amdhsa_group_segment_fixed_size 0
		.amdhsa_private_segment_fixed_size 0
		.amdhsa_kernarg_size 312
		.amdhsa_user_sgpr_count 6
		.amdhsa_user_sgpr_private_segment_buffer 1
		.amdhsa_user_sgpr_dispatch_ptr 0
		.amdhsa_user_sgpr_queue_ptr 0
		.amdhsa_user_sgpr_kernarg_segment_ptr 1
		.amdhsa_user_sgpr_dispatch_id 0
		.amdhsa_user_sgpr_flat_scratch_init 0
		.amdhsa_user_sgpr_private_segment_size 0
		.amdhsa_uses_dynamic_stack 0
		.amdhsa_system_sgpr_private_segment_wavefront_offset 0
		.amdhsa_system_sgpr_workgroup_id_x 1
		.amdhsa_system_sgpr_workgroup_id_y 0
		.amdhsa_system_sgpr_workgroup_id_z 0
		.amdhsa_system_sgpr_workgroup_info 0
		.amdhsa_system_vgpr_workitem_id 0
		.amdhsa_next_free_vgpr 14
		.amdhsa_next_free_sgpr 18
		.amdhsa_reserve_vcc 1
		.amdhsa_reserve_flat_scratch 0
		.amdhsa_float_round_mode_32 0
		.amdhsa_float_round_mode_16_64 0
		.amdhsa_float_denorm_mode_32 3
		.amdhsa_float_denorm_mode_16_64 3
		.amdhsa_dx10_clamp 1
		.amdhsa_ieee_mode 1
		.amdhsa_fp16_overflow 0
		.amdhsa_exception_fp_ieee_invalid_op 0
		.amdhsa_exception_fp_denorm_src 0
		.amdhsa_exception_fp_ieee_div_zero 0
		.amdhsa_exception_fp_ieee_overflow 0
		.amdhsa_exception_fp_ieee_underflow 0
		.amdhsa_exception_fp_ieee_inexact 0
		.amdhsa_exception_int_div_zero 0
	.end_amdhsa_kernel
	.section	.text._ZN7rocprim17ROCPRIM_400000_NS6detail17trampoline_kernelINS0_14default_configENS1_27upper_bound_config_selectorIylEEZNS1_14transform_implILb0ES3_S5_N6thrust23THRUST_200600_302600_NS6detail15normal_iteratorINS8_7pointerIyNS8_11hip_rocprim5par_tENS8_11use_defaultESE_EEEENSA_INSB_IlSD_SE_SE_EEEEZNS1_13binary_searchIS3_S5_PySG_SI_NS1_21upper_bound_search_opENS9_16wrapped_functionINS8_6system6detail7generic6detail18binary_search_lessEbEEEE10hipError_tPvRmT1_T2_T3_mmT4_T5_P12ihipStream_tbEUlRKyE_EEST_SX_SY_mSZ_S12_bEUlT_E_NS1_11comp_targetILNS1_3genE2ELNS1_11target_archE906ELNS1_3gpuE6ELNS1_3repE0EEENS1_30default_config_static_selectorELNS0_4arch9wavefront6targetE1EEEvSW_,"axG",@progbits,_ZN7rocprim17ROCPRIM_400000_NS6detail17trampoline_kernelINS0_14default_configENS1_27upper_bound_config_selectorIylEEZNS1_14transform_implILb0ES3_S5_N6thrust23THRUST_200600_302600_NS6detail15normal_iteratorINS8_7pointerIyNS8_11hip_rocprim5par_tENS8_11use_defaultESE_EEEENSA_INSB_IlSD_SE_SE_EEEEZNS1_13binary_searchIS3_S5_PySG_SI_NS1_21upper_bound_search_opENS9_16wrapped_functionINS8_6system6detail7generic6detail18binary_search_lessEbEEEE10hipError_tPvRmT1_T2_T3_mmT4_T5_P12ihipStream_tbEUlRKyE_EEST_SX_SY_mSZ_S12_bEUlT_E_NS1_11comp_targetILNS1_3genE2ELNS1_11target_archE906ELNS1_3gpuE6ELNS1_3repE0EEENS1_30default_config_static_selectorELNS0_4arch9wavefront6targetE1EEEvSW_,comdat
.Lfunc_end186:
	.size	_ZN7rocprim17ROCPRIM_400000_NS6detail17trampoline_kernelINS0_14default_configENS1_27upper_bound_config_selectorIylEEZNS1_14transform_implILb0ES3_S5_N6thrust23THRUST_200600_302600_NS6detail15normal_iteratorINS8_7pointerIyNS8_11hip_rocprim5par_tENS8_11use_defaultESE_EEEENSA_INSB_IlSD_SE_SE_EEEEZNS1_13binary_searchIS3_S5_PySG_SI_NS1_21upper_bound_search_opENS9_16wrapped_functionINS8_6system6detail7generic6detail18binary_search_lessEbEEEE10hipError_tPvRmT1_T2_T3_mmT4_T5_P12ihipStream_tbEUlRKyE_EEST_SX_SY_mSZ_S12_bEUlT_E_NS1_11comp_targetILNS1_3genE2ELNS1_11target_archE906ELNS1_3gpuE6ELNS1_3repE0EEENS1_30default_config_static_selectorELNS0_4arch9wavefront6targetE1EEEvSW_, .Lfunc_end186-_ZN7rocprim17ROCPRIM_400000_NS6detail17trampoline_kernelINS0_14default_configENS1_27upper_bound_config_selectorIylEEZNS1_14transform_implILb0ES3_S5_N6thrust23THRUST_200600_302600_NS6detail15normal_iteratorINS8_7pointerIyNS8_11hip_rocprim5par_tENS8_11use_defaultESE_EEEENSA_INSB_IlSD_SE_SE_EEEEZNS1_13binary_searchIS3_S5_PySG_SI_NS1_21upper_bound_search_opENS9_16wrapped_functionINS8_6system6detail7generic6detail18binary_search_lessEbEEEE10hipError_tPvRmT1_T2_T3_mmT4_T5_P12ihipStream_tbEUlRKyE_EEST_SX_SY_mSZ_S12_bEUlT_E_NS1_11comp_targetILNS1_3genE2ELNS1_11target_archE906ELNS1_3gpuE6ELNS1_3repE0EEENS1_30default_config_static_selectorELNS0_4arch9wavefront6targetE1EEEvSW_
                                        ; -- End function
	.set _ZN7rocprim17ROCPRIM_400000_NS6detail17trampoline_kernelINS0_14default_configENS1_27upper_bound_config_selectorIylEEZNS1_14transform_implILb0ES3_S5_N6thrust23THRUST_200600_302600_NS6detail15normal_iteratorINS8_7pointerIyNS8_11hip_rocprim5par_tENS8_11use_defaultESE_EEEENSA_INSB_IlSD_SE_SE_EEEEZNS1_13binary_searchIS3_S5_PySG_SI_NS1_21upper_bound_search_opENS9_16wrapped_functionINS8_6system6detail7generic6detail18binary_search_lessEbEEEE10hipError_tPvRmT1_T2_T3_mmT4_T5_P12ihipStream_tbEUlRKyE_EEST_SX_SY_mSZ_S12_bEUlT_E_NS1_11comp_targetILNS1_3genE2ELNS1_11target_archE906ELNS1_3gpuE6ELNS1_3repE0EEENS1_30default_config_static_selectorELNS0_4arch9wavefront6targetE1EEEvSW_.num_vgpr, 14
	.set _ZN7rocprim17ROCPRIM_400000_NS6detail17trampoline_kernelINS0_14default_configENS1_27upper_bound_config_selectorIylEEZNS1_14transform_implILb0ES3_S5_N6thrust23THRUST_200600_302600_NS6detail15normal_iteratorINS8_7pointerIyNS8_11hip_rocprim5par_tENS8_11use_defaultESE_EEEENSA_INSB_IlSD_SE_SE_EEEEZNS1_13binary_searchIS3_S5_PySG_SI_NS1_21upper_bound_search_opENS9_16wrapped_functionINS8_6system6detail7generic6detail18binary_search_lessEbEEEE10hipError_tPvRmT1_T2_T3_mmT4_T5_P12ihipStream_tbEUlRKyE_EEST_SX_SY_mSZ_S12_bEUlT_E_NS1_11comp_targetILNS1_3genE2ELNS1_11target_archE906ELNS1_3gpuE6ELNS1_3repE0EEENS1_30default_config_static_selectorELNS0_4arch9wavefront6targetE1EEEvSW_.num_agpr, 0
	.set _ZN7rocprim17ROCPRIM_400000_NS6detail17trampoline_kernelINS0_14default_configENS1_27upper_bound_config_selectorIylEEZNS1_14transform_implILb0ES3_S5_N6thrust23THRUST_200600_302600_NS6detail15normal_iteratorINS8_7pointerIyNS8_11hip_rocprim5par_tENS8_11use_defaultESE_EEEENSA_INSB_IlSD_SE_SE_EEEEZNS1_13binary_searchIS3_S5_PySG_SI_NS1_21upper_bound_search_opENS9_16wrapped_functionINS8_6system6detail7generic6detail18binary_search_lessEbEEEE10hipError_tPvRmT1_T2_T3_mmT4_T5_P12ihipStream_tbEUlRKyE_EEST_SX_SY_mSZ_S12_bEUlT_E_NS1_11comp_targetILNS1_3genE2ELNS1_11target_archE906ELNS1_3gpuE6ELNS1_3repE0EEENS1_30default_config_static_selectorELNS0_4arch9wavefront6targetE1EEEvSW_.numbered_sgpr, 18
	.set _ZN7rocprim17ROCPRIM_400000_NS6detail17trampoline_kernelINS0_14default_configENS1_27upper_bound_config_selectorIylEEZNS1_14transform_implILb0ES3_S5_N6thrust23THRUST_200600_302600_NS6detail15normal_iteratorINS8_7pointerIyNS8_11hip_rocprim5par_tENS8_11use_defaultESE_EEEENSA_INSB_IlSD_SE_SE_EEEEZNS1_13binary_searchIS3_S5_PySG_SI_NS1_21upper_bound_search_opENS9_16wrapped_functionINS8_6system6detail7generic6detail18binary_search_lessEbEEEE10hipError_tPvRmT1_T2_T3_mmT4_T5_P12ihipStream_tbEUlRKyE_EEST_SX_SY_mSZ_S12_bEUlT_E_NS1_11comp_targetILNS1_3genE2ELNS1_11target_archE906ELNS1_3gpuE6ELNS1_3repE0EEENS1_30default_config_static_selectorELNS0_4arch9wavefront6targetE1EEEvSW_.num_named_barrier, 0
	.set _ZN7rocprim17ROCPRIM_400000_NS6detail17trampoline_kernelINS0_14default_configENS1_27upper_bound_config_selectorIylEEZNS1_14transform_implILb0ES3_S5_N6thrust23THRUST_200600_302600_NS6detail15normal_iteratorINS8_7pointerIyNS8_11hip_rocprim5par_tENS8_11use_defaultESE_EEEENSA_INSB_IlSD_SE_SE_EEEEZNS1_13binary_searchIS3_S5_PySG_SI_NS1_21upper_bound_search_opENS9_16wrapped_functionINS8_6system6detail7generic6detail18binary_search_lessEbEEEE10hipError_tPvRmT1_T2_T3_mmT4_T5_P12ihipStream_tbEUlRKyE_EEST_SX_SY_mSZ_S12_bEUlT_E_NS1_11comp_targetILNS1_3genE2ELNS1_11target_archE906ELNS1_3gpuE6ELNS1_3repE0EEENS1_30default_config_static_selectorELNS0_4arch9wavefront6targetE1EEEvSW_.private_seg_size, 0
	.set _ZN7rocprim17ROCPRIM_400000_NS6detail17trampoline_kernelINS0_14default_configENS1_27upper_bound_config_selectorIylEEZNS1_14transform_implILb0ES3_S5_N6thrust23THRUST_200600_302600_NS6detail15normal_iteratorINS8_7pointerIyNS8_11hip_rocprim5par_tENS8_11use_defaultESE_EEEENSA_INSB_IlSD_SE_SE_EEEEZNS1_13binary_searchIS3_S5_PySG_SI_NS1_21upper_bound_search_opENS9_16wrapped_functionINS8_6system6detail7generic6detail18binary_search_lessEbEEEE10hipError_tPvRmT1_T2_T3_mmT4_T5_P12ihipStream_tbEUlRKyE_EEST_SX_SY_mSZ_S12_bEUlT_E_NS1_11comp_targetILNS1_3genE2ELNS1_11target_archE906ELNS1_3gpuE6ELNS1_3repE0EEENS1_30default_config_static_selectorELNS0_4arch9wavefront6targetE1EEEvSW_.uses_vcc, 1
	.set _ZN7rocprim17ROCPRIM_400000_NS6detail17trampoline_kernelINS0_14default_configENS1_27upper_bound_config_selectorIylEEZNS1_14transform_implILb0ES3_S5_N6thrust23THRUST_200600_302600_NS6detail15normal_iteratorINS8_7pointerIyNS8_11hip_rocprim5par_tENS8_11use_defaultESE_EEEENSA_INSB_IlSD_SE_SE_EEEEZNS1_13binary_searchIS3_S5_PySG_SI_NS1_21upper_bound_search_opENS9_16wrapped_functionINS8_6system6detail7generic6detail18binary_search_lessEbEEEE10hipError_tPvRmT1_T2_T3_mmT4_T5_P12ihipStream_tbEUlRKyE_EEST_SX_SY_mSZ_S12_bEUlT_E_NS1_11comp_targetILNS1_3genE2ELNS1_11target_archE906ELNS1_3gpuE6ELNS1_3repE0EEENS1_30default_config_static_selectorELNS0_4arch9wavefront6targetE1EEEvSW_.uses_flat_scratch, 0
	.set _ZN7rocprim17ROCPRIM_400000_NS6detail17trampoline_kernelINS0_14default_configENS1_27upper_bound_config_selectorIylEEZNS1_14transform_implILb0ES3_S5_N6thrust23THRUST_200600_302600_NS6detail15normal_iteratorINS8_7pointerIyNS8_11hip_rocprim5par_tENS8_11use_defaultESE_EEEENSA_INSB_IlSD_SE_SE_EEEEZNS1_13binary_searchIS3_S5_PySG_SI_NS1_21upper_bound_search_opENS9_16wrapped_functionINS8_6system6detail7generic6detail18binary_search_lessEbEEEE10hipError_tPvRmT1_T2_T3_mmT4_T5_P12ihipStream_tbEUlRKyE_EEST_SX_SY_mSZ_S12_bEUlT_E_NS1_11comp_targetILNS1_3genE2ELNS1_11target_archE906ELNS1_3gpuE6ELNS1_3repE0EEENS1_30default_config_static_selectorELNS0_4arch9wavefront6targetE1EEEvSW_.has_dyn_sized_stack, 0
	.set _ZN7rocprim17ROCPRIM_400000_NS6detail17trampoline_kernelINS0_14default_configENS1_27upper_bound_config_selectorIylEEZNS1_14transform_implILb0ES3_S5_N6thrust23THRUST_200600_302600_NS6detail15normal_iteratorINS8_7pointerIyNS8_11hip_rocprim5par_tENS8_11use_defaultESE_EEEENSA_INSB_IlSD_SE_SE_EEEEZNS1_13binary_searchIS3_S5_PySG_SI_NS1_21upper_bound_search_opENS9_16wrapped_functionINS8_6system6detail7generic6detail18binary_search_lessEbEEEE10hipError_tPvRmT1_T2_T3_mmT4_T5_P12ihipStream_tbEUlRKyE_EEST_SX_SY_mSZ_S12_bEUlT_E_NS1_11comp_targetILNS1_3genE2ELNS1_11target_archE906ELNS1_3gpuE6ELNS1_3repE0EEENS1_30default_config_static_selectorELNS0_4arch9wavefront6targetE1EEEvSW_.has_recursion, 0
	.set _ZN7rocprim17ROCPRIM_400000_NS6detail17trampoline_kernelINS0_14default_configENS1_27upper_bound_config_selectorIylEEZNS1_14transform_implILb0ES3_S5_N6thrust23THRUST_200600_302600_NS6detail15normal_iteratorINS8_7pointerIyNS8_11hip_rocprim5par_tENS8_11use_defaultESE_EEEENSA_INSB_IlSD_SE_SE_EEEEZNS1_13binary_searchIS3_S5_PySG_SI_NS1_21upper_bound_search_opENS9_16wrapped_functionINS8_6system6detail7generic6detail18binary_search_lessEbEEEE10hipError_tPvRmT1_T2_T3_mmT4_T5_P12ihipStream_tbEUlRKyE_EEST_SX_SY_mSZ_S12_bEUlT_E_NS1_11comp_targetILNS1_3genE2ELNS1_11target_archE906ELNS1_3gpuE6ELNS1_3repE0EEENS1_30default_config_static_selectorELNS0_4arch9wavefront6targetE1EEEvSW_.has_indirect_call, 0
	.section	.AMDGPU.csdata,"",@progbits
; Kernel info:
; codeLenInByte = 700
; TotalNumSgprs: 22
; NumVgprs: 14
; ScratchSize: 0
; MemoryBound: 0
; FloatMode: 240
; IeeeMode: 1
; LDSByteSize: 0 bytes/workgroup (compile time only)
; SGPRBlocks: 2
; VGPRBlocks: 3
; NumSGPRsForWavesPerEU: 22
; NumVGPRsForWavesPerEU: 14
; Occupancy: 10
; WaveLimiterHint : 0
; COMPUTE_PGM_RSRC2:SCRATCH_EN: 0
; COMPUTE_PGM_RSRC2:USER_SGPR: 6
; COMPUTE_PGM_RSRC2:TRAP_HANDLER: 0
; COMPUTE_PGM_RSRC2:TGID_X_EN: 1
; COMPUTE_PGM_RSRC2:TGID_Y_EN: 0
; COMPUTE_PGM_RSRC2:TGID_Z_EN: 0
; COMPUTE_PGM_RSRC2:TIDIG_COMP_CNT: 0
	.section	.text._ZN7rocprim17ROCPRIM_400000_NS6detail17trampoline_kernelINS0_14default_configENS1_27upper_bound_config_selectorIylEEZNS1_14transform_implILb0ES3_S5_N6thrust23THRUST_200600_302600_NS6detail15normal_iteratorINS8_7pointerIyNS8_11hip_rocprim5par_tENS8_11use_defaultESE_EEEENSA_INSB_IlSD_SE_SE_EEEEZNS1_13binary_searchIS3_S5_PySG_SI_NS1_21upper_bound_search_opENS9_16wrapped_functionINS8_6system6detail7generic6detail18binary_search_lessEbEEEE10hipError_tPvRmT1_T2_T3_mmT4_T5_P12ihipStream_tbEUlRKyE_EEST_SX_SY_mSZ_S12_bEUlT_E_NS1_11comp_targetILNS1_3genE10ELNS1_11target_archE1201ELNS1_3gpuE5ELNS1_3repE0EEENS1_30default_config_static_selectorELNS0_4arch9wavefront6targetE1EEEvSW_,"axG",@progbits,_ZN7rocprim17ROCPRIM_400000_NS6detail17trampoline_kernelINS0_14default_configENS1_27upper_bound_config_selectorIylEEZNS1_14transform_implILb0ES3_S5_N6thrust23THRUST_200600_302600_NS6detail15normal_iteratorINS8_7pointerIyNS8_11hip_rocprim5par_tENS8_11use_defaultESE_EEEENSA_INSB_IlSD_SE_SE_EEEEZNS1_13binary_searchIS3_S5_PySG_SI_NS1_21upper_bound_search_opENS9_16wrapped_functionINS8_6system6detail7generic6detail18binary_search_lessEbEEEE10hipError_tPvRmT1_T2_T3_mmT4_T5_P12ihipStream_tbEUlRKyE_EEST_SX_SY_mSZ_S12_bEUlT_E_NS1_11comp_targetILNS1_3genE10ELNS1_11target_archE1201ELNS1_3gpuE5ELNS1_3repE0EEENS1_30default_config_static_selectorELNS0_4arch9wavefront6targetE1EEEvSW_,comdat
	.protected	_ZN7rocprim17ROCPRIM_400000_NS6detail17trampoline_kernelINS0_14default_configENS1_27upper_bound_config_selectorIylEEZNS1_14transform_implILb0ES3_S5_N6thrust23THRUST_200600_302600_NS6detail15normal_iteratorINS8_7pointerIyNS8_11hip_rocprim5par_tENS8_11use_defaultESE_EEEENSA_INSB_IlSD_SE_SE_EEEEZNS1_13binary_searchIS3_S5_PySG_SI_NS1_21upper_bound_search_opENS9_16wrapped_functionINS8_6system6detail7generic6detail18binary_search_lessEbEEEE10hipError_tPvRmT1_T2_T3_mmT4_T5_P12ihipStream_tbEUlRKyE_EEST_SX_SY_mSZ_S12_bEUlT_E_NS1_11comp_targetILNS1_3genE10ELNS1_11target_archE1201ELNS1_3gpuE5ELNS1_3repE0EEENS1_30default_config_static_selectorELNS0_4arch9wavefront6targetE1EEEvSW_ ; -- Begin function _ZN7rocprim17ROCPRIM_400000_NS6detail17trampoline_kernelINS0_14default_configENS1_27upper_bound_config_selectorIylEEZNS1_14transform_implILb0ES3_S5_N6thrust23THRUST_200600_302600_NS6detail15normal_iteratorINS8_7pointerIyNS8_11hip_rocprim5par_tENS8_11use_defaultESE_EEEENSA_INSB_IlSD_SE_SE_EEEEZNS1_13binary_searchIS3_S5_PySG_SI_NS1_21upper_bound_search_opENS9_16wrapped_functionINS8_6system6detail7generic6detail18binary_search_lessEbEEEE10hipError_tPvRmT1_T2_T3_mmT4_T5_P12ihipStream_tbEUlRKyE_EEST_SX_SY_mSZ_S12_bEUlT_E_NS1_11comp_targetILNS1_3genE10ELNS1_11target_archE1201ELNS1_3gpuE5ELNS1_3repE0EEENS1_30default_config_static_selectorELNS0_4arch9wavefront6targetE1EEEvSW_
	.globl	_ZN7rocprim17ROCPRIM_400000_NS6detail17trampoline_kernelINS0_14default_configENS1_27upper_bound_config_selectorIylEEZNS1_14transform_implILb0ES3_S5_N6thrust23THRUST_200600_302600_NS6detail15normal_iteratorINS8_7pointerIyNS8_11hip_rocprim5par_tENS8_11use_defaultESE_EEEENSA_INSB_IlSD_SE_SE_EEEEZNS1_13binary_searchIS3_S5_PySG_SI_NS1_21upper_bound_search_opENS9_16wrapped_functionINS8_6system6detail7generic6detail18binary_search_lessEbEEEE10hipError_tPvRmT1_T2_T3_mmT4_T5_P12ihipStream_tbEUlRKyE_EEST_SX_SY_mSZ_S12_bEUlT_E_NS1_11comp_targetILNS1_3genE10ELNS1_11target_archE1201ELNS1_3gpuE5ELNS1_3repE0EEENS1_30default_config_static_selectorELNS0_4arch9wavefront6targetE1EEEvSW_
	.p2align	8
	.type	_ZN7rocprim17ROCPRIM_400000_NS6detail17trampoline_kernelINS0_14default_configENS1_27upper_bound_config_selectorIylEEZNS1_14transform_implILb0ES3_S5_N6thrust23THRUST_200600_302600_NS6detail15normal_iteratorINS8_7pointerIyNS8_11hip_rocprim5par_tENS8_11use_defaultESE_EEEENSA_INSB_IlSD_SE_SE_EEEEZNS1_13binary_searchIS3_S5_PySG_SI_NS1_21upper_bound_search_opENS9_16wrapped_functionINS8_6system6detail7generic6detail18binary_search_lessEbEEEE10hipError_tPvRmT1_T2_T3_mmT4_T5_P12ihipStream_tbEUlRKyE_EEST_SX_SY_mSZ_S12_bEUlT_E_NS1_11comp_targetILNS1_3genE10ELNS1_11target_archE1201ELNS1_3gpuE5ELNS1_3repE0EEENS1_30default_config_static_selectorELNS0_4arch9wavefront6targetE1EEEvSW_,@function
_ZN7rocprim17ROCPRIM_400000_NS6detail17trampoline_kernelINS0_14default_configENS1_27upper_bound_config_selectorIylEEZNS1_14transform_implILb0ES3_S5_N6thrust23THRUST_200600_302600_NS6detail15normal_iteratorINS8_7pointerIyNS8_11hip_rocprim5par_tENS8_11use_defaultESE_EEEENSA_INSB_IlSD_SE_SE_EEEEZNS1_13binary_searchIS3_S5_PySG_SI_NS1_21upper_bound_search_opENS9_16wrapped_functionINS8_6system6detail7generic6detail18binary_search_lessEbEEEE10hipError_tPvRmT1_T2_T3_mmT4_T5_P12ihipStream_tbEUlRKyE_EEST_SX_SY_mSZ_S12_bEUlT_E_NS1_11comp_targetILNS1_3genE10ELNS1_11target_archE1201ELNS1_3gpuE5ELNS1_3repE0EEENS1_30default_config_static_selectorELNS0_4arch9wavefront6targetE1EEEvSW_: ; @_ZN7rocprim17ROCPRIM_400000_NS6detail17trampoline_kernelINS0_14default_configENS1_27upper_bound_config_selectorIylEEZNS1_14transform_implILb0ES3_S5_N6thrust23THRUST_200600_302600_NS6detail15normal_iteratorINS8_7pointerIyNS8_11hip_rocprim5par_tENS8_11use_defaultESE_EEEENSA_INSB_IlSD_SE_SE_EEEEZNS1_13binary_searchIS3_S5_PySG_SI_NS1_21upper_bound_search_opENS9_16wrapped_functionINS8_6system6detail7generic6detail18binary_search_lessEbEEEE10hipError_tPvRmT1_T2_T3_mmT4_T5_P12ihipStream_tbEUlRKyE_EEST_SX_SY_mSZ_S12_bEUlT_E_NS1_11comp_targetILNS1_3genE10ELNS1_11target_archE1201ELNS1_3gpuE5ELNS1_3repE0EEENS1_30default_config_static_selectorELNS0_4arch9wavefront6targetE1EEEvSW_
; %bb.0:
	.section	.rodata,"a",@progbits
	.p2align	6, 0x0
	.amdhsa_kernel _ZN7rocprim17ROCPRIM_400000_NS6detail17trampoline_kernelINS0_14default_configENS1_27upper_bound_config_selectorIylEEZNS1_14transform_implILb0ES3_S5_N6thrust23THRUST_200600_302600_NS6detail15normal_iteratorINS8_7pointerIyNS8_11hip_rocprim5par_tENS8_11use_defaultESE_EEEENSA_INSB_IlSD_SE_SE_EEEEZNS1_13binary_searchIS3_S5_PySG_SI_NS1_21upper_bound_search_opENS9_16wrapped_functionINS8_6system6detail7generic6detail18binary_search_lessEbEEEE10hipError_tPvRmT1_T2_T3_mmT4_T5_P12ihipStream_tbEUlRKyE_EEST_SX_SY_mSZ_S12_bEUlT_E_NS1_11comp_targetILNS1_3genE10ELNS1_11target_archE1201ELNS1_3gpuE5ELNS1_3repE0EEENS1_30default_config_static_selectorELNS0_4arch9wavefront6targetE1EEEvSW_
		.amdhsa_group_segment_fixed_size 0
		.amdhsa_private_segment_fixed_size 0
		.amdhsa_kernarg_size 56
		.amdhsa_user_sgpr_count 6
		.amdhsa_user_sgpr_private_segment_buffer 1
		.amdhsa_user_sgpr_dispatch_ptr 0
		.amdhsa_user_sgpr_queue_ptr 0
		.amdhsa_user_sgpr_kernarg_segment_ptr 1
		.amdhsa_user_sgpr_dispatch_id 0
		.amdhsa_user_sgpr_flat_scratch_init 0
		.amdhsa_user_sgpr_private_segment_size 0
		.amdhsa_uses_dynamic_stack 0
		.amdhsa_system_sgpr_private_segment_wavefront_offset 0
		.amdhsa_system_sgpr_workgroup_id_x 1
		.amdhsa_system_sgpr_workgroup_id_y 0
		.amdhsa_system_sgpr_workgroup_id_z 0
		.amdhsa_system_sgpr_workgroup_info 0
		.amdhsa_system_vgpr_workitem_id 0
		.amdhsa_next_free_vgpr 1
		.amdhsa_next_free_sgpr 0
		.amdhsa_reserve_vcc 0
		.amdhsa_reserve_flat_scratch 0
		.amdhsa_float_round_mode_32 0
		.amdhsa_float_round_mode_16_64 0
		.amdhsa_float_denorm_mode_32 3
		.amdhsa_float_denorm_mode_16_64 3
		.amdhsa_dx10_clamp 1
		.amdhsa_ieee_mode 1
		.amdhsa_fp16_overflow 0
		.amdhsa_exception_fp_ieee_invalid_op 0
		.amdhsa_exception_fp_denorm_src 0
		.amdhsa_exception_fp_ieee_div_zero 0
		.amdhsa_exception_fp_ieee_overflow 0
		.amdhsa_exception_fp_ieee_underflow 0
		.amdhsa_exception_fp_ieee_inexact 0
		.amdhsa_exception_int_div_zero 0
	.end_amdhsa_kernel
	.section	.text._ZN7rocprim17ROCPRIM_400000_NS6detail17trampoline_kernelINS0_14default_configENS1_27upper_bound_config_selectorIylEEZNS1_14transform_implILb0ES3_S5_N6thrust23THRUST_200600_302600_NS6detail15normal_iteratorINS8_7pointerIyNS8_11hip_rocprim5par_tENS8_11use_defaultESE_EEEENSA_INSB_IlSD_SE_SE_EEEEZNS1_13binary_searchIS3_S5_PySG_SI_NS1_21upper_bound_search_opENS9_16wrapped_functionINS8_6system6detail7generic6detail18binary_search_lessEbEEEE10hipError_tPvRmT1_T2_T3_mmT4_T5_P12ihipStream_tbEUlRKyE_EEST_SX_SY_mSZ_S12_bEUlT_E_NS1_11comp_targetILNS1_3genE10ELNS1_11target_archE1201ELNS1_3gpuE5ELNS1_3repE0EEENS1_30default_config_static_selectorELNS0_4arch9wavefront6targetE1EEEvSW_,"axG",@progbits,_ZN7rocprim17ROCPRIM_400000_NS6detail17trampoline_kernelINS0_14default_configENS1_27upper_bound_config_selectorIylEEZNS1_14transform_implILb0ES3_S5_N6thrust23THRUST_200600_302600_NS6detail15normal_iteratorINS8_7pointerIyNS8_11hip_rocprim5par_tENS8_11use_defaultESE_EEEENSA_INSB_IlSD_SE_SE_EEEEZNS1_13binary_searchIS3_S5_PySG_SI_NS1_21upper_bound_search_opENS9_16wrapped_functionINS8_6system6detail7generic6detail18binary_search_lessEbEEEE10hipError_tPvRmT1_T2_T3_mmT4_T5_P12ihipStream_tbEUlRKyE_EEST_SX_SY_mSZ_S12_bEUlT_E_NS1_11comp_targetILNS1_3genE10ELNS1_11target_archE1201ELNS1_3gpuE5ELNS1_3repE0EEENS1_30default_config_static_selectorELNS0_4arch9wavefront6targetE1EEEvSW_,comdat
.Lfunc_end187:
	.size	_ZN7rocprim17ROCPRIM_400000_NS6detail17trampoline_kernelINS0_14default_configENS1_27upper_bound_config_selectorIylEEZNS1_14transform_implILb0ES3_S5_N6thrust23THRUST_200600_302600_NS6detail15normal_iteratorINS8_7pointerIyNS8_11hip_rocprim5par_tENS8_11use_defaultESE_EEEENSA_INSB_IlSD_SE_SE_EEEEZNS1_13binary_searchIS3_S5_PySG_SI_NS1_21upper_bound_search_opENS9_16wrapped_functionINS8_6system6detail7generic6detail18binary_search_lessEbEEEE10hipError_tPvRmT1_T2_T3_mmT4_T5_P12ihipStream_tbEUlRKyE_EEST_SX_SY_mSZ_S12_bEUlT_E_NS1_11comp_targetILNS1_3genE10ELNS1_11target_archE1201ELNS1_3gpuE5ELNS1_3repE0EEENS1_30default_config_static_selectorELNS0_4arch9wavefront6targetE1EEEvSW_, .Lfunc_end187-_ZN7rocprim17ROCPRIM_400000_NS6detail17trampoline_kernelINS0_14default_configENS1_27upper_bound_config_selectorIylEEZNS1_14transform_implILb0ES3_S5_N6thrust23THRUST_200600_302600_NS6detail15normal_iteratorINS8_7pointerIyNS8_11hip_rocprim5par_tENS8_11use_defaultESE_EEEENSA_INSB_IlSD_SE_SE_EEEEZNS1_13binary_searchIS3_S5_PySG_SI_NS1_21upper_bound_search_opENS9_16wrapped_functionINS8_6system6detail7generic6detail18binary_search_lessEbEEEE10hipError_tPvRmT1_T2_T3_mmT4_T5_P12ihipStream_tbEUlRKyE_EEST_SX_SY_mSZ_S12_bEUlT_E_NS1_11comp_targetILNS1_3genE10ELNS1_11target_archE1201ELNS1_3gpuE5ELNS1_3repE0EEENS1_30default_config_static_selectorELNS0_4arch9wavefront6targetE1EEEvSW_
                                        ; -- End function
	.set _ZN7rocprim17ROCPRIM_400000_NS6detail17trampoline_kernelINS0_14default_configENS1_27upper_bound_config_selectorIylEEZNS1_14transform_implILb0ES3_S5_N6thrust23THRUST_200600_302600_NS6detail15normal_iteratorINS8_7pointerIyNS8_11hip_rocprim5par_tENS8_11use_defaultESE_EEEENSA_INSB_IlSD_SE_SE_EEEEZNS1_13binary_searchIS3_S5_PySG_SI_NS1_21upper_bound_search_opENS9_16wrapped_functionINS8_6system6detail7generic6detail18binary_search_lessEbEEEE10hipError_tPvRmT1_T2_T3_mmT4_T5_P12ihipStream_tbEUlRKyE_EEST_SX_SY_mSZ_S12_bEUlT_E_NS1_11comp_targetILNS1_3genE10ELNS1_11target_archE1201ELNS1_3gpuE5ELNS1_3repE0EEENS1_30default_config_static_selectorELNS0_4arch9wavefront6targetE1EEEvSW_.num_vgpr, 0
	.set _ZN7rocprim17ROCPRIM_400000_NS6detail17trampoline_kernelINS0_14default_configENS1_27upper_bound_config_selectorIylEEZNS1_14transform_implILb0ES3_S5_N6thrust23THRUST_200600_302600_NS6detail15normal_iteratorINS8_7pointerIyNS8_11hip_rocprim5par_tENS8_11use_defaultESE_EEEENSA_INSB_IlSD_SE_SE_EEEEZNS1_13binary_searchIS3_S5_PySG_SI_NS1_21upper_bound_search_opENS9_16wrapped_functionINS8_6system6detail7generic6detail18binary_search_lessEbEEEE10hipError_tPvRmT1_T2_T3_mmT4_T5_P12ihipStream_tbEUlRKyE_EEST_SX_SY_mSZ_S12_bEUlT_E_NS1_11comp_targetILNS1_3genE10ELNS1_11target_archE1201ELNS1_3gpuE5ELNS1_3repE0EEENS1_30default_config_static_selectorELNS0_4arch9wavefront6targetE1EEEvSW_.num_agpr, 0
	.set _ZN7rocprim17ROCPRIM_400000_NS6detail17trampoline_kernelINS0_14default_configENS1_27upper_bound_config_selectorIylEEZNS1_14transform_implILb0ES3_S5_N6thrust23THRUST_200600_302600_NS6detail15normal_iteratorINS8_7pointerIyNS8_11hip_rocprim5par_tENS8_11use_defaultESE_EEEENSA_INSB_IlSD_SE_SE_EEEEZNS1_13binary_searchIS3_S5_PySG_SI_NS1_21upper_bound_search_opENS9_16wrapped_functionINS8_6system6detail7generic6detail18binary_search_lessEbEEEE10hipError_tPvRmT1_T2_T3_mmT4_T5_P12ihipStream_tbEUlRKyE_EEST_SX_SY_mSZ_S12_bEUlT_E_NS1_11comp_targetILNS1_3genE10ELNS1_11target_archE1201ELNS1_3gpuE5ELNS1_3repE0EEENS1_30default_config_static_selectorELNS0_4arch9wavefront6targetE1EEEvSW_.numbered_sgpr, 0
	.set _ZN7rocprim17ROCPRIM_400000_NS6detail17trampoline_kernelINS0_14default_configENS1_27upper_bound_config_selectorIylEEZNS1_14transform_implILb0ES3_S5_N6thrust23THRUST_200600_302600_NS6detail15normal_iteratorINS8_7pointerIyNS8_11hip_rocprim5par_tENS8_11use_defaultESE_EEEENSA_INSB_IlSD_SE_SE_EEEEZNS1_13binary_searchIS3_S5_PySG_SI_NS1_21upper_bound_search_opENS9_16wrapped_functionINS8_6system6detail7generic6detail18binary_search_lessEbEEEE10hipError_tPvRmT1_T2_T3_mmT4_T5_P12ihipStream_tbEUlRKyE_EEST_SX_SY_mSZ_S12_bEUlT_E_NS1_11comp_targetILNS1_3genE10ELNS1_11target_archE1201ELNS1_3gpuE5ELNS1_3repE0EEENS1_30default_config_static_selectorELNS0_4arch9wavefront6targetE1EEEvSW_.num_named_barrier, 0
	.set _ZN7rocprim17ROCPRIM_400000_NS6detail17trampoline_kernelINS0_14default_configENS1_27upper_bound_config_selectorIylEEZNS1_14transform_implILb0ES3_S5_N6thrust23THRUST_200600_302600_NS6detail15normal_iteratorINS8_7pointerIyNS8_11hip_rocprim5par_tENS8_11use_defaultESE_EEEENSA_INSB_IlSD_SE_SE_EEEEZNS1_13binary_searchIS3_S5_PySG_SI_NS1_21upper_bound_search_opENS9_16wrapped_functionINS8_6system6detail7generic6detail18binary_search_lessEbEEEE10hipError_tPvRmT1_T2_T3_mmT4_T5_P12ihipStream_tbEUlRKyE_EEST_SX_SY_mSZ_S12_bEUlT_E_NS1_11comp_targetILNS1_3genE10ELNS1_11target_archE1201ELNS1_3gpuE5ELNS1_3repE0EEENS1_30default_config_static_selectorELNS0_4arch9wavefront6targetE1EEEvSW_.private_seg_size, 0
	.set _ZN7rocprim17ROCPRIM_400000_NS6detail17trampoline_kernelINS0_14default_configENS1_27upper_bound_config_selectorIylEEZNS1_14transform_implILb0ES3_S5_N6thrust23THRUST_200600_302600_NS6detail15normal_iteratorINS8_7pointerIyNS8_11hip_rocprim5par_tENS8_11use_defaultESE_EEEENSA_INSB_IlSD_SE_SE_EEEEZNS1_13binary_searchIS3_S5_PySG_SI_NS1_21upper_bound_search_opENS9_16wrapped_functionINS8_6system6detail7generic6detail18binary_search_lessEbEEEE10hipError_tPvRmT1_T2_T3_mmT4_T5_P12ihipStream_tbEUlRKyE_EEST_SX_SY_mSZ_S12_bEUlT_E_NS1_11comp_targetILNS1_3genE10ELNS1_11target_archE1201ELNS1_3gpuE5ELNS1_3repE0EEENS1_30default_config_static_selectorELNS0_4arch9wavefront6targetE1EEEvSW_.uses_vcc, 0
	.set _ZN7rocprim17ROCPRIM_400000_NS6detail17trampoline_kernelINS0_14default_configENS1_27upper_bound_config_selectorIylEEZNS1_14transform_implILb0ES3_S5_N6thrust23THRUST_200600_302600_NS6detail15normal_iteratorINS8_7pointerIyNS8_11hip_rocprim5par_tENS8_11use_defaultESE_EEEENSA_INSB_IlSD_SE_SE_EEEEZNS1_13binary_searchIS3_S5_PySG_SI_NS1_21upper_bound_search_opENS9_16wrapped_functionINS8_6system6detail7generic6detail18binary_search_lessEbEEEE10hipError_tPvRmT1_T2_T3_mmT4_T5_P12ihipStream_tbEUlRKyE_EEST_SX_SY_mSZ_S12_bEUlT_E_NS1_11comp_targetILNS1_3genE10ELNS1_11target_archE1201ELNS1_3gpuE5ELNS1_3repE0EEENS1_30default_config_static_selectorELNS0_4arch9wavefront6targetE1EEEvSW_.uses_flat_scratch, 0
	.set _ZN7rocprim17ROCPRIM_400000_NS6detail17trampoline_kernelINS0_14default_configENS1_27upper_bound_config_selectorIylEEZNS1_14transform_implILb0ES3_S5_N6thrust23THRUST_200600_302600_NS6detail15normal_iteratorINS8_7pointerIyNS8_11hip_rocprim5par_tENS8_11use_defaultESE_EEEENSA_INSB_IlSD_SE_SE_EEEEZNS1_13binary_searchIS3_S5_PySG_SI_NS1_21upper_bound_search_opENS9_16wrapped_functionINS8_6system6detail7generic6detail18binary_search_lessEbEEEE10hipError_tPvRmT1_T2_T3_mmT4_T5_P12ihipStream_tbEUlRKyE_EEST_SX_SY_mSZ_S12_bEUlT_E_NS1_11comp_targetILNS1_3genE10ELNS1_11target_archE1201ELNS1_3gpuE5ELNS1_3repE0EEENS1_30default_config_static_selectorELNS0_4arch9wavefront6targetE1EEEvSW_.has_dyn_sized_stack, 0
	.set _ZN7rocprim17ROCPRIM_400000_NS6detail17trampoline_kernelINS0_14default_configENS1_27upper_bound_config_selectorIylEEZNS1_14transform_implILb0ES3_S5_N6thrust23THRUST_200600_302600_NS6detail15normal_iteratorINS8_7pointerIyNS8_11hip_rocprim5par_tENS8_11use_defaultESE_EEEENSA_INSB_IlSD_SE_SE_EEEEZNS1_13binary_searchIS3_S5_PySG_SI_NS1_21upper_bound_search_opENS9_16wrapped_functionINS8_6system6detail7generic6detail18binary_search_lessEbEEEE10hipError_tPvRmT1_T2_T3_mmT4_T5_P12ihipStream_tbEUlRKyE_EEST_SX_SY_mSZ_S12_bEUlT_E_NS1_11comp_targetILNS1_3genE10ELNS1_11target_archE1201ELNS1_3gpuE5ELNS1_3repE0EEENS1_30default_config_static_selectorELNS0_4arch9wavefront6targetE1EEEvSW_.has_recursion, 0
	.set _ZN7rocprim17ROCPRIM_400000_NS6detail17trampoline_kernelINS0_14default_configENS1_27upper_bound_config_selectorIylEEZNS1_14transform_implILb0ES3_S5_N6thrust23THRUST_200600_302600_NS6detail15normal_iteratorINS8_7pointerIyNS8_11hip_rocprim5par_tENS8_11use_defaultESE_EEEENSA_INSB_IlSD_SE_SE_EEEEZNS1_13binary_searchIS3_S5_PySG_SI_NS1_21upper_bound_search_opENS9_16wrapped_functionINS8_6system6detail7generic6detail18binary_search_lessEbEEEE10hipError_tPvRmT1_T2_T3_mmT4_T5_P12ihipStream_tbEUlRKyE_EEST_SX_SY_mSZ_S12_bEUlT_E_NS1_11comp_targetILNS1_3genE10ELNS1_11target_archE1201ELNS1_3gpuE5ELNS1_3repE0EEENS1_30default_config_static_selectorELNS0_4arch9wavefront6targetE1EEEvSW_.has_indirect_call, 0
	.section	.AMDGPU.csdata,"",@progbits
; Kernel info:
; codeLenInByte = 0
; TotalNumSgprs: 4
; NumVgprs: 0
; ScratchSize: 0
; MemoryBound: 0
; FloatMode: 240
; IeeeMode: 1
; LDSByteSize: 0 bytes/workgroup (compile time only)
; SGPRBlocks: 0
; VGPRBlocks: 0
; NumSGPRsForWavesPerEU: 4
; NumVGPRsForWavesPerEU: 1
; Occupancy: 10
; WaveLimiterHint : 0
; COMPUTE_PGM_RSRC2:SCRATCH_EN: 0
; COMPUTE_PGM_RSRC2:USER_SGPR: 6
; COMPUTE_PGM_RSRC2:TRAP_HANDLER: 0
; COMPUTE_PGM_RSRC2:TGID_X_EN: 1
; COMPUTE_PGM_RSRC2:TGID_Y_EN: 0
; COMPUTE_PGM_RSRC2:TGID_Z_EN: 0
; COMPUTE_PGM_RSRC2:TIDIG_COMP_CNT: 0
	.section	.text._ZN7rocprim17ROCPRIM_400000_NS6detail17trampoline_kernelINS0_14default_configENS1_27upper_bound_config_selectorIylEEZNS1_14transform_implILb0ES3_S5_N6thrust23THRUST_200600_302600_NS6detail15normal_iteratorINS8_7pointerIyNS8_11hip_rocprim5par_tENS8_11use_defaultESE_EEEENSA_INSB_IlSD_SE_SE_EEEEZNS1_13binary_searchIS3_S5_PySG_SI_NS1_21upper_bound_search_opENS9_16wrapped_functionINS8_6system6detail7generic6detail18binary_search_lessEbEEEE10hipError_tPvRmT1_T2_T3_mmT4_T5_P12ihipStream_tbEUlRKyE_EEST_SX_SY_mSZ_S12_bEUlT_E_NS1_11comp_targetILNS1_3genE10ELNS1_11target_archE1200ELNS1_3gpuE4ELNS1_3repE0EEENS1_30default_config_static_selectorELNS0_4arch9wavefront6targetE1EEEvSW_,"axG",@progbits,_ZN7rocprim17ROCPRIM_400000_NS6detail17trampoline_kernelINS0_14default_configENS1_27upper_bound_config_selectorIylEEZNS1_14transform_implILb0ES3_S5_N6thrust23THRUST_200600_302600_NS6detail15normal_iteratorINS8_7pointerIyNS8_11hip_rocprim5par_tENS8_11use_defaultESE_EEEENSA_INSB_IlSD_SE_SE_EEEEZNS1_13binary_searchIS3_S5_PySG_SI_NS1_21upper_bound_search_opENS9_16wrapped_functionINS8_6system6detail7generic6detail18binary_search_lessEbEEEE10hipError_tPvRmT1_T2_T3_mmT4_T5_P12ihipStream_tbEUlRKyE_EEST_SX_SY_mSZ_S12_bEUlT_E_NS1_11comp_targetILNS1_3genE10ELNS1_11target_archE1200ELNS1_3gpuE4ELNS1_3repE0EEENS1_30default_config_static_selectorELNS0_4arch9wavefront6targetE1EEEvSW_,comdat
	.protected	_ZN7rocprim17ROCPRIM_400000_NS6detail17trampoline_kernelINS0_14default_configENS1_27upper_bound_config_selectorIylEEZNS1_14transform_implILb0ES3_S5_N6thrust23THRUST_200600_302600_NS6detail15normal_iteratorINS8_7pointerIyNS8_11hip_rocprim5par_tENS8_11use_defaultESE_EEEENSA_INSB_IlSD_SE_SE_EEEEZNS1_13binary_searchIS3_S5_PySG_SI_NS1_21upper_bound_search_opENS9_16wrapped_functionINS8_6system6detail7generic6detail18binary_search_lessEbEEEE10hipError_tPvRmT1_T2_T3_mmT4_T5_P12ihipStream_tbEUlRKyE_EEST_SX_SY_mSZ_S12_bEUlT_E_NS1_11comp_targetILNS1_3genE10ELNS1_11target_archE1200ELNS1_3gpuE4ELNS1_3repE0EEENS1_30default_config_static_selectorELNS0_4arch9wavefront6targetE1EEEvSW_ ; -- Begin function _ZN7rocprim17ROCPRIM_400000_NS6detail17trampoline_kernelINS0_14default_configENS1_27upper_bound_config_selectorIylEEZNS1_14transform_implILb0ES3_S5_N6thrust23THRUST_200600_302600_NS6detail15normal_iteratorINS8_7pointerIyNS8_11hip_rocprim5par_tENS8_11use_defaultESE_EEEENSA_INSB_IlSD_SE_SE_EEEEZNS1_13binary_searchIS3_S5_PySG_SI_NS1_21upper_bound_search_opENS9_16wrapped_functionINS8_6system6detail7generic6detail18binary_search_lessEbEEEE10hipError_tPvRmT1_T2_T3_mmT4_T5_P12ihipStream_tbEUlRKyE_EEST_SX_SY_mSZ_S12_bEUlT_E_NS1_11comp_targetILNS1_3genE10ELNS1_11target_archE1200ELNS1_3gpuE4ELNS1_3repE0EEENS1_30default_config_static_selectorELNS0_4arch9wavefront6targetE1EEEvSW_
	.globl	_ZN7rocprim17ROCPRIM_400000_NS6detail17trampoline_kernelINS0_14default_configENS1_27upper_bound_config_selectorIylEEZNS1_14transform_implILb0ES3_S5_N6thrust23THRUST_200600_302600_NS6detail15normal_iteratorINS8_7pointerIyNS8_11hip_rocprim5par_tENS8_11use_defaultESE_EEEENSA_INSB_IlSD_SE_SE_EEEEZNS1_13binary_searchIS3_S5_PySG_SI_NS1_21upper_bound_search_opENS9_16wrapped_functionINS8_6system6detail7generic6detail18binary_search_lessEbEEEE10hipError_tPvRmT1_T2_T3_mmT4_T5_P12ihipStream_tbEUlRKyE_EEST_SX_SY_mSZ_S12_bEUlT_E_NS1_11comp_targetILNS1_3genE10ELNS1_11target_archE1200ELNS1_3gpuE4ELNS1_3repE0EEENS1_30default_config_static_selectorELNS0_4arch9wavefront6targetE1EEEvSW_
	.p2align	8
	.type	_ZN7rocprim17ROCPRIM_400000_NS6detail17trampoline_kernelINS0_14default_configENS1_27upper_bound_config_selectorIylEEZNS1_14transform_implILb0ES3_S5_N6thrust23THRUST_200600_302600_NS6detail15normal_iteratorINS8_7pointerIyNS8_11hip_rocprim5par_tENS8_11use_defaultESE_EEEENSA_INSB_IlSD_SE_SE_EEEEZNS1_13binary_searchIS3_S5_PySG_SI_NS1_21upper_bound_search_opENS9_16wrapped_functionINS8_6system6detail7generic6detail18binary_search_lessEbEEEE10hipError_tPvRmT1_T2_T3_mmT4_T5_P12ihipStream_tbEUlRKyE_EEST_SX_SY_mSZ_S12_bEUlT_E_NS1_11comp_targetILNS1_3genE10ELNS1_11target_archE1200ELNS1_3gpuE4ELNS1_3repE0EEENS1_30default_config_static_selectorELNS0_4arch9wavefront6targetE1EEEvSW_,@function
_ZN7rocprim17ROCPRIM_400000_NS6detail17trampoline_kernelINS0_14default_configENS1_27upper_bound_config_selectorIylEEZNS1_14transform_implILb0ES3_S5_N6thrust23THRUST_200600_302600_NS6detail15normal_iteratorINS8_7pointerIyNS8_11hip_rocprim5par_tENS8_11use_defaultESE_EEEENSA_INSB_IlSD_SE_SE_EEEEZNS1_13binary_searchIS3_S5_PySG_SI_NS1_21upper_bound_search_opENS9_16wrapped_functionINS8_6system6detail7generic6detail18binary_search_lessEbEEEE10hipError_tPvRmT1_T2_T3_mmT4_T5_P12ihipStream_tbEUlRKyE_EEST_SX_SY_mSZ_S12_bEUlT_E_NS1_11comp_targetILNS1_3genE10ELNS1_11target_archE1200ELNS1_3gpuE4ELNS1_3repE0EEENS1_30default_config_static_selectorELNS0_4arch9wavefront6targetE1EEEvSW_: ; @_ZN7rocprim17ROCPRIM_400000_NS6detail17trampoline_kernelINS0_14default_configENS1_27upper_bound_config_selectorIylEEZNS1_14transform_implILb0ES3_S5_N6thrust23THRUST_200600_302600_NS6detail15normal_iteratorINS8_7pointerIyNS8_11hip_rocprim5par_tENS8_11use_defaultESE_EEEENSA_INSB_IlSD_SE_SE_EEEEZNS1_13binary_searchIS3_S5_PySG_SI_NS1_21upper_bound_search_opENS9_16wrapped_functionINS8_6system6detail7generic6detail18binary_search_lessEbEEEE10hipError_tPvRmT1_T2_T3_mmT4_T5_P12ihipStream_tbEUlRKyE_EEST_SX_SY_mSZ_S12_bEUlT_E_NS1_11comp_targetILNS1_3genE10ELNS1_11target_archE1200ELNS1_3gpuE4ELNS1_3repE0EEENS1_30default_config_static_selectorELNS0_4arch9wavefront6targetE1EEEvSW_
; %bb.0:
	.section	.rodata,"a",@progbits
	.p2align	6, 0x0
	.amdhsa_kernel _ZN7rocprim17ROCPRIM_400000_NS6detail17trampoline_kernelINS0_14default_configENS1_27upper_bound_config_selectorIylEEZNS1_14transform_implILb0ES3_S5_N6thrust23THRUST_200600_302600_NS6detail15normal_iteratorINS8_7pointerIyNS8_11hip_rocprim5par_tENS8_11use_defaultESE_EEEENSA_INSB_IlSD_SE_SE_EEEEZNS1_13binary_searchIS3_S5_PySG_SI_NS1_21upper_bound_search_opENS9_16wrapped_functionINS8_6system6detail7generic6detail18binary_search_lessEbEEEE10hipError_tPvRmT1_T2_T3_mmT4_T5_P12ihipStream_tbEUlRKyE_EEST_SX_SY_mSZ_S12_bEUlT_E_NS1_11comp_targetILNS1_3genE10ELNS1_11target_archE1200ELNS1_3gpuE4ELNS1_3repE0EEENS1_30default_config_static_selectorELNS0_4arch9wavefront6targetE1EEEvSW_
		.amdhsa_group_segment_fixed_size 0
		.amdhsa_private_segment_fixed_size 0
		.amdhsa_kernarg_size 56
		.amdhsa_user_sgpr_count 6
		.amdhsa_user_sgpr_private_segment_buffer 1
		.amdhsa_user_sgpr_dispatch_ptr 0
		.amdhsa_user_sgpr_queue_ptr 0
		.amdhsa_user_sgpr_kernarg_segment_ptr 1
		.amdhsa_user_sgpr_dispatch_id 0
		.amdhsa_user_sgpr_flat_scratch_init 0
		.amdhsa_user_sgpr_private_segment_size 0
		.amdhsa_uses_dynamic_stack 0
		.amdhsa_system_sgpr_private_segment_wavefront_offset 0
		.amdhsa_system_sgpr_workgroup_id_x 1
		.amdhsa_system_sgpr_workgroup_id_y 0
		.amdhsa_system_sgpr_workgroup_id_z 0
		.amdhsa_system_sgpr_workgroup_info 0
		.amdhsa_system_vgpr_workitem_id 0
		.amdhsa_next_free_vgpr 1
		.amdhsa_next_free_sgpr 0
		.amdhsa_reserve_vcc 0
		.amdhsa_reserve_flat_scratch 0
		.amdhsa_float_round_mode_32 0
		.amdhsa_float_round_mode_16_64 0
		.amdhsa_float_denorm_mode_32 3
		.amdhsa_float_denorm_mode_16_64 3
		.amdhsa_dx10_clamp 1
		.amdhsa_ieee_mode 1
		.amdhsa_fp16_overflow 0
		.amdhsa_exception_fp_ieee_invalid_op 0
		.amdhsa_exception_fp_denorm_src 0
		.amdhsa_exception_fp_ieee_div_zero 0
		.amdhsa_exception_fp_ieee_overflow 0
		.amdhsa_exception_fp_ieee_underflow 0
		.amdhsa_exception_fp_ieee_inexact 0
		.amdhsa_exception_int_div_zero 0
	.end_amdhsa_kernel
	.section	.text._ZN7rocprim17ROCPRIM_400000_NS6detail17trampoline_kernelINS0_14default_configENS1_27upper_bound_config_selectorIylEEZNS1_14transform_implILb0ES3_S5_N6thrust23THRUST_200600_302600_NS6detail15normal_iteratorINS8_7pointerIyNS8_11hip_rocprim5par_tENS8_11use_defaultESE_EEEENSA_INSB_IlSD_SE_SE_EEEEZNS1_13binary_searchIS3_S5_PySG_SI_NS1_21upper_bound_search_opENS9_16wrapped_functionINS8_6system6detail7generic6detail18binary_search_lessEbEEEE10hipError_tPvRmT1_T2_T3_mmT4_T5_P12ihipStream_tbEUlRKyE_EEST_SX_SY_mSZ_S12_bEUlT_E_NS1_11comp_targetILNS1_3genE10ELNS1_11target_archE1200ELNS1_3gpuE4ELNS1_3repE0EEENS1_30default_config_static_selectorELNS0_4arch9wavefront6targetE1EEEvSW_,"axG",@progbits,_ZN7rocprim17ROCPRIM_400000_NS6detail17trampoline_kernelINS0_14default_configENS1_27upper_bound_config_selectorIylEEZNS1_14transform_implILb0ES3_S5_N6thrust23THRUST_200600_302600_NS6detail15normal_iteratorINS8_7pointerIyNS8_11hip_rocprim5par_tENS8_11use_defaultESE_EEEENSA_INSB_IlSD_SE_SE_EEEEZNS1_13binary_searchIS3_S5_PySG_SI_NS1_21upper_bound_search_opENS9_16wrapped_functionINS8_6system6detail7generic6detail18binary_search_lessEbEEEE10hipError_tPvRmT1_T2_T3_mmT4_T5_P12ihipStream_tbEUlRKyE_EEST_SX_SY_mSZ_S12_bEUlT_E_NS1_11comp_targetILNS1_3genE10ELNS1_11target_archE1200ELNS1_3gpuE4ELNS1_3repE0EEENS1_30default_config_static_selectorELNS0_4arch9wavefront6targetE1EEEvSW_,comdat
.Lfunc_end188:
	.size	_ZN7rocprim17ROCPRIM_400000_NS6detail17trampoline_kernelINS0_14default_configENS1_27upper_bound_config_selectorIylEEZNS1_14transform_implILb0ES3_S5_N6thrust23THRUST_200600_302600_NS6detail15normal_iteratorINS8_7pointerIyNS8_11hip_rocprim5par_tENS8_11use_defaultESE_EEEENSA_INSB_IlSD_SE_SE_EEEEZNS1_13binary_searchIS3_S5_PySG_SI_NS1_21upper_bound_search_opENS9_16wrapped_functionINS8_6system6detail7generic6detail18binary_search_lessEbEEEE10hipError_tPvRmT1_T2_T3_mmT4_T5_P12ihipStream_tbEUlRKyE_EEST_SX_SY_mSZ_S12_bEUlT_E_NS1_11comp_targetILNS1_3genE10ELNS1_11target_archE1200ELNS1_3gpuE4ELNS1_3repE0EEENS1_30default_config_static_selectorELNS0_4arch9wavefront6targetE1EEEvSW_, .Lfunc_end188-_ZN7rocprim17ROCPRIM_400000_NS6detail17trampoline_kernelINS0_14default_configENS1_27upper_bound_config_selectorIylEEZNS1_14transform_implILb0ES3_S5_N6thrust23THRUST_200600_302600_NS6detail15normal_iteratorINS8_7pointerIyNS8_11hip_rocprim5par_tENS8_11use_defaultESE_EEEENSA_INSB_IlSD_SE_SE_EEEEZNS1_13binary_searchIS3_S5_PySG_SI_NS1_21upper_bound_search_opENS9_16wrapped_functionINS8_6system6detail7generic6detail18binary_search_lessEbEEEE10hipError_tPvRmT1_T2_T3_mmT4_T5_P12ihipStream_tbEUlRKyE_EEST_SX_SY_mSZ_S12_bEUlT_E_NS1_11comp_targetILNS1_3genE10ELNS1_11target_archE1200ELNS1_3gpuE4ELNS1_3repE0EEENS1_30default_config_static_selectorELNS0_4arch9wavefront6targetE1EEEvSW_
                                        ; -- End function
	.set _ZN7rocprim17ROCPRIM_400000_NS6detail17trampoline_kernelINS0_14default_configENS1_27upper_bound_config_selectorIylEEZNS1_14transform_implILb0ES3_S5_N6thrust23THRUST_200600_302600_NS6detail15normal_iteratorINS8_7pointerIyNS8_11hip_rocprim5par_tENS8_11use_defaultESE_EEEENSA_INSB_IlSD_SE_SE_EEEEZNS1_13binary_searchIS3_S5_PySG_SI_NS1_21upper_bound_search_opENS9_16wrapped_functionINS8_6system6detail7generic6detail18binary_search_lessEbEEEE10hipError_tPvRmT1_T2_T3_mmT4_T5_P12ihipStream_tbEUlRKyE_EEST_SX_SY_mSZ_S12_bEUlT_E_NS1_11comp_targetILNS1_3genE10ELNS1_11target_archE1200ELNS1_3gpuE4ELNS1_3repE0EEENS1_30default_config_static_selectorELNS0_4arch9wavefront6targetE1EEEvSW_.num_vgpr, 0
	.set _ZN7rocprim17ROCPRIM_400000_NS6detail17trampoline_kernelINS0_14default_configENS1_27upper_bound_config_selectorIylEEZNS1_14transform_implILb0ES3_S5_N6thrust23THRUST_200600_302600_NS6detail15normal_iteratorINS8_7pointerIyNS8_11hip_rocprim5par_tENS8_11use_defaultESE_EEEENSA_INSB_IlSD_SE_SE_EEEEZNS1_13binary_searchIS3_S5_PySG_SI_NS1_21upper_bound_search_opENS9_16wrapped_functionINS8_6system6detail7generic6detail18binary_search_lessEbEEEE10hipError_tPvRmT1_T2_T3_mmT4_T5_P12ihipStream_tbEUlRKyE_EEST_SX_SY_mSZ_S12_bEUlT_E_NS1_11comp_targetILNS1_3genE10ELNS1_11target_archE1200ELNS1_3gpuE4ELNS1_3repE0EEENS1_30default_config_static_selectorELNS0_4arch9wavefront6targetE1EEEvSW_.num_agpr, 0
	.set _ZN7rocprim17ROCPRIM_400000_NS6detail17trampoline_kernelINS0_14default_configENS1_27upper_bound_config_selectorIylEEZNS1_14transform_implILb0ES3_S5_N6thrust23THRUST_200600_302600_NS6detail15normal_iteratorINS8_7pointerIyNS8_11hip_rocprim5par_tENS8_11use_defaultESE_EEEENSA_INSB_IlSD_SE_SE_EEEEZNS1_13binary_searchIS3_S5_PySG_SI_NS1_21upper_bound_search_opENS9_16wrapped_functionINS8_6system6detail7generic6detail18binary_search_lessEbEEEE10hipError_tPvRmT1_T2_T3_mmT4_T5_P12ihipStream_tbEUlRKyE_EEST_SX_SY_mSZ_S12_bEUlT_E_NS1_11comp_targetILNS1_3genE10ELNS1_11target_archE1200ELNS1_3gpuE4ELNS1_3repE0EEENS1_30default_config_static_selectorELNS0_4arch9wavefront6targetE1EEEvSW_.numbered_sgpr, 0
	.set _ZN7rocprim17ROCPRIM_400000_NS6detail17trampoline_kernelINS0_14default_configENS1_27upper_bound_config_selectorIylEEZNS1_14transform_implILb0ES3_S5_N6thrust23THRUST_200600_302600_NS6detail15normal_iteratorINS8_7pointerIyNS8_11hip_rocprim5par_tENS8_11use_defaultESE_EEEENSA_INSB_IlSD_SE_SE_EEEEZNS1_13binary_searchIS3_S5_PySG_SI_NS1_21upper_bound_search_opENS9_16wrapped_functionINS8_6system6detail7generic6detail18binary_search_lessEbEEEE10hipError_tPvRmT1_T2_T3_mmT4_T5_P12ihipStream_tbEUlRKyE_EEST_SX_SY_mSZ_S12_bEUlT_E_NS1_11comp_targetILNS1_3genE10ELNS1_11target_archE1200ELNS1_3gpuE4ELNS1_3repE0EEENS1_30default_config_static_selectorELNS0_4arch9wavefront6targetE1EEEvSW_.num_named_barrier, 0
	.set _ZN7rocprim17ROCPRIM_400000_NS6detail17trampoline_kernelINS0_14default_configENS1_27upper_bound_config_selectorIylEEZNS1_14transform_implILb0ES3_S5_N6thrust23THRUST_200600_302600_NS6detail15normal_iteratorINS8_7pointerIyNS8_11hip_rocprim5par_tENS8_11use_defaultESE_EEEENSA_INSB_IlSD_SE_SE_EEEEZNS1_13binary_searchIS3_S5_PySG_SI_NS1_21upper_bound_search_opENS9_16wrapped_functionINS8_6system6detail7generic6detail18binary_search_lessEbEEEE10hipError_tPvRmT1_T2_T3_mmT4_T5_P12ihipStream_tbEUlRKyE_EEST_SX_SY_mSZ_S12_bEUlT_E_NS1_11comp_targetILNS1_3genE10ELNS1_11target_archE1200ELNS1_3gpuE4ELNS1_3repE0EEENS1_30default_config_static_selectorELNS0_4arch9wavefront6targetE1EEEvSW_.private_seg_size, 0
	.set _ZN7rocprim17ROCPRIM_400000_NS6detail17trampoline_kernelINS0_14default_configENS1_27upper_bound_config_selectorIylEEZNS1_14transform_implILb0ES3_S5_N6thrust23THRUST_200600_302600_NS6detail15normal_iteratorINS8_7pointerIyNS8_11hip_rocprim5par_tENS8_11use_defaultESE_EEEENSA_INSB_IlSD_SE_SE_EEEEZNS1_13binary_searchIS3_S5_PySG_SI_NS1_21upper_bound_search_opENS9_16wrapped_functionINS8_6system6detail7generic6detail18binary_search_lessEbEEEE10hipError_tPvRmT1_T2_T3_mmT4_T5_P12ihipStream_tbEUlRKyE_EEST_SX_SY_mSZ_S12_bEUlT_E_NS1_11comp_targetILNS1_3genE10ELNS1_11target_archE1200ELNS1_3gpuE4ELNS1_3repE0EEENS1_30default_config_static_selectorELNS0_4arch9wavefront6targetE1EEEvSW_.uses_vcc, 0
	.set _ZN7rocprim17ROCPRIM_400000_NS6detail17trampoline_kernelINS0_14default_configENS1_27upper_bound_config_selectorIylEEZNS1_14transform_implILb0ES3_S5_N6thrust23THRUST_200600_302600_NS6detail15normal_iteratorINS8_7pointerIyNS8_11hip_rocprim5par_tENS8_11use_defaultESE_EEEENSA_INSB_IlSD_SE_SE_EEEEZNS1_13binary_searchIS3_S5_PySG_SI_NS1_21upper_bound_search_opENS9_16wrapped_functionINS8_6system6detail7generic6detail18binary_search_lessEbEEEE10hipError_tPvRmT1_T2_T3_mmT4_T5_P12ihipStream_tbEUlRKyE_EEST_SX_SY_mSZ_S12_bEUlT_E_NS1_11comp_targetILNS1_3genE10ELNS1_11target_archE1200ELNS1_3gpuE4ELNS1_3repE0EEENS1_30default_config_static_selectorELNS0_4arch9wavefront6targetE1EEEvSW_.uses_flat_scratch, 0
	.set _ZN7rocprim17ROCPRIM_400000_NS6detail17trampoline_kernelINS0_14default_configENS1_27upper_bound_config_selectorIylEEZNS1_14transform_implILb0ES3_S5_N6thrust23THRUST_200600_302600_NS6detail15normal_iteratorINS8_7pointerIyNS8_11hip_rocprim5par_tENS8_11use_defaultESE_EEEENSA_INSB_IlSD_SE_SE_EEEEZNS1_13binary_searchIS3_S5_PySG_SI_NS1_21upper_bound_search_opENS9_16wrapped_functionINS8_6system6detail7generic6detail18binary_search_lessEbEEEE10hipError_tPvRmT1_T2_T3_mmT4_T5_P12ihipStream_tbEUlRKyE_EEST_SX_SY_mSZ_S12_bEUlT_E_NS1_11comp_targetILNS1_3genE10ELNS1_11target_archE1200ELNS1_3gpuE4ELNS1_3repE0EEENS1_30default_config_static_selectorELNS0_4arch9wavefront6targetE1EEEvSW_.has_dyn_sized_stack, 0
	.set _ZN7rocprim17ROCPRIM_400000_NS6detail17trampoline_kernelINS0_14default_configENS1_27upper_bound_config_selectorIylEEZNS1_14transform_implILb0ES3_S5_N6thrust23THRUST_200600_302600_NS6detail15normal_iteratorINS8_7pointerIyNS8_11hip_rocprim5par_tENS8_11use_defaultESE_EEEENSA_INSB_IlSD_SE_SE_EEEEZNS1_13binary_searchIS3_S5_PySG_SI_NS1_21upper_bound_search_opENS9_16wrapped_functionINS8_6system6detail7generic6detail18binary_search_lessEbEEEE10hipError_tPvRmT1_T2_T3_mmT4_T5_P12ihipStream_tbEUlRKyE_EEST_SX_SY_mSZ_S12_bEUlT_E_NS1_11comp_targetILNS1_3genE10ELNS1_11target_archE1200ELNS1_3gpuE4ELNS1_3repE0EEENS1_30default_config_static_selectorELNS0_4arch9wavefront6targetE1EEEvSW_.has_recursion, 0
	.set _ZN7rocprim17ROCPRIM_400000_NS6detail17trampoline_kernelINS0_14default_configENS1_27upper_bound_config_selectorIylEEZNS1_14transform_implILb0ES3_S5_N6thrust23THRUST_200600_302600_NS6detail15normal_iteratorINS8_7pointerIyNS8_11hip_rocprim5par_tENS8_11use_defaultESE_EEEENSA_INSB_IlSD_SE_SE_EEEEZNS1_13binary_searchIS3_S5_PySG_SI_NS1_21upper_bound_search_opENS9_16wrapped_functionINS8_6system6detail7generic6detail18binary_search_lessEbEEEE10hipError_tPvRmT1_T2_T3_mmT4_T5_P12ihipStream_tbEUlRKyE_EEST_SX_SY_mSZ_S12_bEUlT_E_NS1_11comp_targetILNS1_3genE10ELNS1_11target_archE1200ELNS1_3gpuE4ELNS1_3repE0EEENS1_30default_config_static_selectorELNS0_4arch9wavefront6targetE1EEEvSW_.has_indirect_call, 0
	.section	.AMDGPU.csdata,"",@progbits
; Kernel info:
; codeLenInByte = 0
; TotalNumSgprs: 4
; NumVgprs: 0
; ScratchSize: 0
; MemoryBound: 0
; FloatMode: 240
; IeeeMode: 1
; LDSByteSize: 0 bytes/workgroup (compile time only)
; SGPRBlocks: 0
; VGPRBlocks: 0
; NumSGPRsForWavesPerEU: 4
; NumVGPRsForWavesPerEU: 1
; Occupancy: 10
; WaveLimiterHint : 0
; COMPUTE_PGM_RSRC2:SCRATCH_EN: 0
; COMPUTE_PGM_RSRC2:USER_SGPR: 6
; COMPUTE_PGM_RSRC2:TRAP_HANDLER: 0
; COMPUTE_PGM_RSRC2:TGID_X_EN: 1
; COMPUTE_PGM_RSRC2:TGID_Y_EN: 0
; COMPUTE_PGM_RSRC2:TGID_Z_EN: 0
; COMPUTE_PGM_RSRC2:TIDIG_COMP_CNT: 0
	.section	.text._ZN7rocprim17ROCPRIM_400000_NS6detail17trampoline_kernelINS0_14default_configENS1_27upper_bound_config_selectorIylEEZNS1_14transform_implILb0ES3_S5_N6thrust23THRUST_200600_302600_NS6detail15normal_iteratorINS8_7pointerIyNS8_11hip_rocprim5par_tENS8_11use_defaultESE_EEEENSA_INSB_IlSD_SE_SE_EEEEZNS1_13binary_searchIS3_S5_PySG_SI_NS1_21upper_bound_search_opENS9_16wrapped_functionINS8_6system6detail7generic6detail18binary_search_lessEbEEEE10hipError_tPvRmT1_T2_T3_mmT4_T5_P12ihipStream_tbEUlRKyE_EEST_SX_SY_mSZ_S12_bEUlT_E_NS1_11comp_targetILNS1_3genE9ELNS1_11target_archE1100ELNS1_3gpuE3ELNS1_3repE0EEENS1_30default_config_static_selectorELNS0_4arch9wavefront6targetE1EEEvSW_,"axG",@progbits,_ZN7rocprim17ROCPRIM_400000_NS6detail17trampoline_kernelINS0_14default_configENS1_27upper_bound_config_selectorIylEEZNS1_14transform_implILb0ES3_S5_N6thrust23THRUST_200600_302600_NS6detail15normal_iteratorINS8_7pointerIyNS8_11hip_rocprim5par_tENS8_11use_defaultESE_EEEENSA_INSB_IlSD_SE_SE_EEEEZNS1_13binary_searchIS3_S5_PySG_SI_NS1_21upper_bound_search_opENS9_16wrapped_functionINS8_6system6detail7generic6detail18binary_search_lessEbEEEE10hipError_tPvRmT1_T2_T3_mmT4_T5_P12ihipStream_tbEUlRKyE_EEST_SX_SY_mSZ_S12_bEUlT_E_NS1_11comp_targetILNS1_3genE9ELNS1_11target_archE1100ELNS1_3gpuE3ELNS1_3repE0EEENS1_30default_config_static_selectorELNS0_4arch9wavefront6targetE1EEEvSW_,comdat
	.protected	_ZN7rocprim17ROCPRIM_400000_NS6detail17trampoline_kernelINS0_14default_configENS1_27upper_bound_config_selectorIylEEZNS1_14transform_implILb0ES3_S5_N6thrust23THRUST_200600_302600_NS6detail15normal_iteratorINS8_7pointerIyNS8_11hip_rocprim5par_tENS8_11use_defaultESE_EEEENSA_INSB_IlSD_SE_SE_EEEEZNS1_13binary_searchIS3_S5_PySG_SI_NS1_21upper_bound_search_opENS9_16wrapped_functionINS8_6system6detail7generic6detail18binary_search_lessEbEEEE10hipError_tPvRmT1_T2_T3_mmT4_T5_P12ihipStream_tbEUlRKyE_EEST_SX_SY_mSZ_S12_bEUlT_E_NS1_11comp_targetILNS1_3genE9ELNS1_11target_archE1100ELNS1_3gpuE3ELNS1_3repE0EEENS1_30default_config_static_selectorELNS0_4arch9wavefront6targetE1EEEvSW_ ; -- Begin function _ZN7rocprim17ROCPRIM_400000_NS6detail17trampoline_kernelINS0_14default_configENS1_27upper_bound_config_selectorIylEEZNS1_14transform_implILb0ES3_S5_N6thrust23THRUST_200600_302600_NS6detail15normal_iteratorINS8_7pointerIyNS8_11hip_rocprim5par_tENS8_11use_defaultESE_EEEENSA_INSB_IlSD_SE_SE_EEEEZNS1_13binary_searchIS3_S5_PySG_SI_NS1_21upper_bound_search_opENS9_16wrapped_functionINS8_6system6detail7generic6detail18binary_search_lessEbEEEE10hipError_tPvRmT1_T2_T3_mmT4_T5_P12ihipStream_tbEUlRKyE_EEST_SX_SY_mSZ_S12_bEUlT_E_NS1_11comp_targetILNS1_3genE9ELNS1_11target_archE1100ELNS1_3gpuE3ELNS1_3repE0EEENS1_30default_config_static_selectorELNS0_4arch9wavefront6targetE1EEEvSW_
	.globl	_ZN7rocprim17ROCPRIM_400000_NS6detail17trampoline_kernelINS0_14default_configENS1_27upper_bound_config_selectorIylEEZNS1_14transform_implILb0ES3_S5_N6thrust23THRUST_200600_302600_NS6detail15normal_iteratorINS8_7pointerIyNS8_11hip_rocprim5par_tENS8_11use_defaultESE_EEEENSA_INSB_IlSD_SE_SE_EEEEZNS1_13binary_searchIS3_S5_PySG_SI_NS1_21upper_bound_search_opENS9_16wrapped_functionINS8_6system6detail7generic6detail18binary_search_lessEbEEEE10hipError_tPvRmT1_T2_T3_mmT4_T5_P12ihipStream_tbEUlRKyE_EEST_SX_SY_mSZ_S12_bEUlT_E_NS1_11comp_targetILNS1_3genE9ELNS1_11target_archE1100ELNS1_3gpuE3ELNS1_3repE0EEENS1_30default_config_static_selectorELNS0_4arch9wavefront6targetE1EEEvSW_
	.p2align	8
	.type	_ZN7rocprim17ROCPRIM_400000_NS6detail17trampoline_kernelINS0_14default_configENS1_27upper_bound_config_selectorIylEEZNS1_14transform_implILb0ES3_S5_N6thrust23THRUST_200600_302600_NS6detail15normal_iteratorINS8_7pointerIyNS8_11hip_rocprim5par_tENS8_11use_defaultESE_EEEENSA_INSB_IlSD_SE_SE_EEEEZNS1_13binary_searchIS3_S5_PySG_SI_NS1_21upper_bound_search_opENS9_16wrapped_functionINS8_6system6detail7generic6detail18binary_search_lessEbEEEE10hipError_tPvRmT1_T2_T3_mmT4_T5_P12ihipStream_tbEUlRKyE_EEST_SX_SY_mSZ_S12_bEUlT_E_NS1_11comp_targetILNS1_3genE9ELNS1_11target_archE1100ELNS1_3gpuE3ELNS1_3repE0EEENS1_30default_config_static_selectorELNS0_4arch9wavefront6targetE1EEEvSW_,@function
_ZN7rocprim17ROCPRIM_400000_NS6detail17trampoline_kernelINS0_14default_configENS1_27upper_bound_config_selectorIylEEZNS1_14transform_implILb0ES3_S5_N6thrust23THRUST_200600_302600_NS6detail15normal_iteratorINS8_7pointerIyNS8_11hip_rocprim5par_tENS8_11use_defaultESE_EEEENSA_INSB_IlSD_SE_SE_EEEEZNS1_13binary_searchIS3_S5_PySG_SI_NS1_21upper_bound_search_opENS9_16wrapped_functionINS8_6system6detail7generic6detail18binary_search_lessEbEEEE10hipError_tPvRmT1_T2_T3_mmT4_T5_P12ihipStream_tbEUlRKyE_EEST_SX_SY_mSZ_S12_bEUlT_E_NS1_11comp_targetILNS1_3genE9ELNS1_11target_archE1100ELNS1_3gpuE3ELNS1_3repE0EEENS1_30default_config_static_selectorELNS0_4arch9wavefront6targetE1EEEvSW_: ; @_ZN7rocprim17ROCPRIM_400000_NS6detail17trampoline_kernelINS0_14default_configENS1_27upper_bound_config_selectorIylEEZNS1_14transform_implILb0ES3_S5_N6thrust23THRUST_200600_302600_NS6detail15normal_iteratorINS8_7pointerIyNS8_11hip_rocprim5par_tENS8_11use_defaultESE_EEEENSA_INSB_IlSD_SE_SE_EEEEZNS1_13binary_searchIS3_S5_PySG_SI_NS1_21upper_bound_search_opENS9_16wrapped_functionINS8_6system6detail7generic6detail18binary_search_lessEbEEEE10hipError_tPvRmT1_T2_T3_mmT4_T5_P12ihipStream_tbEUlRKyE_EEST_SX_SY_mSZ_S12_bEUlT_E_NS1_11comp_targetILNS1_3genE9ELNS1_11target_archE1100ELNS1_3gpuE3ELNS1_3repE0EEENS1_30default_config_static_selectorELNS0_4arch9wavefront6targetE1EEEvSW_
; %bb.0:
	.section	.rodata,"a",@progbits
	.p2align	6, 0x0
	.amdhsa_kernel _ZN7rocprim17ROCPRIM_400000_NS6detail17trampoline_kernelINS0_14default_configENS1_27upper_bound_config_selectorIylEEZNS1_14transform_implILb0ES3_S5_N6thrust23THRUST_200600_302600_NS6detail15normal_iteratorINS8_7pointerIyNS8_11hip_rocprim5par_tENS8_11use_defaultESE_EEEENSA_INSB_IlSD_SE_SE_EEEEZNS1_13binary_searchIS3_S5_PySG_SI_NS1_21upper_bound_search_opENS9_16wrapped_functionINS8_6system6detail7generic6detail18binary_search_lessEbEEEE10hipError_tPvRmT1_T2_T3_mmT4_T5_P12ihipStream_tbEUlRKyE_EEST_SX_SY_mSZ_S12_bEUlT_E_NS1_11comp_targetILNS1_3genE9ELNS1_11target_archE1100ELNS1_3gpuE3ELNS1_3repE0EEENS1_30default_config_static_selectorELNS0_4arch9wavefront6targetE1EEEvSW_
		.amdhsa_group_segment_fixed_size 0
		.amdhsa_private_segment_fixed_size 0
		.amdhsa_kernarg_size 56
		.amdhsa_user_sgpr_count 6
		.amdhsa_user_sgpr_private_segment_buffer 1
		.amdhsa_user_sgpr_dispatch_ptr 0
		.amdhsa_user_sgpr_queue_ptr 0
		.amdhsa_user_sgpr_kernarg_segment_ptr 1
		.amdhsa_user_sgpr_dispatch_id 0
		.amdhsa_user_sgpr_flat_scratch_init 0
		.amdhsa_user_sgpr_private_segment_size 0
		.amdhsa_uses_dynamic_stack 0
		.amdhsa_system_sgpr_private_segment_wavefront_offset 0
		.amdhsa_system_sgpr_workgroup_id_x 1
		.amdhsa_system_sgpr_workgroup_id_y 0
		.amdhsa_system_sgpr_workgroup_id_z 0
		.amdhsa_system_sgpr_workgroup_info 0
		.amdhsa_system_vgpr_workitem_id 0
		.amdhsa_next_free_vgpr 1
		.amdhsa_next_free_sgpr 0
		.amdhsa_reserve_vcc 0
		.amdhsa_reserve_flat_scratch 0
		.amdhsa_float_round_mode_32 0
		.amdhsa_float_round_mode_16_64 0
		.amdhsa_float_denorm_mode_32 3
		.amdhsa_float_denorm_mode_16_64 3
		.amdhsa_dx10_clamp 1
		.amdhsa_ieee_mode 1
		.amdhsa_fp16_overflow 0
		.amdhsa_exception_fp_ieee_invalid_op 0
		.amdhsa_exception_fp_denorm_src 0
		.amdhsa_exception_fp_ieee_div_zero 0
		.amdhsa_exception_fp_ieee_overflow 0
		.amdhsa_exception_fp_ieee_underflow 0
		.amdhsa_exception_fp_ieee_inexact 0
		.amdhsa_exception_int_div_zero 0
	.end_amdhsa_kernel
	.section	.text._ZN7rocprim17ROCPRIM_400000_NS6detail17trampoline_kernelINS0_14default_configENS1_27upper_bound_config_selectorIylEEZNS1_14transform_implILb0ES3_S5_N6thrust23THRUST_200600_302600_NS6detail15normal_iteratorINS8_7pointerIyNS8_11hip_rocprim5par_tENS8_11use_defaultESE_EEEENSA_INSB_IlSD_SE_SE_EEEEZNS1_13binary_searchIS3_S5_PySG_SI_NS1_21upper_bound_search_opENS9_16wrapped_functionINS8_6system6detail7generic6detail18binary_search_lessEbEEEE10hipError_tPvRmT1_T2_T3_mmT4_T5_P12ihipStream_tbEUlRKyE_EEST_SX_SY_mSZ_S12_bEUlT_E_NS1_11comp_targetILNS1_3genE9ELNS1_11target_archE1100ELNS1_3gpuE3ELNS1_3repE0EEENS1_30default_config_static_selectorELNS0_4arch9wavefront6targetE1EEEvSW_,"axG",@progbits,_ZN7rocprim17ROCPRIM_400000_NS6detail17trampoline_kernelINS0_14default_configENS1_27upper_bound_config_selectorIylEEZNS1_14transform_implILb0ES3_S5_N6thrust23THRUST_200600_302600_NS6detail15normal_iteratorINS8_7pointerIyNS8_11hip_rocprim5par_tENS8_11use_defaultESE_EEEENSA_INSB_IlSD_SE_SE_EEEEZNS1_13binary_searchIS3_S5_PySG_SI_NS1_21upper_bound_search_opENS9_16wrapped_functionINS8_6system6detail7generic6detail18binary_search_lessEbEEEE10hipError_tPvRmT1_T2_T3_mmT4_T5_P12ihipStream_tbEUlRKyE_EEST_SX_SY_mSZ_S12_bEUlT_E_NS1_11comp_targetILNS1_3genE9ELNS1_11target_archE1100ELNS1_3gpuE3ELNS1_3repE0EEENS1_30default_config_static_selectorELNS0_4arch9wavefront6targetE1EEEvSW_,comdat
.Lfunc_end189:
	.size	_ZN7rocprim17ROCPRIM_400000_NS6detail17trampoline_kernelINS0_14default_configENS1_27upper_bound_config_selectorIylEEZNS1_14transform_implILb0ES3_S5_N6thrust23THRUST_200600_302600_NS6detail15normal_iteratorINS8_7pointerIyNS8_11hip_rocprim5par_tENS8_11use_defaultESE_EEEENSA_INSB_IlSD_SE_SE_EEEEZNS1_13binary_searchIS3_S5_PySG_SI_NS1_21upper_bound_search_opENS9_16wrapped_functionINS8_6system6detail7generic6detail18binary_search_lessEbEEEE10hipError_tPvRmT1_T2_T3_mmT4_T5_P12ihipStream_tbEUlRKyE_EEST_SX_SY_mSZ_S12_bEUlT_E_NS1_11comp_targetILNS1_3genE9ELNS1_11target_archE1100ELNS1_3gpuE3ELNS1_3repE0EEENS1_30default_config_static_selectorELNS0_4arch9wavefront6targetE1EEEvSW_, .Lfunc_end189-_ZN7rocprim17ROCPRIM_400000_NS6detail17trampoline_kernelINS0_14default_configENS1_27upper_bound_config_selectorIylEEZNS1_14transform_implILb0ES3_S5_N6thrust23THRUST_200600_302600_NS6detail15normal_iteratorINS8_7pointerIyNS8_11hip_rocprim5par_tENS8_11use_defaultESE_EEEENSA_INSB_IlSD_SE_SE_EEEEZNS1_13binary_searchIS3_S5_PySG_SI_NS1_21upper_bound_search_opENS9_16wrapped_functionINS8_6system6detail7generic6detail18binary_search_lessEbEEEE10hipError_tPvRmT1_T2_T3_mmT4_T5_P12ihipStream_tbEUlRKyE_EEST_SX_SY_mSZ_S12_bEUlT_E_NS1_11comp_targetILNS1_3genE9ELNS1_11target_archE1100ELNS1_3gpuE3ELNS1_3repE0EEENS1_30default_config_static_selectorELNS0_4arch9wavefront6targetE1EEEvSW_
                                        ; -- End function
	.set _ZN7rocprim17ROCPRIM_400000_NS6detail17trampoline_kernelINS0_14default_configENS1_27upper_bound_config_selectorIylEEZNS1_14transform_implILb0ES3_S5_N6thrust23THRUST_200600_302600_NS6detail15normal_iteratorINS8_7pointerIyNS8_11hip_rocprim5par_tENS8_11use_defaultESE_EEEENSA_INSB_IlSD_SE_SE_EEEEZNS1_13binary_searchIS3_S5_PySG_SI_NS1_21upper_bound_search_opENS9_16wrapped_functionINS8_6system6detail7generic6detail18binary_search_lessEbEEEE10hipError_tPvRmT1_T2_T3_mmT4_T5_P12ihipStream_tbEUlRKyE_EEST_SX_SY_mSZ_S12_bEUlT_E_NS1_11comp_targetILNS1_3genE9ELNS1_11target_archE1100ELNS1_3gpuE3ELNS1_3repE0EEENS1_30default_config_static_selectorELNS0_4arch9wavefront6targetE1EEEvSW_.num_vgpr, 0
	.set _ZN7rocprim17ROCPRIM_400000_NS6detail17trampoline_kernelINS0_14default_configENS1_27upper_bound_config_selectorIylEEZNS1_14transform_implILb0ES3_S5_N6thrust23THRUST_200600_302600_NS6detail15normal_iteratorINS8_7pointerIyNS8_11hip_rocprim5par_tENS8_11use_defaultESE_EEEENSA_INSB_IlSD_SE_SE_EEEEZNS1_13binary_searchIS3_S5_PySG_SI_NS1_21upper_bound_search_opENS9_16wrapped_functionINS8_6system6detail7generic6detail18binary_search_lessEbEEEE10hipError_tPvRmT1_T2_T3_mmT4_T5_P12ihipStream_tbEUlRKyE_EEST_SX_SY_mSZ_S12_bEUlT_E_NS1_11comp_targetILNS1_3genE9ELNS1_11target_archE1100ELNS1_3gpuE3ELNS1_3repE0EEENS1_30default_config_static_selectorELNS0_4arch9wavefront6targetE1EEEvSW_.num_agpr, 0
	.set _ZN7rocprim17ROCPRIM_400000_NS6detail17trampoline_kernelINS0_14default_configENS1_27upper_bound_config_selectorIylEEZNS1_14transform_implILb0ES3_S5_N6thrust23THRUST_200600_302600_NS6detail15normal_iteratorINS8_7pointerIyNS8_11hip_rocprim5par_tENS8_11use_defaultESE_EEEENSA_INSB_IlSD_SE_SE_EEEEZNS1_13binary_searchIS3_S5_PySG_SI_NS1_21upper_bound_search_opENS9_16wrapped_functionINS8_6system6detail7generic6detail18binary_search_lessEbEEEE10hipError_tPvRmT1_T2_T3_mmT4_T5_P12ihipStream_tbEUlRKyE_EEST_SX_SY_mSZ_S12_bEUlT_E_NS1_11comp_targetILNS1_3genE9ELNS1_11target_archE1100ELNS1_3gpuE3ELNS1_3repE0EEENS1_30default_config_static_selectorELNS0_4arch9wavefront6targetE1EEEvSW_.numbered_sgpr, 0
	.set _ZN7rocprim17ROCPRIM_400000_NS6detail17trampoline_kernelINS0_14default_configENS1_27upper_bound_config_selectorIylEEZNS1_14transform_implILb0ES3_S5_N6thrust23THRUST_200600_302600_NS6detail15normal_iteratorINS8_7pointerIyNS8_11hip_rocprim5par_tENS8_11use_defaultESE_EEEENSA_INSB_IlSD_SE_SE_EEEEZNS1_13binary_searchIS3_S5_PySG_SI_NS1_21upper_bound_search_opENS9_16wrapped_functionINS8_6system6detail7generic6detail18binary_search_lessEbEEEE10hipError_tPvRmT1_T2_T3_mmT4_T5_P12ihipStream_tbEUlRKyE_EEST_SX_SY_mSZ_S12_bEUlT_E_NS1_11comp_targetILNS1_3genE9ELNS1_11target_archE1100ELNS1_3gpuE3ELNS1_3repE0EEENS1_30default_config_static_selectorELNS0_4arch9wavefront6targetE1EEEvSW_.num_named_barrier, 0
	.set _ZN7rocprim17ROCPRIM_400000_NS6detail17trampoline_kernelINS0_14default_configENS1_27upper_bound_config_selectorIylEEZNS1_14transform_implILb0ES3_S5_N6thrust23THRUST_200600_302600_NS6detail15normal_iteratorINS8_7pointerIyNS8_11hip_rocprim5par_tENS8_11use_defaultESE_EEEENSA_INSB_IlSD_SE_SE_EEEEZNS1_13binary_searchIS3_S5_PySG_SI_NS1_21upper_bound_search_opENS9_16wrapped_functionINS8_6system6detail7generic6detail18binary_search_lessEbEEEE10hipError_tPvRmT1_T2_T3_mmT4_T5_P12ihipStream_tbEUlRKyE_EEST_SX_SY_mSZ_S12_bEUlT_E_NS1_11comp_targetILNS1_3genE9ELNS1_11target_archE1100ELNS1_3gpuE3ELNS1_3repE0EEENS1_30default_config_static_selectorELNS0_4arch9wavefront6targetE1EEEvSW_.private_seg_size, 0
	.set _ZN7rocprim17ROCPRIM_400000_NS6detail17trampoline_kernelINS0_14default_configENS1_27upper_bound_config_selectorIylEEZNS1_14transform_implILb0ES3_S5_N6thrust23THRUST_200600_302600_NS6detail15normal_iteratorINS8_7pointerIyNS8_11hip_rocprim5par_tENS8_11use_defaultESE_EEEENSA_INSB_IlSD_SE_SE_EEEEZNS1_13binary_searchIS3_S5_PySG_SI_NS1_21upper_bound_search_opENS9_16wrapped_functionINS8_6system6detail7generic6detail18binary_search_lessEbEEEE10hipError_tPvRmT1_T2_T3_mmT4_T5_P12ihipStream_tbEUlRKyE_EEST_SX_SY_mSZ_S12_bEUlT_E_NS1_11comp_targetILNS1_3genE9ELNS1_11target_archE1100ELNS1_3gpuE3ELNS1_3repE0EEENS1_30default_config_static_selectorELNS0_4arch9wavefront6targetE1EEEvSW_.uses_vcc, 0
	.set _ZN7rocprim17ROCPRIM_400000_NS6detail17trampoline_kernelINS0_14default_configENS1_27upper_bound_config_selectorIylEEZNS1_14transform_implILb0ES3_S5_N6thrust23THRUST_200600_302600_NS6detail15normal_iteratorINS8_7pointerIyNS8_11hip_rocprim5par_tENS8_11use_defaultESE_EEEENSA_INSB_IlSD_SE_SE_EEEEZNS1_13binary_searchIS3_S5_PySG_SI_NS1_21upper_bound_search_opENS9_16wrapped_functionINS8_6system6detail7generic6detail18binary_search_lessEbEEEE10hipError_tPvRmT1_T2_T3_mmT4_T5_P12ihipStream_tbEUlRKyE_EEST_SX_SY_mSZ_S12_bEUlT_E_NS1_11comp_targetILNS1_3genE9ELNS1_11target_archE1100ELNS1_3gpuE3ELNS1_3repE0EEENS1_30default_config_static_selectorELNS0_4arch9wavefront6targetE1EEEvSW_.uses_flat_scratch, 0
	.set _ZN7rocprim17ROCPRIM_400000_NS6detail17trampoline_kernelINS0_14default_configENS1_27upper_bound_config_selectorIylEEZNS1_14transform_implILb0ES3_S5_N6thrust23THRUST_200600_302600_NS6detail15normal_iteratorINS8_7pointerIyNS8_11hip_rocprim5par_tENS8_11use_defaultESE_EEEENSA_INSB_IlSD_SE_SE_EEEEZNS1_13binary_searchIS3_S5_PySG_SI_NS1_21upper_bound_search_opENS9_16wrapped_functionINS8_6system6detail7generic6detail18binary_search_lessEbEEEE10hipError_tPvRmT1_T2_T3_mmT4_T5_P12ihipStream_tbEUlRKyE_EEST_SX_SY_mSZ_S12_bEUlT_E_NS1_11comp_targetILNS1_3genE9ELNS1_11target_archE1100ELNS1_3gpuE3ELNS1_3repE0EEENS1_30default_config_static_selectorELNS0_4arch9wavefront6targetE1EEEvSW_.has_dyn_sized_stack, 0
	.set _ZN7rocprim17ROCPRIM_400000_NS6detail17trampoline_kernelINS0_14default_configENS1_27upper_bound_config_selectorIylEEZNS1_14transform_implILb0ES3_S5_N6thrust23THRUST_200600_302600_NS6detail15normal_iteratorINS8_7pointerIyNS8_11hip_rocprim5par_tENS8_11use_defaultESE_EEEENSA_INSB_IlSD_SE_SE_EEEEZNS1_13binary_searchIS3_S5_PySG_SI_NS1_21upper_bound_search_opENS9_16wrapped_functionINS8_6system6detail7generic6detail18binary_search_lessEbEEEE10hipError_tPvRmT1_T2_T3_mmT4_T5_P12ihipStream_tbEUlRKyE_EEST_SX_SY_mSZ_S12_bEUlT_E_NS1_11comp_targetILNS1_3genE9ELNS1_11target_archE1100ELNS1_3gpuE3ELNS1_3repE0EEENS1_30default_config_static_selectorELNS0_4arch9wavefront6targetE1EEEvSW_.has_recursion, 0
	.set _ZN7rocprim17ROCPRIM_400000_NS6detail17trampoline_kernelINS0_14default_configENS1_27upper_bound_config_selectorIylEEZNS1_14transform_implILb0ES3_S5_N6thrust23THRUST_200600_302600_NS6detail15normal_iteratorINS8_7pointerIyNS8_11hip_rocprim5par_tENS8_11use_defaultESE_EEEENSA_INSB_IlSD_SE_SE_EEEEZNS1_13binary_searchIS3_S5_PySG_SI_NS1_21upper_bound_search_opENS9_16wrapped_functionINS8_6system6detail7generic6detail18binary_search_lessEbEEEE10hipError_tPvRmT1_T2_T3_mmT4_T5_P12ihipStream_tbEUlRKyE_EEST_SX_SY_mSZ_S12_bEUlT_E_NS1_11comp_targetILNS1_3genE9ELNS1_11target_archE1100ELNS1_3gpuE3ELNS1_3repE0EEENS1_30default_config_static_selectorELNS0_4arch9wavefront6targetE1EEEvSW_.has_indirect_call, 0
	.section	.AMDGPU.csdata,"",@progbits
; Kernel info:
; codeLenInByte = 0
; TotalNumSgprs: 4
; NumVgprs: 0
; ScratchSize: 0
; MemoryBound: 0
; FloatMode: 240
; IeeeMode: 1
; LDSByteSize: 0 bytes/workgroup (compile time only)
; SGPRBlocks: 0
; VGPRBlocks: 0
; NumSGPRsForWavesPerEU: 4
; NumVGPRsForWavesPerEU: 1
; Occupancy: 10
; WaveLimiterHint : 0
; COMPUTE_PGM_RSRC2:SCRATCH_EN: 0
; COMPUTE_PGM_RSRC2:USER_SGPR: 6
; COMPUTE_PGM_RSRC2:TRAP_HANDLER: 0
; COMPUTE_PGM_RSRC2:TGID_X_EN: 1
; COMPUTE_PGM_RSRC2:TGID_Y_EN: 0
; COMPUTE_PGM_RSRC2:TGID_Z_EN: 0
; COMPUTE_PGM_RSRC2:TIDIG_COMP_CNT: 0
	.section	.text._ZN7rocprim17ROCPRIM_400000_NS6detail17trampoline_kernelINS0_14default_configENS1_27upper_bound_config_selectorIylEEZNS1_14transform_implILb0ES3_S5_N6thrust23THRUST_200600_302600_NS6detail15normal_iteratorINS8_7pointerIyNS8_11hip_rocprim5par_tENS8_11use_defaultESE_EEEENSA_INSB_IlSD_SE_SE_EEEEZNS1_13binary_searchIS3_S5_PySG_SI_NS1_21upper_bound_search_opENS9_16wrapped_functionINS8_6system6detail7generic6detail18binary_search_lessEbEEEE10hipError_tPvRmT1_T2_T3_mmT4_T5_P12ihipStream_tbEUlRKyE_EEST_SX_SY_mSZ_S12_bEUlT_E_NS1_11comp_targetILNS1_3genE8ELNS1_11target_archE1030ELNS1_3gpuE2ELNS1_3repE0EEENS1_30default_config_static_selectorELNS0_4arch9wavefront6targetE1EEEvSW_,"axG",@progbits,_ZN7rocprim17ROCPRIM_400000_NS6detail17trampoline_kernelINS0_14default_configENS1_27upper_bound_config_selectorIylEEZNS1_14transform_implILb0ES3_S5_N6thrust23THRUST_200600_302600_NS6detail15normal_iteratorINS8_7pointerIyNS8_11hip_rocprim5par_tENS8_11use_defaultESE_EEEENSA_INSB_IlSD_SE_SE_EEEEZNS1_13binary_searchIS3_S5_PySG_SI_NS1_21upper_bound_search_opENS9_16wrapped_functionINS8_6system6detail7generic6detail18binary_search_lessEbEEEE10hipError_tPvRmT1_T2_T3_mmT4_T5_P12ihipStream_tbEUlRKyE_EEST_SX_SY_mSZ_S12_bEUlT_E_NS1_11comp_targetILNS1_3genE8ELNS1_11target_archE1030ELNS1_3gpuE2ELNS1_3repE0EEENS1_30default_config_static_selectorELNS0_4arch9wavefront6targetE1EEEvSW_,comdat
	.protected	_ZN7rocprim17ROCPRIM_400000_NS6detail17trampoline_kernelINS0_14default_configENS1_27upper_bound_config_selectorIylEEZNS1_14transform_implILb0ES3_S5_N6thrust23THRUST_200600_302600_NS6detail15normal_iteratorINS8_7pointerIyNS8_11hip_rocprim5par_tENS8_11use_defaultESE_EEEENSA_INSB_IlSD_SE_SE_EEEEZNS1_13binary_searchIS3_S5_PySG_SI_NS1_21upper_bound_search_opENS9_16wrapped_functionINS8_6system6detail7generic6detail18binary_search_lessEbEEEE10hipError_tPvRmT1_T2_T3_mmT4_T5_P12ihipStream_tbEUlRKyE_EEST_SX_SY_mSZ_S12_bEUlT_E_NS1_11comp_targetILNS1_3genE8ELNS1_11target_archE1030ELNS1_3gpuE2ELNS1_3repE0EEENS1_30default_config_static_selectorELNS0_4arch9wavefront6targetE1EEEvSW_ ; -- Begin function _ZN7rocprim17ROCPRIM_400000_NS6detail17trampoline_kernelINS0_14default_configENS1_27upper_bound_config_selectorIylEEZNS1_14transform_implILb0ES3_S5_N6thrust23THRUST_200600_302600_NS6detail15normal_iteratorINS8_7pointerIyNS8_11hip_rocprim5par_tENS8_11use_defaultESE_EEEENSA_INSB_IlSD_SE_SE_EEEEZNS1_13binary_searchIS3_S5_PySG_SI_NS1_21upper_bound_search_opENS9_16wrapped_functionINS8_6system6detail7generic6detail18binary_search_lessEbEEEE10hipError_tPvRmT1_T2_T3_mmT4_T5_P12ihipStream_tbEUlRKyE_EEST_SX_SY_mSZ_S12_bEUlT_E_NS1_11comp_targetILNS1_3genE8ELNS1_11target_archE1030ELNS1_3gpuE2ELNS1_3repE0EEENS1_30default_config_static_selectorELNS0_4arch9wavefront6targetE1EEEvSW_
	.globl	_ZN7rocprim17ROCPRIM_400000_NS6detail17trampoline_kernelINS0_14default_configENS1_27upper_bound_config_selectorIylEEZNS1_14transform_implILb0ES3_S5_N6thrust23THRUST_200600_302600_NS6detail15normal_iteratorINS8_7pointerIyNS8_11hip_rocprim5par_tENS8_11use_defaultESE_EEEENSA_INSB_IlSD_SE_SE_EEEEZNS1_13binary_searchIS3_S5_PySG_SI_NS1_21upper_bound_search_opENS9_16wrapped_functionINS8_6system6detail7generic6detail18binary_search_lessEbEEEE10hipError_tPvRmT1_T2_T3_mmT4_T5_P12ihipStream_tbEUlRKyE_EEST_SX_SY_mSZ_S12_bEUlT_E_NS1_11comp_targetILNS1_3genE8ELNS1_11target_archE1030ELNS1_3gpuE2ELNS1_3repE0EEENS1_30default_config_static_selectorELNS0_4arch9wavefront6targetE1EEEvSW_
	.p2align	8
	.type	_ZN7rocprim17ROCPRIM_400000_NS6detail17trampoline_kernelINS0_14default_configENS1_27upper_bound_config_selectorIylEEZNS1_14transform_implILb0ES3_S5_N6thrust23THRUST_200600_302600_NS6detail15normal_iteratorINS8_7pointerIyNS8_11hip_rocprim5par_tENS8_11use_defaultESE_EEEENSA_INSB_IlSD_SE_SE_EEEEZNS1_13binary_searchIS3_S5_PySG_SI_NS1_21upper_bound_search_opENS9_16wrapped_functionINS8_6system6detail7generic6detail18binary_search_lessEbEEEE10hipError_tPvRmT1_T2_T3_mmT4_T5_P12ihipStream_tbEUlRKyE_EEST_SX_SY_mSZ_S12_bEUlT_E_NS1_11comp_targetILNS1_3genE8ELNS1_11target_archE1030ELNS1_3gpuE2ELNS1_3repE0EEENS1_30default_config_static_selectorELNS0_4arch9wavefront6targetE1EEEvSW_,@function
_ZN7rocprim17ROCPRIM_400000_NS6detail17trampoline_kernelINS0_14default_configENS1_27upper_bound_config_selectorIylEEZNS1_14transform_implILb0ES3_S5_N6thrust23THRUST_200600_302600_NS6detail15normal_iteratorINS8_7pointerIyNS8_11hip_rocprim5par_tENS8_11use_defaultESE_EEEENSA_INSB_IlSD_SE_SE_EEEEZNS1_13binary_searchIS3_S5_PySG_SI_NS1_21upper_bound_search_opENS9_16wrapped_functionINS8_6system6detail7generic6detail18binary_search_lessEbEEEE10hipError_tPvRmT1_T2_T3_mmT4_T5_P12ihipStream_tbEUlRKyE_EEST_SX_SY_mSZ_S12_bEUlT_E_NS1_11comp_targetILNS1_3genE8ELNS1_11target_archE1030ELNS1_3gpuE2ELNS1_3repE0EEENS1_30default_config_static_selectorELNS0_4arch9wavefront6targetE1EEEvSW_: ; @_ZN7rocprim17ROCPRIM_400000_NS6detail17trampoline_kernelINS0_14default_configENS1_27upper_bound_config_selectorIylEEZNS1_14transform_implILb0ES3_S5_N6thrust23THRUST_200600_302600_NS6detail15normal_iteratorINS8_7pointerIyNS8_11hip_rocprim5par_tENS8_11use_defaultESE_EEEENSA_INSB_IlSD_SE_SE_EEEEZNS1_13binary_searchIS3_S5_PySG_SI_NS1_21upper_bound_search_opENS9_16wrapped_functionINS8_6system6detail7generic6detail18binary_search_lessEbEEEE10hipError_tPvRmT1_T2_T3_mmT4_T5_P12ihipStream_tbEUlRKyE_EEST_SX_SY_mSZ_S12_bEUlT_E_NS1_11comp_targetILNS1_3genE8ELNS1_11target_archE1030ELNS1_3gpuE2ELNS1_3repE0EEENS1_30default_config_static_selectorELNS0_4arch9wavefront6targetE1EEEvSW_
; %bb.0:
	.section	.rodata,"a",@progbits
	.p2align	6, 0x0
	.amdhsa_kernel _ZN7rocprim17ROCPRIM_400000_NS6detail17trampoline_kernelINS0_14default_configENS1_27upper_bound_config_selectorIylEEZNS1_14transform_implILb0ES3_S5_N6thrust23THRUST_200600_302600_NS6detail15normal_iteratorINS8_7pointerIyNS8_11hip_rocprim5par_tENS8_11use_defaultESE_EEEENSA_INSB_IlSD_SE_SE_EEEEZNS1_13binary_searchIS3_S5_PySG_SI_NS1_21upper_bound_search_opENS9_16wrapped_functionINS8_6system6detail7generic6detail18binary_search_lessEbEEEE10hipError_tPvRmT1_T2_T3_mmT4_T5_P12ihipStream_tbEUlRKyE_EEST_SX_SY_mSZ_S12_bEUlT_E_NS1_11comp_targetILNS1_3genE8ELNS1_11target_archE1030ELNS1_3gpuE2ELNS1_3repE0EEENS1_30default_config_static_selectorELNS0_4arch9wavefront6targetE1EEEvSW_
		.amdhsa_group_segment_fixed_size 0
		.amdhsa_private_segment_fixed_size 0
		.amdhsa_kernarg_size 56
		.amdhsa_user_sgpr_count 6
		.amdhsa_user_sgpr_private_segment_buffer 1
		.amdhsa_user_sgpr_dispatch_ptr 0
		.amdhsa_user_sgpr_queue_ptr 0
		.amdhsa_user_sgpr_kernarg_segment_ptr 1
		.amdhsa_user_sgpr_dispatch_id 0
		.amdhsa_user_sgpr_flat_scratch_init 0
		.amdhsa_user_sgpr_private_segment_size 0
		.amdhsa_uses_dynamic_stack 0
		.amdhsa_system_sgpr_private_segment_wavefront_offset 0
		.amdhsa_system_sgpr_workgroup_id_x 1
		.amdhsa_system_sgpr_workgroup_id_y 0
		.amdhsa_system_sgpr_workgroup_id_z 0
		.amdhsa_system_sgpr_workgroup_info 0
		.amdhsa_system_vgpr_workitem_id 0
		.amdhsa_next_free_vgpr 1
		.amdhsa_next_free_sgpr 0
		.amdhsa_reserve_vcc 0
		.amdhsa_reserve_flat_scratch 0
		.amdhsa_float_round_mode_32 0
		.amdhsa_float_round_mode_16_64 0
		.amdhsa_float_denorm_mode_32 3
		.amdhsa_float_denorm_mode_16_64 3
		.amdhsa_dx10_clamp 1
		.amdhsa_ieee_mode 1
		.amdhsa_fp16_overflow 0
		.amdhsa_exception_fp_ieee_invalid_op 0
		.amdhsa_exception_fp_denorm_src 0
		.amdhsa_exception_fp_ieee_div_zero 0
		.amdhsa_exception_fp_ieee_overflow 0
		.amdhsa_exception_fp_ieee_underflow 0
		.amdhsa_exception_fp_ieee_inexact 0
		.amdhsa_exception_int_div_zero 0
	.end_amdhsa_kernel
	.section	.text._ZN7rocprim17ROCPRIM_400000_NS6detail17trampoline_kernelINS0_14default_configENS1_27upper_bound_config_selectorIylEEZNS1_14transform_implILb0ES3_S5_N6thrust23THRUST_200600_302600_NS6detail15normal_iteratorINS8_7pointerIyNS8_11hip_rocprim5par_tENS8_11use_defaultESE_EEEENSA_INSB_IlSD_SE_SE_EEEEZNS1_13binary_searchIS3_S5_PySG_SI_NS1_21upper_bound_search_opENS9_16wrapped_functionINS8_6system6detail7generic6detail18binary_search_lessEbEEEE10hipError_tPvRmT1_T2_T3_mmT4_T5_P12ihipStream_tbEUlRKyE_EEST_SX_SY_mSZ_S12_bEUlT_E_NS1_11comp_targetILNS1_3genE8ELNS1_11target_archE1030ELNS1_3gpuE2ELNS1_3repE0EEENS1_30default_config_static_selectorELNS0_4arch9wavefront6targetE1EEEvSW_,"axG",@progbits,_ZN7rocprim17ROCPRIM_400000_NS6detail17trampoline_kernelINS0_14default_configENS1_27upper_bound_config_selectorIylEEZNS1_14transform_implILb0ES3_S5_N6thrust23THRUST_200600_302600_NS6detail15normal_iteratorINS8_7pointerIyNS8_11hip_rocprim5par_tENS8_11use_defaultESE_EEEENSA_INSB_IlSD_SE_SE_EEEEZNS1_13binary_searchIS3_S5_PySG_SI_NS1_21upper_bound_search_opENS9_16wrapped_functionINS8_6system6detail7generic6detail18binary_search_lessEbEEEE10hipError_tPvRmT1_T2_T3_mmT4_T5_P12ihipStream_tbEUlRKyE_EEST_SX_SY_mSZ_S12_bEUlT_E_NS1_11comp_targetILNS1_3genE8ELNS1_11target_archE1030ELNS1_3gpuE2ELNS1_3repE0EEENS1_30default_config_static_selectorELNS0_4arch9wavefront6targetE1EEEvSW_,comdat
.Lfunc_end190:
	.size	_ZN7rocprim17ROCPRIM_400000_NS6detail17trampoline_kernelINS0_14default_configENS1_27upper_bound_config_selectorIylEEZNS1_14transform_implILb0ES3_S5_N6thrust23THRUST_200600_302600_NS6detail15normal_iteratorINS8_7pointerIyNS8_11hip_rocprim5par_tENS8_11use_defaultESE_EEEENSA_INSB_IlSD_SE_SE_EEEEZNS1_13binary_searchIS3_S5_PySG_SI_NS1_21upper_bound_search_opENS9_16wrapped_functionINS8_6system6detail7generic6detail18binary_search_lessEbEEEE10hipError_tPvRmT1_T2_T3_mmT4_T5_P12ihipStream_tbEUlRKyE_EEST_SX_SY_mSZ_S12_bEUlT_E_NS1_11comp_targetILNS1_3genE8ELNS1_11target_archE1030ELNS1_3gpuE2ELNS1_3repE0EEENS1_30default_config_static_selectorELNS0_4arch9wavefront6targetE1EEEvSW_, .Lfunc_end190-_ZN7rocprim17ROCPRIM_400000_NS6detail17trampoline_kernelINS0_14default_configENS1_27upper_bound_config_selectorIylEEZNS1_14transform_implILb0ES3_S5_N6thrust23THRUST_200600_302600_NS6detail15normal_iteratorINS8_7pointerIyNS8_11hip_rocprim5par_tENS8_11use_defaultESE_EEEENSA_INSB_IlSD_SE_SE_EEEEZNS1_13binary_searchIS3_S5_PySG_SI_NS1_21upper_bound_search_opENS9_16wrapped_functionINS8_6system6detail7generic6detail18binary_search_lessEbEEEE10hipError_tPvRmT1_T2_T3_mmT4_T5_P12ihipStream_tbEUlRKyE_EEST_SX_SY_mSZ_S12_bEUlT_E_NS1_11comp_targetILNS1_3genE8ELNS1_11target_archE1030ELNS1_3gpuE2ELNS1_3repE0EEENS1_30default_config_static_selectorELNS0_4arch9wavefront6targetE1EEEvSW_
                                        ; -- End function
	.set _ZN7rocprim17ROCPRIM_400000_NS6detail17trampoline_kernelINS0_14default_configENS1_27upper_bound_config_selectorIylEEZNS1_14transform_implILb0ES3_S5_N6thrust23THRUST_200600_302600_NS6detail15normal_iteratorINS8_7pointerIyNS8_11hip_rocprim5par_tENS8_11use_defaultESE_EEEENSA_INSB_IlSD_SE_SE_EEEEZNS1_13binary_searchIS3_S5_PySG_SI_NS1_21upper_bound_search_opENS9_16wrapped_functionINS8_6system6detail7generic6detail18binary_search_lessEbEEEE10hipError_tPvRmT1_T2_T3_mmT4_T5_P12ihipStream_tbEUlRKyE_EEST_SX_SY_mSZ_S12_bEUlT_E_NS1_11comp_targetILNS1_3genE8ELNS1_11target_archE1030ELNS1_3gpuE2ELNS1_3repE0EEENS1_30default_config_static_selectorELNS0_4arch9wavefront6targetE1EEEvSW_.num_vgpr, 0
	.set _ZN7rocprim17ROCPRIM_400000_NS6detail17trampoline_kernelINS0_14default_configENS1_27upper_bound_config_selectorIylEEZNS1_14transform_implILb0ES3_S5_N6thrust23THRUST_200600_302600_NS6detail15normal_iteratorINS8_7pointerIyNS8_11hip_rocprim5par_tENS8_11use_defaultESE_EEEENSA_INSB_IlSD_SE_SE_EEEEZNS1_13binary_searchIS3_S5_PySG_SI_NS1_21upper_bound_search_opENS9_16wrapped_functionINS8_6system6detail7generic6detail18binary_search_lessEbEEEE10hipError_tPvRmT1_T2_T3_mmT4_T5_P12ihipStream_tbEUlRKyE_EEST_SX_SY_mSZ_S12_bEUlT_E_NS1_11comp_targetILNS1_3genE8ELNS1_11target_archE1030ELNS1_3gpuE2ELNS1_3repE0EEENS1_30default_config_static_selectorELNS0_4arch9wavefront6targetE1EEEvSW_.num_agpr, 0
	.set _ZN7rocprim17ROCPRIM_400000_NS6detail17trampoline_kernelINS0_14default_configENS1_27upper_bound_config_selectorIylEEZNS1_14transform_implILb0ES3_S5_N6thrust23THRUST_200600_302600_NS6detail15normal_iteratorINS8_7pointerIyNS8_11hip_rocprim5par_tENS8_11use_defaultESE_EEEENSA_INSB_IlSD_SE_SE_EEEEZNS1_13binary_searchIS3_S5_PySG_SI_NS1_21upper_bound_search_opENS9_16wrapped_functionINS8_6system6detail7generic6detail18binary_search_lessEbEEEE10hipError_tPvRmT1_T2_T3_mmT4_T5_P12ihipStream_tbEUlRKyE_EEST_SX_SY_mSZ_S12_bEUlT_E_NS1_11comp_targetILNS1_3genE8ELNS1_11target_archE1030ELNS1_3gpuE2ELNS1_3repE0EEENS1_30default_config_static_selectorELNS0_4arch9wavefront6targetE1EEEvSW_.numbered_sgpr, 0
	.set _ZN7rocprim17ROCPRIM_400000_NS6detail17trampoline_kernelINS0_14default_configENS1_27upper_bound_config_selectorIylEEZNS1_14transform_implILb0ES3_S5_N6thrust23THRUST_200600_302600_NS6detail15normal_iteratorINS8_7pointerIyNS8_11hip_rocprim5par_tENS8_11use_defaultESE_EEEENSA_INSB_IlSD_SE_SE_EEEEZNS1_13binary_searchIS3_S5_PySG_SI_NS1_21upper_bound_search_opENS9_16wrapped_functionINS8_6system6detail7generic6detail18binary_search_lessEbEEEE10hipError_tPvRmT1_T2_T3_mmT4_T5_P12ihipStream_tbEUlRKyE_EEST_SX_SY_mSZ_S12_bEUlT_E_NS1_11comp_targetILNS1_3genE8ELNS1_11target_archE1030ELNS1_3gpuE2ELNS1_3repE0EEENS1_30default_config_static_selectorELNS0_4arch9wavefront6targetE1EEEvSW_.num_named_barrier, 0
	.set _ZN7rocprim17ROCPRIM_400000_NS6detail17trampoline_kernelINS0_14default_configENS1_27upper_bound_config_selectorIylEEZNS1_14transform_implILb0ES3_S5_N6thrust23THRUST_200600_302600_NS6detail15normal_iteratorINS8_7pointerIyNS8_11hip_rocprim5par_tENS8_11use_defaultESE_EEEENSA_INSB_IlSD_SE_SE_EEEEZNS1_13binary_searchIS3_S5_PySG_SI_NS1_21upper_bound_search_opENS9_16wrapped_functionINS8_6system6detail7generic6detail18binary_search_lessEbEEEE10hipError_tPvRmT1_T2_T3_mmT4_T5_P12ihipStream_tbEUlRKyE_EEST_SX_SY_mSZ_S12_bEUlT_E_NS1_11comp_targetILNS1_3genE8ELNS1_11target_archE1030ELNS1_3gpuE2ELNS1_3repE0EEENS1_30default_config_static_selectorELNS0_4arch9wavefront6targetE1EEEvSW_.private_seg_size, 0
	.set _ZN7rocprim17ROCPRIM_400000_NS6detail17trampoline_kernelINS0_14default_configENS1_27upper_bound_config_selectorIylEEZNS1_14transform_implILb0ES3_S5_N6thrust23THRUST_200600_302600_NS6detail15normal_iteratorINS8_7pointerIyNS8_11hip_rocprim5par_tENS8_11use_defaultESE_EEEENSA_INSB_IlSD_SE_SE_EEEEZNS1_13binary_searchIS3_S5_PySG_SI_NS1_21upper_bound_search_opENS9_16wrapped_functionINS8_6system6detail7generic6detail18binary_search_lessEbEEEE10hipError_tPvRmT1_T2_T3_mmT4_T5_P12ihipStream_tbEUlRKyE_EEST_SX_SY_mSZ_S12_bEUlT_E_NS1_11comp_targetILNS1_3genE8ELNS1_11target_archE1030ELNS1_3gpuE2ELNS1_3repE0EEENS1_30default_config_static_selectorELNS0_4arch9wavefront6targetE1EEEvSW_.uses_vcc, 0
	.set _ZN7rocprim17ROCPRIM_400000_NS6detail17trampoline_kernelINS0_14default_configENS1_27upper_bound_config_selectorIylEEZNS1_14transform_implILb0ES3_S5_N6thrust23THRUST_200600_302600_NS6detail15normal_iteratorINS8_7pointerIyNS8_11hip_rocprim5par_tENS8_11use_defaultESE_EEEENSA_INSB_IlSD_SE_SE_EEEEZNS1_13binary_searchIS3_S5_PySG_SI_NS1_21upper_bound_search_opENS9_16wrapped_functionINS8_6system6detail7generic6detail18binary_search_lessEbEEEE10hipError_tPvRmT1_T2_T3_mmT4_T5_P12ihipStream_tbEUlRKyE_EEST_SX_SY_mSZ_S12_bEUlT_E_NS1_11comp_targetILNS1_3genE8ELNS1_11target_archE1030ELNS1_3gpuE2ELNS1_3repE0EEENS1_30default_config_static_selectorELNS0_4arch9wavefront6targetE1EEEvSW_.uses_flat_scratch, 0
	.set _ZN7rocprim17ROCPRIM_400000_NS6detail17trampoline_kernelINS0_14default_configENS1_27upper_bound_config_selectorIylEEZNS1_14transform_implILb0ES3_S5_N6thrust23THRUST_200600_302600_NS6detail15normal_iteratorINS8_7pointerIyNS8_11hip_rocprim5par_tENS8_11use_defaultESE_EEEENSA_INSB_IlSD_SE_SE_EEEEZNS1_13binary_searchIS3_S5_PySG_SI_NS1_21upper_bound_search_opENS9_16wrapped_functionINS8_6system6detail7generic6detail18binary_search_lessEbEEEE10hipError_tPvRmT1_T2_T3_mmT4_T5_P12ihipStream_tbEUlRKyE_EEST_SX_SY_mSZ_S12_bEUlT_E_NS1_11comp_targetILNS1_3genE8ELNS1_11target_archE1030ELNS1_3gpuE2ELNS1_3repE0EEENS1_30default_config_static_selectorELNS0_4arch9wavefront6targetE1EEEvSW_.has_dyn_sized_stack, 0
	.set _ZN7rocprim17ROCPRIM_400000_NS6detail17trampoline_kernelINS0_14default_configENS1_27upper_bound_config_selectorIylEEZNS1_14transform_implILb0ES3_S5_N6thrust23THRUST_200600_302600_NS6detail15normal_iteratorINS8_7pointerIyNS8_11hip_rocprim5par_tENS8_11use_defaultESE_EEEENSA_INSB_IlSD_SE_SE_EEEEZNS1_13binary_searchIS3_S5_PySG_SI_NS1_21upper_bound_search_opENS9_16wrapped_functionINS8_6system6detail7generic6detail18binary_search_lessEbEEEE10hipError_tPvRmT1_T2_T3_mmT4_T5_P12ihipStream_tbEUlRKyE_EEST_SX_SY_mSZ_S12_bEUlT_E_NS1_11comp_targetILNS1_3genE8ELNS1_11target_archE1030ELNS1_3gpuE2ELNS1_3repE0EEENS1_30default_config_static_selectorELNS0_4arch9wavefront6targetE1EEEvSW_.has_recursion, 0
	.set _ZN7rocprim17ROCPRIM_400000_NS6detail17trampoline_kernelINS0_14default_configENS1_27upper_bound_config_selectorIylEEZNS1_14transform_implILb0ES3_S5_N6thrust23THRUST_200600_302600_NS6detail15normal_iteratorINS8_7pointerIyNS8_11hip_rocprim5par_tENS8_11use_defaultESE_EEEENSA_INSB_IlSD_SE_SE_EEEEZNS1_13binary_searchIS3_S5_PySG_SI_NS1_21upper_bound_search_opENS9_16wrapped_functionINS8_6system6detail7generic6detail18binary_search_lessEbEEEE10hipError_tPvRmT1_T2_T3_mmT4_T5_P12ihipStream_tbEUlRKyE_EEST_SX_SY_mSZ_S12_bEUlT_E_NS1_11comp_targetILNS1_3genE8ELNS1_11target_archE1030ELNS1_3gpuE2ELNS1_3repE0EEENS1_30default_config_static_selectorELNS0_4arch9wavefront6targetE1EEEvSW_.has_indirect_call, 0
	.section	.AMDGPU.csdata,"",@progbits
; Kernel info:
; codeLenInByte = 0
; TotalNumSgprs: 4
; NumVgprs: 0
; ScratchSize: 0
; MemoryBound: 0
; FloatMode: 240
; IeeeMode: 1
; LDSByteSize: 0 bytes/workgroup (compile time only)
; SGPRBlocks: 0
; VGPRBlocks: 0
; NumSGPRsForWavesPerEU: 4
; NumVGPRsForWavesPerEU: 1
; Occupancy: 10
; WaveLimiterHint : 0
; COMPUTE_PGM_RSRC2:SCRATCH_EN: 0
; COMPUTE_PGM_RSRC2:USER_SGPR: 6
; COMPUTE_PGM_RSRC2:TRAP_HANDLER: 0
; COMPUTE_PGM_RSRC2:TGID_X_EN: 1
; COMPUTE_PGM_RSRC2:TGID_Y_EN: 0
; COMPUTE_PGM_RSRC2:TGID_Z_EN: 0
; COMPUTE_PGM_RSRC2:TIDIG_COMP_CNT: 0
	.section	.text._Z18upper_bound_kernelIjEvmPT_Pl,"axG",@progbits,_Z18upper_bound_kernelIjEvmPT_Pl,comdat
	.protected	_Z18upper_bound_kernelIjEvmPT_Pl ; -- Begin function _Z18upper_bound_kernelIjEvmPT_Pl
	.globl	_Z18upper_bound_kernelIjEvmPT_Pl
	.p2align	8
	.type	_Z18upper_bound_kernelIjEvmPT_Pl,@function
_Z18upper_bound_kernelIjEvmPT_Pl:       ; @_Z18upper_bound_kernelIjEvmPT_Pl
; %bb.0:
	s_load_dwordx4 s[0:3], s[4:5], 0x0
	s_load_dwordx2 s[6:7], s[4:5], 0x10
	s_mov_b64 s[8:9], -1
	s_waitcnt lgkmcnt(0)
	s_lshl_b64 s[0:1], s[0:1], 2
	s_add_u32 s0, s2, s0
	s_addc_u32 s1, s3, s1
	s_sub_u32 s0, s0, s2
	s_subb_u32 s1, s1, s3
	s_ashr_i64 s[4:5], s[0:1], 2
	v_cmp_lt_i64_e64 s[0:1], s[4:5], 1
	s_and_b64 s[0:1], exec, s[0:1]
	s_mov_b64 vcc, s[0:1]
	s_cbranch_vccz .LBB191_2
; %bb.1:
	v_mov_b32_e32 v0, 0
	v_mov_b32_e32 v1, v0
	global_store_dwordx2 v0, v[0:1], s[6:7]
	s_mov_b64 s[8:9], 0
.LBB191_2:
	s_andn2_b64 vcc, exec, s[8:9]
	s_mov_b64 s[8:9], 0
	s_cbranch_vccnz .LBB191_7
; %bb.3:
	s_mov_b64 s[10:11], s[4:5]
.LBB191_4:                              ; =>This Inner Loop Header: Depth=1
	s_sub_u32 s12, s10, s8
	s_subb_u32 s13, s11, s9
	s_lshr_b64 s[12:13], s[12:13], 1
	s_add_u32 s12, s12, s8
	s_addc_u32 s13, s13, s9
	s_lshl_b64 s[14:15], s[12:13], 2
	s_add_u32 s14, s2, s14
	s_addc_u32 s15, s3, s15
	s_load_dword s14, s[14:15], 0x0
	s_add_u32 s15, s12, 1
	s_addc_u32 s16, s13, 0
	s_waitcnt lgkmcnt(0)
	s_cmp_eq_u32 s14, 0
	s_cselect_b32 s10, s10, s12
	s_cselect_b32 s11, s11, s13
	v_mov_b32_e32 v0, s10
	s_cselect_b32 s9, s16, s9
	s_cselect_b32 s8, s15, s8
	v_mov_b32_e32 v1, s11
	v_cmp_lt_i64_e32 vcc, s[8:9], v[0:1]
	s_cbranch_vccnz .LBB191_4
; %bb.5:
	s_lshl_b64 s[8:9], s[8:9], 2
	s_add_u32 s8, s2, s8
	s_addc_u32 s9, s3, s9
	s_sub_u32 s8, s8, s2
	s_subb_u32 s9, s9, s3
	s_ashr_i64 s[8:9], s[8:9], 2
	v_mov_b32_e32 v0, s8
	v_mov_b32_e32 v2, 0
	v_mov_b32_e32 v1, s9
	s_mov_b64 s[8:9], 0
	s_mov_b64 s[10:11], s[4:5]
	global_store_dwordx2 v2, v[0:1], s[6:7]
.LBB191_6:                              ; =>This Inner Loop Header: Depth=1
	s_sub_u32 s12, s10, s8
	s_subb_u32 s13, s11, s9
	s_lshr_b64 s[12:13], s[12:13], 1
	s_add_u32 s12, s12, s8
	s_addc_u32 s13, s13, s9
	s_lshl_b64 s[14:15], s[12:13], 2
	s_add_u32 s14, s2, s14
	s_addc_u32 s15, s3, s15
	s_load_dword s14, s[14:15], 0x0
	s_add_u32 s15, s12, 1
	s_addc_u32 s16, s13, 0
	s_waitcnt lgkmcnt(0)
	s_cmp_gt_u32 s14, 1
	s_cselect_b32 s10, s12, s10
	s_cselect_b32 s11, s13, s11
	v_mov_b32_e32 v0, s10
	s_cselect_b32 s9, s9, s16
	s_cselect_b32 s8, s8, s15
	v_mov_b32_e32 v1, s11
	v_cmp_ge_i64_e32 vcc, s[8:9], v[0:1]
	s_cbranch_vccz .LBB191_6
.LBB191_7:
	s_lshl_b64 s[8:9], s[8:9], 2
	s_add_u32 s8, s2, s8
	s_addc_u32 s9, s3, s9
	s_sub_u32 s8, s8, s2
	s_subb_u32 s9, s9, s3
	s_ashr_i64 s[8:9], s[8:9], 2
	v_mov_b32_e32 v1, s8
	v_mov_b32_e32 v0, 0
	;; [unrolled: 1-line block ×3, first 2 shown]
	s_mov_b64 s[8:9], -1
	s_mov_b64 vcc, s[0:1]
	global_store_dwordx2 v0, v[1:2], s[6:7] offset:8
	s_cbranch_vccz .LBB191_9
; %bb.8:
	v_mov_b32_e32 v1, v0
	global_store_dwordx2 v0, v[0:1], s[6:7] offset:16
	s_mov_b64 s[8:9], 0
.LBB191_9:
	s_andn2_b64 vcc, exec, s[8:9]
	s_mov_b64 s[8:9], 0
	s_cbranch_vccnz .LBB191_14
; %bb.10:
	s_mov_b64 s[10:11], s[4:5]
.LBB191_11:                             ; =>This Inner Loop Header: Depth=1
	s_sub_u32 s12, s10, s8
	s_subb_u32 s13, s11, s9
	s_lshr_b64 s[12:13], s[12:13], 1
	s_add_u32 s12, s12, s8
	s_addc_u32 s13, s13, s9
	s_lshl_b64 s[14:15], s[12:13], 2
	s_add_u32 s14, s2, s14
	s_addc_u32 s15, s3, s15
	s_load_dword s14, s[14:15], 0x0
	s_add_u32 s15, s12, 1
	s_addc_u32 s16, s13, 0
	s_waitcnt lgkmcnt(0)
	s_cmp_gt_u32 s14, 2
	s_cselect_b32 s10, s12, s10
	s_cselect_b32 s11, s13, s11
	v_mov_b32_e32 v0, s10
	s_cselect_b32 s9, s9, s16
	s_cselect_b32 s8, s8, s15
	v_mov_b32_e32 v1, s11
	v_cmp_lt_i64_e32 vcc, s[8:9], v[0:1]
	s_cbranch_vccnz .LBB191_11
; %bb.12:
	s_lshl_b64 s[8:9], s[8:9], 2
	s_add_u32 s8, s2, s8
	s_addc_u32 s9, s3, s9
	s_sub_u32 s8, s8, s2
	s_subb_u32 s9, s9, s3
	s_ashr_i64 s[8:9], s[8:9], 2
	v_mov_b32_e32 v0, s8
	v_mov_b32_e32 v2, 0
	;; [unrolled: 1-line block ×3, first 2 shown]
	s_mov_b64 s[8:9], 0
	s_mov_b64 s[10:11], s[4:5]
	global_store_dwordx2 v2, v[0:1], s[6:7] offset:16
.LBB191_13:                             ; =>This Inner Loop Header: Depth=1
	s_sub_u32 s12, s10, s8
	s_subb_u32 s13, s11, s9
	s_lshr_b64 s[12:13], s[12:13], 1
	s_add_u32 s12, s12, s8
	s_addc_u32 s13, s13, s9
	s_lshl_b64 s[14:15], s[12:13], 2
	s_add_u32 s14, s2, s14
	s_addc_u32 s15, s3, s15
	s_load_dword s14, s[14:15], 0x0
	s_add_u32 s15, s12, 1
	s_addc_u32 s16, s13, 0
	s_waitcnt lgkmcnt(0)
	s_cmp_gt_u32 s14, 3
	s_cselect_b32 s10, s12, s10
	s_cselect_b32 s11, s13, s11
	v_mov_b32_e32 v0, s10
	s_cselect_b32 s9, s9, s16
	s_cselect_b32 s8, s8, s15
	v_mov_b32_e32 v1, s11
	v_cmp_ge_i64_e32 vcc, s[8:9], v[0:1]
	s_cbranch_vccz .LBB191_13
.LBB191_14:
	s_lshl_b64 s[8:9], s[8:9], 2
	s_add_u32 s8, s2, s8
	s_addc_u32 s9, s3, s9
	s_sub_u32 s8, s8, s2
	s_subb_u32 s9, s9, s3
	s_ashr_i64 s[8:9], s[8:9], 2
	v_mov_b32_e32 v1, s8
	v_mov_b32_e32 v0, 0
	;; [unrolled: 1-line block ×3, first 2 shown]
	s_mov_b64 s[8:9], -1
	s_mov_b64 vcc, s[0:1]
	global_store_dwordx2 v0, v[1:2], s[6:7] offset:24
	s_cbranch_vccz .LBB191_16
; %bb.15:
	v_mov_b32_e32 v1, v0
	global_store_dwordx2 v0, v[0:1], s[6:7] offset:32
	s_mov_b64 s[8:9], 0
.LBB191_16:
	s_andn2_b64 vcc, exec, s[8:9]
	s_mov_b64 s[8:9], 0
	s_cbranch_vccnz .LBB191_21
; %bb.17:
	s_mov_b64 s[10:11], s[4:5]
.LBB191_18:                             ; =>This Inner Loop Header: Depth=1
	s_sub_u32 s12, s10, s8
	s_subb_u32 s13, s11, s9
	s_lshr_b64 s[12:13], s[12:13], 1
	s_add_u32 s12, s12, s8
	s_addc_u32 s13, s13, s9
	s_lshl_b64 s[14:15], s[12:13], 2
	s_add_u32 s14, s2, s14
	s_addc_u32 s15, s3, s15
	s_load_dword s14, s[14:15], 0x0
	s_add_u32 s15, s12, 1
	s_addc_u32 s16, s13, 0
	s_waitcnt lgkmcnt(0)
	s_cmp_gt_u32 s14, 4
	s_cselect_b32 s10, s12, s10
	s_cselect_b32 s11, s13, s11
	v_mov_b32_e32 v0, s10
	s_cselect_b32 s9, s9, s16
	s_cselect_b32 s8, s8, s15
	v_mov_b32_e32 v1, s11
	v_cmp_lt_i64_e32 vcc, s[8:9], v[0:1]
	s_cbranch_vccnz .LBB191_18
; %bb.19:
	s_lshl_b64 s[8:9], s[8:9], 2
	s_add_u32 s8, s2, s8
	s_addc_u32 s9, s3, s9
	s_sub_u32 s8, s8, s2
	s_subb_u32 s9, s9, s3
	s_ashr_i64 s[8:9], s[8:9], 2
	v_mov_b32_e32 v0, s8
	v_mov_b32_e32 v2, 0
	;; [unrolled: 1-line block ×3, first 2 shown]
	s_mov_b64 s[8:9], 0
	s_mov_b64 s[10:11], s[4:5]
	global_store_dwordx2 v2, v[0:1], s[6:7] offset:32
.LBB191_20:                             ; =>This Inner Loop Header: Depth=1
	s_sub_u32 s12, s10, s8
	s_subb_u32 s13, s11, s9
	s_lshr_b64 s[12:13], s[12:13], 1
	s_add_u32 s12, s12, s8
	s_addc_u32 s13, s13, s9
	s_lshl_b64 s[14:15], s[12:13], 2
	s_add_u32 s14, s2, s14
	s_addc_u32 s15, s3, s15
	s_load_dword s14, s[14:15], 0x0
	s_add_u32 s15, s12, 1
	s_addc_u32 s16, s13, 0
	s_waitcnt lgkmcnt(0)
	s_cmp_gt_u32 s14, 5
	s_cselect_b32 s10, s12, s10
	s_cselect_b32 s11, s13, s11
	v_mov_b32_e32 v0, s10
	s_cselect_b32 s9, s9, s16
	s_cselect_b32 s8, s8, s15
	v_mov_b32_e32 v1, s11
	v_cmp_ge_i64_e32 vcc, s[8:9], v[0:1]
	s_cbranch_vccz .LBB191_20
.LBB191_21:
	s_lshl_b64 s[8:9], s[8:9], 2
	s_add_u32 s8, s2, s8
	s_addc_u32 s9, s3, s9
	s_sub_u32 s8, s8, s2
	s_subb_u32 s9, s9, s3
	s_ashr_i64 s[8:9], s[8:9], 2
	v_mov_b32_e32 v1, s8
	v_mov_b32_e32 v0, 0
	;; [unrolled: 1-line block ×3, first 2 shown]
	s_mov_b64 s[8:9], -1
	s_mov_b64 vcc, s[0:1]
	global_store_dwordx2 v0, v[1:2], s[6:7] offset:40
	s_cbranch_vccz .LBB191_23
; %bb.22:
	v_mov_b32_e32 v1, v0
	global_store_dwordx2 v0, v[0:1], s[6:7] offset:48
	s_mov_b64 s[8:9], 0
.LBB191_23:
	s_andn2_b64 vcc, exec, s[8:9]
	s_mov_b64 s[8:9], 0
	s_cbranch_vccnz .LBB191_28
; %bb.24:
	s_mov_b64 s[10:11], s[4:5]
.LBB191_25:                             ; =>This Inner Loop Header: Depth=1
	s_sub_u32 s12, s10, s8
	s_subb_u32 s13, s11, s9
	s_lshr_b64 s[12:13], s[12:13], 1
	s_add_u32 s12, s12, s8
	s_addc_u32 s13, s13, s9
	s_lshl_b64 s[14:15], s[12:13], 2
	s_add_u32 s14, s2, s14
	s_addc_u32 s15, s3, s15
	s_load_dword s14, s[14:15], 0x0
	s_add_u32 s15, s12, 1
	s_addc_u32 s16, s13, 0
	s_waitcnt lgkmcnt(0)
	s_cmp_gt_u32 s14, 6
	s_cselect_b32 s10, s12, s10
	s_cselect_b32 s11, s13, s11
	v_mov_b32_e32 v0, s10
	s_cselect_b32 s9, s9, s16
	s_cselect_b32 s8, s8, s15
	v_mov_b32_e32 v1, s11
	v_cmp_lt_i64_e32 vcc, s[8:9], v[0:1]
	s_cbranch_vccnz .LBB191_25
; %bb.26:
	s_lshl_b64 s[8:9], s[8:9], 2
	s_add_u32 s8, s2, s8
	s_addc_u32 s9, s3, s9
	s_sub_u32 s8, s8, s2
	s_subb_u32 s9, s9, s3
	s_ashr_i64 s[8:9], s[8:9], 2
	v_mov_b32_e32 v0, s8
	v_mov_b32_e32 v2, 0
	;; [unrolled: 1-line block ×3, first 2 shown]
	s_mov_b64 s[8:9], 0
	s_mov_b64 s[10:11], s[4:5]
	global_store_dwordx2 v2, v[0:1], s[6:7] offset:48
.LBB191_27:                             ; =>This Inner Loop Header: Depth=1
	s_sub_u32 s12, s10, s8
	s_subb_u32 s13, s11, s9
	s_lshr_b64 s[12:13], s[12:13], 1
	s_add_u32 s12, s12, s8
	s_addc_u32 s13, s13, s9
	s_lshl_b64 s[14:15], s[12:13], 2
	s_add_u32 s14, s2, s14
	s_addc_u32 s15, s3, s15
	s_load_dword s14, s[14:15], 0x0
	s_add_u32 s15, s12, 1
	s_addc_u32 s16, s13, 0
	s_waitcnt lgkmcnt(0)
	s_cmp_gt_u32 s14, 7
	s_cselect_b32 s10, s12, s10
	s_cselect_b32 s11, s13, s11
	v_mov_b32_e32 v0, s10
	s_cselect_b32 s9, s9, s16
	s_cselect_b32 s8, s8, s15
	v_mov_b32_e32 v1, s11
	v_cmp_ge_i64_e32 vcc, s[8:9], v[0:1]
	s_cbranch_vccz .LBB191_27
.LBB191_28:
	s_lshl_b64 s[8:9], s[8:9], 2
	s_add_u32 s8, s2, s8
	s_addc_u32 s9, s3, s9
	s_sub_u32 s8, s8, s2
	s_subb_u32 s9, s9, s3
	s_ashr_i64 s[8:9], s[8:9], 2
	v_mov_b32_e32 v1, s8
	v_mov_b32_e32 v0, 0
	;; [unrolled: 1-line block ×3, first 2 shown]
	s_mov_b64 s[8:9], -1
	s_mov_b64 vcc, s[0:1]
	global_store_dwordx2 v0, v[1:2], s[6:7] offset:56
	s_cbranch_vccz .LBB191_30
; %bb.29:
	v_mov_b32_e32 v1, v0
	global_store_dwordx2 v0, v[0:1], s[6:7] offset:64
	s_mov_b64 s[8:9], 0
.LBB191_30:
	s_andn2_b64 vcc, exec, s[8:9]
	s_mov_b64 s[0:1], 0
	s_cbranch_vccnz .LBB191_35
; %bb.31:
	s_mov_b64 s[8:9], s[4:5]
.LBB191_32:                             ; =>This Inner Loop Header: Depth=1
	s_sub_u32 s10, s8, s0
	s_subb_u32 s11, s9, s1
	s_lshr_b64 s[10:11], s[10:11], 1
	s_add_u32 s10, s10, s0
	s_addc_u32 s11, s11, s1
	s_lshl_b64 s[12:13], s[10:11], 2
	s_add_u32 s12, s2, s12
	s_addc_u32 s13, s3, s13
	s_load_dword s12, s[12:13], 0x0
	s_add_u32 s13, s10, 1
	s_addc_u32 s14, s11, 0
	s_waitcnt lgkmcnt(0)
	s_cmp_gt_u32 s12, 8
	s_cselect_b32 s8, s10, s8
	s_cselect_b32 s9, s11, s9
	v_mov_b32_e32 v0, s8
	s_cselect_b32 s1, s1, s14
	s_cselect_b32 s0, s0, s13
	v_mov_b32_e32 v1, s9
	v_cmp_lt_i64_e32 vcc, s[0:1], v[0:1]
	s_cbranch_vccnz .LBB191_32
; %bb.33:
	s_lshl_b64 s[0:1], s[0:1], 2
	s_add_u32 s0, s2, s0
	s_addc_u32 s1, s3, s1
	s_sub_u32 s0, s0, s2
	s_subb_u32 s1, s1, s3
	s_ashr_i64 s[0:1], s[0:1], 2
	v_mov_b32_e32 v0, s0
	v_mov_b32_e32 v2, 0
	;; [unrolled: 1-line block ×3, first 2 shown]
	s_mov_b64 s[0:1], 0
	global_store_dwordx2 v2, v[0:1], s[6:7] offset:64
.LBB191_34:                             ; =>This Inner Loop Header: Depth=1
	s_sub_u32 s8, s4, s0
	s_subb_u32 s9, s5, s1
	s_lshr_b64 s[8:9], s[8:9], 1
	s_add_u32 s8, s8, s0
	s_addc_u32 s9, s9, s1
	s_lshl_b64 s[10:11], s[8:9], 2
	s_add_u32 s10, s2, s10
	s_addc_u32 s11, s3, s11
	s_load_dword s10, s[10:11], 0x0
	s_add_u32 s11, s8, 1
	s_addc_u32 s12, s9, 0
	s_waitcnt lgkmcnt(0)
	s_cmp_gt_u32 s10, 9
	s_cselect_b32 s4, s8, s4
	s_cselect_b32 s5, s9, s5
	v_mov_b32_e32 v0, s4
	s_cselect_b32 s1, s1, s12
	s_cselect_b32 s0, s0, s11
	v_mov_b32_e32 v1, s5
	v_cmp_ge_i64_e32 vcc, s[0:1], v[0:1]
	s_cbranch_vccz .LBB191_34
.LBB191_35:
	s_lshl_b64 s[0:1], s[0:1], 2
	s_add_u32 s0, s2, s0
	s_addc_u32 s1, s3, s1
	s_sub_u32 s0, s0, s2
	s_subb_u32 s1, s1, s3
	s_ashr_i64 s[0:1], s[0:1], 2
	v_mov_b32_e32 v0, s0
	v_mov_b32_e32 v2, 0
	;; [unrolled: 1-line block ×3, first 2 shown]
	global_store_dwordx2 v2, v[0:1], s[6:7] offset:72
	s_endpgm
	.section	.rodata,"a",@progbits
	.p2align	6, 0x0
	.amdhsa_kernel _Z18upper_bound_kernelIjEvmPT_Pl
		.amdhsa_group_segment_fixed_size 0
		.amdhsa_private_segment_fixed_size 0
		.amdhsa_kernarg_size 24
		.amdhsa_user_sgpr_count 6
		.amdhsa_user_sgpr_private_segment_buffer 1
		.amdhsa_user_sgpr_dispatch_ptr 0
		.amdhsa_user_sgpr_queue_ptr 0
		.amdhsa_user_sgpr_kernarg_segment_ptr 1
		.amdhsa_user_sgpr_dispatch_id 0
		.amdhsa_user_sgpr_flat_scratch_init 0
		.amdhsa_user_sgpr_private_segment_size 0
		.amdhsa_uses_dynamic_stack 0
		.amdhsa_system_sgpr_private_segment_wavefront_offset 0
		.amdhsa_system_sgpr_workgroup_id_x 1
		.amdhsa_system_sgpr_workgroup_id_y 0
		.amdhsa_system_sgpr_workgroup_id_z 0
		.amdhsa_system_sgpr_workgroup_info 0
		.amdhsa_system_vgpr_workitem_id 0
		.amdhsa_next_free_vgpr 3
		.amdhsa_next_free_sgpr 17
		.amdhsa_reserve_vcc 1
		.amdhsa_reserve_flat_scratch 0
		.amdhsa_float_round_mode_32 0
		.amdhsa_float_round_mode_16_64 0
		.amdhsa_float_denorm_mode_32 3
		.amdhsa_float_denorm_mode_16_64 3
		.amdhsa_dx10_clamp 1
		.amdhsa_ieee_mode 1
		.amdhsa_fp16_overflow 0
		.amdhsa_exception_fp_ieee_invalid_op 0
		.amdhsa_exception_fp_denorm_src 0
		.amdhsa_exception_fp_ieee_div_zero 0
		.amdhsa_exception_fp_ieee_overflow 0
		.amdhsa_exception_fp_ieee_underflow 0
		.amdhsa_exception_fp_ieee_inexact 0
		.amdhsa_exception_int_div_zero 0
	.end_amdhsa_kernel
	.section	.text._Z18upper_bound_kernelIjEvmPT_Pl,"axG",@progbits,_Z18upper_bound_kernelIjEvmPT_Pl,comdat
.Lfunc_end191:
	.size	_Z18upper_bound_kernelIjEvmPT_Pl, .Lfunc_end191-_Z18upper_bound_kernelIjEvmPT_Pl
                                        ; -- End function
	.set _Z18upper_bound_kernelIjEvmPT_Pl.num_vgpr, 3
	.set _Z18upper_bound_kernelIjEvmPT_Pl.num_agpr, 0
	.set _Z18upper_bound_kernelIjEvmPT_Pl.numbered_sgpr, 17
	.set _Z18upper_bound_kernelIjEvmPT_Pl.num_named_barrier, 0
	.set _Z18upper_bound_kernelIjEvmPT_Pl.private_seg_size, 0
	.set _Z18upper_bound_kernelIjEvmPT_Pl.uses_vcc, 1
	.set _Z18upper_bound_kernelIjEvmPT_Pl.uses_flat_scratch, 0
	.set _Z18upper_bound_kernelIjEvmPT_Pl.has_dyn_sized_stack, 0
	.set _Z18upper_bound_kernelIjEvmPT_Pl.has_recursion, 0
	.set _Z18upper_bound_kernelIjEvmPT_Pl.has_indirect_call, 0
	.section	.AMDGPU.csdata,"",@progbits
; Kernel info:
; codeLenInByte = 1640
; TotalNumSgprs: 21
; NumVgprs: 3
; ScratchSize: 0
; MemoryBound: 0
; FloatMode: 240
; IeeeMode: 1
; LDSByteSize: 0 bytes/workgroup (compile time only)
; SGPRBlocks: 2
; VGPRBlocks: 0
; NumSGPRsForWavesPerEU: 21
; NumVGPRsForWavesPerEU: 3
; Occupancy: 10
; WaveLimiterHint : 0
; COMPUTE_PGM_RSRC2:SCRATCH_EN: 0
; COMPUTE_PGM_RSRC2:USER_SGPR: 6
; COMPUTE_PGM_RSRC2:TRAP_HANDLER: 0
; COMPUTE_PGM_RSRC2:TGID_X_EN: 1
; COMPUTE_PGM_RSRC2:TGID_Y_EN: 0
; COMPUTE_PGM_RSRC2:TGID_Z_EN: 0
; COMPUTE_PGM_RSRC2:TIDIG_COMP_CNT: 0
	.section	.text._ZN7rocprim17ROCPRIM_400000_NS6detail17trampoline_kernelINS0_14default_configENS1_27upper_bound_config_selectorIjlEEZNS1_14transform_implILb0ES3_S5_N6thrust23THRUST_200600_302600_NS6detail15normal_iteratorINS8_7pointerIjNS8_11hip_rocprim5par_tENS8_11use_defaultESE_EEEENSA_INSB_IlSD_SE_SE_EEEEZNS1_13binary_searchIS3_S5_PjSG_SI_NS1_21upper_bound_search_opENS9_16wrapped_functionINS8_6system6detail7generic6detail18binary_search_lessEbEEEE10hipError_tPvRmT1_T2_T3_mmT4_T5_P12ihipStream_tbEUlRKjE_EEST_SX_SY_mSZ_S12_bEUlT_E_NS1_11comp_targetILNS1_3genE0ELNS1_11target_archE4294967295ELNS1_3gpuE0ELNS1_3repE0EEENS1_30default_config_static_selectorELNS0_4arch9wavefront6targetE1EEEvSW_,"axG",@progbits,_ZN7rocprim17ROCPRIM_400000_NS6detail17trampoline_kernelINS0_14default_configENS1_27upper_bound_config_selectorIjlEEZNS1_14transform_implILb0ES3_S5_N6thrust23THRUST_200600_302600_NS6detail15normal_iteratorINS8_7pointerIjNS8_11hip_rocprim5par_tENS8_11use_defaultESE_EEEENSA_INSB_IlSD_SE_SE_EEEEZNS1_13binary_searchIS3_S5_PjSG_SI_NS1_21upper_bound_search_opENS9_16wrapped_functionINS8_6system6detail7generic6detail18binary_search_lessEbEEEE10hipError_tPvRmT1_T2_T3_mmT4_T5_P12ihipStream_tbEUlRKjE_EEST_SX_SY_mSZ_S12_bEUlT_E_NS1_11comp_targetILNS1_3genE0ELNS1_11target_archE4294967295ELNS1_3gpuE0ELNS1_3repE0EEENS1_30default_config_static_selectorELNS0_4arch9wavefront6targetE1EEEvSW_,comdat
	.protected	_ZN7rocprim17ROCPRIM_400000_NS6detail17trampoline_kernelINS0_14default_configENS1_27upper_bound_config_selectorIjlEEZNS1_14transform_implILb0ES3_S5_N6thrust23THRUST_200600_302600_NS6detail15normal_iteratorINS8_7pointerIjNS8_11hip_rocprim5par_tENS8_11use_defaultESE_EEEENSA_INSB_IlSD_SE_SE_EEEEZNS1_13binary_searchIS3_S5_PjSG_SI_NS1_21upper_bound_search_opENS9_16wrapped_functionINS8_6system6detail7generic6detail18binary_search_lessEbEEEE10hipError_tPvRmT1_T2_T3_mmT4_T5_P12ihipStream_tbEUlRKjE_EEST_SX_SY_mSZ_S12_bEUlT_E_NS1_11comp_targetILNS1_3genE0ELNS1_11target_archE4294967295ELNS1_3gpuE0ELNS1_3repE0EEENS1_30default_config_static_selectorELNS0_4arch9wavefront6targetE1EEEvSW_ ; -- Begin function _ZN7rocprim17ROCPRIM_400000_NS6detail17trampoline_kernelINS0_14default_configENS1_27upper_bound_config_selectorIjlEEZNS1_14transform_implILb0ES3_S5_N6thrust23THRUST_200600_302600_NS6detail15normal_iteratorINS8_7pointerIjNS8_11hip_rocprim5par_tENS8_11use_defaultESE_EEEENSA_INSB_IlSD_SE_SE_EEEEZNS1_13binary_searchIS3_S5_PjSG_SI_NS1_21upper_bound_search_opENS9_16wrapped_functionINS8_6system6detail7generic6detail18binary_search_lessEbEEEE10hipError_tPvRmT1_T2_T3_mmT4_T5_P12ihipStream_tbEUlRKjE_EEST_SX_SY_mSZ_S12_bEUlT_E_NS1_11comp_targetILNS1_3genE0ELNS1_11target_archE4294967295ELNS1_3gpuE0ELNS1_3repE0EEENS1_30default_config_static_selectorELNS0_4arch9wavefront6targetE1EEEvSW_
	.globl	_ZN7rocprim17ROCPRIM_400000_NS6detail17trampoline_kernelINS0_14default_configENS1_27upper_bound_config_selectorIjlEEZNS1_14transform_implILb0ES3_S5_N6thrust23THRUST_200600_302600_NS6detail15normal_iteratorINS8_7pointerIjNS8_11hip_rocprim5par_tENS8_11use_defaultESE_EEEENSA_INSB_IlSD_SE_SE_EEEEZNS1_13binary_searchIS3_S5_PjSG_SI_NS1_21upper_bound_search_opENS9_16wrapped_functionINS8_6system6detail7generic6detail18binary_search_lessEbEEEE10hipError_tPvRmT1_T2_T3_mmT4_T5_P12ihipStream_tbEUlRKjE_EEST_SX_SY_mSZ_S12_bEUlT_E_NS1_11comp_targetILNS1_3genE0ELNS1_11target_archE4294967295ELNS1_3gpuE0ELNS1_3repE0EEENS1_30default_config_static_selectorELNS0_4arch9wavefront6targetE1EEEvSW_
	.p2align	8
	.type	_ZN7rocprim17ROCPRIM_400000_NS6detail17trampoline_kernelINS0_14default_configENS1_27upper_bound_config_selectorIjlEEZNS1_14transform_implILb0ES3_S5_N6thrust23THRUST_200600_302600_NS6detail15normal_iteratorINS8_7pointerIjNS8_11hip_rocprim5par_tENS8_11use_defaultESE_EEEENSA_INSB_IlSD_SE_SE_EEEEZNS1_13binary_searchIS3_S5_PjSG_SI_NS1_21upper_bound_search_opENS9_16wrapped_functionINS8_6system6detail7generic6detail18binary_search_lessEbEEEE10hipError_tPvRmT1_T2_T3_mmT4_T5_P12ihipStream_tbEUlRKjE_EEST_SX_SY_mSZ_S12_bEUlT_E_NS1_11comp_targetILNS1_3genE0ELNS1_11target_archE4294967295ELNS1_3gpuE0ELNS1_3repE0EEENS1_30default_config_static_selectorELNS0_4arch9wavefront6targetE1EEEvSW_,@function
_ZN7rocprim17ROCPRIM_400000_NS6detail17trampoline_kernelINS0_14default_configENS1_27upper_bound_config_selectorIjlEEZNS1_14transform_implILb0ES3_S5_N6thrust23THRUST_200600_302600_NS6detail15normal_iteratorINS8_7pointerIjNS8_11hip_rocprim5par_tENS8_11use_defaultESE_EEEENSA_INSB_IlSD_SE_SE_EEEEZNS1_13binary_searchIS3_S5_PjSG_SI_NS1_21upper_bound_search_opENS9_16wrapped_functionINS8_6system6detail7generic6detail18binary_search_lessEbEEEE10hipError_tPvRmT1_T2_T3_mmT4_T5_P12ihipStream_tbEUlRKjE_EEST_SX_SY_mSZ_S12_bEUlT_E_NS1_11comp_targetILNS1_3genE0ELNS1_11target_archE4294967295ELNS1_3gpuE0ELNS1_3repE0EEENS1_30default_config_static_selectorELNS0_4arch9wavefront6targetE1EEEvSW_: ; @_ZN7rocprim17ROCPRIM_400000_NS6detail17trampoline_kernelINS0_14default_configENS1_27upper_bound_config_selectorIjlEEZNS1_14transform_implILb0ES3_S5_N6thrust23THRUST_200600_302600_NS6detail15normal_iteratorINS8_7pointerIjNS8_11hip_rocprim5par_tENS8_11use_defaultESE_EEEENSA_INSB_IlSD_SE_SE_EEEEZNS1_13binary_searchIS3_S5_PjSG_SI_NS1_21upper_bound_search_opENS9_16wrapped_functionINS8_6system6detail7generic6detail18binary_search_lessEbEEEE10hipError_tPvRmT1_T2_T3_mmT4_T5_P12ihipStream_tbEUlRKjE_EEST_SX_SY_mSZ_S12_bEUlT_E_NS1_11comp_targetILNS1_3genE0ELNS1_11target_archE4294967295ELNS1_3gpuE0ELNS1_3repE0EEENS1_30default_config_static_selectorELNS0_4arch9wavefront6targetE1EEEvSW_
; %bb.0:
	.section	.rodata,"a",@progbits
	.p2align	6, 0x0
	.amdhsa_kernel _ZN7rocprim17ROCPRIM_400000_NS6detail17trampoline_kernelINS0_14default_configENS1_27upper_bound_config_selectorIjlEEZNS1_14transform_implILb0ES3_S5_N6thrust23THRUST_200600_302600_NS6detail15normal_iteratorINS8_7pointerIjNS8_11hip_rocprim5par_tENS8_11use_defaultESE_EEEENSA_INSB_IlSD_SE_SE_EEEEZNS1_13binary_searchIS3_S5_PjSG_SI_NS1_21upper_bound_search_opENS9_16wrapped_functionINS8_6system6detail7generic6detail18binary_search_lessEbEEEE10hipError_tPvRmT1_T2_T3_mmT4_T5_P12ihipStream_tbEUlRKjE_EEST_SX_SY_mSZ_S12_bEUlT_E_NS1_11comp_targetILNS1_3genE0ELNS1_11target_archE4294967295ELNS1_3gpuE0ELNS1_3repE0EEENS1_30default_config_static_selectorELNS0_4arch9wavefront6targetE1EEEvSW_
		.amdhsa_group_segment_fixed_size 0
		.amdhsa_private_segment_fixed_size 0
		.amdhsa_kernarg_size 56
		.amdhsa_user_sgpr_count 6
		.amdhsa_user_sgpr_private_segment_buffer 1
		.amdhsa_user_sgpr_dispatch_ptr 0
		.amdhsa_user_sgpr_queue_ptr 0
		.amdhsa_user_sgpr_kernarg_segment_ptr 1
		.amdhsa_user_sgpr_dispatch_id 0
		.amdhsa_user_sgpr_flat_scratch_init 0
		.amdhsa_user_sgpr_private_segment_size 0
		.amdhsa_uses_dynamic_stack 0
		.amdhsa_system_sgpr_private_segment_wavefront_offset 0
		.amdhsa_system_sgpr_workgroup_id_x 1
		.amdhsa_system_sgpr_workgroup_id_y 0
		.amdhsa_system_sgpr_workgroup_id_z 0
		.amdhsa_system_sgpr_workgroup_info 0
		.amdhsa_system_vgpr_workitem_id 0
		.amdhsa_next_free_vgpr 1
		.amdhsa_next_free_sgpr 0
		.amdhsa_reserve_vcc 0
		.amdhsa_reserve_flat_scratch 0
		.amdhsa_float_round_mode_32 0
		.amdhsa_float_round_mode_16_64 0
		.amdhsa_float_denorm_mode_32 3
		.amdhsa_float_denorm_mode_16_64 3
		.amdhsa_dx10_clamp 1
		.amdhsa_ieee_mode 1
		.amdhsa_fp16_overflow 0
		.amdhsa_exception_fp_ieee_invalid_op 0
		.amdhsa_exception_fp_denorm_src 0
		.amdhsa_exception_fp_ieee_div_zero 0
		.amdhsa_exception_fp_ieee_overflow 0
		.amdhsa_exception_fp_ieee_underflow 0
		.amdhsa_exception_fp_ieee_inexact 0
		.amdhsa_exception_int_div_zero 0
	.end_amdhsa_kernel
	.section	.text._ZN7rocprim17ROCPRIM_400000_NS6detail17trampoline_kernelINS0_14default_configENS1_27upper_bound_config_selectorIjlEEZNS1_14transform_implILb0ES3_S5_N6thrust23THRUST_200600_302600_NS6detail15normal_iteratorINS8_7pointerIjNS8_11hip_rocprim5par_tENS8_11use_defaultESE_EEEENSA_INSB_IlSD_SE_SE_EEEEZNS1_13binary_searchIS3_S5_PjSG_SI_NS1_21upper_bound_search_opENS9_16wrapped_functionINS8_6system6detail7generic6detail18binary_search_lessEbEEEE10hipError_tPvRmT1_T2_T3_mmT4_T5_P12ihipStream_tbEUlRKjE_EEST_SX_SY_mSZ_S12_bEUlT_E_NS1_11comp_targetILNS1_3genE0ELNS1_11target_archE4294967295ELNS1_3gpuE0ELNS1_3repE0EEENS1_30default_config_static_selectorELNS0_4arch9wavefront6targetE1EEEvSW_,"axG",@progbits,_ZN7rocprim17ROCPRIM_400000_NS6detail17trampoline_kernelINS0_14default_configENS1_27upper_bound_config_selectorIjlEEZNS1_14transform_implILb0ES3_S5_N6thrust23THRUST_200600_302600_NS6detail15normal_iteratorINS8_7pointerIjNS8_11hip_rocprim5par_tENS8_11use_defaultESE_EEEENSA_INSB_IlSD_SE_SE_EEEEZNS1_13binary_searchIS3_S5_PjSG_SI_NS1_21upper_bound_search_opENS9_16wrapped_functionINS8_6system6detail7generic6detail18binary_search_lessEbEEEE10hipError_tPvRmT1_T2_T3_mmT4_T5_P12ihipStream_tbEUlRKjE_EEST_SX_SY_mSZ_S12_bEUlT_E_NS1_11comp_targetILNS1_3genE0ELNS1_11target_archE4294967295ELNS1_3gpuE0ELNS1_3repE0EEENS1_30default_config_static_selectorELNS0_4arch9wavefront6targetE1EEEvSW_,comdat
.Lfunc_end192:
	.size	_ZN7rocprim17ROCPRIM_400000_NS6detail17trampoline_kernelINS0_14default_configENS1_27upper_bound_config_selectorIjlEEZNS1_14transform_implILb0ES3_S5_N6thrust23THRUST_200600_302600_NS6detail15normal_iteratorINS8_7pointerIjNS8_11hip_rocprim5par_tENS8_11use_defaultESE_EEEENSA_INSB_IlSD_SE_SE_EEEEZNS1_13binary_searchIS3_S5_PjSG_SI_NS1_21upper_bound_search_opENS9_16wrapped_functionINS8_6system6detail7generic6detail18binary_search_lessEbEEEE10hipError_tPvRmT1_T2_T3_mmT4_T5_P12ihipStream_tbEUlRKjE_EEST_SX_SY_mSZ_S12_bEUlT_E_NS1_11comp_targetILNS1_3genE0ELNS1_11target_archE4294967295ELNS1_3gpuE0ELNS1_3repE0EEENS1_30default_config_static_selectorELNS0_4arch9wavefront6targetE1EEEvSW_, .Lfunc_end192-_ZN7rocprim17ROCPRIM_400000_NS6detail17trampoline_kernelINS0_14default_configENS1_27upper_bound_config_selectorIjlEEZNS1_14transform_implILb0ES3_S5_N6thrust23THRUST_200600_302600_NS6detail15normal_iteratorINS8_7pointerIjNS8_11hip_rocprim5par_tENS8_11use_defaultESE_EEEENSA_INSB_IlSD_SE_SE_EEEEZNS1_13binary_searchIS3_S5_PjSG_SI_NS1_21upper_bound_search_opENS9_16wrapped_functionINS8_6system6detail7generic6detail18binary_search_lessEbEEEE10hipError_tPvRmT1_T2_T3_mmT4_T5_P12ihipStream_tbEUlRKjE_EEST_SX_SY_mSZ_S12_bEUlT_E_NS1_11comp_targetILNS1_3genE0ELNS1_11target_archE4294967295ELNS1_3gpuE0ELNS1_3repE0EEENS1_30default_config_static_selectorELNS0_4arch9wavefront6targetE1EEEvSW_
                                        ; -- End function
	.set _ZN7rocprim17ROCPRIM_400000_NS6detail17trampoline_kernelINS0_14default_configENS1_27upper_bound_config_selectorIjlEEZNS1_14transform_implILb0ES3_S5_N6thrust23THRUST_200600_302600_NS6detail15normal_iteratorINS8_7pointerIjNS8_11hip_rocprim5par_tENS8_11use_defaultESE_EEEENSA_INSB_IlSD_SE_SE_EEEEZNS1_13binary_searchIS3_S5_PjSG_SI_NS1_21upper_bound_search_opENS9_16wrapped_functionINS8_6system6detail7generic6detail18binary_search_lessEbEEEE10hipError_tPvRmT1_T2_T3_mmT4_T5_P12ihipStream_tbEUlRKjE_EEST_SX_SY_mSZ_S12_bEUlT_E_NS1_11comp_targetILNS1_3genE0ELNS1_11target_archE4294967295ELNS1_3gpuE0ELNS1_3repE0EEENS1_30default_config_static_selectorELNS0_4arch9wavefront6targetE1EEEvSW_.num_vgpr, 0
	.set _ZN7rocprim17ROCPRIM_400000_NS6detail17trampoline_kernelINS0_14default_configENS1_27upper_bound_config_selectorIjlEEZNS1_14transform_implILb0ES3_S5_N6thrust23THRUST_200600_302600_NS6detail15normal_iteratorINS8_7pointerIjNS8_11hip_rocprim5par_tENS8_11use_defaultESE_EEEENSA_INSB_IlSD_SE_SE_EEEEZNS1_13binary_searchIS3_S5_PjSG_SI_NS1_21upper_bound_search_opENS9_16wrapped_functionINS8_6system6detail7generic6detail18binary_search_lessEbEEEE10hipError_tPvRmT1_T2_T3_mmT4_T5_P12ihipStream_tbEUlRKjE_EEST_SX_SY_mSZ_S12_bEUlT_E_NS1_11comp_targetILNS1_3genE0ELNS1_11target_archE4294967295ELNS1_3gpuE0ELNS1_3repE0EEENS1_30default_config_static_selectorELNS0_4arch9wavefront6targetE1EEEvSW_.num_agpr, 0
	.set _ZN7rocprim17ROCPRIM_400000_NS6detail17trampoline_kernelINS0_14default_configENS1_27upper_bound_config_selectorIjlEEZNS1_14transform_implILb0ES3_S5_N6thrust23THRUST_200600_302600_NS6detail15normal_iteratorINS8_7pointerIjNS8_11hip_rocprim5par_tENS8_11use_defaultESE_EEEENSA_INSB_IlSD_SE_SE_EEEEZNS1_13binary_searchIS3_S5_PjSG_SI_NS1_21upper_bound_search_opENS9_16wrapped_functionINS8_6system6detail7generic6detail18binary_search_lessEbEEEE10hipError_tPvRmT1_T2_T3_mmT4_T5_P12ihipStream_tbEUlRKjE_EEST_SX_SY_mSZ_S12_bEUlT_E_NS1_11comp_targetILNS1_3genE0ELNS1_11target_archE4294967295ELNS1_3gpuE0ELNS1_3repE0EEENS1_30default_config_static_selectorELNS0_4arch9wavefront6targetE1EEEvSW_.numbered_sgpr, 0
	.set _ZN7rocprim17ROCPRIM_400000_NS6detail17trampoline_kernelINS0_14default_configENS1_27upper_bound_config_selectorIjlEEZNS1_14transform_implILb0ES3_S5_N6thrust23THRUST_200600_302600_NS6detail15normal_iteratorINS8_7pointerIjNS8_11hip_rocprim5par_tENS8_11use_defaultESE_EEEENSA_INSB_IlSD_SE_SE_EEEEZNS1_13binary_searchIS3_S5_PjSG_SI_NS1_21upper_bound_search_opENS9_16wrapped_functionINS8_6system6detail7generic6detail18binary_search_lessEbEEEE10hipError_tPvRmT1_T2_T3_mmT4_T5_P12ihipStream_tbEUlRKjE_EEST_SX_SY_mSZ_S12_bEUlT_E_NS1_11comp_targetILNS1_3genE0ELNS1_11target_archE4294967295ELNS1_3gpuE0ELNS1_3repE0EEENS1_30default_config_static_selectorELNS0_4arch9wavefront6targetE1EEEvSW_.num_named_barrier, 0
	.set _ZN7rocprim17ROCPRIM_400000_NS6detail17trampoline_kernelINS0_14default_configENS1_27upper_bound_config_selectorIjlEEZNS1_14transform_implILb0ES3_S5_N6thrust23THRUST_200600_302600_NS6detail15normal_iteratorINS8_7pointerIjNS8_11hip_rocprim5par_tENS8_11use_defaultESE_EEEENSA_INSB_IlSD_SE_SE_EEEEZNS1_13binary_searchIS3_S5_PjSG_SI_NS1_21upper_bound_search_opENS9_16wrapped_functionINS8_6system6detail7generic6detail18binary_search_lessEbEEEE10hipError_tPvRmT1_T2_T3_mmT4_T5_P12ihipStream_tbEUlRKjE_EEST_SX_SY_mSZ_S12_bEUlT_E_NS1_11comp_targetILNS1_3genE0ELNS1_11target_archE4294967295ELNS1_3gpuE0ELNS1_3repE0EEENS1_30default_config_static_selectorELNS0_4arch9wavefront6targetE1EEEvSW_.private_seg_size, 0
	.set _ZN7rocprim17ROCPRIM_400000_NS6detail17trampoline_kernelINS0_14default_configENS1_27upper_bound_config_selectorIjlEEZNS1_14transform_implILb0ES3_S5_N6thrust23THRUST_200600_302600_NS6detail15normal_iteratorINS8_7pointerIjNS8_11hip_rocprim5par_tENS8_11use_defaultESE_EEEENSA_INSB_IlSD_SE_SE_EEEEZNS1_13binary_searchIS3_S5_PjSG_SI_NS1_21upper_bound_search_opENS9_16wrapped_functionINS8_6system6detail7generic6detail18binary_search_lessEbEEEE10hipError_tPvRmT1_T2_T3_mmT4_T5_P12ihipStream_tbEUlRKjE_EEST_SX_SY_mSZ_S12_bEUlT_E_NS1_11comp_targetILNS1_3genE0ELNS1_11target_archE4294967295ELNS1_3gpuE0ELNS1_3repE0EEENS1_30default_config_static_selectorELNS0_4arch9wavefront6targetE1EEEvSW_.uses_vcc, 0
	.set _ZN7rocprim17ROCPRIM_400000_NS6detail17trampoline_kernelINS0_14default_configENS1_27upper_bound_config_selectorIjlEEZNS1_14transform_implILb0ES3_S5_N6thrust23THRUST_200600_302600_NS6detail15normal_iteratorINS8_7pointerIjNS8_11hip_rocprim5par_tENS8_11use_defaultESE_EEEENSA_INSB_IlSD_SE_SE_EEEEZNS1_13binary_searchIS3_S5_PjSG_SI_NS1_21upper_bound_search_opENS9_16wrapped_functionINS8_6system6detail7generic6detail18binary_search_lessEbEEEE10hipError_tPvRmT1_T2_T3_mmT4_T5_P12ihipStream_tbEUlRKjE_EEST_SX_SY_mSZ_S12_bEUlT_E_NS1_11comp_targetILNS1_3genE0ELNS1_11target_archE4294967295ELNS1_3gpuE0ELNS1_3repE0EEENS1_30default_config_static_selectorELNS0_4arch9wavefront6targetE1EEEvSW_.uses_flat_scratch, 0
	.set _ZN7rocprim17ROCPRIM_400000_NS6detail17trampoline_kernelINS0_14default_configENS1_27upper_bound_config_selectorIjlEEZNS1_14transform_implILb0ES3_S5_N6thrust23THRUST_200600_302600_NS6detail15normal_iteratorINS8_7pointerIjNS8_11hip_rocprim5par_tENS8_11use_defaultESE_EEEENSA_INSB_IlSD_SE_SE_EEEEZNS1_13binary_searchIS3_S5_PjSG_SI_NS1_21upper_bound_search_opENS9_16wrapped_functionINS8_6system6detail7generic6detail18binary_search_lessEbEEEE10hipError_tPvRmT1_T2_T3_mmT4_T5_P12ihipStream_tbEUlRKjE_EEST_SX_SY_mSZ_S12_bEUlT_E_NS1_11comp_targetILNS1_3genE0ELNS1_11target_archE4294967295ELNS1_3gpuE0ELNS1_3repE0EEENS1_30default_config_static_selectorELNS0_4arch9wavefront6targetE1EEEvSW_.has_dyn_sized_stack, 0
	.set _ZN7rocprim17ROCPRIM_400000_NS6detail17trampoline_kernelINS0_14default_configENS1_27upper_bound_config_selectorIjlEEZNS1_14transform_implILb0ES3_S5_N6thrust23THRUST_200600_302600_NS6detail15normal_iteratorINS8_7pointerIjNS8_11hip_rocprim5par_tENS8_11use_defaultESE_EEEENSA_INSB_IlSD_SE_SE_EEEEZNS1_13binary_searchIS3_S5_PjSG_SI_NS1_21upper_bound_search_opENS9_16wrapped_functionINS8_6system6detail7generic6detail18binary_search_lessEbEEEE10hipError_tPvRmT1_T2_T3_mmT4_T5_P12ihipStream_tbEUlRKjE_EEST_SX_SY_mSZ_S12_bEUlT_E_NS1_11comp_targetILNS1_3genE0ELNS1_11target_archE4294967295ELNS1_3gpuE0ELNS1_3repE0EEENS1_30default_config_static_selectorELNS0_4arch9wavefront6targetE1EEEvSW_.has_recursion, 0
	.set _ZN7rocprim17ROCPRIM_400000_NS6detail17trampoline_kernelINS0_14default_configENS1_27upper_bound_config_selectorIjlEEZNS1_14transform_implILb0ES3_S5_N6thrust23THRUST_200600_302600_NS6detail15normal_iteratorINS8_7pointerIjNS8_11hip_rocprim5par_tENS8_11use_defaultESE_EEEENSA_INSB_IlSD_SE_SE_EEEEZNS1_13binary_searchIS3_S5_PjSG_SI_NS1_21upper_bound_search_opENS9_16wrapped_functionINS8_6system6detail7generic6detail18binary_search_lessEbEEEE10hipError_tPvRmT1_T2_T3_mmT4_T5_P12ihipStream_tbEUlRKjE_EEST_SX_SY_mSZ_S12_bEUlT_E_NS1_11comp_targetILNS1_3genE0ELNS1_11target_archE4294967295ELNS1_3gpuE0ELNS1_3repE0EEENS1_30default_config_static_selectorELNS0_4arch9wavefront6targetE1EEEvSW_.has_indirect_call, 0
	.section	.AMDGPU.csdata,"",@progbits
; Kernel info:
; codeLenInByte = 0
; TotalNumSgprs: 4
; NumVgprs: 0
; ScratchSize: 0
; MemoryBound: 0
; FloatMode: 240
; IeeeMode: 1
; LDSByteSize: 0 bytes/workgroup (compile time only)
; SGPRBlocks: 0
; VGPRBlocks: 0
; NumSGPRsForWavesPerEU: 4
; NumVGPRsForWavesPerEU: 1
; Occupancy: 10
; WaveLimiterHint : 0
; COMPUTE_PGM_RSRC2:SCRATCH_EN: 0
; COMPUTE_PGM_RSRC2:USER_SGPR: 6
; COMPUTE_PGM_RSRC2:TRAP_HANDLER: 0
; COMPUTE_PGM_RSRC2:TGID_X_EN: 1
; COMPUTE_PGM_RSRC2:TGID_Y_EN: 0
; COMPUTE_PGM_RSRC2:TGID_Z_EN: 0
; COMPUTE_PGM_RSRC2:TIDIG_COMP_CNT: 0
	.section	.text._ZN7rocprim17ROCPRIM_400000_NS6detail17trampoline_kernelINS0_14default_configENS1_27upper_bound_config_selectorIjlEEZNS1_14transform_implILb0ES3_S5_N6thrust23THRUST_200600_302600_NS6detail15normal_iteratorINS8_7pointerIjNS8_11hip_rocprim5par_tENS8_11use_defaultESE_EEEENSA_INSB_IlSD_SE_SE_EEEEZNS1_13binary_searchIS3_S5_PjSG_SI_NS1_21upper_bound_search_opENS9_16wrapped_functionINS8_6system6detail7generic6detail18binary_search_lessEbEEEE10hipError_tPvRmT1_T2_T3_mmT4_T5_P12ihipStream_tbEUlRKjE_EEST_SX_SY_mSZ_S12_bEUlT_E_NS1_11comp_targetILNS1_3genE5ELNS1_11target_archE942ELNS1_3gpuE9ELNS1_3repE0EEENS1_30default_config_static_selectorELNS0_4arch9wavefront6targetE1EEEvSW_,"axG",@progbits,_ZN7rocprim17ROCPRIM_400000_NS6detail17trampoline_kernelINS0_14default_configENS1_27upper_bound_config_selectorIjlEEZNS1_14transform_implILb0ES3_S5_N6thrust23THRUST_200600_302600_NS6detail15normal_iteratorINS8_7pointerIjNS8_11hip_rocprim5par_tENS8_11use_defaultESE_EEEENSA_INSB_IlSD_SE_SE_EEEEZNS1_13binary_searchIS3_S5_PjSG_SI_NS1_21upper_bound_search_opENS9_16wrapped_functionINS8_6system6detail7generic6detail18binary_search_lessEbEEEE10hipError_tPvRmT1_T2_T3_mmT4_T5_P12ihipStream_tbEUlRKjE_EEST_SX_SY_mSZ_S12_bEUlT_E_NS1_11comp_targetILNS1_3genE5ELNS1_11target_archE942ELNS1_3gpuE9ELNS1_3repE0EEENS1_30default_config_static_selectorELNS0_4arch9wavefront6targetE1EEEvSW_,comdat
	.protected	_ZN7rocprim17ROCPRIM_400000_NS6detail17trampoline_kernelINS0_14default_configENS1_27upper_bound_config_selectorIjlEEZNS1_14transform_implILb0ES3_S5_N6thrust23THRUST_200600_302600_NS6detail15normal_iteratorINS8_7pointerIjNS8_11hip_rocprim5par_tENS8_11use_defaultESE_EEEENSA_INSB_IlSD_SE_SE_EEEEZNS1_13binary_searchIS3_S5_PjSG_SI_NS1_21upper_bound_search_opENS9_16wrapped_functionINS8_6system6detail7generic6detail18binary_search_lessEbEEEE10hipError_tPvRmT1_T2_T3_mmT4_T5_P12ihipStream_tbEUlRKjE_EEST_SX_SY_mSZ_S12_bEUlT_E_NS1_11comp_targetILNS1_3genE5ELNS1_11target_archE942ELNS1_3gpuE9ELNS1_3repE0EEENS1_30default_config_static_selectorELNS0_4arch9wavefront6targetE1EEEvSW_ ; -- Begin function _ZN7rocprim17ROCPRIM_400000_NS6detail17trampoline_kernelINS0_14default_configENS1_27upper_bound_config_selectorIjlEEZNS1_14transform_implILb0ES3_S5_N6thrust23THRUST_200600_302600_NS6detail15normal_iteratorINS8_7pointerIjNS8_11hip_rocprim5par_tENS8_11use_defaultESE_EEEENSA_INSB_IlSD_SE_SE_EEEEZNS1_13binary_searchIS3_S5_PjSG_SI_NS1_21upper_bound_search_opENS9_16wrapped_functionINS8_6system6detail7generic6detail18binary_search_lessEbEEEE10hipError_tPvRmT1_T2_T3_mmT4_T5_P12ihipStream_tbEUlRKjE_EEST_SX_SY_mSZ_S12_bEUlT_E_NS1_11comp_targetILNS1_3genE5ELNS1_11target_archE942ELNS1_3gpuE9ELNS1_3repE0EEENS1_30default_config_static_selectorELNS0_4arch9wavefront6targetE1EEEvSW_
	.globl	_ZN7rocprim17ROCPRIM_400000_NS6detail17trampoline_kernelINS0_14default_configENS1_27upper_bound_config_selectorIjlEEZNS1_14transform_implILb0ES3_S5_N6thrust23THRUST_200600_302600_NS6detail15normal_iteratorINS8_7pointerIjNS8_11hip_rocprim5par_tENS8_11use_defaultESE_EEEENSA_INSB_IlSD_SE_SE_EEEEZNS1_13binary_searchIS3_S5_PjSG_SI_NS1_21upper_bound_search_opENS9_16wrapped_functionINS8_6system6detail7generic6detail18binary_search_lessEbEEEE10hipError_tPvRmT1_T2_T3_mmT4_T5_P12ihipStream_tbEUlRKjE_EEST_SX_SY_mSZ_S12_bEUlT_E_NS1_11comp_targetILNS1_3genE5ELNS1_11target_archE942ELNS1_3gpuE9ELNS1_3repE0EEENS1_30default_config_static_selectorELNS0_4arch9wavefront6targetE1EEEvSW_
	.p2align	8
	.type	_ZN7rocprim17ROCPRIM_400000_NS6detail17trampoline_kernelINS0_14default_configENS1_27upper_bound_config_selectorIjlEEZNS1_14transform_implILb0ES3_S5_N6thrust23THRUST_200600_302600_NS6detail15normal_iteratorINS8_7pointerIjNS8_11hip_rocprim5par_tENS8_11use_defaultESE_EEEENSA_INSB_IlSD_SE_SE_EEEEZNS1_13binary_searchIS3_S5_PjSG_SI_NS1_21upper_bound_search_opENS9_16wrapped_functionINS8_6system6detail7generic6detail18binary_search_lessEbEEEE10hipError_tPvRmT1_T2_T3_mmT4_T5_P12ihipStream_tbEUlRKjE_EEST_SX_SY_mSZ_S12_bEUlT_E_NS1_11comp_targetILNS1_3genE5ELNS1_11target_archE942ELNS1_3gpuE9ELNS1_3repE0EEENS1_30default_config_static_selectorELNS0_4arch9wavefront6targetE1EEEvSW_,@function
_ZN7rocprim17ROCPRIM_400000_NS6detail17trampoline_kernelINS0_14default_configENS1_27upper_bound_config_selectorIjlEEZNS1_14transform_implILb0ES3_S5_N6thrust23THRUST_200600_302600_NS6detail15normal_iteratorINS8_7pointerIjNS8_11hip_rocprim5par_tENS8_11use_defaultESE_EEEENSA_INSB_IlSD_SE_SE_EEEEZNS1_13binary_searchIS3_S5_PjSG_SI_NS1_21upper_bound_search_opENS9_16wrapped_functionINS8_6system6detail7generic6detail18binary_search_lessEbEEEE10hipError_tPvRmT1_T2_T3_mmT4_T5_P12ihipStream_tbEUlRKjE_EEST_SX_SY_mSZ_S12_bEUlT_E_NS1_11comp_targetILNS1_3genE5ELNS1_11target_archE942ELNS1_3gpuE9ELNS1_3repE0EEENS1_30default_config_static_selectorELNS0_4arch9wavefront6targetE1EEEvSW_: ; @_ZN7rocprim17ROCPRIM_400000_NS6detail17trampoline_kernelINS0_14default_configENS1_27upper_bound_config_selectorIjlEEZNS1_14transform_implILb0ES3_S5_N6thrust23THRUST_200600_302600_NS6detail15normal_iteratorINS8_7pointerIjNS8_11hip_rocprim5par_tENS8_11use_defaultESE_EEEENSA_INSB_IlSD_SE_SE_EEEEZNS1_13binary_searchIS3_S5_PjSG_SI_NS1_21upper_bound_search_opENS9_16wrapped_functionINS8_6system6detail7generic6detail18binary_search_lessEbEEEE10hipError_tPvRmT1_T2_T3_mmT4_T5_P12ihipStream_tbEUlRKjE_EEST_SX_SY_mSZ_S12_bEUlT_E_NS1_11comp_targetILNS1_3genE5ELNS1_11target_archE942ELNS1_3gpuE9ELNS1_3repE0EEENS1_30default_config_static_selectorELNS0_4arch9wavefront6targetE1EEEvSW_
; %bb.0:
	.section	.rodata,"a",@progbits
	.p2align	6, 0x0
	.amdhsa_kernel _ZN7rocprim17ROCPRIM_400000_NS6detail17trampoline_kernelINS0_14default_configENS1_27upper_bound_config_selectorIjlEEZNS1_14transform_implILb0ES3_S5_N6thrust23THRUST_200600_302600_NS6detail15normal_iteratorINS8_7pointerIjNS8_11hip_rocprim5par_tENS8_11use_defaultESE_EEEENSA_INSB_IlSD_SE_SE_EEEEZNS1_13binary_searchIS3_S5_PjSG_SI_NS1_21upper_bound_search_opENS9_16wrapped_functionINS8_6system6detail7generic6detail18binary_search_lessEbEEEE10hipError_tPvRmT1_T2_T3_mmT4_T5_P12ihipStream_tbEUlRKjE_EEST_SX_SY_mSZ_S12_bEUlT_E_NS1_11comp_targetILNS1_3genE5ELNS1_11target_archE942ELNS1_3gpuE9ELNS1_3repE0EEENS1_30default_config_static_selectorELNS0_4arch9wavefront6targetE1EEEvSW_
		.amdhsa_group_segment_fixed_size 0
		.amdhsa_private_segment_fixed_size 0
		.amdhsa_kernarg_size 56
		.amdhsa_user_sgpr_count 6
		.amdhsa_user_sgpr_private_segment_buffer 1
		.amdhsa_user_sgpr_dispatch_ptr 0
		.amdhsa_user_sgpr_queue_ptr 0
		.amdhsa_user_sgpr_kernarg_segment_ptr 1
		.amdhsa_user_sgpr_dispatch_id 0
		.amdhsa_user_sgpr_flat_scratch_init 0
		.amdhsa_user_sgpr_private_segment_size 0
		.amdhsa_uses_dynamic_stack 0
		.amdhsa_system_sgpr_private_segment_wavefront_offset 0
		.amdhsa_system_sgpr_workgroup_id_x 1
		.amdhsa_system_sgpr_workgroup_id_y 0
		.amdhsa_system_sgpr_workgroup_id_z 0
		.amdhsa_system_sgpr_workgroup_info 0
		.amdhsa_system_vgpr_workitem_id 0
		.amdhsa_next_free_vgpr 1
		.amdhsa_next_free_sgpr 0
		.amdhsa_reserve_vcc 0
		.amdhsa_reserve_flat_scratch 0
		.amdhsa_float_round_mode_32 0
		.amdhsa_float_round_mode_16_64 0
		.amdhsa_float_denorm_mode_32 3
		.amdhsa_float_denorm_mode_16_64 3
		.amdhsa_dx10_clamp 1
		.amdhsa_ieee_mode 1
		.amdhsa_fp16_overflow 0
		.amdhsa_exception_fp_ieee_invalid_op 0
		.amdhsa_exception_fp_denorm_src 0
		.amdhsa_exception_fp_ieee_div_zero 0
		.amdhsa_exception_fp_ieee_overflow 0
		.amdhsa_exception_fp_ieee_underflow 0
		.amdhsa_exception_fp_ieee_inexact 0
		.amdhsa_exception_int_div_zero 0
	.end_amdhsa_kernel
	.section	.text._ZN7rocprim17ROCPRIM_400000_NS6detail17trampoline_kernelINS0_14default_configENS1_27upper_bound_config_selectorIjlEEZNS1_14transform_implILb0ES3_S5_N6thrust23THRUST_200600_302600_NS6detail15normal_iteratorINS8_7pointerIjNS8_11hip_rocprim5par_tENS8_11use_defaultESE_EEEENSA_INSB_IlSD_SE_SE_EEEEZNS1_13binary_searchIS3_S5_PjSG_SI_NS1_21upper_bound_search_opENS9_16wrapped_functionINS8_6system6detail7generic6detail18binary_search_lessEbEEEE10hipError_tPvRmT1_T2_T3_mmT4_T5_P12ihipStream_tbEUlRKjE_EEST_SX_SY_mSZ_S12_bEUlT_E_NS1_11comp_targetILNS1_3genE5ELNS1_11target_archE942ELNS1_3gpuE9ELNS1_3repE0EEENS1_30default_config_static_selectorELNS0_4arch9wavefront6targetE1EEEvSW_,"axG",@progbits,_ZN7rocprim17ROCPRIM_400000_NS6detail17trampoline_kernelINS0_14default_configENS1_27upper_bound_config_selectorIjlEEZNS1_14transform_implILb0ES3_S5_N6thrust23THRUST_200600_302600_NS6detail15normal_iteratorINS8_7pointerIjNS8_11hip_rocprim5par_tENS8_11use_defaultESE_EEEENSA_INSB_IlSD_SE_SE_EEEEZNS1_13binary_searchIS3_S5_PjSG_SI_NS1_21upper_bound_search_opENS9_16wrapped_functionINS8_6system6detail7generic6detail18binary_search_lessEbEEEE10hipError_tPvRmT1_T2_T3_mmT4_T5_P12ihipStream_tbEUlRKjE_EEST_SX_SY_mSZ_S12_bEUlT_E_NS1_11comp_targetILNS1_3genE5ELNS1_11target_archE942ELNS1_3gpuE9ELNS1_3repE0EEENS1_30default_config_static_selectorELNS0_4arch9wavefront6targetE1EEEvSW_,comdat
.Lfunc_end193:
	.size	_ZN7rocprim17ROCPRIM_400000_NS6detail17trampoline_kernelINS0_14default_configENS1_27upper_bound_config_selectorIjlEEZNS1_14transform_implILb0ES3_S5_N6thrust23THRUST_200600_302600_NS6detail15normal_iteratorINS8_7pointerIjNS8_11hip_rocprim5par_tENS8_11use_defaultESE_EEEENSA_INSB_IlSD_SE_SE_EEEEZNS1_13binary_searchIS3_S5_PjSG_SI_NS1_21upper_bound_search_opENS9_16wrapped_functionINS8_6system6detail7generic6detail18binary_search_lessEbEEEE10hipError_tPvRmT1_T2_T3_mmT4_T5_P12ihipStream_tbEUlRKjE_EEST_SX_SY_mSZ_S12_bEUlT_E_NS1_11comp_targetILNS1_3genE5ELNS1_11target_archE942ELNS1_3gpuE9ELNS1_3repE0EEENS1_30default_config_static_selectorELNS0_4arch9wavefront6targetE1EEEvSW_, .Lfunc_end193-_ZN7rocprim17ROCPRIM_400000_NS6detail17trampoline_kernelINS0_14default_configENS1_27upper_bound_config_selectorIjlEEZNS1_14transform_implILb0ES3_S5_N6thrust23THRUST_200600_302600_NS6detail15normal_iteratorINS8_7pointerIjNS8_11hip_rocprim5par_tENS8_11use_defaultESE_EEEENSA_INSB_IlSD_SE_SE_EEEEZNS1_13binary_searchIS3_S5_PjSG_SI_NS1_21upper_bound_search_opENS9_16wrapped_functionINS8_6system6detail7generic6detail18binary_search_lessEbEEEE10hipError_tPvRmT1_T2_T3_mmT4_T5_P12ihipStream_tbEUlRKjE_EEST_SX_SY_mSZ_S12_bEUlT_E_NS1_11comp_targetILNS1_3genE5ELNS1_11target_archE942ELNS1_3gpuE9ELNS1_3repE0EEENS1_30default_config_static_selectorELNS0_4arch9wavefront6targetE1EEEvSW_
                                        ; -- End function
	.set _ZN7rocprim17ROCPRIM_400000_NS6detail17trampoline_kernelINS0_14default_configENS1_27upper_bound_config_selectorIjlEEZNS1_14transform_implILb0ES3_S5_N6thrust23THRUST_200600_302600_NS6detail15normal_iteratorINS8_7pointerIjNS8_11hip_rocprim5par_tENS8_11use_defaultESE_EEEENSA_INSB_IlSD_SE_SE_EEEEZNS1_13binary_searchIS3_S5_PjSG_SI_NS1_21upper_bound_search_opENS9_16wrapped_functionINS8_6system6detail7generic6detail18binary_search_lessEbEEEE10hipError_tPvRmT1_T2_T3_mmT4_T5_P12ihipStream_tbEUlRKjE_EEST_SX_SY_mSZ_S12_bEUlT_E_NS1_11comp_targetILNS1_3genE5ELNS1_11target_archE942ELNS1_3gpuE9ELNS1_3repE0EEENS1_30default_config_static_selectorELNS0_4arch9wavefront6targetE1EEEvSW_.num_vgpr, 0
	.set _ZN7rocprim17ROCPRIM_400000_NS6detail17trampoline_kernelINS0_14default_configENS1_27upper_bound_config_selectorIjlEEZNS1_14transform_implILb0ES3_S5_N6thrust23THRUST_200600_302600_NS6detail15normal_iteratorINS8_7pointerIjNS8_11hip_rocprim5par_tENS8_11use_defaultESE_EEEENSA_INSB_IlSD_SE_SE_EEEEZNS1_13binary_searchIS3_S5_PjSG_SI_NS1_21upper_bound_search_opENS9_16wrapped_functionINS8_6system6detail7generic6detail18binary_search_lessEbEEEE10hipError_tPvRmT1_T2_T3_mmT4_T5_P12ihipStream_tbEUlRKjE_EEST_SX_SY_mSZ_S12_bEUlT_E_NS1_11comp_targetILNS1_3genE5ELNS1_11target_archE942ELNS1_3gpuE9ELNS1_3repE0EEENS1_30default_config_static_selectorELNS0_4arch9wavefront6targetE1EEEvSW_.num_agpr, 0
	.set _ZN7rocprim17ROCPRIM_400000_NS6detail17trampoline_kernelINS0_14default_configENS1_27upper_bound_config_selectorIjlEEZNS1_14transform_implILb0ES3_S5_N6thrust23THRUST_200600_302600_NS6detail15normal_iteratorINS8_7pointerIjNS8_11hip_rocprim5par_tENS8_11use_defaultESE_EEEENSA_INSB_IlSD_SE_SE_EEEEZNS1_13binary_searchIS3_S5_PjSG_SI_NS1_21upper_bound_search_opENS9_16wrapped_functionINS8_6system6detail7generic6detail18binary_search_lessEbEEEE10hipError_tPvRmT1_T2_T3_mmT4_T5_P12ihipStream_tbEUlRKjE_EEST_SX_SY_mSZ_S12_bEUlT_E_NS1_11comp_targetILNS1_3genE5ELNS1_11target_archE942ELNS1_3gpuE9ELNS1_3repE0EEENS1_30default_config_static_selectorELNS0_4arch9wavefront6targetE1EEEvSW_.numbered_sgpr, 0
	.set _ZN7rocprim17ROCPRIM_400000_NS6detail17trampoline_kernelINS0_14default_configENS1_27upper_bound_config_selectorIjlEEZNS1_14transform_implILb0ES3_S5_N6thrust23THRUST_200600_302600_NS6detail15normal_iteratorINS8_7pointerIjNS8_11hip_rocprim5par_tENS8_11use_defaultESE_EEEENSA_INSB_IlSD_SE_SE_EEEEZNS1_13binary_searchIS3_S5_PjSG_SI_NS1_21upper_bound_search_opENS9_16wrapped_functionINS8_6system6detail7generic6detail18binary_search_lessEbEEEE10hipError_tPvRmT1_T2_T3_mmT4_T5_P12ihipStream_tbEUlRKjE_EEST_SX_SY_mSZ_S12_bEUlT_E_NS1_11comp_targetILNS1_3genE5ELNS1_11target_archE942ELNS1_3gpuE9ELNS1_3repE0EEENS1_30default_config_static_selectorELNS0_4arch9wavefront6targetE1EEEvSW_.num_named_barrier, 0
	.set _ZN7rocprim17ROCPRIM_400000_NS6detail17trampoline_kernelINS0_14default_configENS1_27upper_bound_config_selectorIjlEEZNS1_14transform_implILb0ES3_S5_N6thrust23THRUST_200600_302600_NS6detail15normal_iteratorINS8_7pointerIjNS8_11hip_rocprim5par_tENS8_11use_defaultESE_EEEENSA_INSB_IlSD_SE_SE_EEEEZNS1_13binary_searchIS3_S5_PjSG_SI_NS1_21upper_bound_search_opENS9_16wrapped_functionINS8_6system6detail7generic6detail18binary_search_lessEbEEEE10hipError_tPvRmT1_T2_T3_mmT4_T5_P12ihipStream_tbEUlRKjE_EEST_SX_SY_mSZ_S12_bEUlT_E_NS1_11comp_targetILNS1_3genE5ELNS1_11target_archE942ELNS1_3gpuE9ELNS1_3repE0EEENS1_30default_config_static_selectorELNS0_4arch9wavefront6targetE1EEEvSW_.private_seg_size, 0
	.set _ZN7rocprim17ROCPRIM_400000_NS6detail17trampoline_kernelINS0_14default_configENS1_27upper_bound_config_selectorIjlEEZNS1_14transform_implILb0ES3_S5_N6thrust23THRUST_200600_302600_NS6detail15normal_iteratorINS8_7pointerIjNS8_11hip_rocprim5par_tENS8_11use_defaultESE_EEEENSA_INSB_IlSD_SE_SE_EEEEZNS1_13binary_searchIS3_S5_PjSG_SI_NS1_21upper_bound_search_opENS9_16wrapped_functionINS8_6system6detail7generic6detail18binary_search_lessEbEEEE10hipError_tPvRmT1_T2_T3_mmT4_T5_P12ihipStream_tbEUlRKjE_EEST_SX_SY_mSZ_S12_bEUlT_E_NS1_11comp_targetILNS1_3genE5ELNS1_11target_archE942ELNS1_3gpuE9ELNS1_3repE0EEENS1_30default_config_static_selectorELNS0_4arch9wavefront6targetE1EEEvSW_.uses_vcc, 0
	.set _ZN7rocprim17ROCPRIM_400000_NS6detail17trampoline_kernelINS0_14default_configENS1_27upper_bound_config_selectorIjlEEZNS1_14transform_implILb0ES3_S5_N6thrust23THRUST_200600_302600_NS6detail15normal_iteratorINS8_7pointerIjNS8_11hip_rocprim5par_tENS8_11use_defaultESE_EEEENSA_INSB_IlSD_SE_SE_EEEEZNS1_13binary_searchIS3_S5_PjSG_SI_NS1_21upper_bound_search_opENS9_16wrapped_functionINS8_6system6detail7generic6detail18binary_search_lessEbEEEE10hipError_tPvRmT1_T2_T3_mmT4_T5_P12ihipStream_tbEUlRKjE_EEST_SX_SY_mSZ_S12_bEUlT_E_NS1_11comp_targetILNS1_3genE5ELNS1_11target_archE942ELNS1_3gpuE9ELNS1_3repE0EEENS1_30default_config_static_selectorELNS0_4arch9wavefront6targetE1EEEvSW_.uses_flat_scratch, 0
	.set _ZN7rocprim17ROCPRIM_400000_NS6detail17trampoline_kernelINS0_14default_configENS1_27upper_bound_config_selectorIjlEEZNS1_14transform_implILb0ES3_S5_N6thrust23THRUST_200600_302600_NS6detail15normal_iteratorINS8_7pointerIjNS8_11hip_rocprim5par_tENS8_11use_defaultESE_EEEENSA_INSB_IlSD_SE_SE_EEEEZNS1_13binary_searchIS3_S5_PjSG_SI_NS1_21upper_bound_search_opENS9_16wrapped_functionINS8_6system6detail7generic6detail18binary_search_lessEbEEEE10hipError_tPvRmT1_T2_T3_mmT4_T5_P12ihipStream_tbEUlRKjE_EEST_SX_SY_mSZ_S12_bEUlT_E_NS1_11comp_targetILNS1_3genE5ELNS1_11target_archE942ELNS1_3gpuE9ELNS1_3repE0EEENS1_30default_config_static_selectorELNS0_4arch9wavefront6targetE1EEEvSW_.has_dyn_sized_stack, 0
	.set _ZN7rocprim17ROCPRIM_400000_NS6detail17trampoline_kernelINS0_14default_configENS1_27upper_bound_config_selectorIjlEEZNS1_14transform_implILb0ES3_S5_N6thrust23THRUST_200600_302600_NS6detail15normal_iteratorINS8_7pointerIjNS8_11hip_rocprim5par_tENS8_11use_defaultESE_EEEENSA_INSB_IlSD_SE_SE_EEEEZNS1_13binary_searchIS3_S5_PjSG_SI_NS1_21upper_bound_search_opENS9_16wrapped_functionINS8_6system6detail7generic6detail18binary_search_lessEbEEEE10hipError_tPvRmT1_T2_T3_mmT4_T5_P12ihipStream_tbEUlRKjE_EEST_SX_SY_mSZ_S12_bEUlT_E_NS1_11comp_targetILNS1_3genE5ELNS1_11target_archE942ELNS1_3gpuE9ELNS1_3repE0EEENS1_30default_config_static_selectorELNS0_4arch9wavefront6targetE1EEEvSW_.has_recursion, 0
	.set _ZN7rocprim17ROCPRIM_400000_NS6detail17trampoline_kernelINS0_14default_configENS1_27upper_bound_config_selectorIjlEEZNS1_14transform_implILb0ES3_S5_N6thrust23THRUST_200600_302600_NS6detail15normal_iteratorINS8_7pointerIjNS8_11hip_rocprim5par_tENS8_11use_defaultESE_EEEENSA_INSB_IlSD_SE_SE_EEEEZNS1_13binary_searchIS3_S5_PjSG_SI_NS1_21upper_bound_search_opENS9_16wrapped_functionINS8_6system6detail7generic6detail18binary_search_lessEbEEEE10hipError_tPvRmT1_T2_T3_mmT4_T5_P12ihipStream_tbEUlRKjE_EEST_SX_SY_mSZ_S12_bEUlT_E_NS1_11comp_targetILNS1_3genE5ELNS1_11target_archE942ELNS1_3gpuE9ELNS1_3repE0EEENS1_30default_config_static_selectorELNS0_4arch9wavefront6targetE1EEEvSW_.has_indirect_call, 0
	.section	.AMDGPU.csdata,"",@progbits
; Kernel info:
; codeLenInByte = 0
; TotalNumSgprs: 4
; NumVgprs: 0
; ScratchSize: 0
; MemoryBound: 0
; FloatMode: 240
; IeeeMode: 1
; LDSByteSize: 0 bytes/workgroup (compile time only)
; SGPRBlocks: 0
; VGPRBlocks: 0
; NumSGPRsForWavesPerEU: 4
; NumVGPRsForWavesPerEU: 1
; Occupancy: 10
; WaveLimiterHint : 0
; COMPUTE_PGM_RSRC2:SCRATCH_EN: 0
; COMPUTE_PGM_RSRC2:USER_SGPR: 6
; COMPUTE_PGM_RSRC2:TRAP_HANDLER: 0
; COMPUTE_PGM_RSRC2:TGID_X_EN: 1
; COMPUTE_PGM_RSRC2:TGID_Y_EN: 0
; COMPUTE_PGM_RSRC2:TGID_Z_EN: 0
; COMPUTE_PGM_RSRC2:TIDIG_COMP_CNT: 0
	.section	.text._ZN7rocprim17ROCPRIM_400000_NS6detail17trampoline_kernelINS0_14default_configENS1_27upper_bound_config_selectorIjlEEZNS1_14transform_implILb0ES3_S5_N6thrust23THRUST_200600_302600_NS6detail15normal_iteratorINS8_7pointerIjNS8_11hip_rocprim5par_tENS8_11use_defaultESE_EEEENSA_INSB_IlSD_SE_SE_EEEEZNS1_13binary_searchIS3_S5_PjSG_SI_NS1_21upper_bound_search_opENS9_16wrapped_functionINS8_6system6detail7generic6detail18binary_search_lessEbEEEE10hipError_tPvRmT1_T2_T3_mmT4_T5_P12ihipStream_tbEUlRKjE_EEST_SX_SY_mSZ_S12_bEUlT_E_NS1_11comp_targetILNS1_3genE4ELNS1_11target_archE910ELNS1_3gpuE8ELNS1_3repE0EEENS1_30default_config_static_selectorELNS0_4arch9wavefront6targetE1EEEvSW_,"axG",@progbits,_ZN7rocprim17ROCPRIM_400000_NS6detail17trampoline_kernelINS0_14default_configENS1_27upper_bound_config_selectorIjlEEZNS1_14transform_implILb0ES3_S5_N6thrust23THRUST_200600_302600_NS6detail15normal_iteratorINS8_7pointerIjNS8_11hip_rocprim5par_tENS8_11use_defaultESE_EEEENSA_INSB_IlSD_SE_SE_EEEEZNS1_13binary_searchIS3_S5_PjSG_SI_NS1_21upper_bound_search_opENS9_16wrapped_functionINS8_6system6detail7generic6detail18binary_search_lessEbEEEE10hipError_tPvRmT1_T2_T3_mmT4_T5_P12ihipStream_tbEUlRKjE_EEST_SX_SY_mSZ_S12_bEUlT_E_NS1_11comp_targetILNS1_3genE4ELNS1_11target_archE910ELNS1_3gpuE8ELNS1_3repE0EEENS1_30default_config_static_selectorELNS0_4arch9wavefront6targetE1EEEvSW_,comdat
	.protected	_ZN7rocprim17ROCPRIM_400000_NS6detail17trampoline_kernelINS0_14default_configENS1_27upper_bound_config_selectorIjlEEZNS1_14transform_implILb0ES3_S5_N6thrust23THRUST_200600_302600_NS6detail15normal_iteratorINS8_7pointerIjNS8_11hip_rocprim5par_tENS8_11use_defaultESE_EEEENSA_INSB_IlSD_SE_SE_EEEEZNS1_13binary_searchIS3_S5_PjSG_SI_NS1_21upper_bound_search_opENS9_16wrapped_functionINS8_6system6detail7generic6detail18binary_search_lessEbEEEE10hipError_tPvRmT1_T2_T3_mmT4_T5_P12ihipStream_tbEUlRKjE_EEST_SX_SY_mSZ_S12_bEUlT_E_NS1_11comp_targetILNS1_3genE4ELNS1_11target_archE910ELNS1_3gpuE8ELNS1_3repE0EEENS1_30default_config_static_selectorELNS0_4arch9wavefront6targetE1EEEvSW_ ; -- Begin function _ZN7rocprim17ROCPRIM_400000_NS6detail17trampoline_kernelINS0_14default_configENS1_27upper_bound_config_selectorIjlEEZNS1_14transform_implILb0ES3_S5_N6thrust23THRUST_200600_302600_NS6detail15normal_iteratorINS8_7pointerIjNS8_11hip_rocprim5par_tENS8_11use_defaultESE_EEEENSA_INSB_IlSD_SE_SE_EEEEZNS1_13binary_searchIS3_S5_PjSG_SI_NS1_21upper_bound_search_opENS9_16wrapped_functionINS8_6system6detail7generic6detail18binary_search_lessEbEEEE10hipError_tPvRmT1_T2_T3_mmT4_T5_P12ihipStream_tbEUlRKjE_EEST_SX_SY_mSZ_S12_bEUlT_E_NS1_11comp_targetILNS1_3genE4ELNS1_11target_archE910ELNS1_3gpuE8ELNS1_3repE0EEENS1_30default_config_static_selectorELNS0_4arch9wavefront6targetE1EEEvSW_
	.globl	_ZN7rocprim17ROCPRIM_400000_NS6detail17trampoline_kernelINS0_14default_configENS1_27upper_bound_config_selectorIjlEEZNS1_14transform_implILb0ES3_S5_N6thrust23THRUST_200600_302600_NS6detail15normal_iteratorINS8_7pointerIjNS8_11hip_rocprim5par_tENS8_11use_defaultESE_EEEENSA_INSB_IlSD_SE_SE_EEEEZNS1_13binary_searchIS3_S5_PjSG_SI_NS1_21upper_bound_search_opENS9_16wrapped_functionINS8_6system6detail7generic6detail18binary_search_lessEbEEEE10hipError_tPvRmT1_T2_T3_mmT4_T5_P12ihipStream_tbEUlRKjE_EEST_SX_SY_mSZ_S12_bEUlT_E_NS1_11comp_targetILNS1_3genE4ELNS1_11target_archE910ELNS1_3gpuE8ELNS1_3repE0EEENS1_30default_config_static_selectorELNS0_4arch9wavefront6targetE1EEEvSW_
	.p2align	8
	.type	_ZN7rocprim17ROCPRIM_400000_NS6detail17trampoline_kernelINS0_14default_configENS1_27upper_bound_config_selectorIjlEEZNS1_14transform_implILb0ES3_S5_N6thrust23THRUST_200600_302600_NS6detail15normal_iteratorINS8_7pointerIjNS8_11hip_rocprim5par_tENS8_11use_defaultESE_EEEENSA_INSB_IlSD_SE_SE_EEEEZNS1_13binary_searchIS3_S5_PjSG_SI_NS1_21upper_bound_search_opENS9_16wrapped_functionINS8_6system6detail7generic6detail18binary_search_lessEbEEEE10hipError_tPvRmT1_T2_T3_mmT4_T5_P12ihipStream_tbEUlRKjE_EEST_SX_SY_mSZ_S12_bEUlT_E_NS1_11comp_targetILNS1_3genE4ELNS1_11target_archE910ELNS1_3gpuE8ELNS1_3repE0EEENS1_30default_config_static_selectorELNS0_4arch9wavefront6targetE1EEEvSW_,@function
_ZN7rocprim17ROCPRIM_400000_NS6detail17trampoline_kernelINS0_14default_configENS1_27upper_bound_config_selectorIjlEEZNS1_14transform_implILb0ES3_S5_N6thrust23THRUST_200600_302600_NS6detail15normal_iteratorINS8_7pointerIjNS8_11hip_rocprim5par_tENS8_11use_defaultESE_EEEENSA_INSB_IlSD_SE_SE_EEEEZNS1_13binary_searchIS3_S5_PjSG_SI_NS1_21upper_bound_search_opENS9_16wrapped_functionINS8_6system6detail7generic6detail18binary_search_lessEbEEEE10hipError_tPvRmT1_T2_T3_mmT4_T5_P12ihipStream_tbEUlRKjE_EEST_SX_SY_mSZ_S12_bEUlT_E_NS1_11comp_targetILNS1_3genE4ELNS1_11target_archE910ELNS1_3gpuE8ELNS1_3repE0EEENS1_30default_config_static_selectorELNS0_4arch9wavefront6targetE1EEEvSW_: ; @_ZN7rocprim17ROCPRIM_400000_NS6detail17trampoline_kernelINS0_14default_configENS1_27upper_bound_config_selectorIjlEEZNS1_14transform_implILb0ES3_S5_N6thrust23THRUST_200600_302600_NS6detail15normal_iteratorINS8_7pointerIjNS8_11hip_rocprim5par_tENS8_11use_defaultESE_EEEENSA_INSB_IlSD_SE_SE_EEEEZNS1_13binary_searchIS3_S5_PjSG_SI_NS1_21upper_bound_search_opENS9_16wrapped_functionINS8_6system6detail7generic6detail18binary_search_lessEbEEEE10hipError_tPvRmT1_T2_T3_mmT4_T5_P12ihipStream_tbEUlRKjE_EEST_SX_SY_mSZ_S12_bEUlT_E_NS1_11comp_targetILNS1_3genE4ELNS1_11target_archE910ELNS1_3gpuE8ELNS1_3repE0EEENS1_30default_config_static_selectorELNS0_4arch9wavefront6targetE1EEEvSW_
; %bb.0:
	.section	.rodata,"a",@progbits
	.p2align	6, 0x0
	.amdhsa_kernel _ZN7rocprim17ROCPRIM_400000_NS6detail17trampoline_kernelINS0_14default_configENS1_27upper_bound_config_selectorIjlEEZNS1_14transform_implILb0ES3_S5_N6thrust23THRUST_200600_302600_NS6detail15normal_iteratorINS8_7pointerIjNS8_11hip_rocprim5par_tENS8_11use_defaultESE_EEEENSA_INSB_IlSD_SE_SE_EEEEZNS1_13binary_searchIS3_S5_PjSG_SI_NS1_21upper_bound_search_opENS9_16wrapped_functionINS8_6system6detail7generic6detail18binary_search_lessEbEEEE10hipError_tPvRmT1_T2_T3_mmT4_T5_P12ihipStream_tbEUlRKjE_EEST_SX_SY_mSZ_S12_bEUlT_E_NS1_11comp_targetILNS1_3genE4ELNS1_11target_archE910ELNS1_3gpuE8ELNS1_3repE0EEENS1_30default_config_static_selectorELNS0_4arch9wavefront6targetE1EEEvSW_
		.amdhsa_group_segment_fixed_size 0
		.amdhsa_private_segment_fixed_size 0
		.amdhsa_kernarg_size 56
		.amdhsa_user_sgpr_count 6
		.amdhsa_user_sgpr_private_segment_buffer 1
		.amdhsa_user_sgpr_dispatch_ptr 0
		.amdhsa_user_sgpr_queue_ptr 0
		.amdhsa_user_sgpr_kernarg_segment_ptr 1
		.amdhsa_user_sgpr_dispatch_id 0
		.amdhsa_user_sgpr_flat_scratch_init 0
		.amdhsa_user_sgpr_private_segment_size 0
		.amdhsa_uses_dynamic_stack 0
		.amdhsa_system_sgpr_private_segment_wavefront_offset 0
		.amdhsa_system_sgpr_workgroup_id_x 1
		.amdhsa_system_sgpr_workgroup_id_y 0
		.amdhsa_system_sgpr_workgroup_id_z 0
		.amdhsa_system_sgpr_workgroup_info 0
		.amdhsa_system_vgpr_workitem_id 0
		.amdhsa_next_free_vgpr 1
		.amdhsa_next_free_sgpr 0
		.amdhsa_reserve_vcc 0
		.amdhsa_reserve_flat_scratch 0
		.amdhsa_float_round_mode_32 0
		.amdhsa_float_round_mode_16_64 0
		.amdhsa_float_denorm_mode_32 3
		.amdhsa_float_denorm_mode_16_64 3
		.amdhsa_dx10_clamp 1
		.amdhsa_ieee_mode 1
		.amdhsa_fp16_overflow 0
		.amdhsa_exception_fp_ieee_invalid_op 0
		.amdhsa_exception_fp_denorm_src 0
		.amdhsa_exception_fp_ieee_div_zero 0
		.amdhsa_exception_fp_ieee_overflow 0
		.amdhsa_exception_fp_ieee_underflow 0
		.amdhsa_exception_fp_ieee_inexact 0
		.amdhsa_exception_int_div_zero 0
	.end_amdhsa_kernel
	.section	.text._ZN7rocprim17ROCPRIM_400000_NS6detail17trampoline_kernelINS0_14default_configENS1_27upper_bound_config_selectorIjlEEZNS1_14transform_implILb0ES3_S5_N6thrust23THRUST_200600_302600_NS6detail15normal_iteratorINS8_7pointerIjNS8_11hip_rocprim5par_tENS8_11use_defaultESE_EEEENSA_INSB_IlSD_SE_SE_EEEEZNS1_13binary_searchIS3_S5_PjSG_SI_NS1_21upper_bound_search_opENS9_16wrapped_functionINS8_6system6detail7generic6detail18binary_search_lessEbEEEE10hipError_tPvRmT1_T2_T3_mmT4_T5_P12ihipStream_tbEUlRKjE_EEST_SX_SY_mSZ_S12_bEUlT_E_NS1_11comp_targetILNS1_3genE4ELNS1_11target_archE910ELNS1_3gpuE8ELNS1_3repE0EEENS1_30default_config_static_selectorELNS0_4arch9wavefront6targetE1EEEvSW_,"axG",@progbits,_ZN7rocprim17ROCPRIM_400000_NS6detail17trampoline_kernelINS0_14default_configENS1_27upper_bound_config_selectorIjlEEZNS1_14transform_implILb0ES3_S5_N6thrust23THRUST_200600_302600_NS6detail15normal_iteratorINS8_7pointerIjNS8_11hip_rocprim5par_tENS8_11use_defaultESE_EEEENSA_INSB_IlSD_SE_SE_EEEEZNS1_13binary_searchIS3_S5_PjSG_SI_NS1_21upper_bound_search_opENS9_16wrapped_functionINS8_6system6detail7generic6detail18binary_search_lessEbEEEE10hipError_tPvRmT1_T2_T3_mmT4_T5_P12ihipStream_tbEUlRKjE_EEST_SX_SY_mSZ_S12_bEUlT_E_NS1_11comp_targetILNS1_3genE4ELNS1_11target_archE910ELNS1_3gpuE8ELNS1_3repE0EEENS1_30default_config_static_selectorELNS0_4arch9wavefront6targetE1EEEvSW_,comdat
.Lfunc_end194:
	.size	_ZN7rocprim17ROCPRIM_400000_NS6detail17trampoline_kernelINS0_14default_configENS1_27upper_bound_config_selectorIjlEEZNS1_14transform_implILb0ES3_S5_N6thrust23THRUST_200600_302600_NS6detail15normal_iteratorINS8_7pointerIjNS8_11hip_rocprim5par_tENS8_11use_defaultESE_EEEENSA_INSB_IlSD_SE_SE_EEEEZNS1_13binary_searchIS3_S5_PjSG_SI_NS1_21upper_bound_search_opENS9_16wrapped_functionINS8_6system6detail7generic6detail18binary_search_lessEbEEEE10hipError_tPvRmT1_T2_T3_mmT4_T5_P12ihipStream_tbEUlRKjE_EEST_SX_SY_mSZ_S12_bEUlT_E_NS1_11comp_targetILNS1_3genE4ELNS1_11target_archE910ELNS1_3gpuE8ELNS1_3repE0EEENS1_30default_config_static_selectorELNS0_4arch9wavefront6targetE1EEEvSW_, .Lfunc_end194-_ZN7rocprim17ROCPRIM_400000_NS6detail17trampoline_kernelINS0_14default_configENS1_27upper_bound_config_selectorIjlEEZNS1_14transform_implILb0ES3_S5_N6thrust23THRUST_200600_302600_NS6detail15normal_iteratorINS8_7pointerIjNS8_11hip_rocprim5par_tENS8_11use_defaultESE_EEEENSA_INSB_IlSD_SE_SE_EEEEZNS1_13binary_searchIS3_S5_PjSG_SI_NS1_21upper_bound_search_opENS9_16wrapped_functionINS8_6system6detail7generic6detail18binary_search_lessEbEEEE10hipError_tPvRmT1_T2_T3_mmT4_T5_P12ihipStream_tbEUlRKjE_EEST_SX_SY_mSZ_S12_bEUlT_E_NS1_11comp_targetILNS1_3genE4ELNS1_11target_archE910ELNS1_3gpuE8ELNS1_3repE0EEENS1_30default_config_static_selectorELNS0_4arch9wavefront6targetE1EEEvSW_
                                        ; -- End function
	.set _ZN7rocprim17ROCPRIM_400000_NS6detail17trampoline_kernelINS0_14default_configENS1_27upper_bound_config_selectorIjlEEZNS1_14transform_implILb0ES3_S5_N6thrust23THRUST_200600_302600_NS6detail15normal_iteratorINS8_7pointerIjNS8_11hip_rocprim5par_tENS8_11use_defaultESE_EEEENSA_INSB_IlSD_SE_SE_EEEEZNS1_13binary_searchIS3_S5_PjSG_SI_NS1_21upper_bound_search_opENS9_16wrapped_functionINS8_6system6detail7generic6detail18binary_search_lessEbEEEE10hipError_tPvRmT1_T2_T3_mmT4_T5_P12ihipStream_tbEUlRKjE_EEST_SX_SY_mSZ_S12_bEUlT_E_NS1_11comp_targetILNS1_3genE4ELNS1_11target_archE910ELNS1_3gpuE8ELNS1_3repE0EEENS1_30default_config_static_selectorELNS0_4arch9wavefront6targetE1EEEvSW_.num_vgpr, 0
	.set _ZN7rocprim17ROCPRIM_400000_NS6detail17trampoline_kernelINS0_14default_configENS1_27upper_bound_config_selectorIjlEEZNS1_14transform_implILb0ES3_S5_N6thrust23THRUST_200600_302600_NS6detail15normal_iteratorINS8_7pointerIjNS8_11hip_rocprim5par_tENS8_11use_defaultESE_EEEENSA_INSB_IlSD_SE_SE_EEEEZNS1_13binary_searchIS3_S5_PjSG_SI_NS1_21upper_bound_search_opENS9_16wrapped_functionINS8_6system6detail7generic6detail18binary_search_lessEbEEEE10hipError_tPvRmT1_T2_T3_mmT4_T5_P12ihipStream_tbEUlRKjE_EEST_SX_SY_mSZ_S12_bEUlT_E_NS1_11comp_targetILNS1_3genE4ELNS1_11target_archE910ELNS1_3gpuE8ELNS1_3repE0EEENS1_30default_config_static_selectorELNS0_4arch9wavefront6targetE1EEEvSW_.num_agpr, 0
	.set _ZN7rocprim17ROCPRIM_400000_NS6detail17trampoline_kernelINS0_14default_configENS1_27upper_bound_config_selectorIjlEEZNS1_14transform_implILb0ES3_S5_N6thrust23THRUST_200600_302600_NS6detail15normal_iteratorINS8_7pointerIjNS8_11hip_rocprim5par_tENS8_11use_defaultESE_EEEENSA_INSB_IlSD_SE_SE_EEEEZNS1_13binary_searchIS3_S5_PjSG_SI_NS1_21upper_bound_search_opENS9_16wrapped_functionINS8_6system6detail7generic6detail18binary_search_lessEbEEEE10hipError_tPvRmT1_T2_T3_mmT4_T5_P12ihipStream_tbEUlRKjE_EEST_SX_SY_mSZ_S12_bEUlT_E_NS1_11comp_targetILNS1_3genE4ELNS1_11target_archE910ELNS1_3gpuE8ELNS1_3repE0EEENS1_30default_config_static_selectorELNS0_4arch9wavefront6targetE1EEEvSW_.numbered_sgpr, 0
	.set _ZN7rocprim17ROCPRIM_400000_NS6detail17trampoline_kernelINS0_14default_configENS1_27upper_bound_config_selectorIjlEEZNS1_14transform_implILb0ES3_S5_N6thrust23THRUST_200600_302600_NS6detail15normal_iteratorINS8_7pointerIjNS8_11hip_rocprim5par_tENS8_11use_defaultESE_EEEENSA_INSB_IlSD_SE_SE_EEEEZNS1_13binary_searchIS3_S5_PjSG_SI_NS1_21upper_bound_search_opENS9_16wrapped_functionINS8_6system6detail7generic6detail18binary_search_lessEbEEEE10hipError_tPvRmT1_T2_T3_mmT4_T5_P12ihipStream_tbEUlRKjE_EEST_SX_SY_mSZ_S12_bEUlT_E_NS1_11comp_targetILNS1_3genE4ELNS1_11target_archE910ELNS1_3gpuE8ELNS1_3repE0EEENS1_30default_config_static_selectorELNS0_4arch9wavefront6targetE1EEEvSW_.num_named_barrier, 0
	.set _ZN7rocprim17ROCPRIM_400000_NS6detail17trampoline_kernelINS0_14default_configENS1_27upper_bound_config_selectorIjlEEZNS1_14transform_implILb0ES3_S5_N6thrust23THRUST_200600_302600_NS6detail15normal_iteratorINS8_7pointerIjNS8_11hip_rocprim5par_tENS8_11use_defaultESE_EEEENSA_INSB_IlSD_SE_SE_EEEEZNS1_13binary_searchIS3_S5_PjSG_SI_NS1_21upper_bound_search_opENS9_16wrapped_functionINS8_6system6detail7generic6detail18binary_search_lessEbEEEE10hipError_tPvRmT1_T2_T3_mmT4_T5_P12ihipStream_tbEUlRKjE_EEST_SX_SY_mSZ_S12_bEUlT_E_NS1_11comp_targetILNS1_3genE4ELNS1_11target_archE910ELNS1_3gpuE8ELNS1_3repE0EEENS1_30default_config_static_selectorELNS0_4arch9wavefront6targetE1EEEvSW_.private_seg_size, 0
	.set _ZN7rocprim17ROCPRIM_400000_NS6detail17trampoline_kernelINS0_14default_configENS1_27upper_bound_config_selectorIjlEEZNS1_14transform_implILb0ES3_S5_N6thrust23THRUST_200600_302600_NS6detail15normal_iteratorINS8_7pointerIjNS8_11hip_rocprim5par_tENS8_11use_defaultESE_EEEENSA_INSB_IlSD_SE_SE_EEEEZNS1_13binary_searchIS3_S5_PjSG_SI_NS1_21upper_bound_search_opENS9_16wrapped_functionINS8_6system6detail7generic6detail18binary_search_lessEbEEEE10hipError_tPvRmT1_T2_T3_mmT4_T5_P12ihipStream_tbEUlRKjE_EEST_SX_SY_mSZ_S12_bEUlT_E_NS1_11comp_targetILNS1_3genE4ELNS1_11target_archE910ELNS1_3gpuE8ELNS1_3repE0EEENS1_30default_config_static_selectorELNS0_4arch9wavefront6targetE1EEEvSW_.uses_vcc, 0
	.set _ZN7rocprim17ROCPRIM_400000_NS6detail17trampoline_kernelINS0_14default_configENS1_27upper_bound_config_selectorIjlEEZNS1_14transform_implILb0ES3_S5_N6thrust23THRUST_200600_302600_NS6detail15normal_iteratorINS8_7pointerIjNS8_11hip_rocprim5par_tENS8_11use_defaultESE_EEEENSA_INSB_IlSD_SE_SE_EEEEZNS1_13binary_searchIS3_S5_PjSG_SI_NS1_21upper_bound_search_opENS9_16wrapped_functionINS8_6system6detail7generic6detail18binary_search_lessEbEEEE10hipError_tPvRmT1_T2_T3_mmT4_T5_P12ihipStream_tbEUlRKjE_EEST_SX_SY_mSZ_S12_bEUlT_E_NS1_11comp_targetILNS1_3genE4ELNS1_11target_archE910ELNS1_3gpuE8ELNS1_3repE0EEENS1_30default_config_static_selectorELNS0_4arch9wavefront6targetE1EEEvSW_.uses_flat_scratch, 0
	.set _ZN7rocprim17ROCPRIM_400000_NS6detail17trampoline_kernelINS0_14default_configENS1_27upper_bound_config_selectorIjlEEZNS1_14transform_implILb0ES3_S5_N6thrust23THRUST_200600_302600_NS6detail15normal_iteratorINS8_7pointerIjNS8_11hip_rocprim5par_tENS8_11use_defaultESE_EEEENSA_INSB_IlSD_SE_SE_EEEEZNS1_13binary_searchIS3_S5_PjSG_SI_NS1_21upper_bound_search_opENS9_16wrapped_functionINS8_6system6detail7generic6detail18binary_search_lessEbEEEE10hipError_tPvRmT1_T2_T3_mmT4_T5_P12ihipStream_tbEUlRKjE_EEST_SX_SY_mSZ_S12_bEUlT_E_NS1_11comp_targetILNS1_3genE4ELNS1_11target_archE910ELNS1_3gpuE8ELNS1_3repE0EEENS1_30default_config_static_selectorELNS0_4arch9wavefront6targetE1EEEvSW_.has_dyn_sized_stack, 0
	.set _ZN7rocprim17ROCPRIM_400000_NS6detail17trampoline_kernelINS0_14default_configENS1_27upper_bound_config_selectorIjlEEZNS1_14transform_implILb0ES3_S5_N6thrust23THRUST_200600_302600_NS6detail15normal_iteratorINS8_7pointerIjNS8_11hip_rocprim5par_tENS8_11use_defaultESE_EEEENSA_INSB_IlSD_SE_SE_EEEEZNS1_13binary_searchIS3_S5_PjSG_SI_NS1_21upper_bound_search_opENS9_16wrapped_functionINS8_6system6detail7generic6detail18binary_search_lessEbEEEE10hipError_tPvRmT1_T2_T3_mmT4_T5_P12ihipStream_tbEUlRKjE_EEST_SX_SY_mSZ_S12_bEUlT_E_NS1_11comp_targetILNS1_3genE4ELNS1_11target_archE910ELNS1_3gpuE8ELNS1_3repE0EEENS1_30default_config_static_selectorELNS0_4arch9wavefront6targetE1EEEvSW_.has_recursion, 0
	.set _ZN7rocprim17ROCPRIM_400000_NS6detail17trampoline_kernelINS0_14default_configENS1_27upper_bound_config_selectorIjlEEZNS1_14transform_implILb0ES3_S5_N6thrust23THRUST_200600_302600_NS6detail15normal_iteratorINS8_7pointerIjNS8_11hip_rocprim5par_tENS8_11use_defaultESE_EEEENSA_INSB_IlSD_SE_SE_EEEEZNS1_13binary_searchIS3_S5_PjSG_SI_NS1_21upper_bound_search_opENS9_16wrapped_functionINS8_6system6detail7generic6detail18binary_search_lessEbEEEE10hipError_tPvRmT1_T2_T3_mmT4_T5_P12ihipStream_tbEUlRKjE_EEST_SX_SY_mSZ_S12_bEUlT_E_NS1_11comp_targetILNS1_3genE4ELNS1_11target_archE910ELNS1_3gpuE8ELNS1_3repE0EEENS1_30default_config_static_selectorELNS0_4arch9wavefront6targetE1EEEvSW_.has_indirect_call, 0
	.section	.AMDGPU.csdata,"",@progbits
; Kernel info:
; codeLenInByte = 0
; TotalNumSgprs: 4
; NumVgprs: 0
; ScratchSize: 0
; MemoryBound: 0
; FloatMode: 240
; IeeeMode: 1
; LDSByteSize: 0 bytes/workgroup (compile time only)
; SGPRBlocks: 0
; VGPRBlocks: 0
; NumSGPRsForWavesPerEU: 4
; NumVGPRsForWavesPerEU: 1
; Occupancy: 10
; WaveLimiterHint : 0
; COMPUTE_PGM_RSRC2:SCRATCH_EN: 0
; COMPUTE_PGM_RSRC2:USER_SGPR: 6
; COMPUTE_PGM_RSRC2:TRAP_HANDLER: 0
; COMPUTE_PGM_RSRC2:TGID_X_EN: 1
; COMPUTE_PGM_RSRC2:TGID_Y_EN: 0
; COMPUTE_PGM_RSRC2:TGID_Z_EN: 0
; COMPUTE_PGM_RSRC2:TIDIG_COMP_CNT: 0
	.section	.text._ZN7rocprim17ROCPRIM_400000_NS6detail17trampoline_kernelINS0_14default_configENS1_27upper_bound_config_selectorIjlEEZNS1_14transform_implILb0ES3_S5_N6thrust23THRUST_200600_302600_NS6detail15normal_iteratorINS8_7pointerIjNS8_11hip_rocprim5par_tENS8_11use_defaultESE_EEEENSA_INSB_IlSD_SE_SE_EEEEZNS1_13binary_searchIS3_S5_PjSG_SI_NS1_21upper_bound_search_opENS9_16wrapped_functionINS8_6system6detail7generic6detail18binary_search_lessEbEEEE10hipError_tPvRmT1_T2_T3_mmT4_T5_P12ihipStream_tbEUlRKjE_EEST_SX_SY_mSZ_S12_bEUlT_E_NS1_11comp_targetILNS1_3genE3ELNS1_11target_archE908ELNS1_3gpuE7ELNS1_3repE0EEENS1_30default_config_static_selectorELNS0_4arch9wavefront6targetE1EEEvSW_,"axG",@progbits,_ZN7rocprim17ROCPRIM_400000_NS6detail17trampoline_kernelINS0_14default_configENS1_27upper_bound_config_selectorIjlEEZNS1_14transform_implILb0ES3_S5_N6thrust23THRUST_200600_302600_NS6detail15normal_iteratorINS8_7pointerIjNS8_11hip_rocprim5par_tENS8_11use_defaultESE_EEEENSA_INSB_IlSD_SE_SE_EEEEZNS1_13binary_searchIS3_S5_PjSG_SI_NS1_21upper_bound_search_opENS9_16wrapped_functionINS8_6system6detail7generic6detail18binary_search_lessEbEEEE10hipError_tPvRmT1_T2_T3_mmT4_T5_P12ihipStream_tbEUlRKjE_EEST_SX_SY_mSZ_S12_bEUlT_E_NS1_11comp_targetILNS1_3genE3ELNS1_11target_archE908ELNS1_3gpuE7ELNS1_3repE0EEENS1_30default_config_static_selectorELNS0_4arch9wavefront6targetE1EEEvSW_,comdat
	.protected	_ZN7rocprim17ROCPRIM_400000_NS6detail17trampoline_kernelINS0_14default_configENS1_27upper_bound_config_selectorIjlEEZNS1_14transform_implILb0ES3_S5_N6thrust23THRUST_200600_302600_NS6detail15normal_iteratorINS8_7pointerIjNS8_11hip_rocprim5par_tENS8_11use_defaultESE_EEEENSA_INSB_IlSD_SE_SE_EEEEZNS1_13binary_searchIS3_S5_PjSG_SI_NS1_21upper_bound_search_opENS9_16wrapped_functionINS8_6system6detail7generic6detail18binary_search_lessEbEEEE10hipError_tPvRmT1_T2_T3_mmT4_T5_P12ihipStream_tbEUlRKjE_EEST_SX_SY_mSZ_S12_bEUlT_E_NS1_11comp_targetILNS1_3genE3ELNS1_11target_archE908ELNS1_3gpuE7ELNS1_3repE0EEENS1_30default_config_static_selectorELNS0_4arch9wavefront6targetE1EEEvSW_ ; -- Begin function _ZN7rocprim17ROCPRIM_400000_NS6detail17trampoline_kernelINS0_14default_configENS1_27upper_bound_config_selectorIjlEEZNS1_14transform_implILb0ES3_S5_N6thrust23THRUST_200600_302600_NS6detail15normal_iteratorINS8_7pointerIjNS8_11hip_rocprim5par_tENS8_11use_defaultESE_EEEENSA_INSB_IlSD_SE_SE_EEEEZNS1_13binary_searchIS3_S5_PjSG_SI_NS1_21upper_bound_search_opENS9_16wrapped_functionINS8_6system6detail7generic6detail18binary_search_lessEbEEEE10hipError_tPvRmT1_T2_T3_mmT4_T5_P12ihipStream_tbEUlRKjE_EEST_SX_SY_mSZ_S12_bEUlT_E_NS1_11comp_targetILNS1_3genE3ELNS1_11target_archE908ELNS1_3gpuE7ELNS1_3repE0EEENS1_30default_config_static_selectorELNS0_4arch9wavefront6targetE1EEEvSW_
	.globl	_ZN7rocprim17ROCPRIM_400000_NS6detail17trampoline_kernelINS0_14default_configENS1_27upper_bound_config_selectorIjlEEZNS1_14transform_implILb0ES3_S5_N6thrust23THRUST_200600_302600_NS6detail15normal_iteratorINS8_7pointerIjNS8_11hip_rocprim5par_tENS8_11use_defaultESE_EEEENSA_INSB_IlSD_SE_SE_EEEEZNS1_13binary_searchIS3_S5_PjSG_SI_NS1_21upper_bound_search_opENS9_16wrapped_functionINS8_6system6detail7generic6detail18binary_search_lessEbEEEE10hipError_tPvRmT1_T2_T3_mmT4_T5_P12ihipStream_tbEUlRKjE_EEST_SX_SY_mSZ_S12_bEUlT_E_NS1_11comp_targetILNS1_3genE3ELNS1_11target_archE908ELNS1_3gpuE7ELNS1_3repE0EEENS1_30default_config_static_selectorELNS0_4arch9wavefront6targetE1EEEvSW_
	.p2align	8
	.type	_ZN7rocprim17ROCPRIM_400000_NS6detail17trampoline_kernelINS0_14default_configENS1_27upper_bound_config_selectorIjlEEZNS1_14transform_implILb0ES3_S5_N6thrust23THRUST_200600_302600_NS6detail15normal_iteratorINS8_7pointerIjNS8_11hip_rocprim5par_tENS8_11use_defaultESE_EEEENSA_INSB_IlSD_SE_SE_EEEEZNS1_13binary_searchIS3_S5_PjSG_SI_NS1_21upper_bound_search_opENS9_16wrapped_functionINS8_6system6detail7generic6detail18binary_search_lessEbEEEE10hipError_tPvRmT1_T2_T3_mmT4_T5_P12ihipStream_tbEUlRKjE_EEST_SX_SY_mSZ_S12_bEUlT_E_NS1_11comp_targetILNS1_3genE3ELNS1_11target_archE908ELNS1_3gpuE7ELNS1_3repE0EEENS1_30default_config_static_selectorELNS0_4arch9wavefront6targetE1EEEvSW_,@function
_ZN7rocprim17ROCPRIM_400000_NS6detail17trampoline_kernelINS0_14default_configENS1_27upper_bound_config_selectorIjlEEZNS1_14transform_implILb0ES3_S5_N6thrust23THRUST_200600_302600_NS6detail15normal_iteratorINS8_7pointerIjNS8_11hip_rocprim5par_tENS8_11use_defaultESE_EEEENSA_INSB_IlSD_SE_SE_EEEEZNS1_13binary_searchIS3_S5_PjSG_SI_NS1_21upper_bound_search_opENS9_16wrapped_functionINS8_6system6detail7generic6detail18binary_search_lessEbEEEE10hipError_tPvRmT1_T2_T3_mmT4_T5_P12ihipStream_tbEUlRKjE_EEST_SX_SY_mSZ_S12_bEUlT_E_NS1_11comp_targetILNS1_3genE3ELNS1_11target_archE908ELNS1_3gpuE7ELNS1_3repE0EEENS1_30default_config_static_selectorELNS0_4arch9wavefront6targetE1EEEvSW_: ; @_ZN7rocprim17ROCPRIM_400000_NS6detail17trampoline_kernelINS0_14default_configENS1_27upper_bound_config_selectorIjlEEZNS1_14transform_implILb0ES3_S5_N6thrust23THRUST_200600_302600_NS6detail15normal_iteratorINS8_7pointerIjNS8_11hip_rocprim5par_tENS8_11use_defaultESE_EEEENSA_INSB_IlSD_SE_SE_EEEEZNS1_13binary_searchIS3_S5_PjSG_SI_NS1_21upper_bound_search_opENS9_16wrapped_functionINS8_6system6detail7generic6detail18binary_search_lessEbEEEE10hipError_tPvRmT1_T2_T3_mmT4_T5_P12ihipStream_tbEUlRKjE_EEST_SX_SY_mSZ_S12_bEUlT_E_NS1_11comp_targetILNS1_3genE3ELNS1_11target_archE908ELNS1_3gpuE7ELNS1_3repE0EEENS1_30default_config_static_selectorELNS0_4arch9wavefront6targetE1EEEvSW_
; %bb.0:
	.section	.rodata,"a",@progbits
	.p2align	6, 0x0
	.amdhsa_kernel _ZN7rocprim17ROCPRIM_400000_NS6detail17trampoline_kernelINS0_14default_configENS1_27upper_bound_config_selectorIjlEEZNS1_14transform_implILb0ES3_S5_N6thrust23THRUST_200600_302600_NS6detail15normal_iteratorINS8_7pointerIjNS8_11hip_rocprim5par_tENS8_11use_defaultESE_EEEENSA_INSB_IlSD_SE_SE_EEEEZNS1_13binary_searchIS3_S5_PjSG_SI_NS1_21upper_bound_search_opENS9_16wrapped_functionINS8_6system6detail7generic6detail18binary_search_lessEbEEEE10hipError_tPvRmT1_T2_T3_mmT4_T5_P12ihipStream_tbEUlRKjE_EEST_SX_SY_mSZ_S12_bEUlT_E_NS1_11comp_targetILNS1_3genE3ELNS1_11target_archE908ELNS1_3gpuE7ELNS1_3repE0EEENS1_30default_config_static_selectorELNS0_4arch9wavefront6targetE1EEEvSW_
		.amdhsa_group_segment_fixed_size 0
		.amdhsa_private_segment_fixed_size 0
		.amdhsa_kernarg_size 56
		.amdhsa_user_sgpr_count 6
		.amdhsa_user_sgpr_private_segment_buffer 1
		.amdhsa_user_sgpr_dispatch_ptr 0
		.amdhsa_user_sgpr_queue_ptr 0
		.amdhsa_user_sgpr_kernarg_segment_ptr 1
		.amdhsa_user_sgpr_dispatch_id 0
		.amdhsa_user_sgpr_flat_scratch_init 0
		.amdhsa_user_sgpr_private_segment_size 0
		.amdhsa_uses_dynamic_stack 0
		.amdhsa_system_sgpr_private_segment_wavefront_offset 0
		.amdhsa_system_sgpr_workgroup_id_x 1
		.amdhsa_system_sgpr_workgroup_id_y 0
		.amdhsa_system_sgpr_workgroup_id_z 0
		.amdhsa_system_sgpr_workgroup_info 0
		.amdhsa_system_vgpr_workitem_id 0
		.amdhsa_next_free_vgpr 1
		.amdhsa_next_free_sgpr 0
		.amdhsa_reserve_vcc 0
		.amdhsa_reserve_flat_scratch 0
		.amdhsa_float_round_mode_32 0
		.amdhsa_float_round_mode_16_64 0
		.amdhsa_float_denorm_mode_32 3
		.amdhsa_float_denorm_mode_16_64 3
		.amdhsa_dx10_clamp 1
		.amdhsa_ieee_mode 1
		.amdhsa_fp16_overflow 0
		.amdhsa_exception_fp_ieee_invalid_op 0
		.amdhsa_exception_fp_denorm_src 0
		.amdhsa_exception_fp_ieee_div_zero 0
		.amdhsa_exception_fp_ieee_overflow 0
		.amdhsa_exception_fp_ieee_underflow 0
		.amdhsa_exception_fp_ieee_inexact 0
		.amdhsa_exception_int_div_zero 0
	.end_amdhsa_kernel
	.section	.text._ZN7rocprim17ROCPRIM_400000_NS6detail17trampoline_kernelINS0_14default_configENS1_27upper_bound_config_selectorIjlEEZNS1_14transform_implILb0ES3_S5_N6thrust23THRUST_200600_302600_NS6detail15normal_iteratorINS8_7pointerIjNS8_11hip_rocprim5par_tENS8_11use_defaultESE_EEEENSA_INSB_IlSD_SE_SE_EEEEZNS1_13binary_searchIS3_S5_PjSG_SI_NS1_21upper_bound_search_opENS9_16wrapped_functionINS8_6system6detail7generic6detail18binary_search_lessEbEEEE10hipError_tPvRmT1_T2_T3_mmT4_T5_P12ihipStream_tbEUlRKjE_EEST_SX_SY_mSZ_S12_bEUlT_E_NS1_11comp_targetILNS1_3genE3ELNS1_11target_archE908ELNS1_3gpuE7ELNS1_3repE0EEENS1_30default_config_static_selectorELNS0_4arch9wavefront6targetE1EEEvSW_,"axG",@progbits,_ZN7rocprim17ROCPRIM_400000_NS6detail17trampoline_kernelINS0_14default_configENS1_27upper_bound_config_selectorIjlEEZNS1_14transform_implILb0ES3_S5_N6thrust23THRUST_200600_302600_NS6detail15normal_iteratorINS8_7pointerIjNS8_11hip_rocprim5par_tENS8_11use_defaultESE_EEEENSA_INSB_IlSD_SE_SE_EEEEZNS1_13binary_searchIS3_S5_PjSG_SI_NS1_21upper_bound_search_opENS9_16wrapped_functionINS8_6system6detail7generic6detail18binary_search_lessEbEEEE10hipError_tPvRmT1_T2_T3_mmT4_T5_P12ihipStream_tbEUlRKjE_EEST_SX_SY_mSZ_S12_bEUlT_E_NS1_11comp_targetILNS1_3genE3ELNS1_11target_archE908ELNS1_3gpuE7ELNS1_3repE0EEENS1_30default_config_static_selectorELNS0_4arch9wavefront6targetE1EEEvSW_,comdat
.Lfunc_end195:
	.size	_ZN7rocprim17ROCPRIM_400000_NS6detail17trampoline_kernelINS0_14default_configENS1_27upper_bound_config_selectorIjlEEZNS1_14transform_implILb0ES3_S5_N6thrust23THRUST_200600_302600_NS6detail15normal_iteratorINS8_7pointerIjNS8_11hip_rocprim5par_tENS8_11use_defaultESE_EEEENSA_INSB_IlSD_SE_SE_EEEEZNS1_13binary_searchIS3_S5_PjSG_SI_NS1_21upper_bound_search_opENS9_16wrapped_functionINS8_6system6detail7generic6detail18binary_search_lessEbEEEE10hipError_tPvRmT1_T2_T3_mmT4_T5_P12ihipStream_tbEUlRKjE_EEST_SX_SY_mSZ_S12_bEUlT_E_NS1_11comp_targetILNS1_3genE3ELNS1_11target_archE908ELNS1_3gpuE7ELNS1_3repE0EEENS1_30default_config_static_selectorELNS0_4arch9wavefront6targetE1EEEvSW_, .Lfunc_end195-_ZN7rocprim17ROCPRIM_400000_NS6detail17trampoline_kernelINS0_14default_configENS1_27upper_bound_config_selectorIjlEEZNS1_14transform_implILb0ES3_S5_N6thrust23THRUST_200600_302600_NS6detail15normal_iteratorINS8_7pointerIjNS8_11hip_rocprim5par_tENS8_11use_defaultESE_EEEENSA_INSB_IlSD_SE_SE_EEEEZNS1_13binary_searchIS3_S5_PjSG_SI_NS1_21upper_bound_search_opENS9_16wrapped_functionINS8_6system6detail7generic6detail18binary_search_lessEbEEEE10hipError_tPvRmT1_T2_T3_mmT4_T5_P12ihipStream_tbEUlRKjE_EEST_SX_SY_mSZ_S12_bEUlT_E_NS1_11comp_targetILNS1_3genE3ELNS1_11target_archE908ELNS1_3gpuE7ELNS1_3repE0EEENS1_30default_config_static_selectorELNS0_4arch9wavefront6targetE1EEEvSW_
                                        ; -- End function
	.set _ZN7rocprim17ROCPRIM_400000_NS6detail17trampoline_kernelINS0_14default_configENS1_27upper_bound_config_selectorIjlEEZNS1_14transform_implILb0ES3_S5_N6thrust23THRUST_200600_302600_NS6detail15normal_iteratorINS8_7pointerIjNS8_11hip_rocprim5par_tENS8_11use_defaultESE_EEEENSA_INSB_IlSD_SE_SE_EEEEZNS1_13binary_searchIS3_S5_PjSG_SI_NS1_21upper_bound_search_opENS9_16wrapped_functionINS8_6system6detail7generic6detail18binary_search_lessEbEEEE10hipError_tPvRmT1_T2_T3_mmT4_T5_P12ihipStream_tbEUlRKjE_EEST_SX_SY_mSZ_S12_bEUlT_E_NS1_11comp_targetILNS1_3genE3ELNS1_11target_archE908ELNS1_3gpuE7ELNS1_3repE0EEENS1_30default_config_static_selectorELNS0_4arch9wavefront6targetE1EEEvSW_.num_vgpr, 0
	.set _ZN7rocprim17ROCPRIM_400000_NS6detail17trampoline_kernelINS0_14default_configENS1_27upper_bound_config_selectorIjlEEZNS1_14transform_implILb0ES3_S5_N6thrust23THRUST_200600_302600_NS6detail15normal_iteratorINS8_7pointerIjNS8_11hip_rocprim5par_tENS8_11use_defaultESE_EEEENSA_INSB_IlSD_SE_SE_EEEEZNS1_13binary_searchIS3_S5_PjSG_SI_NS1_21upper_bound_search_opENS9_16wrapped_functionINS8_6system6detail7generic6detail18binary_search_lessEbEEEE10hipError_tPvRmT1_T2_T3_mmT4_T5_P12ihipStream_tbEUlRKjE_EEST_SX_SY_mSZ_S12_bEUlT_E_NS1_11comp_targetILNS1_3genE3ELNS1_11target_archE908ELNS1_3gpuE7ELNS1_3repE0EEENS1_30default_config_static_selectorELNS0_4arch9wavefront6targetE1EEEvSW_.num_agpr, 0
	.set _ZN7rocprim17ROCPRIM_400000_NS6detail17trampoline_kernelINS0_14default_configENS1_27upper_bound_config_selectorIjlEEZNS1_14transform_implILb0ES3_S5_N6thrust23THRUST_200600_302600_NS6detail15normal_iteratorINS8_7pointerIjNS8_11hip_rocprim5par_tENS8_11use_defaultESE_EEEENSA_INSB_IlSD_SE_SE_EEEEZNS1_13binary_searchIS3_S5_PjSG_SI_NS1_21upper_bound_search_opENS9_16wrapped_functionINS8_6system6detail7generic6detail18binary_search_lessEbEEEE10hipError_tPvRmT1_T2_T3_mmT4_T5_P12ihipStream_tbEUlRKjE_EEST_SX_SY_mSZ_S12_bEUlT_E_NS1_11comp_targetILNS1_3genE3ELNS1_11target_archE908ELNS1_3gpuE7ELNS1_3repE0EEENS1_30default_config_static_selectorELNS0_4arch9wavefront6targetE1EEEvSW_.numbered_sgpr, 0
	.set _ZN7rocprim17ROCPRIM_400000_NS6detail17trampoline_kernelINS0_14default_configENS1_27upper_bound_config_selectorIjlEEZNS1_14transform_implILb0ES3_S5_N6thrust23THRUST_200600_302600_NS6detail15normal_iteratorINS8_7pointerIjNS8_11hip_rocprim5par_tENS8_11use_defaultESE_EEEENSA_INSB_IlSD_SE_SE_EEEEZNS1_13binary_searchIS3_S5_PjSG_SI_NS1_21upper_bound_search_opENS9_16wrapped_functionINS8_6system6detail7generic6detail18binary_search_lessEbEEEE10hipError_tPvRmT1_T2_T3_mmT4_T5_P12ihipStream_tbEUlRKjE_EEST_SX_SY_mSZ_S12_bEUlT_E_NS1_11comp_targetILNS1_3genE3ELNS1_11target_archE908ELNS1_3gpuE7ELNS1_3repE0EEENS1_30default_config_static_selectorELNS0_4arch9wavefront6targetE1EEEvSW_.num_named_barrier, 0
	.set _ZN7rocprim17ROCPRIM_400000_NS6detail17trampoline_kernelINS0_14default_configENS1_27upper_bound_config_selectorIjlEEZNS1_14transform_implILb0ES3_S5_N6thrust23THRUST_200600_302600_NS6detail15normal_iteratorINS8_7pointerIjNS8_11hip_rocprim5par_tENS8_11use_defaultESE_EEEENSA_INSB_IlSD_SE_SE_EEEEZNS1_13binary_searchIS3_S5_PjSG_SI_NS1_21upper_bound_search_opENS9_16wrapped_functionINS8_6system6detail7generic6detail18binary_search_lessEbEEEE10hipError_tPvRmT1_T2_T3_mmT4_T5_P12ihipStream_tbEUlRKjE_EEST_SX_SY_mSZ_S12_bEUlT_E_NS1_11comp_targetILNS1_3genE3ELNS1_11target_archE908ELNS1_3gpuE7ELNS1_3repE0EEENS1_30default_config_static_selectorELNS0_4arch9wavefront6targetE1EEEvSW_.private_seg_size, 0
	.set _ZN7rocprim17ROCPRIM_400000_NS6detail17trampoline_kernelINS0_14default_configENS1_27upper_bound_config_selectorIjlEEZNS1_14transform_implILb0ES3_S5_N6thrust23THRUST_200600_302600_NS6detail15normal_iteratorINS8_7pointerIjNS8_11hip_rocprim5par_tENS8_11use_defaultESE_EEEENSA_INSB_IlSD_SE_SE_EEEEZNS1_13binary_searchIS3_S5_PjSG_SI_NS1_21upper_bound_search_opENS9_16wrapped_functionINS8_6system6detail7generic6detail18binary_search_lessEbEEEE10hipError_tPvRmT1_T2_T3_mmT4_T5_P12ihipStream_tbEUlRKjE_EEST_SX_SY_mSZ_S12_bEUlT_E_NS1_11comp_targetILNS1_3genE3ELNS1_11target_archE908ELNS1_3gpuE7ELNS1_3repE0EEENS1_30default_config_static_selectorELNS0_4arch9wavefront6targetE1EEEvSW_.uses_vcc, 0
	.set _ZN7rocprim17ROCPRIM_400000_NS6detail17trampoline_kernelINS0_14default_configENS1_27upper_bound_config_selectorIjlEEZNS1_14transform_implILb0ES3_S5_N6thrust23THRUST_200600_302600_NS6detail15normal_iteratorINS8_7pointerIjNS8_11hip_rocprim5par_tENS8_11use_defaultESE_EEEENSA_INSB_IlSD_SE_SE_EEEEZNS1_13binary_searchIS3_S5_PjSG_SI_NS1_21upper_bound_search_opENS9_16wrapped_functionINS8_6system6detail7generic6detail18binary_search_lessEbEEEE10hipError_tPvRmT1_T2_T3_mmT4_T5_P12ihipStream_tbEUlRKjE_EEST_SX_SY_mSZ_S12_bEUlT_E_NS1_11comp_targetILNS1_3genE3ELNS1_11target_archE908ELNS1_3gpuE7ELNS1_3repE0EEENS1_30default_config_static_selectorELNS0_4arch9wavefront6targetE1EEEvSW_.uses_flat_scratch, 0
	.set _ZN7rocprim17ROCPRIM_400000_NS6detail17trampoline_kernelINS0_14default_configENS1_27upper_bound_config_selectorIjlEEZNS1_14transform_implILb0ES3_S5_N6thrust23THRUST_200600_302600_NS6detail15normal_iteratorINS8_7pointerIjNS8_11hip_rocprim5par_tENS8_11use_defaultESE_EEEENSA_INSB_IlSD_SE_SE_EEEEZNS1_13binary_searchIS3_S5_PjSG_SI_NS1_21upper_bound_search_opENS9_16wrapped_functionINS8_6system6detail7generic6detail18binary_search_lessEbEEEE10hipError_tPvRmT1_T2_T3_mmT4_T5_P12ihipStream_tbEUlRKjE_EEST_SX_SY_mSZ_S12_bEUlT_E_NS1_11comp_targetILNS1_3genE3ELNS1_11target_archE908ELNS1_3gpuE7ELNS1_3repE0EEENS1_30default_config_static_selectorELNS0_4arch9wavefront6targetE1EEEvSW_.has_dyn_sized_stack, 0
	.set _ZN7rocprim17ROCPRIM_400000_NS6detail17trampoline_kernelINS0_14default_configENS1_27upper_bound_config_selectorIjlEEZNS1_14transform_implILb0ES3_S5_N6thrust23THRUST_200600_302600_NS6detail15normal_iteratorINS8_7pointerIjNS8_11hip_rocprim5par_tENS8_11use_defaultESE_EEEENSA_INSB_IlSD_SE_SE_EEEEZNS1_13binary_searchIS3_S5_PjSG_SI_NS1_21upper_bound_search_opENS9_16wrapped_functionINS8_6system6detail7generic6detail18binary_search_lessEbEEEE10hipError_tPvRmT1_T2_T3_mmT4_T5_P12ihipStream_tbEUlRKjE_EEST_SX_SY_mSZ_S12_bEUlT_E_NS1_11comp_targetILNS1_3genE3ELNS1_11target_archE908ELNS1_3gpuE7ELNS1_3repE0EEENS1_30default_config_static_selectorELNS0_4arch9wavefront6targetE1EEEvSW_.has_recursion, 0
	.set _ZN7rocprim17ROCPRIM_400000_NS6detail17trampoline_kernelINS0_14default_configENS1_27upper_bound_config_selectorIjlEEZNS1_14transform_implILb0ES3_S5_N6thrust23THRUST_200600_302600_NS6detail15normal_iteratorINS8_7pointerIjNS8_11hip_rocprim5par_tENS8_11use_defaultESE_EEEENSA_INSB_IlSD_SE_SE_EEEEZNS1_13binary_searchIS3_S5_PjSG_SI_NS1_21upper_bound_search_opENS9_16wrapped_functionINS8_6system6detail7generic6detail18binary_search_lessEbEEEE10hipError_tPvRmT1_T2_T3_mmT4_T5_P12ihipStream_tbEUlRKjE_EEST_SX_SY_mSZ_S12_bEUlT_E_NS1_11comp_targetILNS1_3genE3ELNS1_11target_archE908ELNS1_3gpuE7ELNS1_3repE0EEENS1_30default_config_static_selectorELNS0_4arch9wavefront6targetE1EEEvSW_.has_indirect_call, 0
	.section	.AMDGPU.csdata,"",@progbits
; Kernel info:
; codeLenInByte = 0
; TotalNumSgprs: 4
; NumVgprs: 0
; ScratchSize: 0
; MemoryBound: 0
; FloatMode: 240
; IeeeMode: 1
; LDSByteSize: 0 bytes/workgroup (compile time only)
; SGPRBlocks: 0
; VGPRBlocks: 0
; NumSGPRsForWavesPerEU: 4
; NumVGPRsForWavesPerEU: 1
; Occupancy: 10
; WaveLimiterHint : 0
; COMPUTE_PGM_RSRC2:SCRATCH_EN: 0
; COMPUTE_PGM_RSRC2:USER_SGPR: 6
; COMPUTE_PGM_RSRC2:TRAP_HANDLER: 0
; COMPUTE_PGM_RSRC2:TGID_X_EN: 1
; COMPUTE_PGM_RSRC2:TGID_Y_EN: 0
; COMPUTE_PGM_RSRC2:TGID_Z_EN: 0
; COMPUTE_PGM_RSRC2:TIDIG_COMP_CNT: 0
	.section	.text._ZN7rocprim17ROCPRIM_400000_NS6detail17trampoline_kernelINS0_14default_configENS1_27upper_bound_config_selectorIjlEEZNS1_14transform_implILb0ES3_S5_N6thrust23THRUST_200600_302600_NS6detail15normal_iteratorINS8_7pointerIjNS8_11hip_rocprim5par_tENS8_11use_defaultESE_EEEENSA_INSB_IlSD_SE_SE_EEEEZNS1_13binary_searchIS3_S5_PjSG_SI_NS1_21upper_bound_search_opENS9_16wrapped_functionINS8_6system6detail7generic6detail18binary_search_lessEbEEEE10hipError_tPvRmT1_T2_T3_mmT4_T5_P12ihipStream_tbEUlRKjE_EEST_SX_SY_mSZ_S12_bEUlT_E_NS1_11comp_targetILNS1_3genE2ELNS1_11target_archE906ELNS1_3gpuE6ELNS1_3repE0EEENS1_30default_config_static_selectorELNS0_4arch9wavefront6targetE1EEEvSW_,"axG",@progbits,_ZN7rocprim17ROCPRIM_400000_NS6detail17trampoline_kernelINS0_14default_configENS1_27upper_bound_config_selectorIjlEEZNS1_14transform_implILb0ES3_S5_N6thrust23THRUST_200600_302600_NS6detail15normal_iteratorINS8_7pointerIjNS8_11hip_rocprim5par_tENS8_11use_defaultESE_EEEENSA_INSB_IlSD_SE_SE_EEEEZNS1_13binary_searchIS3_S5_PjSG_SI_NS1_21upper_bound_search_opENS9_16wrapped_functionINS8_6system6detail7generic6detail18binary_search_lessEbEEEE10hipError_tPvRmT1_T2_T3_mmT4_T5_P12ihipStream_tbEUlRKjE_EEST_SX_SY_mSZ_S12_bEUlT_E_NS1_11comp_targetILNS1_3genE2ELNS1_11target_archE906ELNS1_3gpuE6ELNS1_3repE0EEENS1_30default_config_static_selectorELNS0_4arch9wavefront6targetE1EEEvSW_,comdat
	.protected	_ZN7rocprim17ROCPRIM_400000_NS6detail17trampoline_kernelINS0_14default_configENS1_27upper_bound_config_selectorIjlEEZNS1_14transform_implILb0ES3_S5_N6thrust23THRUST_200600_302600_NS6detail15normal_iteratorINS8_7pointerIjNS8_11hip_rocprim5par_tENS8_11use_defaultESE_EEEENSA_INSB_IlSD_SE_SE_EEEEZNS1_13binary_searchIS3_S5_PjSG_SI_NS1_21upper_bound_search_opENS9_16wrapped_functionINS8_6system6detail7generic6detail18binary_search_lessEbEEEE10hipError_tPvRmT1_T2_T3_mmT4_T5_P12ihipStream_tbEUlRKjE_EEST_SX_SY_mSZ_S12_bEUlT_E_NS1_11comp_targetILNS1_3genE2ELNS1_11target_archE906ELNS1_3gpuE6ELNS1_3repE0EEENS1_30default_config_static_selectorELNS0_4arch9wavefront6targetE1EEEvSW_ ; -- Begin function _ZN7rocprim17ROCPRIM_400000_NS6detail17trampoline_kernelINS0_14default_configENS1_27upper_bound_config_selectorIjlEEZNS1_14transform_implILb0ES3_S5_N6thrust23THRUST_200600_302600_NS6detail15normal_iteratorINS8_7pointerIjNS8_11hip_rocprim5par_tENS8_11use_defaultESE_EEEENSA_INSB_IlSD_SE_SE_EEEEZNS1_13binary_searchIS3_S5_PjSG_SI_NS1_21upper_bound_search_opENS9_16wrapped_functionINS8_6system6detail7generic6detail18binary_search_lessEbEEEE10hipError_tPvRmT1_T2_T3_mmT4_T5_P12ihipStream_tbEUlRKjE_EEST_SX_SY_mSZ_S12_bEUlT_E_NS1_11comp_targetILNS1_3genE2ELNS1_11target_archE906ELNS1_3gpuE6ELNS1_3repE0EEENS1_30default_config_static_selectorELNS0_4arch9wavefront6targetE1EEEvSW_
	.globl	_ZN7rocprim17ROCPRIM_400000_NS6detail17trampoline_kernelINS0_14default_configENS1_27upper_bound_config_selectorIjlEEZNS1_14transform_implILb0ES3_S5_N6thrust23THRUST_200600_302600_NS6detail15normal_iteratorINS8_7pointerIjNS8_11hip_rocprim5par_tENS8_11use_defaultESE_EEEENSA_INSB_IlSD_SE_SE_EEEEZNS1_13binary_searchIS3_S5_PjSG_SI_NS1_21upper_bound_search_opENS9_16wrapped_functionINS8_6system6detail7generic6detail18binary_search_lessEbEEEE10hipError_tPvRmT1_T2_T3_mmT4_T5_P12ihipStream_tbEUlRKjE_EEST_SX_SY_mSZ_S12_bEUlT_E_NS1_11comp_targetILNS1_3genE2ELNS1_11target_archE906ELNS1_3gpuE6ELNS1_3repE0EEENS1_30default_config_static_selectorELNS0_4arch9wavefront6targetE1EEEvSW_
	.p2align	8
	.type	_ZN7rocprim17ROCPRIM_400000_NS6detail17trampoline_kernelINS0_14default_configENS1_27upper_bound_config_selectorIjlEEZNS1_14transform_implILb0ES3_S5_N6thrust23THRUST_200600_302600_NS6detail15normal_iteratorINS8_7pointerIjNS8_11hip_rocprim5par_tENS8_11use_defaultESE_EEEENSA_INSB_IlSD_SE_SE_EEEEZNS1_13binary_searchIS3_S5_PjSG_SI_NS1_21upper_bound_search_opENS9_16wrapped_functionINS8_6system6detail7generic6detail18binary_search_lessEbEEEE10hipError_tPvRmT1_T2_T3_mmT4_T5_P12ihipStream_tbEUlRKjE_EEST_SX_SY_mSZ_S12_bEUlT_E_NS1_11comp_targetILNS1_3genE2ELNS1_11target_archE906ELNS1_3gpuE6ELNS1_3repE0EEENS1_30default_config_static_selectorELNS0_4arch9wavefront6targetE1EEEvSW_,@function
_ZN7rocprim17ROCPRIM_400000_NS6detail17trampoline_kernelINS0_14default_configENS1_27upper_bound_config_selectorIjlEEZNS1_14transform_implILb0ES3_S5_N6thrust23THRUST_200600_302600_NS6detail15normal_iteratorINS8_7pointerIjNS8_11hip_rocprim5par_tENS8_11use_defaultESE_EEEENSA_INSB_IlSD_SE_SE_EEEEZNS1_13binary_searchIS3_S5_PjSG_SI_NS1_21upper_bound_search_opENS9_16wrapped_functionINS8_6system6detail7generic6detail18binary_search_lessEbEEEE10hipError_tPvRmT1_T2_T3_mmT4_T5_P12ihipStream_tbEUlRKjE_EEST_SX_SY_mSZ_S12_bEUlT_E_NS1_11comp_targetILNS1_3genE2ELNS1_11target_archE906ELNS1_3gpuE6ELNS1_3repE0EEENS1_30default_config_static_selectorELNS0_4arch9wavefront6targetE1EEEvSW_: ; @_ZN7rocprim17ROCPRIM_400000_NS6detail17trampoline_kernelINS0_14default_configENS1_27upper_bound_config_selectorIjlEEZNS1_14transform_implILb0ES3_S5_N6thrust23THRUST_200600_302600_NS6detail15normal_iteratorINS8_7pointerIjNS8_11hip_rocprim5par_tENS8_11use_defaultESE_EEEENSA_INSB_IlSD_SE_SE_EEEEZNS1_13binary_searchIS3_S5_PjSG_SI_NS1_21upper_bound_search_opENS9_16wrapped_functionINS8_6system6detail7generic6detail18binary_search_lessEbEEEE10hipError_tPvRmT1_T2_T3_mmT4_T5_P12ihipStream_tbEUlRKjE_EEST_SX_SY_mSZ_S12_bEUlT_E_NS1_11comp_targetILNS1_3genE2ELNS1_11target_archE906ELNS1_3gpuE6ELNS1_3repE0EEENS1_30default_config_static_selectorELNS0_4arch9wavefront6targetE1EEEvSW_
; %bb.0:
	s_load_dwordx4 s[16:19], s[4:5], 0x0
	s_load_dwordx4 s[8:11], s[4:5], 0x18
	s_load_dwordx2 s[12:13], s[4:5], 0x28
	s_load_dword s15, s[4:5], 0x38
	s_waitcnt lgkmcnt(0)
	s_lshl_b64 s[0:1], s[18:19], 2
	s_add_u32 s2, s16, s0
	s_addc_u32 s3, s17, s1
	s_lshl_b64 s[0:1], s[18:19], 3
	s_add_u32 s7, s8, s0
	s_addc_u32 s14, s9, s1
	s_lshl_b32 s8, s6, 8
	s_add_i32 s15, s15, -1
	s_mov_b32 s9, 0
	s_cmp_lg_u32 s6, s15
	s_mov_b64 s[0:1], -1
	s_cbranch_scc0 .LBB196_7
; %bb.1:
	s_cmp_eq_u64 s[12:13], 0
	s_mov_b64 s[0:1], 0
	s_cbranch_scc1 .LBB196_5
; %bb.2:
	s_lshl_b64 s[16:17], s[8:9], 2
	s_add_u32 s6, s2, s16
	s_addc_u32 s15, s3, s17
	v_lshlrev_b32_e32 v1, 2, v0
	v_mov_b32_e32 v2, s15
	v_add_co_u32_e32 v1, vcc, s6, v1
	v_addc_co_u32_e32 v2, vcc, 0, v2, vcc
	flat_load_dword v5, v[1:2]
	v_mov_b32_e32 v1, 0
	v_mov_b32_e32 v3, s12
	;; [unrolled: 1-line block ×5, first 2 shown]
.LBB196_3:                              ; =>This Inner Loop Header: Depth=1
	v_sub_co_u32_e32 v7, vcc, v3, v1
	v_subb_co_u32_e32 v8, vcc, v4, v2, vcc
	v_lshrrev_b64 v[9:10], 1, v[7:8]
	v_lshrrev_b64 v[7:8], 6, v[7:8]
	v_add_co_u32_e32 v9, vcc, v9, v1
	v_addc_co_u32_e32 v10, vcc, v10, v2, vcc
	v_add_co_u32_e32 v7, vcc, v9, v7
	v_addc_co_u32_e32 v8, vcc, v10, v8, vcc
	v_lshlrev_b64 v[9:10], 2, v[7:8]
	v_add_co_u32_e32 v9, vcc, s10, v9
	v_addc_co_u32_e32 v10, vcc, v6, v10, vcc
	global_load_dword v9, v[9:10], off
	v_add_co_u32_e32 v10, vcc, 1, v7
	v_addc_co_u32_e32 v11, vcc, 0, v8, vcc
	s_waitcnt vmcnt(0) lgkmcnt(0)
	v_cmp_lt_u32_e32 vcc, v5, v9
	v_cndmask_b32_e32 v4, v4, v8, vcc
	v_cndmask_b32_e32 v3, v3, v7, vcc
	;; [unrolled: 1-line block ×4, first 2 shown]
	v_cmp_ge_u64_e32 vcc, v[1:2], v[3:4]
	s_or_b64 s[0:1], vcc, s[0:1]
	s_andn2_b64 exec, exec, s[0:1]
	s_cbranch_execnz .LBB196_3
; %bb.4:
	s_or_b64 exec, exec, s[0:1]
	s_branch .LBB196_6
.LBB196_5:
	v_mov_b32_e32 v1, 0
	v_mov_b32_e32 v2, 0
.LBB196_6:
	s_lshl_b64 s[0:1], s[8:9], 3
	s_add_u32 s0, s7, s0
	s_addc_u32 s1, s14, s1
	v_lshlrev_b32_e32 v3, 3, v0
	v_mov_b32_e32 v4, s1
	v_add_co_u32_e32 v3, vcc, s0, v3
	v_addc_co_u32_e32 v4, vcc, 0, v4, vcc
	s_mov_b64 s[0:1], 0
	flat_store_dwordx2 v[3:4], v[1:2]
.LBB196_7:
	s_and_b64 vcc, exec, s[0:1]
	s_cbranch_vccz .LBB196_16
; %bb.8:
	s_load_dword s0, s[4:5], 0x10
                                        ; implicit-def: $vgpr5
	s_waitcnt lgkmcnt(0)
	s_sub_i32 s4, s0, s8
	v_cmp_le_u32_e64 s[0:1], s4, v0
	v_cmp_gt_u32_e32 vcc, s4, v0
	s_and_saveexec_b64 s[4:5], vcc
	s_cbranch_execz .LBB196_10
; %bb.9:
	s_lshl_b64 s[16:17], s[8:9], 2
	s_add_u32 s2, s2, s16
	s_addc_u32 s3, s3, s17
	v_lshlrev_b32_e32 v1, 2, v0
	v_mov_b32_e32 v2, s3
	v_add_co_u32_e64 v1, s[2:3], s2, v1
	v_addc_co_u32_e64 v2, s[2:3], 0, v2, s[2:3]
	flat_load_dword v5, v[1:2]
.LBB196_10:
	s_or_b64 exec, exec, s[4:5]
	s_cmp_lg_u64 s[12:13], 0
	s_cselect_b64 s[4:5], -1, 0
	s_xor_b64 s[0:1], s[0:1], -1
	v_mov_b32_e32 v1, 0
	s_mov_b64 s[2:3], 0
	v_mov_b32_e32 v2, 0
	s_and_b64 s[0:1], s[0:1], s[4:5]
	s_and_saveexec_b64 s[4:5], s[0:1]
	s_cbranch_execz .LBB196_14
; %bb.11:
	v_mov_b32_e32 v1, 0
	v_mov_b32_e32 v3, s12
	;; [unrolled: 1-line block ×5, first 2 shown]
.LBB196_12:                             ; =>This Inner Loop Header: Depth=1
	v_sub_co_u32_e64 v7, s[0:1], v3, v1
	v_subb_co_u32_e64 v8, s[0:1], v4, v2, s[0:1]
	v_lshrrev_b64 v[9:10], 1, v[7:8]
	v_lshrrev_b64 v[7:8], 6, v[7:8]
	v_add_co_u32_e64 v9, s[0:1], v9, v1
	v_addc_co_u32_e64 v10, s[0:1], v10, v2, s[0:1]
	v_add_co_u32_e64 v7, s[0:1], v9, v7
	v_addc_co_u32_e64 v8, s[0:1], v10, v8, s[0:1]
	v_lshlrev_b64 v[9:10], 2, v[7:8]
	v_add_co_u32_e64 v9, s[0:1], s10, v9
	v_addc_co_u32_e64 v10, s[0:1], v6, v10, s[0:1]
	global_load_dword v9, v[9:10], off
	v_add_co_u32_e64 v10, s[0:1], 1, v7
	v_addc_co_u32_e64 v11, s[0:1], 0, v8, s[0:1]
	s_waitcnt vmcnt(0) lgkmcnt(0)
	v_cmp_lt_u32_e64 s[0:1], v5, v9
	v_cndmask_b32_e64 v4, v4, v8, s[0:1]
	v_cndmask_b32_e64 v3, v3, v7, s[0:1]
	;; [unrolled: 1-line block ×4, first 2 shown]
	v_cmp_ge_u64_e64 s[0:1], v[1:2], v[3:4]
	s_or_b64 s[2:3], s[0:1], s[2:3]
	s_andn2_b64 exec, exec, s[2:3]
	s_cbranch_execnz .LBB196_12
; %bb.13:
	s_or_b64 exec, exec, s[2:3]
.LBB196_14:
	s_or_b64 exec, exec, s[4:5]
	s_and_saveexec_b64 s[0:1], vcc
	s_cbranch_execz .LBB196_16
; %bb.15:
	s_lshl_b64 s[0:1], s[8:9], 3
	s_add_u32 s0, s7, s0
	s_addc_u32 s1, s14, s1
	v_lshlrev_b32_e32 v0, 3, v0
	v_mov_b32_e32 v4, s1
	v_add_co_u32_e32 v3, vcc, s0, v0
	v_addc_co_u32_e32 v4, vcc, 0, v4, vcc
	flat_store_dwordx2 v[3:4], v[1:2]
.LBB196_16:
	s_endpgm
	.section	.rodata,"a",@progbits
	.p2align	6, 0x0
	.amdhsa_kernel _ZN7rocprim17ROCPRIM_400000_NS6detail17trampoline_kernelINS0_14default_configENS1_27upper_bound_config_selectorIjlEEZNS1_14transform_implILb0ES3_S5_N6thrust23THRUST_200600_302600_NS6detail15normal_iteratorINS8_7pointerIjNS8_11hip_rocprim5par_tENS8_11use_defaultESE_EEEENSA_INSB_IlSD_SE_SE_EEEEZNS1_13binary_searchIS3_S5_PjSG_SI_NS1_21upper_bound_search_opENS9_16wrapped_functionINS8_6system6detail7generic6detail18binary_search_lessEbEEEE10hipError_tPvRmT1_T2_T3_mmT4_T5_P12ihipStream_tbEUlRKjE_EEST_SX_SY_mSZ_S12_bEUlT_E_NS1_11comp_targetILNS1_3genE2ELNS1_11target_archE906ELNS1_3gpuE6ELNS1_3repE0EEENS1_30default_config_static_selectorELNS0_4arch9wavefront6targetE1EEEvSW_
		.amdhsa_group_segment_fixed_size 0
		.amdhsa_private_segment_fixed_size 0
		.amdhsa_kernarg_size 312
		.amdhsa_user_sgpr_count 6
		.amdhsa_user_sgpr_private_segment_buffer 1
		.amdhsa_user_sgpr_dispatch_ptr 0
		.amdhsa_user_sgpr_queue_ptr 0
		.amdhsa_user_sgpr_kernarg_segment_ptr 1
		.amdhsa_user_sgpr_dispatch_id 0
		.amdhsa_user_sgpr_flat_scratch_init 0
		.amdhsa_user_sgpr_private_segment_size 0
		.amdhsa_uses_dynamic_stack 0
		.amdhsa_system_sgpr_private_segment_wavefront_offset 0
		.amdhsa_system_sgpr_workgroup_id_x 1
		.amdhsa_system_sgpr_workgroup_id_y 0
		.amdhsa_system_sgpr_workgroup_id_z 0
		.amdhsa_system_sgpr_workgroup_info 0
		.amdhsa_system_vgpr_workitem_id 0
		.amdhsa_next_free_vgpr 12
		.amdhsa_next_free_sgpr 20
		.amdhsa_reserve_vcc 1
		.amdhsa_reserve_flat_scratch 0
		.amdhsa_float_round_mode_32 0
		.amdhsa_float_round_mode_16_64 0
		.amdhsa_float_denorm_mode_32 3
		.amdhsa_float_denorm_mode_16_64 3
		.amdhsa_dx10_clamp 1
		.amdhsa_ieee_mode 1
		.amdhsa_fp16_overflow 0
		.amdhsa_exception_fp_ieee_invalid_op 0
		.amdhsa_exception_fp_denorm_src 0
		.amdhsa_exception_fp_ieee_div_zero 0
		.amdhsa_exception_fp_ieee_overflow 0
		.amdhsa_exception_fp_ieee_underflow 0
		.amdhsa_exception_fp_ieee_inexact 0
		.amdhsa_exception_int_div_zero 0
	.end_amdhsa_kernel
	.section	.text._ZN7rocprim17ROCPRIM_400000_NS6detail17trampoline_kernelINS0_14default_configENS1_27upper_bound_config_selectorIjlEEZNS1_14transform_implILb0ES3_S5_N6thrust23THRUST_200600_302600_NS6detail15normal_iteratorINS8_7pointerIjNS8_11hip_rocprim5par_tENS8_11use_defaultESE_EEEENSA_INSB_IlSD_SE_SE_EEEEZNS1_13binary_searchIS3_S5_PjSG_SI_NS1_21upper_bound_search_opENS9_16wrapped_functionINS8_6system6detail7generic6detail18binary_search_lessEbEEEE10hipError_tPvRmT1_T2_T3_mmT4_T5_P12ihipStream_tbEUlRKjE_EEST_SX_SY_mSZ_S12_bEUlT_E_NS1_11comp_targetILNS1_3genE2ELNS1_11target_archE906ELNS1_3gpuE6ELNS1_3repE0EEENS1_30default_config_static_selectorELNS0_4arch9wavefront6targetE1EEEvSW_,"axG",@progbits,_ZN7rocprim17ROCPRIM_400000_NS6detail17trampoline_kernelINS0_14default_configENS1_27upper_bound_config_selectorIjlEEZNS1_14transform_implILb0ES3_S5_N6thrust23THRUST_200600_302600_NS6detail15normal_iteratorINS8_7pointerIjNS8_11hip_rocprim5par_tENS8_11use_defaultESE_EEEENSA_INSB_IlSD_SE_SE_EEEEZNS1_13binary_searchIS3_S5_PjSG_SI_NS1_21upper_bound_search_opENS9_16wrapped_functionINS8_6system6detail7generic6detail18binary_search_lessEbEEEE10hipError_tPvRmT1_T2_T3_mmT4_T5_P12ihipStream_tbEUlRKjE_EEST_SX_SY_mSZ_S12_bEUlT_E_NS1_11comp_targetILNS1_3genE2ELNS1_11target_archE906ELNS1_3gpuE6ELNS1_3repE0EEENS1_30default_config_static_selectorELNS0_4arch9wavefront6targetE1EEEvSW_,comdat
.Lfunc_end196:
	.size	_ZN7rocprim17ROCPRIM_400000_NS6detail17trampoline_kernelINS0_14default_configENS1_27upper_bound_config_selectorIjlEEZNS1_14transform_implILb0ES3_S5_N6thrust23THRUST_200600_302600_NS6detail15normal_iteratorINS8_7pointerIjNS8_11hip_rocprim5par_tENS8_11use_defaultESE_EEEENSA_INSB_IlSD_SE_SE_EEEEZNS1_13binary_searchIS3_S5_PjSG_SI_NS1_21upper_bound_search_opENS9_16wrapped_functionINS8_6system6detail7generic6detail18binary_search_lessEbEEEE10hipError_tPvRmT1_T2_T3_mmT4_T5_P12ihipStream_tbEUlRKjE_EEST_SX_SY_mSZ_S12_bEUlT_E_NS1_11comp_targetILNS1_3genE2ELNS1_11target_archE906ELNS1_3gpuE6ELNS1_3repE0EEENS1_30default_config_static_selectorELNS0_4arch9wavefront6targetE1EEEvSW_, .Lfunc_end196-_ZN7rocprim17ROCPRIM_400000_NS6detail17trampoline_kernelINS0_14default_configENS1_27upper_bound_config_selectorIjlEEZNS1_14transform_implILb0ES3_S5_N6thrust23THRUST_200600_302600_NS6detail15normal_iteratorINS8_7pointerIjNS8_11hip_rocprim5par_tENS8_11use_defaultESE_EEEENSA_INSB_IlSD_SE_SE_EEEEZNS1_13binary_searchIS3_S5_PjSG_SI_NS1_21upper_bound_search_opENS9_16wrapped_functionINS8_6system6detail7generic6detail18binary_search_lessEbEEEE10hipError_tPvRmT1_T2_T3_mmT4_T5_P12ihipStream_tbEUlRKjE_EEST_SX_SY_mSZ_S12_bEUlT_E_NS1_11comp_targetILNS1_3genE2ELNS1_11target_archE906ELNS1_3gpuE6ELNS1_3repE0EEENS1_30default_config_static_selectorELNS0_4arch9wavefront6targetE1EEEvSW_
                                        ; -- End function
	.set _ZN7rocprim17ROCPRIM_400000_NS6detail17trampoline_kernelINS0_14default_configENS1_27upper_bound_config_selectorIjlEEZNS1_14transform_implILb0ES3_S5_N6thrust23THRUST_200600_302600_NS6detail15normal_iteratorINS8_7pointerIjNS8_11hip_rocprim5par_tENS8_11use_defaultESE_EEEENSA_INSB_IlSD_SE_SE_EEEEZNS1_13binary_searchIS3_S5_PjSG_SI_NS1_21upper_bound_search_opENS9_16wrapped_functionINS8_6system6detail7generic6detail18binary_search_lessEbEEEE10hipError_tPvRmT1_T2_T3_mmT4_T5_P12ihipStream_tbEUlRKjE_EEST_SX_SY_mSZ_S12_bEUlT_E_NS1_11comp_targetILNS1_3genE2ELNS1_11target_archE906ELNS1_3gpuE6ELNS1_3repE0EEENS1_30default_config_static_selectorELNS0_4arch9wavefront6targetE1EEEvSW_.num_vgpr, 12
	.set _ZN7rocprim17ROCPRIM_400000_NS6detail17trampoline_kernelINS0_14default_configENS1_27upper_bound_config_selectorIjlEEZNS1_14transform_implILb0ES3_S5_N6thrust23THRUST_200600_302600_NS6detail15normal_iteratorINS8_7pointerIjNS8_11hip_rocprim5par_tENS8_11use_defaultESE_EEEENSA_INSB_IlSD_SE_SE_EEEEZNS1_13binary_searchIS3_S5_PjSG_SI_NS1_21upper_bound_search_opENS9_16wrapped_functionINS8_6system6detail7generic6detail18binary_search_lessEbEEEE10hipError_tPvRmT1_T2_T3_mmT4_T5_P12ihipStream_tbEUlRKjE_EEST_SX_SY_mSZ_S12_bEUlT_E_NS1_11comp_targetILNS1_3genE2ELNS1_11target_archE906ELNS1_3gpuE6ELNS1_3repE0EEENS1_30default_config_static_selectorELNS0_4arch9wavefront6targetE1EEEvSW_.num_agpr, 0
	.set _ZN7rocprim17ROCPRIM_400000_NS6detail17trampoline_kernelINS0_14default_configENS1_27upper_bound_config_selectorIjlEEZNS1_14transform_implILb0ES3_S5_N6thrust23THRUST_200600_302600_NS6detail15normal_iteratorINS8_7pointerIjNS8_11hip_rocprim5par_tENS8_11use_defaultESE_EEEENSA_INSB_IlSD_SE_SE_EEEEZNS1_13binary_searchIS3_S5_PjSG_SI_NS1_21upper_bound_search_opENS9_16wrapped_functionINS8_6system6detail7generic6detail18binary_search_lessEbEEEE10hipError_tPvRmT1_T2_T3_mmT4_T5_P12ihipStream_tbEUlRKjE_EEST_SX_SY_mSZ_S12_bEUlT_E_NS1_11comp_targetILNS1_3genE2ELNS1_11target_archE906ELNS1_3gpuE6ELNS1_3repE0EEENS1_30default_config_static_selectorELNS0_4arch9wavefront6targetE1EEEvSW_.numbered_sgpr, 20
	.set _ZN7rocprim17ROCPRIM_400000_NS6detail17trampoline_kernelINS0_14default_configENS1_27upper_bound_config_selectorIjlEEZNS1_14transform_implILb0ES3_S5_N6thrust23THRUST_200600_302600_NS6detail15normal_iteratorINS8_7pointerIjNS8_11hip_rocprim5par_tENS8_11use_defaultESE_EEEENSA_INSB_IlSD_SE_SE_EEEEZNS1_13binary_searchIS3_S5_PjSG_SI_NS1_21upper_bound_search_opENS9_16wrapped_functionINS8_6system6detail7generic6detail18binary_search_lessEbEEEE10hipError_tPvRmT1_T2_T3_mmT4_T5_P12ihipStream_tbEUlRKjE_EEST_SX_SY_mSZ_S12_bEUlT_E_NS1_11comp_targetILNS1_3genE2ELNS1_11target_archE906ELNS1_3gpuE6ELNS1_3repE0EEENS1_30default_config_static_selectorELNS0_4arch9wavefront6targetE1EEEvSW_.num_named_barrier, 0
	.set _ZN7rocprim17ROCPRIM_400000_NS6detail17trampoline_kernelINS0_14default_configENS1_27upper_bound_config_selectorIjlEEZNS1_14transform_implILb0ES3_S5_N6thrust23THRUST_200600_302600_NS6detail15normal_iteratorINS8_7pointerIjNS8_11hip_rocprim5par_tENS8_11use_defaultESE_EEEENSA_INSB_IlSD_SE_SE_EEEEZNS1_13binary_searchIS3_S5_PjSG_SI_NS1_21upper_bound_search_opENS9_16wrapped_functionINS8_6system6detail7generic6detail18binary_search_lessEbEEEE10hipError_tPvRmT1_T2_T3_mmT4_T5_P12ihipStream_tbEUlRKjE_EEST_SX_SY_mSZ_S12_bEUlT_E_NS1_11comp_targetILNS1_3genE2ELNS1_11target_archE906ELNS1_3gpuE6ELNS1_3repE0EEENS1_30default_config_static_selectorELNS0_4arch9wavefront6targetE1EEEvSW_.private_seg_size, 0
	.set _ZN7rocprim17ROCPRIM_400000_NS6detail17trampoline_kernelINS0_14default_configENS1_27upper_bound_config_selectorIjlEEZNS1_14transform_implILb0ES3_S5_N6thrust23THRUST_200600_302600_NS6detail15normal_iteratorINS8_7pointerIjNS8_11hip_rocprim5par_tENS8_11use_defaultESE_EEEENSA_INSB_IlSD_SE_SE_EEEEZNS1_13binary_searchIS3_S5_PjSG_SI_NS1_21upper_bound_search_opENS9_16wrapped_functionINS8_6system6detail7generic6detail18binary_search_lessEbEEEE10hipError_tPvRmT1_T2_T3_mmT4_T5_P12ihipStream_tbEUlRKjE_EEST_SX_SY_mSZ_S12_bEUlT_E_NS1_11comp_targetILNS1_3genE2ELNS1_11target_archE906ELNS1_3gpuE6ELNS1_3repE0EEENS1_30default_config_static_selectorELNS0_4arch9wavefront6targetE1EEEvSW_.uses_vcc, 1
	.set _ZN7rocprim17ROCPRIM_400000_NS6detail17trampoline_kernelINS0_14default_configENS1_27upper_bound_config_selectorIjlEEZNS1_14transform_implILb0ES3_S5_N6thrust23THRUST_200600_302600_NS6detail15normal_iteratorINS8_7pointerIjNS8_11hip_rocprim5par_tENS8_11use_defaultESE_EEEENSA_INSB_IlSD_SE_SE_EEEEZNS1_13binary_searchIS3_S5_PjSG_SI_NS1_21upper_bound_search_opENS9_16wrapped_functionINS8_6system6detail7generic6detail18binary_search_lessEbEEEE10hipError_tPvRmT1_T2_T3_mmT4_T5_P12ihipStream_tbEUlRKjE_EEST_SX_SY_mSZ_S12_bEUlT_E_NS1_11comp_targetILNS1_3genE2ELNS1_11target_archE906ELNS1_3gpuE6ELNS1_3repE0EEENS1_30default_config_static_selectorELNS0_4arch9wavefront6targetE1EEEvSW_.uses_flat_scratch, 0
	.set _ZN7rocprim17ROCPRIM_400000_NS6detail17trampoline_kernelINS0_14default_configENS1_27upper_bound_config_selectorIjlEEZNS1_14transform_implILb0ES3_S5_N6thrust23THRUST_200600_302600_NS6detail15normal_iteratorINS8_7pointerIjNS8_11hip_rocprim5par_tENS8_11use_defaultESE_EEEENSA_INSB_IlSD_SE_SE_EEEEZNS1_13binary_searchIS3_S5_PjSG_SI_NS1_21upper_bound_search_opENS9_16wrapped_functionINS8_6system6detail7generic6detail18binary_search_lessEbEEEE10hipError_tPvRmT1_T2_T3_mmT4_T5_P12ihipStream_tbEUlRKjE_EEST_SX_SY_mSZ_S12_bEUlT_E_NS1_11comp_targetILNS1_3genE2ELNS1_11target_archE906ELNS1_3gpuE6ELNS1_3repE0EEENS1_30default_config_static_selectorELNS0_4arch9wavefront6targetE1EEEvSW_.has_dyn_sized_stack, 0
	.set _ZN7rocprim17ROCPRIM_400000_NS6detail17trampoline_kernelINS0_14default_configENS1_27upper_bound_config_selectorIjlEEZNS1_14transform_implILb0ES3_S5_N6thrust23THRUST_200600_302600_NS6detail15normal_iteratorINS8_7pointerIjNS8_11hip_rocprim5par_tENS8_11use_defaultESE_EEEENSA_INSB_IlSD_SE_SE_EEEEZNS1_13binary_searchIS3_S5_PjSG_SI_NS1_21upper_bound_search_opENS9_16wrapped_functionINS8_6system6detail7generic6detail18binary_search_lessEbEEEE10hipError_tPvRmT1_T2_T3_mmT4_T5_P12ihipStream_tbEUlRKjE_EEST_SX_SY_mSZ_S12_bEUlT_E_NS1_11comp_targetILNS1_3genE2ELNS1_11target_archE906ELNS1_3gpuE6ELNS1_3repE0EEENS1_30default_config_static_selectorELNS0_4arch9wavefront6targetE1EEEvSW_.has_recursion, 0
	.set _ZN7rocprim17ROCPRIM_400000_NS6detail17trampoline_kernelINS0_14default_configENS1_27upper_bound_config_selectorIjlEEZNS1_14transform_implILb0ES3_S5_N6thrust23THRUST_200600_302600_NS6detail15normal_iteratorINS8_7pointerIjNS8_11hip_rocprim5par_tENS8_11use_defaultESE_EEEENSA_INSB_IlSD_SE_SE_EEEEZNS1_13binary_searchIS3_S5_PjSG_SI_NS1_21upper_bound_search_opENS9_16wrapped_functionINS8_6system6detail7generic6detail18binary_search_lessEbEEEE10hipError_tPvRmT1_T2_T3_mmT4_T5_P12ihipStream_tbEUlRKjE_EEST_SX_SY_mSZ_S12_bEUlT_E_NS1_11comp_targetILNS1_3genE2ELNS1_11target_archE906ELNS1_3gpuE6ELNS1_3repE0EEENS1_30default_config_static_selectorELNS0_4arch9wavefront6targetE1EEEvSW_.has_indirect_call, 0
	.section	.AMDGPU.csdata,"",@progbits
; Kernel info:
; codeLenInByte = 700
; TotalNumSgprs: 24
; NumVgprs: 12
; ScratchSize: 0
; MemoryBound: 0
; FloatMode: 240
; IeeeMode: 1
; LDSByteSize: 0 bytes/workgroup (compile time only)
; SGPRBlocks: 2
; VGPRBlocks: 2
; NumSGPRsForWavesPerEU: 24
; NumVGPRsForWavesPerEU: 12
; Occupancy: 10
; WaveLimiterHint : 0
; COMPUTE_PGM_RSRC2:SCRATCH_EN: 0
; COMPUTE_PGM_RSRC2:USER_SGPR: 6
; COMPUTE_PGM_RSRC2:TRAP_HANDLER: 0
; COMPUTE_PGM_RSRC2:TGID_X_EN: 1
; COMPUTE_PGM_RSRC2:TGID_Y_EN: 0
; COMPUTE_PGM_RSRC2:TGID_Z_EN: 0
; COMPUTE_PGM_RSRC2:TIDIG_COMP_CNT: 0
	.section	.text._ZN7rocprim17ROCPRIM_400000_NS6detail17trampoline_kernelINS0_14default_configENS1_27upper_bound_config_selectorIjlEEZNS1_14transform_implILb0ES3_S5_N6thrust23THRUST_200600_302600_NS6detail15normal_iteratorINS8_7pointerIjNS8_11hip_rocprim5par_tENS8_11use_defaultESE_EEEENSA_INSB_IlSD_SE_SE_EEEEZNS1_13binary_searchIS3_S5_PjSG_SI_NS1_21upper_bound_search_opENS9_16wrapped_functionINS8_6system6detail7generic6detail18binary_search_lessEbEEEE10hipError_tPvRmT1_T2_T3_mmT4_T5_P12ihipStream_tbEUlRKjE_EEST_SX_SY_mSZ_S12_bEUlT_E_NS1_11comp_targetILNS1_3genE10ELNS1_11target_archE1201ELNS1_3gpuE5ELNS1_3repE0EEENS1_30default_config_static_selectorELNS0_4arch9wavefront6targetE1EEEvSW_,"axG",@progbits,_ZN7rocprim17ROCPRIM_400000_NS6detail17trampoline_kernelINS0_14default_configENS1_27upper_bound_config_selectorIjlEEZNS1_14transform_implILb0ES3_S5_N6thrust23THRUST_200600_302600_NS6detail15normal_iteratorINS8_7pointerIjNS8_11hip_rocprim5par_tENS8_11use_defaultESE_EEEENSA_INSB_IlSD_SE_SE_EEEEZNS1_13binary_searchIS3_S5_PjSG_SI_NS1_21upper_bound_search_opENS9_16wrapped_functionINS8_6system6detail7generic6detail18binary_search_lessEbEEEE10hipError_tPvRmT1_T2_T3_mmT4_T5_P12ihipStream_tbEUlRKjE_EEST_SX_SY_mSZ_S12_bEUlT_E_NS1_11comp_targetILNS1_3genE10ELNS1_11target_archE1201ELNS1_3gpuE5ELNS1_3repE0EEENS1_30default_config_static_selectorELNS0_4arch9wavefront6targetE1EEEvSW_,comdat
	.protected	_ZN7rocprim17ROCPRIM_400000_NS6detail17trampoline_kernelINS0_14default_configENS1_27upper_bound_config_selectorIjlEEZNS1_14transform_implILb0ES3_S5_N6thrust23THRUST_200600_302600_NS6detail15normal_iteratorINS8_7pointerIjNS8_11hip_rocprim5par_tENS8_11use_defaultESE_EEEENSA_INSB_IlSD_SE_SE_EEEEZNS1_13binary_searchIS3_S5_PjSG_SI_NS1_21upper_bound_search_opENS9_16wrapped_functionINS8_6system6detail7generic6detail18binary_search_lessEbEEEE10hipError_tPvRmT1_T2_T3_mmT4_T5_P12ihipStream_tbEUlRKjE_EEST_SX_SY_mSZ_S12_bEUlT_E_NS1_11comp_targetILNS1_3genE10ELNS1_11target_archE1201ELNS1_3gpuE5ELNS1_3repE0EEENS1_30default_config_static_selectorELNS0_4arch9wavefront6targetE1EEEvSW_ ; -- Begin function _ZN7rocprim17ROCPRIM_400000_NS6detail17trampoline_kernelINS0_14default_configENS1_27upper_bound_config_selectorIjlEEZNS1_14transform_implILb0ES3_S5_N6thrust23THRUST_200600_302600_NS6detail15normal_iteratorINS8_7pointerIjNS8_11hip_rocprim5par_tENS8_11use_defaultESE_EEEENSA_INSB_IlSD_SE_SE_EEEEZNS1_13binary_searchIS3_S5_PjSG_SI_NS1_21upper_bound_search_opENS9_16wrapped_functionINS8_6system6detail7generic6detail18binary_search_lessEbEEEE10hipError_tPvRmT1_T2_T3_mmT4_T5_P12ihipStream_tbEUlRKjE_EEST_SX_SY_mSZ_S12_bEUlT_E_NS1_11comp_targetILNS1_3genE10ELNS1_11target_archE1201ELNS1_3gpuE5ELNS1_3repE0EEENS1_30default_config_static_selectorELNS0_4arch9wavefront6targetE1EEEvSW_
	.globl	_ZN7rocprim17ROCPRIM_400000_NS6detail17trampoline_kernelINS0_14default_configENS1_27upper_bound_config_selectorIjlEEZNS1_14transform_implILb0ES3_S5_N6thrust23THRUST_200600_302600_NS6detail15normal_iteratorINS8_7pointerIjNS8_11hip_rocprim5par_tENS8_11use_defaultESE_EEEENSA_INSB_IlSD_SE_SE_EEEEZNS1_13binary_searchIS3_S5_PjSG_SI_NS1_21upper_bound_search_opENS9_16wrapped_functionINS8_6system6detail7generic6detail18binary_search_lessEbEEEE10hipError_tPvRmT1_T2_T3_mmT4_T5_P12ihipStream_tbEUlRKjE_EEST_SX_SY_mSZ_S12_bEUlT_E_NS1_11comp_targetILNS1_3genE10ELNS1_11target_archE1201ELNS1_3gpuE5ELNS1_3repE0EEENS1_30default_config_static_selectorELNS0_4arch9wavefront6targetE1EEEvSW_
	.p2align	8
	.type	_ZN7rocprim17ROCPRIM_400000_NS6detail17trampoline_kernelINS0_14default_configENS1_27upper_bound_config_selectorIjlEEZNS1_14transform_implILb0ES3_S5_N6thrust23THRUST_200600_302600_NS6detail15normal_iteratorINS8_7pointerIjNS8_11hip_rocprim5par_tENS8_11use_defaultESE_EEEENSA_INSB_IlSD_SE_SE_EEEEZNS1_13binary_searchIS3_S5_PjSG_SI_NS1_21upper_bound_search_opENS9_16wrapped_functionINS8_6system6detail7generic6detail18binary_search_lessEbEEEE10hipError_tPvRmT1_T2_T3_mmT4_T5_P12ihipStream_tbEUlRKjE_EEST_SX_SY_mSZ_S12_bEUlT_E_NS1_11comp_targetILNS1_3genE10ELNS1_11target_archE1201ELNS1_3gpuE5ELNS1_3repE0EEENS1_30default_config_static_selectorELNS0_4arch9wavefront6targetE1EEEvSW_,@function
_ZN7rocprim17ROCPRIM_400000_NS6detail17trampoline_kernelINS0_14default_configENS1_27upper_bound_config_selectorIjlEEZNS1_14transform_implILb0ES3_S5_N6thrust23THRUST_200600_302600_NS6detail15normal_iteratorINS8_7pointerIjNS8_11hip_rocprim5par_tENS8_11use_defaultESE_EEEENSA_INSB_IlSD_SE_SE_EEEEZNS1_13binary_searchIS3_S5_PjSG_SI_NS1_21upper_bound_search_opENS9_16wrapped_functionINS8_6system6detail7generic6detail18binary_search_lessEbEEEE10hipError_tPvRmT1_T2_T3_mmT4_T5_P12ihipStream_tbEUlRKjE_EEST_SX_SY_mSZ_S12_bEUlT_E_NS1_11comp_targetILNS1_3genE10ELNS1_11target_archE1201ELNS1_3gpuE5ELNS1_3repE0EEENS1_30default_config_static_selectorELNS0_4arch9wavefront6targetE1EEEvSW_: ; @_ZN7rocprim17ROCPRIM_400000_NS6detail17trampoline_kernelINS0_14default_configENS1_27upper_bound_config_selectorIjlEEZNS1_14transform_implILb0ES3_S5_N6thrust23THRUST_200600_302600_NS6detail15normal_iteratorINS8_7pointerIjNS8_11hip_rocprim5par_tENS8_11use_defaultESE_EEEENSA_INSB_IlSD_SE_SE_EEEEZNS1_13binary_searchIS3_S5_PjSG_SI_NS1_21upper_bound_search_opENS9_16wrapped_functionINS8_6system6detail7generic6detail18binary_search_lessEbEEEE10hipError_tPvRmT1_T2_T3_mmT4_T5_P12ihipStream_tbEUlRKjE_EEST_SX_SY_mSZ_S12_bEUlT_E_NS1_11comp_targetILNS1_3genE10ELNS1_11target_archE1201ELNS1_3gpuE5ELNS1_3repE0EEENS1_30default_config_static_selectorELNS0_4arch9wavefront6targetE1EEEvSW_
; %bb.0:
	.section	.rodata,"a",@progbits
	.p2align	6, 0x0
	.amdhsa_kernel _ZN7rocprim17ROCPRIM_400000_NS6detail17trampoline_kernelINS0_14default_configENS1_27upper_bound_config_selectorIjlEEZNS1_14transform_implILb0ES3_S5_N6thrust23THRUST_200600_302600_NS6detail15normal_iteratorINS8_7pointerIjNS8_11hip_rocprim5par_tENS8_11use_defaultESE_EEEENSA_INSB_IlSD_SE_SE_EEEEZNS1_13binary_searchIS3_S5_PjSG_SI_NS1_21upper_bound_search_opENS9_16wrapped_functionINS8_6system6detail7generic6detail18binary_search_lessEbEEEE10hipError_tPvRmT1_T2_T3_mmT4_T5_P12ihipStream_tbEUlRKjE_EEST_SX_SY_mSZ_S12_bEUlT_E_NS1_11comp_targetILNS1_3genE10ELNS1_11target_archE1201ELNS1_3gpuE5ELNS1_3repE0EEENS1_30default_config_static_selectorELNS0_4arch9wavefront6targetE1EEEvSW_
		.amdhsa_group_segment_fixed_size 0
		.amdhsa_private_segment_fixed_size 0
		.amdhsa_kernarg_size 56
		.amdhsa_user_sgpr_count 6
		.amdhsa_user_sgpr_private_segment_buffer 1
		.amdhsa_user_sgpr_dispatch_ptr 0
		.amdhsa_user_sgpr_queue_ptr 0
		.amdhsa_user_sgpr_kernarg_segment_ptr 1
		.amdhsa_user_sgpr_dispatch_id 0
		.amdhsa_user_sgpr_flat_scratch_init 0
		.amdhsa_user_sgpr_private_segment_size 0
		.amdhsa_uses_dynamic_stack 0
		.amdhsa_system_sgpr_private_segment_wavefront_offset 0
		.amdhsa_system_sgpr_workgroup_id_x 1
		.amdhsa_system_sgpr_workgroup_id_y 0
		.amdhsa_system_sgpr_workgroup_id_z 0
		.amdhsa_system_sgpr_workgroup_info 0
		.amdhsa_system_vgpr_workitem_id 0
		.amdhsa_next_free_vgpr 1
		.amdhsa_next_free_sgpr 0
		.amdhsa_reserve_vcc 0
		.amdhsa_reserve_flat_scratch 0
		.amdhsa_float_round_mode_32 0
		.amdhsa_float_round_mode_16_64 0
		.amdhsa_float_denorm_mode_32 3
		.amdhsa_float_denorm_mode_16_64 3
		.amdhsa_dx10_clamp 1
		.amdhsa_ieee_mode 1
		.amdhsa_fp16_overflow 0
		.amdhsa_exception_fp_ieee_invalid_op 0
		.amdhsa_exception_fp_denorm_src 0
		.amdhsa_exception_fp_ieee_div_zero 0
		.amdhsa_exception_fp_ieee_overflow 0
		.amdhsa_exception_fp_ieee_underflow 0
		.amdhsa_exception_fp_ieee_inexact 0
		.amdhsa_exception_int_div_zero 0
	.end_amdhsa_kernel
	.section	.text._ZN7rocprim17ROCPRIM_400000_NS6detail17trampoline_kernelINS0_14default_configENS1_27upper_bound_config_selectorIjlEEZNS1_14transform_implILb0ES3_S5_N6thrust23THRUST_200600_302600_NS6detail15normal_iteratorINS8_7pointerIjNS8_11hip_rocprim5par_tENS8_11use_defaultESE_EEEENSA_INSB_IlSD_SE_SE_EEEEZNS1_13binary_searchIS3_S5_PjSG_SI_NS1_21upper_bound_search_opENS9_16wrapped_functionINS8_6system6detail7generic6detail18binary_search_lessEbEEEE10hipError_tPvRmT1_T2_T3_mmT4_T5_P12ihipStream_tbEUlRKjE_EEST_SX_SY_mSZ_S12_bEUlT_E_NS1_11comp_targetILNS1_3genE10ELNS1_11target_archE1201ELNS1_3gpuE5ELNS1_3repE0EEENS1_30default_config_static_selectorELNS0_4arch9wavefront6targetE1EEEvSW_,"axG",@progbits,_ZN7rocprim17ROCPRIM_400000_NS6detail17trampoline_kernelINS0_14default_configENS1_27upper_bound_config_selectorIjlEEZNS1_14transform_implILb0ES3_S5_N6thrust23THRUST_200600_302600_NS6detail15normal_iteratorINS8_7pointerIjNS8_11hip_rocprim5par_tENS8_11use_defaultESE_EEEENSA_INSB_IlSD_SE_SE_EEEEZNS1_13binary_searchIS3_S5_PjSG_SI_NS1_21upper_bound_search_opENS9_16wrapped_functionINS8_6system6detail7generic6detail18binary_search_lessEbEEEE10hipError_tPvRmT1_T2_T3_mmT4_T5_P12ihipStream_tbEUlRKjE_EEST_SX_SY_mSZ_S12_bEUlT_E_NS1_11comp_targetILNS1_3genE10ELNS1_11target_archE1201ELNS1_3gpuE5ELNS1_3repE0EEENS1_30default_config_static_selectorELNS0_4arch9wavefront6targetE1EEEvSW_,comdat
.Lfunc_end197:
	.size	_ZN7rocprim17ROCPRIM_400000_NS6detail17trampoline_kernelINS0_14default_configENS1_27upper_bound_config_selectorIjlEEZNS1_14transform_implILb0ES3_S5_N6thrust23THRUST_200600_302600_NS6detail15normal_iteratorINS8_7pointerIjNS8_11hip_rocprim5par_tENS8_11use_defaultESE_EEEENSA_INSB_IlSD_SE_SE_EEEEZNS1_13binary_searchIS3_S5_PjSG_SI_NS1_21upper_bound_search_opENS9_16wrapped_functionINS8_6system6detail7generic6detail18binary_search_lessEbEEEE10hipError_tPvRmT1_T2_T3_mmT4_T5_P12ihipStream_tbEUlRKjE_EEST_SX_SY_mSZ_S12_bEUlT_E_NS1_11comp_targetILNS1_3genE10ELNS1_11target_archE1201ELNS1_3gpuE5ELNS1_3repE0EEENS1_30default_config_static_selectorELNS0_4arch9wavefront6targetE1EEEvSW_, .Lfunc_end197-_ZN7rocprim17ROCPRIM_400000_NS6detail17trampoline_kernelINS0_14default_configENS1_27upper_bound_config_selectorIjlEEZNS1_14transform_implILb0ES3_S5_N6thrust23THRUST_200600_302600_NS6detail15normal_iteratorINS8_7pointerIjNS8_11hip_rocprim5par_tENS8_11use_defaultESE_EEEENSA_INSB_IlSD_SE_SE_EEEEZNS1_13binary_searchIS3_S5_PjSG_SI_NS1_21upper_bound_search_opENS9_16wrapped_functionINS8_6system6detail7generic6detail18binary_search_lessEbEEEE10hipError_tPvRmT1_T2_T3_mmT4_T5_P12ihipStream_tbEUlRKjE_EEST_SX_SY_mSZ_S12_bEUlT_E_NS1_11comp_targetILNS1_3genE10ELNS1_11target_archE1201ELNS1_3gpuE5ELNS1_3repE0EEENS1_30default_config_static_selectorELNS0_4arch9wavefront6targetE1EEEvSW_
                                        ; -- End function
	.set _ZN7rocprim17ROCPRIM_400000_NS6detail17trampoline_kernelINS0_14default_configENS1_27upper_bound_config_selectorIjlEEZNS1_14transform_implILb0ES3_S5_N6thrust23THRUST_200600_302600_NS6detail15normal_iteratorINS8_7pointerIjNS8_11hip_rocprim5par_tENS8_11use_defaultESE_EEEENSA_INSB_IlSD_SE_SE_EEEEZNS1_13binary_searchIS3_S5_PjSG_SI_NS1_21upper_bound_search_opENS9_16wrapped_functionINS8_6system6detail7generic6detail18binary_search_lessEbEEEE10hipError_tPvRmT1_T2_T3_mmT4_T5_P12ihipStream_tbEUlRKjE_EEST_SX_SY_mSZ_S12_bEUlT_E_NS1_11comp_targetILNS1_3genE10ELNS1_11target_archE1201ELNS1_3gpuE5ELNS1_3repE0EEENS1_30default_config_static_selectorELNS0_4arch9wavefront6targetE1EEEvSW_.num_vgpr, 0
	.set _ZN7rocprim17ROCPRIM_400000_NS6detail17trampoline_kernelINS0_14default_configENS1_27upper_bound_config_selectorIjlEEZNS1_14transform_implILb0ES3_S5_N6thrust23THRUST_200600_302600_NS6detail15normal_iteratorINS8_7pointerIjNS8_11hip_rocprim5par_tENS8_11use_defaultESE_EEEENSA_INSB_IlSD_SE_SE_EEEEZNS1_13binary_searchIS3_S5_PjSG_SI_NS1_21upper_bound_search_opENS9_16wrapped_functionINS8_6system6detail7generic6detail18binary_search_lessEbEEEE10hipError_tPvRmT1_T2_T3_mmT4_T5_P12ihipStream_tbEUlRKjE_EEST_SX_SY_mSZ_S12_bEUlT_E_NS1_11comp_targetILNS1_3genE10ELNS1_11target_archE1201ELNS1_3gpuE5ELNS1_3repE0EEENS1_30default_config_static_selectorELNS0_4arch9wavefront6targetE1EEEvSW_.num_agpr, 0
	.set _ZN7rocprim17ROCPRIM_400000_NS6detail17trampoline_kernelINS0_14default_configENS1_27upper_bound_config_selectorIjlEEZNS1_14transform_implILb0ES3_S5_N6thrust23THRUST_200600_302600_NS6detail15normal_iteratorINS8_7pointerIjNS8_11hip_rocprim5par_tENS8_11use_defaultESE_EEEENSA_INSB_IlSD_SE_SE_EEEEZNS1_13binary_searchIS3_S5_PjSG_SI_NS1_21upper_bound_search_opENS9_16wrapped_functionINS8_6system6detail7generic6detail18binary_search_lessEbEEEE10hipError_tPvRmT1_T2_T3_mmT4_T5_P12ihipStream_tbEUlRKjE_EEST_SX_SY_mSZ_S12_bEUlT_E_NS1_11comp_targetILNS1_3genE10ELNS1_11target_archE1201ELNS1_3gpuE5ELNS1_3repE0EEENS1_30default_config_static_selectorELNS0_4arch9wavefront6targetE1EEEvSW_.numbered_sgpr, 0
	.set _ZN7rocprim17ROCPRIM_400000_NS6detail17trampoline_kernelINS0_14default_configENS1_27upper_bound_config_selectorIjlEEZNS1_14transform_implILb0ES3_S5_N6thrust23THRUST_200600_302600_NS6detail15normal_iteratorINS8_7pointerIjNS8_11hip_rocprim5par_tENS8_11use_defaultESE_EEEENSA_INSB_IlSD_SE_SE_EEEEZNS1_13binary_searchIS3_S5_PjSG_SI_NS1_21upper_bound_search_opENS9_16wrapped_functionINS8_6system6detail7generic6detail18binary_search_lessEbEEEE10hipError_tPvRmT1_T2_T3_mmT4_T5_P12ihipStream_tbEUlRKjE_EEST_SX_SY_mSZ_S12_bEUlT_E_NS1_11comp_targetILNS1_3genE10ELNS1_11target_archE1201ELNS1_3gpuE5ELNS1_3repE0EEENS1_30default_config_static_selectorELNS0_4arch9wavefront6targetE1EEEvSW_.num_named_barrier, 0
	.set _ZN7rocprim17ROCPRIM_400000_NS6detail17trampoline_kernelINS0_14default_configENS1_27upper_bound_config_selectorIjlEEZNS1_14transform_implILb0ES3_S5_N6thrust23THRUST_200600_302600_NS6detail15normal_iteratorINS8_7pointerIjNS8_11hip_rocprim5par_tENS8_11use_defaultESE_EEEENSA_INSB_IlSD_SE_SE_EEEEZNS1_13binary_searchIS3_S5_PjSG_SI_NS1_21upper_bound_search_opENS9_16wrapped_functionINS8_6system6detail7generic6detail18binary_search_lessEbEEEE10hipError_tPvRmT1_T2_T3_mmT4_T5_P12ihipStream_tbEUlRKjE_EEST_SX_SY_mSZ_S12_bEUlT_E_NS1_11comp_targetILNS1_3genE10ELNS1_11target_archE1201ELNS1_3gpuE5ELNS1_3repE0EEENS1_30default_config_static_selectorELNS0_4arch9wavefront6targetE1EEEvSW_.private_seg_size, 0
	.set _ZN7rocprim17ROCPRIM_400000_NS6detail17trampoline_kernelINS0_14default_configENS1_27upper_bound_config_selectorIjlEEZNS1_14transform_implILb0ES3_S5_N6thrust23THRUST_200600_302600_NS6detail15normal_iteratorINS8_7pointerIjNS8_11hip_rocprim5par_tENS8_11use_defaultESE_EEEENSA_INSB_IlSD_SE_SE_EEEEZNS1_13binary_searchIS3_S5_PjSG_SI_NS1_21upper_bound_search_opENS9_16wrapped_functionINS8_6system6detail7generic6detail18binary_search_lessEbEEEE10hipError_tPvRmT1_T2_T3_mmT4_T5_P12ihipStream_tbEUlRKjE_EEST_SX_SY_mSZ_S12_bEUlT_E_NS1_11comp_targetILNS1_3genE10ELNS1_11target_archE1201ELNS1_3gpuE5ELNS1_3repE0EEENS1_30default_config_static_selectorELNS0_4arch9wavefront6targetE1EEEvSW_.uses_vcc, 0
	.set _ZN7rocprim17ROCPRIM_400000_NS6detail17trampoline_kernelINS0_14default_configENS1_27upper_bound_config_selectorIjlEEZNS1_14transform_implILb0ES3_S5_N6thrust23THRUST_200600_302600_NS6detail15normal_iteratorINS8_7pointerIjNS8_11hip_rocprim5par_tENS8_11use_defaultESE_EEEENSA_INSB_IlSD_SE_SE_EEEEZNS1_13binary_searchIS3_S5_PjSG_SI_NS1_21upper_bound_search_opENS9_16wrapped_functionINS8_6system6detail7generic6detail18binary_search_lessEbEEEE10hipError_tPvRmT1_T2_T3_mmT4_T5_P12ihipStream_tbEUlRKjE_EEST_SX_SY_mSZ_S12_bEUlT_E_NS1_11comp_targetILNS1_3genE10ELNS1_11target_archE1201ELNS1_3gpuE5ELNS1_3repE0EEENS1_30default_config_static_selectorELNS0_4arch9wavefront6targetE1EEEvSW_.uses_flat_scratch, 0
	.set _ZN7rocprim17ROCPRIM_400000_NS6detail17trampoline_kernelINS0_14default_configENS1_27upper_bound_config_selectorIjlEEZNS1_14transform_implILb0ES3_S5_N6thrust23THRUST_200600_302600_NS6detail15normal_iteratorINS8_7pointerIjNS8_11hip_rocprim5par_tENS8_11use_defaultESE_EEEENSA_INSB_IlSD_SE_SE_EEEEZNS1_13binary_searchIS3_S5_PjSG_SI_NS1_21upper_bound_search_opENS9_16wrapped_functionINS8_6system6detail7generic6detail18binary_search_lessEbEEEE10hipError_tPvRmT1_T2_T3_mmT4_T5_P12ihipStream_tbEUlRKjE_EEST_SX_SY_mSZ_S12_bEUlT_E_NS1_11comp_targetILNS1_3genE10ELNS1_11target_archE1201ELNS1_3gpuE5ELNS1_3repE0EEENS1_30default_config_static_selectorELNS0_4arch9wavefront6targetE1EEEvSW_.has_dyn_sized_stack, 0
	.set _ZN7rocprim17ROCPRIM_400000_NS6detail17trampoline_kernelINS0_14default_configENS1_27upper_bound_config_selectorIjlEEZNS1_14transform_implILb0ES3_S5_N6thrust23THRUST_200600_302600_NS6detail15normal_iteratorINS8_7pointerIjNS8_11hip_rocprim5par_tENS8_11use_defaultESE_EEEENSA_INSB_IlSD_SE_SE_EEEEZNS1_13binary_searchIS3_S5_PjSG_SI_NS1_21upper_bound_search_opENS9_16wrapped_functionINS8_6system6detail7generic6detail18binary_search_lessEbEEEE10hipError_tPvRmT1_T2_T3_mmT4_T5_P12ihipStream_tbEUlRKjE_EEST_SX_SY_mSZ_S12_bEUlT_E_NS1_11comp_targetILNS1_3genE10ELNS1_11target_archE1201ELNS1_3gpuE5ELNS1_3repE0EEENS1_30default_config_static_selectorELNS0_4arch9wavefront6targetE1EEEvSW_.has_recursion, 0
	.set _ZN7rocprim17ROCPRIM_400000_NS6detail17trampoline_kernelINS0_14default_configENS1_27upper_bound_config_selectorIjlEEZNS1_14transform_implILb0ES3_S5_N6thrust23THRUST_200600_302600_NS6detail15normal_iteratorINS8_7pointerIjNS8_11hip_rocprim5par_tENS8_11use_defaultESE_EEEENSA_INSB_IlSD_SE_SE_EEEEZNS1_13binary_searchIS3_S5_PjSG_SI_NS1_21upper_bound_search_opENS9_16wrapped_functionINS8_6system6detail7generic6detail18binary_search_lessEbEEEE10hipError_tPvRmT1_T2_T3_mmT4_T5_P12ihipStream_tbEUlRKjE_EEST_SX_SY_mSZ_S12_bEUlT_E_NS1_11comp_targetILNS1_3genE10ELNS1_11target_archE1201ELNS1_3gpuE5ELNS1_3repE0EEENS1_30default_config_static_selectorELNS0_4arch9wavefront6targetE1EEEvSW_.has_indirect_call, 0
	.section	.AMDGPU.csdata,"",@progbits
; Kernel info:
; codeLenInByte = 0
; TotalNumSgprs: 4
; NumVgprs: 0
; ScratchSize: 0
; MemoryBound: 0
; FloatMode: 240
; IeeeMode: 1
; LDSByteSize: 0 bytes/workgroup (compile time only)
; SGPRBlocks: 0
; VGPRBlocks: 0
; NumSGPRsForWavesPerEU: 4
; NumVGPRsForWavesPerEU: 1
; Occupancy: 10
; WaveLimiterHint : 0
; COMPUTE_PGM_RSRC2:SCRATCH_EN: 0
; COMPUTE_PGM_RSRC2:USER_SGPR: 6
; COMPUTE_PGM_RSRC2:TRAP_HANDLER: 0
; COMPUTE_PGM_RSRC2:TGID_X_EN: 1
; COMPUTE_PGM_RSRC2:TGID_Y_EN: 0
; COMPUTE_PGM_RSRC2:TGID_Z_EN: 0
; COMPUTE_PGM_RSRC2:TIDIG_COMP_CNT: 0
	.section	.text._ZN7rocprim17ROCPRIM_400000_NS6detail17trampoline_kernelINS0_14default_configENS1_27upper_bound_config_selectorIjlEEZNS1_14transform_implILb0ES3_S5_N6thrust23THRUST_200600_302600_NS6detail15normal_iteratorINS8_7pointerIjNS8_11hip_rocprim5par_tENS8_11use_defaultESE_EEEENSA_INSB_IlSD_SE_SE_EEEEZNS1_13binary_searchIS3_S5_PjSG_SI_NS1_21upper_bound_search_opENS9_16wrapped_functionINS8_6system6detail7generic6detail18binary_search_lessEbEEEE10hipError_tPvRmT1_T2_T3_mmT4_T5_P12ihipStream_tbEUlRKjE_EEST_SX_SY_mSZ_S12_bEUlT_E_NS1_11comp_targetILNS1_3genE10ELNS1_11target_archE1200ELNS1_3gpuE4ELNS1_3repE0EEENS1_30default_config_static_selectorELNS0_4arch9wavefront6targetE1EEEvSW_,"axG",@progbits,_ZN7rocprim17ROCPRIM_400000_NS6detail17trampoline_kernelINS0_14default_configENS1_27upper_bound_config_selectorIjlEEZNS1_14transform_implILb0ES3_S5_N6thrust23THRUST_200600_302600_NS6detail15normal_iteratorINS8_7pointerIjNS8_11hip_rocprim5par_tENS8_11use_defaultESE_EEEENSA_INSB_IlSD_SE_SE_EEEEZNS1_13binary_searchIS3_S5_PjSG_SI_NS1_21upper_bound_search_opENS9_16wrapped_functionINS8_6system6detail7generic6detail18binary_search_lessEbEEEE10hipError_tPvRmT1_T2_T3_mmT4_T5_P12ihipStream_tbEUlRKjE_EEST_SX_SY_mSZ_S12_bEUlT_E_NS1_11comp_targetILNS1_3genE10ELNS1_11target_archE1200ELNS1_3gpuE4ELNS1_3repE0EEENS1_30default_config_static_selectorELNS0_4arch9wavefront6targetE1EEEvSW_,comdat
	.protected	_ZN7rocprim17ROCPRIM_400000_NS6detail17trampoline_kernelINS0_14default_configENS1_27upper_bound_config_selectorIjlEEZNS1_14transform_implILb0ES3_S5_N6thrust23THRUST_200600_302600_NS6detail15normal_iteratorINS8_7pointerIjNS8_11hip_rocprim5par_tENS8_11use_defaultESE_EEEENSA_INSB_IlSD_SE_SE_EEEEZNS1_13binary_searchIS3_S5_PjSG_SI_NS1_21upper_bound_search_opENS9_16wrapped_functionINS8_6system6detail7generic6detail18binary_search_lessEbEEEE10hipError_tPvRmT1_T2_T3_mmT4_T5_P12ihipStream_tbEUlRKjE_EEST_SX_SY_mSZ_S12_bEUlT_E_NS1_11comp_targetILNS1_3genE10ELNS1_11target_archE1200ELNS1_3gpuE4ELNS1_3repE0EEENS1_30default_config_static_selectorELNS0_4arch9wavefront6targetE1EEEvSW_ ; -- Begin function _ZN7rocprim17ROCPRIM_400000_NS6detail17trampoline_kernelINS0_14default_configENS1_27upper_bound_config_selectorIjlEEZNS1_14transform_implILb0ES3_S5_N6thrust23THRUST_200600_302600_NS6detail15normal_iteratorINS8_7pointerIjNS8_11hip_rocprim5par_tENS8_11use_defaultESE_EEEENSA_INSB_IlSD_SE_SE_EEEEZNS1_13binary_searchIS3_S5_PjSG_SI_NS1_21upper_bound_search_opENS9_16wrapped_functionINS8_6system6detail7generic6detail18binary_search_lessEbEEEE10hipError_tPvRmT1_T2_T3_mmT4_T5_P12ihipStream_tbEUlRKjE_EEST_SX_SY_mSZ_S12_bEUlT_E_NS1_11comp_targetILNS1_3genE10ELNS1_11target_archE1200ELNS1_3gpuE4ELNS1_3repE0EEENS1_30default_config_static_selectorELNS0_4arch9wavefront6targetE1EEEvSW_
	.globl	_ZN7rocprim17ROCPRIM_400000_NS6detail17trampoline_kernelINS0_14default_configENS1_27upper_bound_config_selectorIjlEEZNS1_14transform_implILb0ES3_S5_N6thrust23THRUST_200600_302600_NS6detail15normal_iteratorINS8_7pointerIjNS8_11hip_rocprim5par_tENS8_11use_defaultESE_EEEENSA_INSB_IlSD_SE_SE_EEEEZNS1_13binary_searchIS3_S5_PjSG_SI_NS1_21upper_bound_search_opENS9_16wrapped_functionINS8_6system6detail7generic6detail18binary_search_lessEbEEEE10hipError_tPvRmT1_T2_T3_mmT4_T5_P12ihipStream_tbEUlRKjE_EEST_SX_SY_mSZ_S12_bEUlT_E_NS1_11comp_targetILNS1_3genE10ELNS1_11target_archE1200ELNS1_3gpuE4ELNS1_3repE0EEENS1_30default_config_static_selectorELNS0_4arch9wavefront6targetE1EEEvSW_
	.p2align	8
	.type	_ZN7rocprim17ROCPRIM_400000_NS6detail17trampoline_kernelINS0_14default_configENS1_27upper_bound_config_selectorIjlEEZNS1_14transform_implILb0ES3_S5_N6thrust23THRUST_200600_302600_NS6detail15normal_iteratorINS8_7pointerIjNS8_11hip_rocprim5par_tENS8_11use_defaultESE_EEEENSA_INSB_IlSD_SE_SE_EEEEZNS1_13binary_searchIS3_S5_PjSG_SI_NS1_21upper_bound_search_opENS9_16wrapped_functionINS8_6system6detail7generic6detail18binary_search_lessEbEEEE10hipError_tPvRmT1_T2_T3_mmT4_T5_P12ihipStream_tbEUlRKjE_EEST_SX_SY_mSZ_S12_bEUlT_E_NS1_11comp_targetILNS1_3genE10ELNS1_11target_archE1200ELNS1_3gpuE4ELNS1_3repE0EEENS1_30default_config_static_selectorELNS0_4arch9wavefront6targetE1EEEvSW_,@function
_ZN7rocprim17ROCPRIM_400000_NS6detail17trampoline_kernelINS0_14default_configENS1_27upper_bound_config_selectorIjlEEZNS1_14transform_implILb0ES3_S5_N6thrust23THRUST_200600_302600_NS6detail15normal_iteratorINS8_7pointerIjNS8_11hip_rocprim5par_tENS8_11use_defaultESE_EEEENSA_INSB_IlSD_SE_SE_EEEEZNS1_13binary_searchIS3_S5_PjSG_SI_NS1_21upper_bound_search_opENS9_16wrapped_functionINS8_6system6detail7generic6detail18binary_search_lessEbEEEE10hipError_tPvRmT1_T2_T3_mmT4_T5_P12ihipStream_tbEUlRKjE_EEST_SX_SY_mSZ_S12_bEUlT_E_NS1_11comp_targetILNS1_3genE10ELNS1_11target_archE1200ELNS1_3gpuE4ELNS1_3repE0EEENS1_30default_config_static_selectorELNS0_4arch9wavefront6targetE1EEEvSW_: ; @_ZN7rocprim17ROCPRIM_400000_NS6detail17trampoline_kernelINS0_14default_configENS1_27upper_bound_config_selectorIjlEEZNS1_14transform_implILb0ES3_S5_N6thrust23THRUST_200600_302600_NS6detail15normal_iteratorINS8_7pointerIjNS8_11hip_rocprim5par_tENS8_11use_defaultESE_EEEENSA_INSB_IlSD_SE_SE_EEEEZNS1_13binary_searchIS3_S5_PjSG_SI_NS1_21upper_bound_search_opENS9_16wrapped_functionINS8_6system6detail7generic6detail18binary_search_lessEbEEEE10hipError_tPvRmT1_T2_T3_mmT4_T5_P12ihipStream_tbEUlRKjE_EEST_SX_SY_mSZ_S12_bEUlT_E_NS1_11comp_targetILNS1_3genE10ELNS1_11target_archE1200ELNS1_3gpuE4ELNS1_3repE0EEENS1_30default_config_static_selectorELNS0_4arch9wavefront6targetE1EEEvSW_
; %bb.0:
	.section	.rodata,"a",@progbits
	.p2align	6, 0x0
	.amdhsa_kernel _ZN7rocprim17ROCPRIM_400000_NS6detail17trampoline_kernelINS0_14default_configENS1_27upper_bound_config_selectorIjlEEZNS1_14transform_implILb0ES3_S5_N6thrust23THRUST_200600_302600_NS6detail15normal_iteratorINS8_7pointerIjNS8_11hip_rocprim5par_tENS8_11use_defaultESE_EEEENSA_INSB_IlSD_SE_SE_EEEEZNS1_13binary_searchIS3_S5_PjSG_SI_NS1_21upper_bound_search_opENS9_16wrapped_functionINS8_6system6detail7generic6detail18binary_search_lessEbEEEE10hipError_tPvRmT1_T2_T3_mmT4_T5_P12ihipStream_tbEUlRKjE_EEST_SX_SY_mSZ_S12_bEUlT_E_NS1_11comp_targetILNS1_3genE10ELNS1_11target_archE1200ELNS1_3gpuE4ELNS1_3repE0EEENS1_30default_config_static_selectorELNS0_4arch9wavefront6targetE1EEEvSW_
		.amdhsa_group_segment_fixed_size 0
		.amdhsa_private_segment_fixed_size 0
		.amdhsa_kernarg_size 56
		.amdhsa_user_sgpr_count 6
		.amdhsa_user_sgpr_private_segment_buffer 1
		.amdhsa_user_sgpr_dispatch_ptr 0
		.amdhsa_user_sgpr_queue_ptr 0
		.amdhsa_user_sgpr_kernarg_segment_ptr 1
		.amdhsa_user_sgpr_dispatch_id 0
		.amdhsa_user_sgpr_flat_scratch_init 0
		.amdhsa_user_sgpr_private_segment_size 0
		.amdhsa_uses_dynamic_stack 0
		.amdhsa_system_sgpr_private_segment_wavefront_offset 0
		.amdhsa_system_sgpr_workgroup_id_x 1
		.amdhsa_system_sgpr_workgroup_id_y 0
		.amdhsa_system_sgpr_workgroup_id_z 0
		.amdhsa_system_sgpr_workgroup_info 0
		.amdhsa_system_vgpr_workitem_id 0
		.amdhsa_next_free_vgpr 1
		.amdhsa_next_free_sgpr 0
		.amdhsa_reserve_vcc 0
		.amdhsa_reserve_flat_scratch 0
		.amdhsa_float_round_mode_32 0
		.amdhsa_float_round_mode_16_64 0
		.amdhsa_float_denorm_mode_32 3
		.amdhsa_float_denorm_mode_16_64 3
		.amdhsa_dx10_clamp 1
		.amdhsa_ieee_mode 1
		.amdhsa_fp16_overflow 0
		.amdhsa_exception_fp_ieee_invalid_op 0
		.amdhsa_exception_fp_denorm_src 0
		.amdhsa_exception_fp_ieee_div_zero 0
		.amdhsa_exception_fp_ieee_overflow 0
		.amdhsa_exception_fp_ieee_underflow 0
		.amdhsa_exception_fp_ieee_inexact 0
		.amdhsa_exception_int_div_zero 0
	.end_amdhsa_kernel
	.section	.text._ZN7rocprim17ROCPRIM_400000_NS6detail17trampoline_kernelINS0_14default_configENS1_27upper_bound_config_selectorIjlEEZNS1_14transform_implILb0ES3_S5_N6thrust23THRUST_200600_302600_NS6detail15normal_iteratorINS8_7pointerIjNS8_11hip_rocprim5par_tENS8_11use_defaultESE_EEEENSA_INSB_IlSD_SE_SE_EEEEZNS1_13binary_searchIS3_S5_PjSG_SI_NS1_21upper_bound_search_opENS9_16wrapped_functionINS8_6system6detail7generic6detail18binary_search_lessEbEEEE10hipError_tPvRmT1_T2_T3_mmT4_T5_P12ihipStream_tbEUlRKjE_EEST_SX_SY_mSZ_S12_bEUlT_E_NS1_11comp_targetILNS1_3genE10ELNS1_11target_archE1200ELNS1_3gpuE4ELNS1_3repE0EEENS1_30default_config_static_selectorELNS0_4arch9wavefront6targetE1EEEvSW_,"axG",@progbits,_ZN7rocprim17ROCPRIM_400000_NS6detail17trampoline_kernelINS0_14default_configENS1_27upper_bound_config_selectorIjlEEZNS1_14transform_implILb0ES3_S5_N6thrust23THRUST_200600_302600_NS6detail15normal_iteratorINS8_7pointerIjNS8_11hip_rocprim5par_tENS8_11use_defaultESE_EEEENSA_INSB_IlSD_SE_SE_EEEEZNS1_13binary_searchIS3_S5_PjSG_SI_NS1_21upper_bound_search_opENS9_16wrapped_functionINS8_6system6detail7generic6detail18binary_search_lessEbEEEE10hipError_tPvRmT1_T2_T3_mmT4_T5_P12ihipStream_tbEUlRKjE_EEST_SX_SY_mSZ_S12_bEUlT_E_NS1_11comp_targetILNS1_3genE10ELNS1_11target_archE1200ELNS1_3gpuE4ELNS1_3repE0EEENS1_30default_config_static_selectorELNS0_4arch9wavefront6targetE1EEEvSW_,comdat
.Lfunc_end198:
	.size	_ZN7rocprim17ROCPRIM_400000_NS6detail17trampoline_kernelINS0_14default_configENS1_27upper_bound_config_selectorIjlEEZNS1_14transform_implILb0ES3_S5_N6thrust23THRUST_200600_302600_NS6detail15normal_iteratorINS8_7pointerIjNS8_11hip_rocprim5par_tENS8_11use_defaultESE_EEEENSA_INSB_IlSD_SE_SE_EEEEZNS1_13binary_searchIS3_S5_PjSG_SI_NS1_21upper_bound_search_opENS9_16wrapped_functionINS8_6system6detail7generic6detail18binary_search_lessEbEEEE10hipError_tPvRmT1_T2_T3_mmT4_T5_P12ihipStream_tbEUlRKjE_EEST_SX_SY_mSZ_S12_bEUlT_E_NS1_11comp_targetILNS1_3genE10ELNS1_11target_archE1200ELNS1_3gpuE4ELNS1_3repE0EEENS1_30default_config_static_selectorELNS0_4arch9wavefront6targetE1EEEvSW_, .Lfunc_end198-_ZN7rocprim17ROCPRIM_400000_NS6detail17trampoline_kernelINS0_14default_configENS1_27upper_bound_config_selectorIjlEEZNS1_14transform_implILb0ES3_S5_N6thrust23THRUST_200600_302600_NS6detail15normal_iteratorINS8_7pointerIjNS8_11hip_rocprim5par_tENS8_11use_defaultESE_EEEENSA_INSB_IlSD_SE_SE_EEEEZNS1_13binary_searchIS3_S5_PjSG_SI_NS1_21upper_bound_search_opENS9_16wrapped_functionINS8_6system6detail7generic6detail18binary_search_lessEbEEEE10hipError_tPvRmT1_T2_T3_mmT4_T5_P12ihipStream_tbEUlRKjE_EEST_SX_SY_mSZ_S12_bEUlT_E_NS1_11comp_targetILNS1_3genE10ELNS1_11target_archE1200ELNS1_3gpuE4ELNS1_3repE0EEENS1_30default_config_static_selectorELNS0_4arch9wavefront6targetE1EEEvSW_
                                        ; -- End function
	.set _ZN7rocprim17ROCPRIM_400000_NS6detail17trampoline_kernelINS0_14default_configENS1_27upper_bound_config_selectorIjlEEZNS1_14transform_implILb0ES3_S5_N6thrust23THRUST_200600_302600_NS6detail15normal_iteratorINS8_7pointerIjNS8_11hip_rocprim5par_tENS8_11use_defaultESE_EEEENSA_INSB_IlSD_SE_SE_EEEEZNS1_13binary_searchIS3_S5_PjSG_SI_NS1_21upper_bound_search_opENS9_16wrapped_functionINS8_6system6detail7generic6detail18binary_search_lessEbEEEE10hipError_tPvRmT1_T2_T3_mmT4_T5_P12ihipStream_tbEUlRKjE_EEST_SX_SY_mSZ_S12_bEUlT_E_NS1_11comp_targetILNS1_3genE10ELNS1_11target_archE1200ELNS1_3gpuE4ELNS1_3repE0EEENS1_30default_config_static_selectorELNS0_4arch9wavefront6targetE1EEEvSW_.num_vgpr, 0
	.set _ZN7rocprim17ROCPRIM_400000_NS6detail17trampoline_kernelINS0_14default_configENS1_27upper_bound_config_selectorIjlEEZNS1_14transform_implILb0ES3_S5_N6thrust23THRUST_200600_302600_NS6detail15normal_iteratorINS8_7pointerIjNS8_11hip_rocprim5par_tENS8_11use_defaultESE_EEEENSA_INSB_IlSD_SE_SE_EEEEZNS1_13binary_searchIS3_S5_PjSG_SI_NS1_21upper_bound_search_opENS9_16wrapped_functionINS8_6system6detail7generic6detail18binary_search_lessEbEEEE10hipError_tPvRmT1_T2_T3_mmT4_T5_P12ihipStream_tbEUlRKjE_EEST_SX_SY_mSZ_S12_bEUlT_E_NS1_11comp_targetILNS1_3genE10ELNS1_11target_archE1200ELNS1_3gpuE4ELNS1_3repE0EEENS1_30default_config_static_selectorELNS0_4arch9wavefront6targetE1EEEvSW_.num_agpr, 0
	.set _ZN7rocprim17ROCPRIM_400000_NS6detail17trampoline_kernelINS0_14default_configENS1_27upper_bound_config_selectorIjlEEZNS1_14transform_implILb0ES3_S5_N6thrust23THRUST_200600_302600_NS6detail15normal_iteratorINS8_7pointerIjNS8_11hip_rocprim5par_tENS8_11use_defaultESE_EEEENSA_INSB_IlSD_SE_SE_EEEEZNS1_13binary_searchIS3_S5_PjSG_SI_NS1_21upper_bound_search_opENS9_16wrapped_functionINS8_6system6detail7generic6detail18binary_search_lessEbEEEE10hipError_tPvRmT1_T2_T3_mmT4_T5_P12ihipStream_tbEUlRKjE_EEST_SX_SY_mSZ_S12_bEUlT_E_NS1_11comp_targetILNS1_3genE10ELNS1_11target_archE1200ELNS1_3gpuE4ELNS1_3repE0EEENS1_30default_config_static_selectorELNS0_4arch9wavefront6targetE1EEEvSW_.numbered_sgpr, 0
	.set _ZN7rocprim17ROCPRIM_400000_NS6detail17trampoline_kernelINS0_14default_configENS1_27upper_bound_config_selectorIjlEEZNS1_14transform_implILb0ES3_S5_N6thrust23THRUST_200600_302600_NS6detail15normal_iteratorINS8_7pointerIjNS8_11hip_rocprim5par_tENS8_11use_defaultESE_EEEENSA_INSB_IlSD_SE_SE_EEEEZNS1_13binary_searchIS3_S5_PjSG_SI_NS1_21upper_bound_search_opENS9_16wrapped_functionINS8_6system6detail7generic6detail18binary_search_lessEbEEEE10hipError_tPvRmT1_T2_T3_mmT4_T5_P12ihipStream_tbEUlRKjE_EEST_SX_SY_mSZ_S12_bEUlT_E_NS1_11comp_targetILNS1_3genE10ELNS1_11target_archE1200ELNS1_3gpuE4ELNS1_3repE0EEENS1_30default_config_static_selectorELNS0_4arch9wavefront6targetE1EEEvSW_.num_named_barrier, 0
	.set _ZN7rocprim17ROCPRIM_400000_NS6detail17trampoline_kernelINS0_14default_configENS1_27upper_bound_config_selectorIjlEEZNS1_14transform_implILb0ES3_S5_N6thrust23THRUST_200600_302600_NS6detail15normal_iteratorINS8_7pointerIjNS8_11hip_rocprim5par_tENS8_11use_defaultESE_EEEENSA_INSB_IlSD_SE_SE_EEEEZNS1_13binary_searchIS3_S5_PjSG_SI_NS1_21upper_bound_search_opENS9_16wrapped_functionINS8_6system6detail7generic6detail18binary_search_lessEbEEEE10hipError_tPvRmT1_T2_T3_mmT4_T5_P12ihipStream_tbEUlRKjE_EEST_SX_SY_mSZ_S12_bEUlT_E_NS1_11comp_targetILNS1_3genE10ELNS1_11target_archE1200ELNS1_3gpuE4ELNS1_3repE0EEENS1_30default_config_static_selectorELNS0_4arch9wavefront6targetE1EEEvSW_.private_seg_size, 0
	.set _ZN7rocprim17ROCPRIM_400000_NS6detail17trampoline_kernelINS0_14default_configENS1_27upper_bound_config_selectorIjlEEZNS1_14transform_implILb0ES3_S5_N6thrust23THRUST_200600_302600_NS6detail15normal_iteratorINS8_7pointerIjNS8_11hip_rocprim5par_tENS8_11use_defaultESE_EEEENSA_INSB_IlSD_SE_SE_EEEEZNS1_13binary_searchIS3_S5_PjSG_SI_NS1_21upper_bound_search_opENS9_16wrapped_functionINS8_6system6detail7generic6detail18binary_search_lessEbEEEE10hipError_tPvRmT1_T2_T3_mmT4_T5_P12ihipStream_tbEUlRKjE_EEST_SX_SY_mSZ_S12_bEUlT_E_NS1_11comp_targetILNS1_3genE10ELNS1_11target_archE1200ELNS1_3gpuE4ELNS1_3repE0EEENS1_30default_config_static_selectorELNS0_4arch9wavefront6targetE1EEEvSW_.uses_vcc, 0
	.set _ZN7rocprim17ROCPRIM_400000_NS6detail17trampoline_kernelINS0_14default_configENS1_27upper_bound_config_selectorIjlEEZNS1_14transform_implILb0ES3_S5_N6thrust23THRUST_200600_302600_NS6detail15normal_iteratorINS8_7pointerIjNS8_11hip_rocprim5par_tENS8_11use_defaultESE_EEEENSA_INSB_IlSD_SE_SE_EEEEZNS1_13binary_searchIS3_S5_PjSG_SI_NS1_21upper_bound_search_opENS9_16wrapped_functionINS8_6system6detail7generic6detail18binary_search_lessEbEEEE10hipError_tPvRmT1_T2_T3_mmT4_T5_P12ihipStream_tbEUlRKjE_EEST_SX_SY_mSZ_S12_bEUlT_E_NS1_11comp_targetILNS1_3genE10ELNS1_11target_archE1200ELNS1_3gpuE4ELNS1_3repE0EEENS1_30default_config_static_selectorELNS0_4arch9wavefront6targetE1EEEvSW_.uses_flat_scratch, 0
	.set _ZN7rocprim17ROCPRIM_400000_NS6detail17trampoline_kernelINS0_14default_configENS1_27upper_bound_config_selectorIjlEEZNS1_14transform_implILb0ES3_S5_N6thrust23THRUST_200600_302600_NS6detail15normal_iteratorINS8_7pointerIjNS8_11hip_rocprim5par_tENS8_11use_defaultESE_EEEENSA_INSB_IlSD_SE_SE_EEEEZNS1_13binary_searchIS3_S5_PjSG_SI_NS1_21upper_bound_search_opENS9_16wrapped_functionINS8_6system6detail7generic6detail18binary_search_lessEbEEEE10hipError_tPvRmT1_T2_T3_mmT4_T5_P12ihipStream_tbEUlRKjE_EEST_SX_SY_mSZ_S12_bEUlT_E_NS1_11comp_targetILNS1_3genE10ELNS1_11target_archE1200ELNS1_3gpuE4ELNS1_3repE0EEENS1_30default_config_static_selectorELNS0_4arch9wavefront6targetE1EEEvSW_.has_dyn_sized_stack, 0
	.set _ZN7rocprim17ROCPRIM_400000_NS6detail17trampoline_kernelINS0_14default_configENS1_27upper_bound_config_selectorIjlEEZNS1_14transform_implILb0ES3_S5_N6thrust23THRUST_200600_302600_NS6detail15normal_iteratorINS8_7pointerIjNS8_11hip_rocprim5par_tENS8_11use_defaultESE_EEEENSA_INSB_IlSD_SE_SE_EEEEZNS1_13binary_searchIS3_S5_PjSG_SI_NS1_21upper_bound_search_opENS9_16wrapped_functionINS8_6system6detail7generic6detail18binary_search_lessEbEEEE10hipError_tPvRmT1_T2_T3_mmT4_T5_P12ihipStream_tbEUlRKjE_EEST_SX_SY_mSZ_S12_bEUlT_E_NS1_11comp_targetILNS1_3genE10ELNS1_11target_archE1200ELNS1_3gpuE4ELNS1_3repE0EEENS1_30default_config_static_selectorELNS0_4arch9wavefront6targetE1EEEvSW_.has_recursion, 0
	.set _ZN7rocprim17ROCPRIM_400000_NS6detail17trampoline_kernelINS0_14default_configENS1_27upper_bound_config_selectorIjlEEZNS1_14transform_implILb0ES3_S5_N6thrust23THRUST_200600_302600_NS6detail15normal_iteratorINS8_7pointerIjNS8_11hip_rocprim5par_tENS8_11use_defaultESE_EEEENSA_INSB_IlSD_SE_SE_EEEEZNS1_13binary_searchIS3_S5_PjSG_SI_NS1_21upper_bound_search_opENS9_16wrapped_functionINS8_6system6detail7generic6detail18binary_search_lessEbEEEE10hipError_tPvRmT1_T2_T3_mmT4_T5_P12ihipStream_tbEUlRKjE_EEST_SX_SY_mSZ_S12_bEUlT_E_NS1_11comp_targetILNS1_3genE10ELNS1_11target_archE1200ELNS1_3gpuE4ELNS1_3repE0EEENS1_30default_config_static_selectorELNS0_4arch9wavefront6targetE1EEEvSW_.has_indirect_call, 0
	.section	.AMDGPU.csdata,"",@progbits
; Kernel info:
; codeLenInByte = 0
; TotalNumSgprs: 4
; NumVgprs: 0
; ScratchSize: 0
; MemoryBound: 0
; FloatMode: 240
; IeeeMode: 1
; LDSByteSize: 0 bytes/workgroup (compile time only)
; SGPRBlocks: 0
; VGPRBlocks: 0
; NumSGPRsForWavesPerEU: 4
; NumVGPRsForWavesPerEU: 1
; Occupancy: 10
; WaveLimiterHint : 0
; COMPUTE_PGM_RSRC2:SCRATCH_EN: 0
; COMPUTE_PGM_RSRC2:USER_SGPR: 6
; COMPUTE_PGM_RSRC2:TRAP_HANDLER: 0
; COMPUTE_PGM_RSRC2:TGID_X_EN: 1
; COMPUTE_PGM_RSRC2:TGID_Y_EN: 0
; COMPUTE_PGM_RSRC2:TGID_Z_EN: 0
; COMPUTE_PGM_RSRC2:TIDIG_COMP_CNT: 0
	.section	.text._ZN7rocprim17ROCPRIM_400000_NS6detail17trampoline_kernelINS0_14default_configENS1_27upper_bound_config_selectorIjlEEZNS1_14transform_implILb0ES3_S5_N6thrust23THRUST_200600_302600_NS6detail15normal_iteratorINS8_7pointerIjNS8_11hip_rocprim5par_tENS8_11use_defaultESE_EEEENSA_INSB_IlSD_SE_SE_EEEEZNS1_13binary_searchIS3_S5_PjSG_SI_NS1_21upper_bound_search_opENS9_16wrapped_functionINS8_6system6detail7generic6detail18binary_search_lessEbEEEE10hipError_tPvRmT1_T2_T3_mmT4_T5_P12ihipStream_tbEUlRKjE_EEST_SX_SY_mSZ_S12_bEUlT_E_NS1_11comp_targetILNS1_3genE9ELNS1_11target_archE1100ELNS1_3gpuE3ELNS1_3repE0EEENS1_30default_config_static_selectorELNS0_4arch9wavefront6targetE1EEEvSW_,"axG",@progbits,_ZN7rocprim17ROCPRIM_400000_NS6detail17trampoline_kernelINS0_14default_configENS1_27upper_bound_config_selectorIjlEEZNS1_14transform_implILb0ES3_S5_N6thrust23THRUST_200600_302600_NS6detail15normal_iteratorINS8_7pointerIjNS8_11hip_rocprim5par_tENS8_11use_defaultESE_EEEENSA_INSB_IlSD_SE_SE_EEEEZNS1_13binary_searchIS3_S5_PjSG_SI_NS1_21upper_bound_search_opENS9_16wrapped_functionINS8_6system6detail7generic6detail18binary_search_lessEbEEEE10hipError_tPvRmT1_T2_T3_mmT4_T5_P12ihipStream_tbEUlRKjE_EEST_SX_SY_mSZ_S12_bEUlT_E_NS1_11comp_targetILNS1_3genE9ELNS1_11target_archE1100ELNS1_3gpuE3ELNS1_3repE0EEENS1_30default_config_static_selectorELNS0_4arch9wavefront6targetE1EEEvSW_,comdat
	.protected	_ZN7rocprim17ROCPRIM_400000_NS6detail17trampoline_kernelINS0_14default_configENS1_27upper_bound_config_selectorIjlEEZNS1_14transform_implILb0ES3_S5_N6thrust23THRUST_200600_302600_NS6detail15normal_iteratorINS8_7pointerIjNS8_11hip_rocprim5par_tENS8_11use_defaultESE_EEEENSA_INSB_IlSD_SE_SE_EEEEZNS1_13binary_searchIS3_S5_PjSG_SI_NS1_21upper_bound_search_opENS9_16wrapped_functionINS8_6system6detail7generic6detail18binary_search_lessEbEEEE10hipError_tPvRmT1_T2_T3_mmT4_T5_P12ihipStream_tbEUlRKjE_EEST_SX_SY_mSZ_S12_bEUlT_E_NS1_11comp_targetILNS1_3genE9ELNS1_11target_archE1100ELNS1_3gpuE3ELNS1_3repE0EEENS1_30default_config_static_selectorELNS0_4arch9wavefront6targetE1EEEvSW_ ; -- Begin function _ZN7rocprim17ROCPRIM_400000_NS6detail17trampoline_kernelINS0_14default_configENS1_27upper_bound_config_selectorIjlEEZNS1_14transform_implILb0ES3_S5_N6thrust23THRUST_200600_302600_NS6detail15normal_iteratorINS8_7pointerIjNS8_11hip_rocprim5par_tENS8_11use_defaultESE_EEEENSA_INSB_IlSD_SE_SE_EEEEZNS1_13binary_searchIS3_S5_PjSG_SI_NS1_21upper_bound_search_opENS9_16wrapped_functionINS8_6system6detail7generic6detail18binary_search_lessEbEEEE10hipError_tPvRmT1_T2_T3_mmT4_T5_P12ihipStream_tbEUlRKjE_EEST_SX_SY_mSZ_S12_bEUlT_E_NS1_11comp_targetILNS1_3genE9ELNS1_11target_archE1100ELNS1_3gpuE3ELNS1_3repE0EEENS1_30default_config_static_selectorELNS0_4arch9wavefront6targetE1EEEvSW_
	.globl	_ZN7rocprim17ROCPRIM_400000_NS6detail17trampoline_kernelINS0_14default_configENS1_27upper_bound_config_selectorIjlEEZNS1_14transform_implILb0ES3_S5_N6thrust23THRUST_200600_302600_NS6detail15normal_iteratorINS8_7pointerIjNS8_11hip_rocprim5par_tENS8_11use_defaultESE_EEEENSA_INSB_IlSD_SE_SE_EEEEZNS1_13binary_searchIS3_S5_PjSG_SI_NS1_21upper_bound_search_opENS9_16wrapped_functionINS8_6system6detail7generic6detail18binary_search_lessEbEEEE10hipError_tPvRmT1_T2_T3_mmT4_T5_P12ihipStream_tbEUlRKjE_EEST_SX_SY_mSZ_S12_bEUlT_E_NS1_11comp_targetILNS1_3genE9ELNS1_11target_archE1100ELNS1_3gpuE3ELNS1_3repE0EEENS1_30default_config_static_selectorELNS0_4arch9wavefront6targetE1EEEvSW_
	.p2align	8
	.type	_ZN7rocprim17ROCPRIM_400000_NS6detail17trampoline_kernelINS0_14default_configENS1_27upper_bound_config_selectorIjlEEZNS1_14transform_implILb0ES3_S5_N6thrust23THRUST_200600_302600_NS6detail15normal_iteratorINS8_7pointerIjNS8_11hip_rocprim5par_tENS8_11use_defaultESE_EEEENSA_INSB_IlSD_SE_SE_EEEEZNS1_13binary_searchIS3_S5_PjSG_SI_NS1_21upper_bound_search_opENS9_16wrapped_functionINS8_6system6detail7generic6detail18binary_search_lessEbEEEE10hipError_tPvRmT1_T2_T3_mmT4_T5_P12ihipStream_tbEUlRKjE_EEST_SX_SY_mSZ_S12_bEUlT_E_NS1_11comp_targetILNS1_3genE9ELNS1_11target_archE1100ELNS1_3gpuE3ELNS1_3repE0EEENS1_30default_config_static_selectorELNS0_4arch9wavefront6targetE1EEEvSW_,@function
_ZN7rocprim17ROCPRIM_400000_NS6detail17trampoline_kernelINS0_14default_configENS1_27upper_bound_config_selectorIjlEEZNS1_14transform_implILb0ES3_S5_N6thrust23THRUST_200600_302600_NS6detail15normal_iteratorINS8_7pointerIjNS8_11hip_rocprim5par_tENS8_11use_defaultESE_EEEENSA_INSB_IlSD_SE_SE_EEEEZNS1_13binary_searchIS3_S5_PjSG_SI_NS1_21upper_bound_search_opENS9_16wrapped_functionINS8_6system6detail7generic6detail18binary_search_lessEbEEEE10hipError_tPvRmT1_T2_T3_mmT4_T5_P12ihipStream_tbEUlRKjE_EEST_SX_SY_mSZ_S12_bEUlT_E_NS1_11comp_targetILNS1_3genE9ELNS1_11target_archE1100ELNS1_3gpuE3ELNS1_3repE0EEENS1_30default_config_static_selectorELNS0_4arch9wavefront6targetE1EEEvSW_: ; @_ZN7rocprim17ROCPRIM_400000_NS6detail17trampoline_kernelINS0_14default_configENS1_27upper_bound_config_selectorIjlEEZNS1_14transform_implILb0ES3_S5_N6thrust23THRUST_200600_302600_NS6detail15normal_iteratorINS8_7pointerIjNS8_11hip_rocprim5par_tENS8_11use_defaultESE_EEEENSA_INSB_IlSD_SE_SE_EEEEZNS1_13binary_searchIS3_S5_PjSG_SI_NS1_21upper_bound_search_opENS9_16wrapped_functionINS8_6system6detail7generic6detail18binary_search_lessEbEEEE10hipError_tPvRmT1_T2_T3_mmT4_T5_P12ihipStream_tbEUlRKjE_EEST_SX_SY_mSZ_S12_bEUlT_E_NS1_11comp_targetILNS1_3genE9ELNS1_11target_archE1100ELNS1_3gpuE3ELNS1_3repE0EEENS1_30default_config_static_selectorELNS0_4arch9wavefront6targetE1EEEvSW_
; %bb.0:
	.section	.rodata,"a",@progbits
	.p2align	6, 0x0
	.amdhsa_kernel _ZN7rocprim17ROCPRIM_400000_NS6detail17trampoline_kernelINS0_14default_configENS1_27upper_bound_config_selectorIjlEEZNS1_14transform_implILb0ES3_S5_N6thrust23THRUST_200600_302600_NS6detail15normal_iteratorINS8_7pointerIjNS8_11hip_rocprim5par_tENS8_11use_defaultESE_EEEENSA_INSB_IlSD_SE_SE_EEEEZNS1_13binary_searchIS3_S5_PjSG_SI_NS1_21upper_bound_search_opENS9_16wrapped_functionINS8_6system6detail7generic6detail18binary_search_lessEbEEEE10hipError_tPvRmT1_T2_T3_mmT4_T5_P12ihipStream_tbEUlRKjE_EEST_SX_SY_mSZ_S12_bEUlT_E_NS1_11comp_targetILNS1_3genE9ELNS1_11target_archE1100ELNS1_3gpuE3ELNS1_3repE0EEENS1_30default_config_static_selectorELNS0_4arch9wavefront6targetE1EEEvSW_
		.amdhsa_group_segment_fixed_size 0
		.amdhsa_private_segment_fixed_size 0
		.amdhsa_kernarg_size 56
		.amdhsa_user_sgpr_count 6
		.amdhsa_user_sgpr_private_segment_buffer 1
		.amdhsa_user_sgpr_dispatch_ptr 0
		.amdhsa_user_sgpr_queue_ptr 0
		.amdhsa_user_sgpr_kernarg_segment_ptr 1
		.amdhsa_user_sgpr_dispatch_id 0
		.amdhsa_user_sgpr_flat_scratch_init 0
		.amdhsa_user_sgpr_private_segment_size 0
		.amdhsa_uses_dynamic_stack 0
		.amdhsa_system_sgpr_private_segment_wavefront_offset 0
		.amdhsa_system_sgpr_workgroup_id_x 1
		.amdhsa_system_sgpr_workgroup_id_y 0
		.amdhsa_system_sgpr_workgroup_id_z 0
		.amdhsa_system_sgpr_workgroup_info 0
		.amdhsa_system_vgpr_workitem_id 0
		.amdhsa_next_free_vgpr 1
		.amdhsa_next_free_sgpr 0
		.amdhsa_reserve_vcc 0
		.amdhsa_reserve_flat_scratch 0
		.amdhsa_float_round_mode_32 0
		.amdhsa_float_round_mode_16_64 0
		.amdhsa_float_denorm_mode_32 3
		.amdhsa_float_denorm_mode_16_64 3
		.amdhsa_dx10_clamp 1
		.amdhsa_ieee_mode 1
		.amdhsa_fp16_overflow 0
		.amdhsa_exception_fp_ieee_invalid_op 0
		.amdhsa_exception_fp_denorm_src 0
		.amdhsa_exception_fp_ieee_div_zero 0
		.amdhsa_exception_fp_ieee_overflow 0
		.amdhsa_exception_fp_ieee_underflow 0
		.amdhsa_exception_fp_ieee_inexact 0
		.amdhsa_exception_int_div_zero 0
	.end_amdhsa_kernel
	.section	.text._ZN7rocprim17ROCPRIM_400000_NS6detail17trampoline_kernelINS0_14default_configENS1_27upper_bound_config_selectorIjlEEZNS1_14transform_implILb0ES3_S5_N6thrust23THRUST_200600_302600_NS6detail15normal_iteratorINS8_7pointerIjNS8_11hip_rocprim5par_tENS8_11use_defaultESE_EEEENSA_INSB_IlSD_SE_SE_EEEEZNS1_13binary_searchIS3_S5_PjSG_SI_NS1_21upper_bound_search_opENS9_16wrapped_functionINS8_6system6detail7generic6detail18binary_search_lessEbEEEE10hipError_tPvRmT1_T2_T3_mmT4_T5_P12ihipStream_tbEUlRKjE_EEST_SX_SY_mSZ_S12_bEUlT_E_NS1_11comp_targetILNS1_3genE9ELNS1_11target_archE1100ELNS1_3gpuE3ELNS1_3repE0EEENS1_30default_config_static_selectorELNS0_4arch9wavefront6targetE1EEEvSW_,"axG",@progbits,_ZN7rocprim17ROCPRIM_400000_NS6detail17trampoline_kernelINS0_14default_configENS1_27upper_bound_config_selectorIjlEEZNS1_14transform_implILb0ES3_S5_N6thrust23THRUST_200600_302600_NS6detail15normal_iteratorINS8_7pointerIjNS8_11hip_rocprim5par_tENS8_11use_defaultESE_EEEENSA_INSB_IlSD_SE_SE_EEEEZNS1_13binary_searchIS3_S5_PjSG_SI_NS1_21upper_bound_search_opENS9_16wrapped_functionINS8_6system6detail7generic6detail18binary_search_lessEbEEEE10hipError_tPvRmT1_T2_T3_mmT4_T5_P12ihipStream_tbEUlRKjE_EEST_SX_SY_mSZ_S12_bEUlT_E_NS1_11comp_targetILNS1_3genE9ELNS1_11target_archE1100ELNS1_3gpuE3ELNS1_3repE0EEENS1_30default_config_static_selectorELNS0_4arch9wavefront6targetE1EEEvSW_,comdat
.Lfunc_end199:
	.size	_ZN7rocprim17ROCPRIM_400000_NS6detail17trampoline_kernelINS0_14default_configENS1_27upper_bound_config_selectorIjlEEZNS1_14transform_implILb0ES3_S5_N6thrust23THRUST_200600_302600_NS6detail15normal_iteratorINS8_7pointerIjNS8_11hip_rocprim5par_tENS8_11use_defaultESE_EEEENSA_INSB_IlSD_SE_SE_EEEEZNS1_13binary_searchIS3_S5_PjSG_SI_NS1_21upper_bound_search_opENS9_16wrapped_functionINS8_6system6detail7generic6detail18binary_search_lessEbEEEE10hipError_tPvRmT1_T2_T3_mmT4_T5_P12ihipStream_tbEUlRKjE_EEST_SX_SY_mSZ_S12_bEUlT_E_NS1_11comp_targetILNS1_3genE9ELNS1_11target_archE1100ELNS1_3gpuE3ELNS1_3repE0EEENS1_30default_config_static_selectorELNS0_4arch9wavefront6targetE1EEEvSW_, .Lfunc_end199-_ZN7rocprim17ROCPRIM_400000_NS6detail17trampoline_kernelINS0_14default_configENS1_27upper_bound_config_selectorIjlEEZNS1_14transform_implILb0ES3_S5_N6thrust23THRUST_200600_302600_NS6detail15normal_iteratorINS8_7pointerIjNS8_11hip_rocprim5par_tENS8_11use_defaultESE_EEEENSA_INSB_IlSD_SE_SE_EEEEZNS1_13binary_searchIS3_S5_PjSG_SI_NS1_21upper_bound_search_opENS9_16wrapped_functionINS8_6system6detail7generic6detail18binary_search_lessEbEEEE10hipError_tPvRmT1_T2_T3_mmT4_T5_P12ihipStream_tbEUlRKjE_EEST_SX_SY_mSZ_S12_bEUlT_E_NS1_11comp_targetILNS1_3genE9ELNS1_11target_archE1100ELNS1_3gpuE3ELNS1_3repE0EEENS1_30default_config_static_selectorELNS0_4arch9wavefront6targetE1EEEvSW_
                                        ; -- End function
	.set _ZN7rocprim17ROCPRIM_400000_NS6detail17trampoline_kernelINS0_14default_configENS1_27upper_bound_config_selectorIjlEEZNS1_14transform_implILb0ES3_S5_N6thrust23THRUST_200600_302600_NS6detail15normal_iteratorINS8_7pointerIjNS8_11hip_rocprim5par_tENS8_11use_defaultESE_EEEENSA_INSB_IlSD_SE_SE_EEEEZNS1_13binary_searchIS3_S5_PjSG_SI_NS1_21upper_bound_search_opENS9_16wrapped_functionINS8_6system6detail7generic6detail18binary_search_lessEbEEEE10hipError_tPvRmT1_T2_T3_mmT4_T5_P12ihipStream_tbEUlRKjE_EEST_SX_SY_mSZ_S12_bEUlT_E_NS1_11comp_targetILNS1_3genE9ELNS1_11target_archE1100ELNS1_3gpuE3ELNS1_3repE0EEENS1_30default_config_static_selectorELNS0_4arch9wavefront6targetE1EEEvSW_.num_vgpr, 0
	.set _ZN7rocprim17ROCPRIM_400000_NS6detail17trampoline_kernelINS0_14default_configENS1_27upper_bound_config_selectorIjlEEZNS1_14transform_implILb0ES3_S5_N6thrust23THRUST_200600_302600_NS6detail15normal_iteratorINS8_7pointerIjNS8_11hip_rocprim5par_tENS8_11use_defaultESE_EEEENSA_INSB_IlSD_SE_SE_EEEEZNS1_13binary_searchIS3_S5_PjSG_SI_NS1_21upper_bound_search_opENS9_16wrapped_functionINS8_6system6detail7generic6detail18binary_search_lessEbEEEE10hipError_tPvRmT1_T2_T3_mmT4_T5_P12ihipStream_tbEUlRKjE_EEST_SX_SY_mSZ_S12_bEUlT_E_NS1_11comp_targetILNS1_3genE9ELNS1_11target_archE1100ELNS1_3gpuE3ELNS1_3repE0EEENS1_30default_config_static_selectorELNS0_4arch9wavefront6targetE1EEEvSW_.num_agpr, 0
	.set _ZN7rocprim17ROCPRIM_400000_NS6detail17trampoline_kernelINS0_14default_configENS1_27upper_bound_config_selectorIjlEEZNS1_14transform_implILb0ES3_S5_N6thrust23THRUST_200600_302600_NS6detail15normal_iteratorINS8_7pointerIjNS8_11hip_rocprim5par_tENS8_11use_defaultESE_EEEENSA_INSB_IlSD_SE_SE_EEEEZNS1_13binary_searchIS3_S5_PjSG_SI_NS1_21upper_bound_search_opENS9_16wrapped_functionINS8_6system6detail7generic6detail18binary_search_lessEbEEEE10hipError_tPvRmT1_T2_T3_mmT4_T5_P12ihipStream_tbEUlRKjE_EEST_SX_SY_mSZ_S12_bEUlT_E_NS1_11comp_targetILNS1_3genE9ELNS1_11target_archE1100ELNS1_3gpuE3ELNS1_3repE0EEENS1_30default_config_static_selectorELNS0_4arch9wavefront6targetE1EEEvSW_.numbered_sgpr, 0
	.set _ZN7rocprim17ROCPRIM_400000_NS6detail17trampoline_kernelINS0_14default_configENS1_27upper_bound_config_selectorIjlEEZNS1_14transform_implILb0ES3_S5_N6thrust23THRUST_200600_302600_NS6detail15normal_iteratorINS8_7pointerIjNS8_11hip_rocprim5par_tENS8_11use_defaultESE_EEEENSA_INSB_IlSD_SE_SE_EEEEZNS1_13binary_searchIS3_S5_PjSG_SI_NS1_21upper_bound_search_opENS9_16wrapped_functionINS8_6system6detail7generic6detail18binary_search_lessEbEEEE10hipError_tPvRmT1_T2_T3_mmT4_T5_P12ihipStream_tbEUlRKjE_EEST_SX_SY_mSZ_S12_bEUlT_E_NS1_11comp_targetILNS1_3genE9ELNS1_11target_archE1100ELNS1_3gpuE3ELNS1_3repE0EEENS1_30default_config_static_selectorELNS0_4arch9wavefront6targetE1EEEvSW_.num_named_barrier, 0
	.set _ZN7rocprim17ROCPRIM_400000_NS6detail17trampoline_kernelINS0_14default_configENS1_27upper_bound_config_selectorIjlEEZNS1_14transform_implILb0ES3_S5_N6thrust23THRUST_200600_302600_NS6detail15normal_iteratorINS8_7pointerIjNS8_11hip_rocprim5par_tENS8_11use_defaultESE_EEEENSA_INSB_IlSD_SE_SE_EEEEZNS1_13binary_searchIS3_S5_PjSG_SI_NS1_21upper_bound_search_opENS9_16wrapped_functionINS8_6system6detail7generic6detail18binary_search_lessEbEEEE10hipError_tPvRmT1_T2_T3_mmT4_T5_P12ihipStream_tbEUlRKjE_EEST_SX_SY_mSZ_S12_bEUlT_E_NS1_11comp_targetILNS1_3genE9ELNS1_11target_archE1100ELNS1_3gpuE3ELNS1_3repE0EEENS1_30default_config_static_selectorELNS0_4arch9wavefront6targetE1EEEvSW_.private_seg_size, 0
	.set _ZN7rocprim17ROCPRIM_400000_NS6detail17trampoline_kernelINS0_14default_configENS1_27upper_bound_config_selectorIjlEEZNS1_14transform_implILb0ES3_S5_N6thrust23THRUST_200600_302600_NS6detail15normal_iteratorINS8_7pointerIjNS8_11hip_rocprim5par_tENS8_11use_defaultESE_EEEENSA_INSB_IlSD_SE_SE_EEEEZNS1_13binary_searchIS3_S5_PjSG_SI_NS1_21upper_bound_search_opENS9_16wrapped_functionINS8_6system6detail7generic6detail18binary_search_lessEbEEEE10hipError_tPvRmT1_T2_T3_mmT4_T5_P12ihipStream_tbEUlRKjE_EEST_SX_SY_mSZ_S12_bEUlT_E_NS1_11comp_targetILNS1_3genE9ELNS1_11target_archE1100ELNS1_3gpuE3ELNS1_3repE0EEENS1_30default_config_static_selectorELNS0_4arch9wavefront6targetE1EEEvSW_.uses_vcc, 0
	.set _ZN7rocprim17ROCPRIM_400000_NS6detail17trampoline_kernelINS0_14default_configENS1_27upper_bound_config_selectorIjlEEZNS1_14transform_implILb0ES3_S5_N6thrust23THRUST_200600_302600_NS6detail15normal_iteratorINS8_7pointerIjNS8_11hip_rocprim5par_tENS8_11use_defaultESE_EEEENSA_INSB_IlSD_SE_SE_EEEEZNS1_13binary_searchIS3_S5_PjSG_SI_NS1_21upper_bound_search_opENS9_16wrapped_functionINS8_6system6detail7generic6detail18binary_search_lessEbEEEE10hipError_tPvRmT1_T2_T3_mmT4_T5_P12ihipStream_tbEUlRKjE_EEST_SX_SY_mSZ_S12_bEUlT_E_NS1_11comp_targetILNS1_3genE9ELNS1_11target_archE1100ELNS1_3gpuE3ELNS1_3repE0EEENS1_30default_config_static_selectorELNS0_4arch9wavefront6targetE1EEEvSW_.uses_flat_scratch, 0
	.set _ZN7rocprim17ROCPRIM_400000_NS6detail17trampoline_kernelINS0_14default_configENS1_27upper_bound_config_selectorIjlEEZNS1_14transform_implILb0ES3_S5_N6thrust23THRUST_200600_302600_NS6detail15normal_iteratorINS8_7pointerIjNS8_11hip_rocprim5par_tENS8_11use_defaultESE_EEEENSA_INSB_IlSD_SE_SE_EEEEZNS1_13binary_searchIS3_S5_PjSG_SI_NS1_21upper_bound_search_opENS9_16wrapped_functionINS8_6system6detail7generic6detail18binary_search_lessEbEEEE10hipError_tPvRmT1_T2_T3_mmT4_T5_P12ihipStream_tbEUlRKjE_EEST_SX_SY_mSZ_S12_bEUlT_E_NS1_11comp_targetILNS1_3genE9ELNS1_11target_archE1100ELNS1_3gpuE3ELNS1_3repE0EEENS1_30default_config_static_selectorELNS0_4arch9wavefront6targetE1EEEvSW_.has_dyn_sized_stack, 0
	.set _ZN7rocprim17ROCPRIM_400000_NS6detail17trampoline_kernelINS0_14default_configENS1_27upper_bound_config_selectorIjlEEZNS1_14transform_implILb0ES3_S5_N6thrust23THRUST_200600_302600_NS6detail15normal_iteratorINS8_7pointerIjNS8_11hip_rocprim5par_tENS8_11use_defaultESE_EEEENSA_INSB_IlSD_SE_SE_EEEEZNS1_13binary_searchIS3_S5_PjSG_SI_NS1_21upper_bound_search_opENS9_16wrapped_functionINS8_6system6detail7generic6detail18binary_search_lessEbEEEE10hipError_tPvRmT1_T2_T3_mmT4_T5_P12ihipStream_tbEUlRKjE_EEST_SX_SY_mSZ_S12_bEUlT_E_NS1_11comp_targetILNS1_3genE9ELNS1_11target_archE1100ELNS1_3gpuE3ELNS1_3repE0EEENS1_30default_config_static_selectorELNS0_4arch9wavefront6targetE1EEEvSW_.has_recursion, 0
	.set _ZN7rocprim17ROCPRIM_400000_NS6detail17trampoline_kernelINS0_14default_configENS1_27upper_bound_config_selectorIjlEEZNS1_14transform_implILb0ES3_S5_N6thrust23THRUST_200600_302600_NS6detail15normal_iteratorINS8_7pointerIjNS8_11hip_rocprim5par_tENS8_11use_defaultESE_EEEENSA_INSB_IlSD_SE_SE_EEEEZNS1_13binary_searchIS3_S5_PjSG_SI_NS1_21upper_bound_search_opENS9_16wrapped_functionINS8_6system6detail7generic6detail18binary_search_lessEbEEEE10hipError_tPvRmT1_T2_T3_mmT4_T5_P12ihipStream_tbEUlRKjE_EEST_SX_SY_mSZ_S12_bEUlT_E_NS1_11comp_targetILNS1_3genE9ELNS1_11target_archE1100ELNS1_3gpuE3ELNS1_3repE0EEENS1_30default_config_static_selectorELNS0_4arch9wavefront6targetE1EEEvSW_.has_indirect_call, 0
	.section	.AMDGPU.csdata,"",@progbits
; Kernel info:
; codeLenInByte = 0
; TotalNumSgprs: 4
; NumVgprs: 0
; ScratchSize: 0
; MemoryBound: 0
; FloatMode: 240
; IeeeMode: 1
; LDSByteSize: 0 bytes/workgroup (compile time only)
; SGPRBlocks: 0
; VGPRBlocks: 0
; NumSGPRsForWavesPerEU: 4
; NumVGPRsForWavesPerEU: 1
; Occupancy: 10
; WaveLimiterHint : 0
; COMPUTE_PGM_RSRC2:SCRATCH_EN: 0
; COMPUTE_PGM_RSRC2:USER_SGPR: 6
; COMPUTE_PGM_RSRC2:TRAP_HANDLER: 0
; COMPUTE_PGM_RSRC2:TGID_X_EN: 1
; COMPUTE_PGM_RSRC2:TGID_Y_EN: 0
; COMPUTE_PGM_RSRC2:TGID_Z_EN: 0
; COMPUTE_PGM_RSRC2:TIDIG_COMP_CNT: 0
	.section	.text._ZN7rocprim17ROCPRIM_400000_NS6detail17trampoline_kernelINS0_14default_configENS1_27upper_bound_config_selectorIjlEEZNS1_14transform_implILb0ES3_S5_N6thrust23THRUST_200600_302600_NS6detail15normal_iteratorINS8_7pointerIjNS8_11hip_rocprim5par_tENS8_11use_defaultESE_EEEENSA_INSB_IlSD_SE_SE_EEEEZNS1_13binary_searchIS3_S5_PjSG_SI_NS1_21upper_bound_search_opENS9_16wrapped_functionINS8_6system6detail7generic6detail18binary_search_lessEbEEEE10hipError_tPvRmT1_T2_T3_mmT4_T5_P12ihipStream_tbEUlRKjE_EEST_SX_SY_mSZ_S12_bEUlT_E_NS1_11comp_targetILNS1_3genE8ELNS1_11target_archE1030ELNS1_3gpuE2ELNS1_3repE0EEENS1_30default_config_static_selectorELNS0_4arch9wavefront6targetE1EEEvSW_,"axG",@progbits,_ZN7rocprim17ROCPRIM_400000_NS6detail17trampoline_kernelINS0_14default_configENS1_27upper_bound_config_selectorIjlEEZNS1_14transform_implILb0ES3_S5_N6thrust23THRUST_200600_302600_NS6detail15normal_iteratorINS8_7pointerIjNS8_11hip_rocprim5par_tENS8_11use_defaultESE_EEEENSA_INSB_IlSD_SE_SE_EEEEZNS1_13binary_searchIS3_S5_PjSG_SI_NS1_21upper_bound_search_opENS9_16wrapped_functionINS8_6system6detail7generic6detail18binary_search_lessEbEEEE10hipError_tPvRmT1_T2_T3_mmT4_T5_P12ihipStream_tbEUlRKjE_EEST_SX_SY_mSZ_S12_bEUlT_E_NS1_11comp_targetILNS1_3genE8ELNS1_11target_archE1030ELNS1_3gpuE2ELNS1_3repE0EEENS1_30default_config_static_selectorELNS0_4arch9wavefront6targetE1EEEvSW_,comdat
	.protected	_ZN7rocprim17ROCPRIM_400000_NS6detail17trampoline_kernelINS0_14default_configENS1_27upper_bound_config_selectorIjlEEZNS1_14transform_implILb0ES3_S5_N6thrust23THRUST_200600_302600_NS6detail15normal_iteratorINS8_7pointerIjNS8_11hip_rocprim5par_tENS8_11use_defaultESE_EEEENSA_INSB_IlSD_SE_SE_EEEEZNS1_13binary_searchIS3_S5_PjSG_SI_NS1_21upper_bound_search_opENS9_16wrapped_functionINS8_6system6detail7generic6detail18binary_search_lessEbEEEE10hipError_tPvRmT1_T2_T3_mmT4_T5_P12ihipStream_tbEUlRKjE_EEST_SX_SY_mSZ_S12_bEUlT_E_NS1_11comp_targetILNS1_3genE8ELNS1_11target_archE1030ELNS1_3gpuE2ELNS1_3repE0EEENS1_30default_config_static_selectorELNS0_4arch9wavefront6targetE1EEEvSW_ ; -- Begin function _ZN7rocprim17ROCPRIM_400000_NS6detail17trampoline_kernelINS0_14default_configENS1_27upper_bound_config_selectorIjlEEZNS1_14transform_implILb0ES3_S5_N6thrust23THRUST_200600_302600_NS6detail15normal_iteratorINS8_7pointerIjNS8_11hip_rocprim5par_tENS8_11use_defaultESE_EEEENSA_INSB_IlSD_SE_SE_EEEEZNS1_13binary_searchIS3_S5_PjSG_SI_NS1_21upper_bound_search_opENS9_16wrapped_functionINS8_6system6detail7generic6detail18binary_search_lessEbEEEE10hipError_tPvRmT1_T2_T3_mmT4_T5_P12ihipStream_tbEUlRKjE_EEST_SX_SY_mSZ_S12_bEUlT_E_NS1_11comp_targetILNS1_3genE8ELNS1_11target_archE1030ELNS1_3gpuE2ELNS1_3repE0EEENS1_30default_config_static_selectorELNS0_4arch9wavefront6targetE1EEEvSW_
	.globl	_ZN7rocprim17ROCPRIM_400000_NS6detail17trampoline_kernelINS0_14default_configENS1_27upper_bound_config_selectorIjlEEZNS1_14transform_implILb0ES3_S5_N6thrust23THRUST_200600_302600_NS6detail15normal_iteratorINS8_7pointerIjNS8_11hip_rocprim5par_tENS8_11use_defaultESE_EEEENSA_INSB_IlSD_SE_SE_EEEEZNS1_13binary_searchIS3_S5_PjSG_SI_NS1_21upper_bound_search_opENS9_16wrapped_functionINS8_6system6detail7generic6detail18binary_search_lessEbEEEE10hipError_tPvRmT1_T2_T3_mmT4_T5_P12ihipStream_tbEUlRKjE_EEST_SX_SY_mSZ_S12_bEUlT_E_NS1_11comp_targetILNS1_3genE8ELNS1_11target_archE1030ELNS1_3gpuE2ELNS1_3repE0EEENS1_30default_config_static_selectorELNS0_4arch9wavefront6targetE1EEEvSW_
	.p2align	8
	.type	_ZN7rocprim17ROCPRIM_400000_NS6detail17trampoline_kernelINS0_14default_configENS1_27upper_bound_config_selectorIjlEEZNS1_14transform_implILb0ES3_S5_N6thrust23THRUST_200600_302600_NS6detail15normal_iteratorINS8_7pointerIjNS8_11hip_rocprim5par_tENS8_11use_defaultESE_EEEENSA_INSB_IlSD_SE_SE_EEEEZNS1_13binary_searchIS3_S5_PjSG_SI_NS1_21upper_bound_search_opENS9_16wrapped_functionINS8_6system6detail7generic6detail18binary_search_lessEbEEEE10hipError_tPvRmT1_T2_T3_mmT4_T5_P12ihipStream_tbEUlRKjE_EEST_SX_SY_mSZ_S12_bEUlT_E_NS1_11comp_targetILNS1_3genE8ELNS1_11target_archE1030ELNS1_3gpuE2ELNS1_3repE0EEENS1_30default_config_static_selectorELNS0_4arch9wavefront6targetE1EEEvSW_,@function
_ZN7rocprim17ROCPRIM_400000_NS6detail17trampoline_kernelINS0_14default_configENS1_27upper_bound_config_selectorIjlEEZNS1_14transform_implILb0ES3_S5_N6thrust23THRUST_200600_302600_NS6detail15normal_iteratorINS8_7pointerIjNS8_11hip_rocprim5par_tENS8_11use_defaultESE_EEEENSA_INSB_IlSD_SE_SE_EEEEZNS1_13binary_searchIS3_S5_PjSG_SI_NS1_21upper_bound_search_opENS9_16wrapped_functionINS8_6system6detail7generic6detail18binary_search_lessEbEEEE10hipError_tPvRmT1_T2_T3_mmT4_T5_P12ihipStream_tbEUlRKjE_EEST_SX_SY_mSZ_S12_bEUlT_E_NS1_11comp_targetILNS1_3genE8ELNS1_11target_archE1030ELNS1_3gpuE2ELNS1_3repE0EEENS1_30default_config_static_selectorELNS0_4arch9wavefront6targetE1EEEvSW_: ; @_ZN7rocprim17ROCPRIM_400000_NS6detail17trampoline_kernelINS0_14default_configENS1_27upper_bound_config_selectorIjlEEZNS1_14transform_implILb0ES3_S5_N6thrust23THRUST_200600_302600_NS6detail15normal_iteratorINS8_7pointerIjNS8_11hip_rocprim5par_tENS8_11use_defaultESE_EEEENSA_INSB_IlSD_SE_SE_EEEEZNS1_13binary_searchIS3_S5_PjSG_SI_NS1_21upper_bound_search_opENS9_16wrapped_functionINS8_6system6detail7generic6detail18binary_search_lessEbEEEE10hipError_tPvRmT1_T2_T3_mmT4_T5_P12ihipStream_tbEUlRKjE_EEST_SX_SY_mSZ_S12_bEUlT_E_NS1_11comp_targetILNS1_3genE8ELNS1_11target_archE1030ELNS1_3gpuE2ELNS1_3repE0EEENS1_30default_config_static_selectorELNS0_4arch9wavefront6targetE1EEEvSW_
; %bb.0:
	.section	.rodata,"a",@progbits
	.p2align	6, 0x0
	.amdhsa_kernel _ZN7rocprim17ROCPRIM_400000_NS6detail17trampoline_kernelINS0_14default_configENS1_27upper_bound_config_selectorIjlEEZNS1_14transform_implILb0ES3_S5_N6thrust23THRUST_200600_302600_NS6detail15normal_iteratorINS8_7pointerIjNS8_11hip_rocprim5par_tENS8_11use_defaultESE_EEEENSA_INSB_IlSD_SE_SE_EEEEZNS1_13binary_searchIS3_S5_PjSG_SI_NS1_21upper_bound_search_opENS9_16wrapped_functionINS8_6system6detail7generic6detail18binary_search_lessEbEEEE10hipError_tPvRmT1_T2_T3_mmT4_T5_P12ihipStream_tbEUlRKjE_EEST_SX_SY_mSZ_S12_bEUlT_E_NS1_11comp_targetILNS1_3genE8ELNS1_11target_archE1030ELNS1_3gpuE2ELNS1_3repE0EEENS1_30default_config_static_selectorELNS0_4arch9wavefront6targetE1EEEvSW_
		.amdhsa_group_segment_fixed_size 0
		.amdhsa_private_segment_fixed_size 0
		.amdhsa_kernarg_size 56
		.amdhsa_user_sgpr_count 6
		.amdhsa_user_sgpr_private_segment_buffer 1
		.amdhsa_user_sgpr_dispatch_ptr 0
		.amdhsa_user_sgpr_queue_ptr 0
		.amdhsa_user_sgpr_kernarg_segment_ptr 1
		.amdhsa_user_sgpr_dispatch_id 0
		.amdhsa_user_sgpr_flat_scratch_init 0
		.amdhsa_user_sgpr_private_segment_size 0
		.amdhsa_uses_dynamic_stack 0
		.amdhsa_system_sgpr_private_segment_wavefront_offset 0
		.amdhsa_system_sgpr_workgroup_id_x 1
		.amdhsa_system_sgpr_workgroup_id_y 0
		.amdhsa_system_sgpr_workgroup_id_z 0
		.amdhsa_system_sgpr_workgroup_info 0
		.amdhsa_system_vgpr_workitem_id 0
		.amdhsa_next_free_vgpr 1
		.amdhsa_next_free_sgpr 0
		.amdhsa_reserve_vcc 0
		.amdhsa_reserve_flat_scratch 0
		.amdhsa_float_round_mode_32 0
		.amdhsa_float_round_mode_16_64 0
		.amdhsa_float_denorm_mode_32 3
		.amdhsa_float_denorm_mode_16_64 3
		.amdhsa_dx10_clamp 1
		.amdhsa_ieee_mode 1
		.amdhsa_fp16_overflow 0
		.amdhsa_exception_fp_ieee_invalid_op 0
		.amdhsa_exception_fp_denorm_src 0
		.amdhsa_exception_fp_ieee_div_zero 0
		.amdhsa_exception_fp_ieee_overflow 0
		.amdhsa_exception_fp_ieee_underflow 0
		.amdhsa_exception_fp_ieee_inexact 0
		.amdhsa_exception_int_div_zero 0
	.end_amdhsa_kernel
	.section	.text._ZN7rocprim17ROCPRIM_400000_NS6detail17trampoline_kernelINS0_14default_configENS1_27upper_bound_config_selectorIjlEEZNS1_14transform_implILb0ES3_S5_N6thrust23THRUST_200600_302600_NS6detail15normal_iteratorINS8_7pointerIjNS8_11hip_rocprim5par_tENS8_11use_defaultESE_EEEENSA_INSB_IlSD_SE_SE_EEEEZNS1_13binary_searchIS3_S5_PjSG_SI_NS1_21upper_bound_search_opENS9_16wrapped_functionINS8_6system6detail7generic6detail18binary_search_lessEbEEEE10hipError_tPvRmT1_T2_T3_mmT4_T5_P12ihipStream_tbEUlRKjE_EEST_SX_SY_mSZ_S12_bEUlT_E_NS1_11comp_targetILNS1_3genE8ELNS1_11target_archE1030ELNS1_3gpuE2ELNS1_3repE0EEENS1_30default_config_static_selectorELNS0_4arch9wavefront6targetE1EEEvSW_,"axG",@progbits,_ZN7rocprim17ROCPRIM_400000_NS6detail17trampoline_kernelINS0_14default_configENS1_27upper_bound_config_selectorIjlEEZNS1_14transform_implILb0ES3_S5_N6thrust23THRUST_200600_302600_NS6detail15normal_iteratorINS8_7pointerIjNS8_11hip_rocprim5par_tENS8_11use_defaultESE_EEEENSA_INSB_IlSD_SE_SE_EEEEZNS1_13binary_searchIS3_S5_PjSG_SI_NS1_21upper_bound_search_opENS9_16wrapped_functionINS8_6system6detail7generic6detail18binary_search_lessEbEEEE10hipError_tPvRmT1_T2_T3_mmT4_T5_P12ihipStream_tbEUlRKjE_EEST_SX_SY_mSZ_S12_bEUlT_E_NS1_11comp_targetILNS1_3genE8ELNS1_11target_archE1030ELNS1_3gpuE2ELNS1_3repE0EEENS1_30default_config_static_selectorELNS0_4arch9wavefront6targetE1EEEvSW_,comdat
.Lfunc_end200:
	.size	_ZN7rocprim17ROCPRIM_400000_NS6detail17trampoline_kernelINS0_14default_configENS1_27upper_bound_config_selectorIjlEEZNS1_14transform_implILb0ES3_S5_N6thrust23THRUST_200600_302600_NS6detail15normal_iteratorINS8_7pointerIjNS8_11hip_rocprim5par_tENS8_11use_defaultESE_EEEENSA_INSB_IlSD_SE_SE_EEEEZNS1_13binary_searchIS3_S5_PjSG_SI_NS1_21upper_bound_search_opENS9_16wrapped_functionINS8_6system6detail7generic6detail18binary_search_lessEbEEEE10hipError_tPvRmT1_T2_T3_mmT4_T5_P12ihipStream_tbEUlRKjE_EEST_SX_SY_mSZ_S12_bEUlT_E_NS1_11comp_targetILNS1_3genE8ELNS1_11target_archE1030ELNS1_3gpuE2ELNS1_3repE0EEENS1_30default_config_static_selectorELNS0_4arch9wavefront6targetE1EEEvSW_, .Lfunc_end200-_ZN7rocprim17ROCPRIM_400000_NS6detail17trampoline_kernelINS0_14default_configENS1_27upper_bound_config_selectorIjlEEZNS1_14transform_implILb0ES3_S5_N6thrust23THRUST_200600_302600_NS6detail15normal_iteratorINS8_7pointerIjNS8_11hip_rocprim5par_tENS8_11use_defaultESE_EEEENSA_INSB_IlSD_SE_SE_EEEEZNS1_13binary_searchIS3_S5_PjSG_SI_NS1_21upper_bound_search_opENS9_16wrapped_functionINS8_6system6detail7generic6detail18binary_search_lessEbEEEE10hipError_tPvRmT1_T2_T3_mmT4_T5_P12ihipStream_tbEUlRKjE_EEST_SX_SY_mSZ_S12_bEUlT_E_NS1_11comp_targetILNS1_3genE8ELNS1_11target_archE1030ELNS1_3gpuE2ELNS1_3repE0EEENS1_30default_config_static_selectorELNS0_4arch9wavefront6targetE1EEEvSW_
                                        ; -- End function
	.set _ZN7rocprim17ROCPRIM_400000_NS6detail17trampoline_kernelINS0_14default_configENS1_27upper_bound_config_selectorIjlEEZNS1_14transform_implILb0ES3_S5_N6thrust23THRUST_200600_302600_NS6detail15normal_iteratorINS8_7pointerIjNS8_11hip_rocprim5par_tENS8_11use_defaultESE_EEEENSA_INSB_IlSD_SE_SE_EEEEZNS1_13binary_searchIS3_S5_PjSG_SI_NS1_21upper_bound_search_opENS9_16wrapped_functionINS8_6system6detail7generic6detail18binary_search_lessEbEEEE10hipError_tPvRmT1_T2_T3_mmT4_T5_P12ihipStream_tbEUlRKjE_EEST_SX_SY_mSZ_S12_bEUlT_E_NS1_11comp_targetILNS1_3genE8ELNS1_11target_archE1030ELNS1_3gpuE2ELNS1_3repE0EEENS1_30default_config_static_selectorELNS0_4arch9wavefront6targetE1EEEvSW_.num_vgpr, 0
	.set _ZN7rocprim17ROCPRIM_400000_NS6detail17trampoline_kernelINS0_14default_configENS1_27upper_bound_config_selectorIjlEEZNS1_14transform_implILb0ES3_S5_N6thrust23THRUST_200600_302600_NS6detail15normal_iteratorINS8_7pointerIjNS8_11hip_rocprim5par_tENS8_11use_defaultESE_EEEENSA_INSB_IlSD_SE_SE_EEEEZNS1_13binary_searchIS3_S5_PjSG_SI_NS1_21upper_bound_search_opENS9_16wrapped_functionINS8_6system6detail7generic6detail18binary_search_lessEbEEEE10hipError_tPvRmT1_T2_T3_mmT4_T5_P12ihipStream_tbEUlRKjE_EEST_SX_SY_mSZ_S12_bEUlT_E_NS1_11comp_targetILNS1_3genE8ELNS1_11target_archE1030ELNS1_3gpuE2ELNS1_3repE0EEENS1_30default_config_static_selectorELNS0_4arch9wavefront6targetE1EEEvSW_.num_agpr, 0
	.set _ZN7rocprim17ROCPRIM_400000_NS6detail17trampoline_kernelINS0_14default_configENS1_27upper_bound_config_selectorIjlEEZNS1_14transform_implILb0ES3_S5_N6thrust23THRUST_200600_302600_NS6detail15normal_iteratorINS8_7pointerIjNS8_11hip_rocprim5par_tENS8_11use_defaultESE_EEEENSA_INSB_IlSD_SE_SE_EEEEZNS1_13binary_searchIS3_S5_PjSG_SI_NS1_21upper_bound_search_opENS9_16wrapped_functionINS8_6system6detail7generic6detail18binary_search_lessEbEEEE10hipError_tPvRmT1_T2_T3_mmT4_T5_P12ihipStream_tbEUlRKjE_EEST_SX_SY_mSZ_S12_bEUlT_E_NS1_11comp_targetILNS1_3genE8ELNS1_11target_archE1030ELNS1_3gpuE2ELNS1_3repE0EEENS1_30default_config_static_selectorELNS0_4arch9wavefront6targetE1EEEvSW_.numbered_sgpr, 0
	.set _ZN7rocprim17ROCPRIM_400000_NS6detail17trampoline_kernelINS0_14default_configENS1_27upper_bound_config_selectorIjlEEZNS1_14transform_implILb0ES3_S5_N6thrust23THRUST_200600_302600_NS6detail15normal_iteratorINS8_7pointerIjNS8_11hip_rocprim5par_tENS8_11use_defaultESE_EEEENSA_INSB_IlSD_SE_SE_EEEEZNS1_13binary_searchIS3_S5_PjSG_SI_NS1_21upper_bound_search_opENS9_16wrapped_functionINS8_6system6detail7generic6detail18binary_search_lessEbEEEE10hipError_tPvRmT1_T2_T3_mmT4_T5_P12ihipStream_tbEUlRKjE_EEST_SX_SY_mSZ_S12_bEUlT_E_NS1_11comp_targetILNS1_3genE8ELNS1_11target_archE1030ELNS1_3gpuE2ELNS1_3repE0EEENS1_30default_config_static_selectorELNS0_4arch9wavefront6targetE1EEEvSW_.num_named_barrier, 0
	.set _ZN7rocprim17ROCPRIM_400000_NS6detail17trampoline_kernelINS0_14default_configENS1_27upper_bound_config_selectorIjlEEZNS1_14transform_implILb0ES3_S5_N6thrust23THRUST_200600_302600_NS6detail15normal_iteratorINS8_7pointerIjNS8_11hip_rocprim5par_tENS8_11use_defaultESE_EEEENSA_INSB_IlSD_SE_SE_EEEEZNS1_13binary_searchIS3_S5_PjSG_SI_NS1_21upper_bound_search_opENS9_16wrapped_functionINS8_6system6detail7generic6detail18binary_search_lessEbEEEE10hipError_tPvRmT1_T2_T3_mmT4_T5_P12ihipStream_tbEUlRKjE_EEST_SX_SY_mSZ_S12_bEUlT_E_NS1_11comp_targetILNS1_3genE8ELNS1_11target_archE1030ELNS1_3gpuE2ELNS1_3repE0EEENS1_30default_config_static_selectorELNS0_4arch9wavefront6targetE1EEEvSW_.private_seg_size, 0
	.set _ZN7rocprim17ROCPRIM_400000_NS6detail17trampoline_kernelINS0_14default_configENS1_27upper_bound_config_selectorIjlEEZNS1_14transform_implILb0ES3_S5_N6thrust23THRUST_200600_302600_NS6detail15normal_iteratorINS8_7pointerIjNS8_11hip_rocprim5par_tENS8_11use_defaultESE_EEEENSA_INSB_IlSD_SE_SE_EEEEZNS1_13binary_searchIS3_S5_PjSG_SI_NS1_21upper_bound_search_opENS9_16wrapped_functionINS8_6system6detail7generic6detail18binary_search_lessEbEEEE10hipError_tPvRmT1_T2_T3_mmT4_T5_P12ihipStream_tbEUlRKjE_EEST_SX_SY_mSZ_S12_bEUlT_E_NS1_11comp_targetILNS1_3genE8ELNS1_11target_archE1030ELNS1_3gpuE2ELNS1_3repE0EEENS1_30default_config_static_selectorELNS0_4arch9wavefront6targetE1EEEvSW_.uses_vcc, 0
	.set _ZN7rocprim17ROCPRIM_400000_NS6detail17trampoline_kernelINS0_14default_configENS1_27upper_bound_config_selectorIjlEEZNS1_14transform_implILb0ES3_S5_N6thrust23THRUST_200600_302600_NS6detail15normal_iteratorINS8_7pointerIjNS8_11hip_rocprim5par_tENS8_11use_defaultESE_EEEENSA_INSB_IlSD_SE_SE_EEEEZNS1_13binary_searchIS3_S5_PjSG_SI_NS1_21upper_bound_search_opENS9_16wrapped_functionINS8_6system6detail7generic6detail18binary_search_lessEbEEEE10hipError_tPvRmT1_T2_T3_mmT4_T5_P12ihipStream_tbEUlRKjE_EEST_SX_SY_mSZ_S12_bEUlT_E_NS1_11comp_targetILNS1_3genE8ELNS1_11target_archE1030ELNS1_3gpuE2ELNS1_3repE0EEENS1_30default_config_static_selectorELNS0_4arch9wavefront6targetE1EEEvSW_.uses_flat_scratch, 0
	.set _ZN7rocprim17ROCPRIM_400000_NS6detail17trampoline_kernelINS0_14default_configENS1_27upper_bound_config_selectorIjlEEZNS1_14transform_implILb0ES3_S5_N6thrust23THRUST_200600_302600_NS6detail15normal_iteratorINS8_7pointerIjNS8_11hip_rocprim5par_tENS8_11use_defaultESE_EEEENSA_INSB_IlSD_SE_SE_EEEEZNS1_13binary_searchIS3_S5_PjSG_SI_NS1_21upper_bound_search_opENS9_16wrapped_functionINS8_6system6detail7generic6detail18binary_search_lessEbEEEE10hipError_tPvRmT1_T2_T3_mmT4_T5_P12ihipStream_tbEUlRKjE_EEST_SX_SY_mSZ_S12_bEUlT_E_NS1_11comp_targetILNS1_3genE8ELNS1_11target_archE1030ELNS1_3gpuE2ELNS1_3repE0EEENS1_30default_config_static_selectorELNS0_4arch9wavefront6targetE1EEEvSW_.has_dyn_sized_stack, 0
	.set _ZN7rocprim17ROCPRIM_400000_NS6detail17trampoline_kernelINS0_14default_configENS1_27upper_bound_config_selectorIjlEEZNS1_14transform_implILb0ES3_S5_N6thrust23THRUST_200600_302600_NS6detail15normal_iteratorINS8_7pointerIjNS8_11hip_rocprim5par_tENS8_11use_defaultESE_EEEENSA_INSB_IlSD_SE_SE_EEEEZNS1_13binary_searchIS3_S5_PjSG_SI_NS1_21upper_bound_search_opENS9_16wrapped_functionINS8_6system6detail7generic6detail18binary_search_lessEbEEEE10hipError_tPvRmT1_T2_T3_mmT4_T5_P12ihipStream_tbEUlRKjE_EEST_SX_SY_mSZ_S12_bEUlT_E_NS1_11comp_targetILNS1_3genE8ELNS1_11target_archE1030ELNS1_3gpuE2ELNS1_3repE0EEENS1_30default_config_static_selectorELNS0_4arch9wavefront6targetE1EEEvSW_.has_recursion, 0
	.set _ZN7rocprim17ROCPRIM_400000_NS6detail17trampoline_kernelINS0_14default_configENS1_27upper_bound_config_selectorIjlEEZNS1_14transform_implILb0ES3_S5_N6thrust23THRUST_200600_302600_NS6detail15normal_iteratorINS8_7pointerIjNS8_11hip_rocprim5par_tENS8_11use_defaultESE_EEEENSA_INSB_IlSD_SE_SE_EEEEZNS1_13binary_searchIS3_S5_PjSG_SI_NS1_21upper_bound_search_opENS9_16wrapped_functionINS8_6system6detail7generic6detail18binary_search_lessEbEEEE10hipError_tPvRmT1_T2_T3_mmT4_T5_P12ihipStream_tbEUlRKjE_EEST_SX_SY_mSZ_S12_bEUlT_E_NS1_11comp_targetILNS1_3genE8ELNS1_11target_archE1030ELNS1_3gpuE2ELNS1_3repE0EEENS1_30default_config_static_selectorELNS0_4arch9wavefront6targetE1EEEvSW_.has_indirect_call, 0
	.section	.AMDGPU.csdata,"",@progbits
; Kernel info:
; codeLenInByte = 0
; TotalNumSgprs: 4
; NumVgprs: 0
; ScratchSize: 0
; MemoryBound: 0
; FloatMode: 240
; IeeeMode: 1
; LDSByteSize: 0 bytes/workgroup (compile time only)
; SGPRBlocks: 0
; VGPRBlocks: 0
; NumSGPRsForWavesPerEU: 4
; NumVGPRsForWavesPerEU: 1
; Occupancy: 10
; WaveLimiterHint : 0
; COMPUTE_PGM_RSRC2:SCRATCH_EN: 0
; COMPUTE_PGM_RSRC2:USER_SGPR: 6
; COMPUTE_PGM_RSRC2:TRAP_HANDLER: 0
; COMPUTE_PGM_RSRC2:TGID_X_EN: 1
; COMPUTE_PGM_RSRC2:TGID_Y_EN: 0
; COMPUTE_PGM_RSRC2:TGID_Z_EN: 0
; COMPUTE_PGM_RSRC2:TIDIG_COMP_CNT: 0
	.section	.text._Z18upper_bound_kernelItEvmPT_Pl,"axG",@progbits,_Z18upper_bound_kernelItEvmPT_Pl,comdat
	.protected	_Z18upper_bound_kernelItEvmPT_Pl ; -- Begin function _Z18upper_bound_kernelItEvmPT_Pl
	.globl	_Z18upper_bound_kernelItEvmPT_Pl
	.p2align	8
	.type	_Z18upper_bound_kernelItEvmPT_Pl,@function
_Z18upper_bound_kernelItEvmPT_Pl:       ; @_Z18upper_bound_kernelItEvmPT_Pl
; %bb.0:
	s_load_dwordx4 s[0:3], s[4:5], 0x0
	s_load_dwordx2 s[6:7], s[4:5], 0x10
	s_mov_b64 s[8:9], -1
	s_waitcnt lgkmcnt(0)
	s_lshl_b64 s[0:1], s[0:1], 1
	s_add_u32 s0, s2, s0
	s_addc_u32 s1, s3, s1
	s_sub_u32 s0, s0, s2
	s_subb_u32 s1, s1, s3
	s_ashr_i64 s[4:5], s[0:1], 1
	v_cmp_lt_i64_e64 s[0:1], s[4:5], 1
	s_and_b64 s[0:1], exec, s[0:1]
	s_mov_b64 vcc, s[0:1]
	s_cbranch_vccz .LBB201_2
; %bb.1:
	v_mov_b32_e32 v0, 0
	v_mov_b32_e32 v1, v0
	global_store_dwordx2 v0, v[0:1], s[6:7]
	s_mov_b64 s[8:9], 0
.LBB201_2:
	s_andn2_b64 vcc, exec, s[8:9]
	s_mov_b64 s[8:9], 0
	s_cbranch_vccnz .LBB201_7
; %bb.3:
	v_mov_b32_e32 v0, 0
	s_mov_b64 s[10:11], s[4:5]
.LBB201_4:                              ; =>This Inner Loop Header: Depth=1
	s_sub_u32 s12, s10, s8
	s_subb_u32 s13, s11, s9
	s_lshr_b64 s[12:13], s[12:13], 1
	s_add_u32 s12, s12, s8
	s_addc_u32 s13, s13, s9
	s_lshl_b64 s[14:15], s[12:13], 1
	s_add_u32 s14, s2, s14
	s_addc_u32 s15, s3, s15
	global_load_ushort v1, v0, s[14:15]
	s_waitcnt vmcnt(0)
	v_readfirstlane_b32 s14, v1
	s_and_b32 s14, 0xffff, s14
	s_add_u32 s15, s12, 1
	s_addc_u32 s16, s13, 0
	s_cmp_eq_u32 s14, 0
	s_cselect_b32 s10, s10, s12
	s_cselect_b32 s11, s11, s13
	v_mov_b32_e32 v1, s10
	s_cselect_b32 s9, s16, s9
	s_cselect_b32 s8, s15, s8
	v_mov_b32_e32 v2, s11
	v_cmp_lt_i64_e32 vcc, s[8:9], v[1:2]
	s_cbranch_vccnz .LBB201_4
; %bb.5:
	s_lshl_b64 s[8:9], s[8:9], 1
	s_add_u32 s8, s2, s8
	s_addc_u32 s9, s3, s9
	s_sub_u32 s8, s8, s2
	s_subb_u32 s9, s9, s3
	s_ashr_i64 s[8:9], s[8:9], 1
	v_mov_b32_e32 v1, s8
	v_mov_b32_e32 v0, 0
	;; [unrolled: 1-line block ×3, first 2 shown]
	s_mov_b64 s[8:9], 0
	s_mov_b64 s[10:11], s[4:5]
	global_store_dwordx2 v0, v[1:2], s[6:7]
.LBB201_6:                              ; =>This Inner Loop Header: Depth=1
	s_sub_u32 s12, s10, s8
	s_subb_u32 s13, s11, s9
	s_lshr_b64 s[12:13], s[12:13], 1
	s_add_u32 s12, s12, s8
	s_addc_u32 s13, s13, s9
	s_lshl_b64 s[14:15], s[12:13], 1
	s_add_u32 s14, s2, s14
	s_addc_u32 s15, s3, s15
	global_load_ushort v1, v0, s[14:15]
	s_waitcnt vmcnt(0)
	v_readfirstlane_b32 s14, v1
	s_and_b32 s14, 0xffff, s14
	s_add_u32 s15, s12, 1
	s_addc_u32 s16, s13, 0
	s_cmp_gt_u32 s14, 1
	s_cselect_b32 s10, s12, s10
	s_cselect_b32 s11, s13, s11
	v_mov_b32_e32 v1, s10
	s_cselect_b32 s9, s9, s16
	s_cselect_b32 s8, s8, s15
	v_mov_b32_e32 v2, s11
	v_cmp_ge_i64_e32 vcc, s[8:9], v[1:2]
	s_cbranch_vccz .LBB201_6
.LBB201_7:
	s_lshl_b64 s[8:9], s[8:9], 1
	s_add_u32 s8, s2, s8
	s_addc_u32 s9, s3, s9
	s_sub_u32 s8, s8, s2
	s_subb_u32 s9, s9, s3
	s_ashr_i64 s[8:9], s[8:9], 1
	v_mov_b32_e32 v1, s8
	v_mov_b32_e32 v0, 0
	;; [unrolled: 1-line block ×3, first 2 shown]
	s_mov_b64 s[8:9], -1
	s_mov_b64 vcc, s[0:1]
	global_store_dwordx2 v0, v[1:2], s[6:7] offset:8
	s_cbranch_vccz .LBB201_9
; %bb.8:
	v_mov_b32_e32 v1, v0
	global_store_dwordx2 v0, v[0:1], s[6:7] offset:16
	s_mov_b64 s[8:9], 0
.LBB201_9:
	s_andn2_b64 vcc, exec, s[8:9]
	s_mov_b64 s[8:9], 0
	s_cbranch_vccnz .LBB201_14
; %bb.10:
	v_mov_b32_e32 v0, 0
	s_mov_b64 s[10:11], s[4:5]
.LBB201_11:                             ; =>This Inner Loop Header: Depth=1
	s_sub_u32 s12, s10, s8
	s_subb_u32 s13, s11, s9
	s_lshr_b64 s[12:13], s[12:13], 1
	s_add_u32 s12, s12, s8
	s_addc_u32 s13, s13, s9
	s_lshl_b64 s[14:15], s[12:13], 1
	s_add_u32 s14, s2, s14
	s_addc_u32 s15, s3, s15
	global_load_ushort v1, v0, s[14:15]
	s_waitcnt vmcnt(0)
	v_readfirstlane_b32 s14, v1
	s_and_b32 s14, 0xffff, s14
	s_add_u32 s15, s12, 1
	s_addc_u32 s16, s13, 0
	s_cmp_gt_u32 s14, 2
	s_cselect_b32 s10, s12, s10
	s_cselect_b32 s11, s13, s11
	v_mov_b32_e32 v1, s10
	s_cselect_b32 s9, s9, s16
	s_cselect_b32 s8, s8, s15
	v_mov_b32_e32 v2, s11
	v_cmp_lt_i64_e32 vcc, s[8:9], v[1:2]
	s_cbranch_vccnz .LBB201_11
; %bb.12:
	s_lshl_b64 s[8:9], s[8:9], 1
	s_add_u32 s8, s2, s8
	s_addc_u32 s9, s3, s9
	s_sub_u32 s8, s8, s2
	s_subb_u32 s9, s9, s3
	s_ashr_i64 s[8:9], s[8:9], 1
	v_mov_b32_e32 v1, s8
	v_mov_b32_e32 v0, 0
	;; [unrolled: 1-line block ×3, first 2 shown]
	s_mov_b64 s[8:9], 0
	s_mov_b64 s[10:11], s[4:5]
	global_store_dwordx2 v0, v[1:2], s[6:7] offset:16
.LBB201_13:                             ; =>This Inner Loop Header: Depth=1
	s_sub_u32 s12, s10, s8
	s_subb_u32 s13, s11, s9
	s_lshr_b64 s[12:13], s[12:13], 1
	s_add_u32 s12, s12, s8
	s_addc_u32 s13, s13, s9
	s_lshl_b64 s[14:15], s[12:13], 1
	s_add_u32 s14, s2, s14
	s_addc_u32 s15, s3, s15
	global_load_ushort v1, v0, s[14:15]
	s_waitcnt vmcnt(0)
	v_readfirstlane_b32 s14, v1
	s_and_b32 s14, 0xffff, s14
	s_add_u32 s15, s12, 1
	s_addc_u32 s16, s13, 0
	s_cmp_gt_u32 s14, 3
	s_cselect_b32 s10, s12, s10
	s_cselect_b32 s11, s13, s11
	v_mov_b32_e32 v1, s10
	s_cselect_b32 s9, s9, s16
	s_cselect_b32 s8, s8, s15
	v_mov_b32_e32 v2, s11
	v_cmp_ge_i64_e32 vcc, s[8:9], v[1:2]
	s_cbranch_vccz .LBB201_13
.LBB201_14:
	s_lshl_b64 s[8:9], s[8:9], 1
	s_add_u32 s8, s2, s8
	s_addc_u32 s9, s3, s9
	s_sub_u32 s8, s8, s2
	s_subb_u32 s9, s9, s3
	s_ashr_i64 s[8:9], s[8:9], 1
	v_mov_b32_e32 v1, s8
	v_mov_b32_e32 v0, 0
	;; [unrolled: 1-line block ×3, first 2 shown]
	s_mov_b64 s[8:9], -1
	s_mov_b64 vcc, s[0:1]
	global_store_dwordx2 v0, v[1:2], s[6:7] offset:24
	s_cbranch_vccz .LBB201_16
; %bb.15:
	v_mov_b32_e32 v1, v0
	global_store_dwordx2 v0, v[0:1], s[6:7] offset:32
	s_mov_b64 s[8:9], 0
.LBB201_16:
	s_andn2_b64 vcc, exec, s[8:9]
	s_mov_b64 s[8:9], 0
	s_cbranch_vccnz .LBB201_21
; %bb.17:
	v_mov_b32_e32 v0, 0
	s_mov_b64 s[10:11], s[4:5]
.LBB201_18:                             ; =>This Inner Loop Header: Depth=1
	s_sub_u32 s12, s10, s8
	s_subb_u32 s13, s11, s9
	s_lshr_b64 s[12:13], s[12:13], 1
	s_add_u32 s12, s12, s8
	s_addc_u32 s13, s13, s9
	s_lshl_b64 s[14:15], s[12:13], 1
	s_add_u32 s14, s2, s14
	s_addc_u32 s15, s3, s15
	global_load_ushort v1, v0, s[14:15]
	s_waitcnt vmcnt(0)
	v_readfirstlane_b32 s14, v1
	s_and_b32 s14, 0xffff, s14
	s_add_u32 s15, s12, 1
	s_addc_u32 s16, s13, 0
	s_cmp_gt_u32 s14, 4
	s_cselect_b32 s10, s12, s10
	s_cselect_b32 s11, s13, s11
	v_mov_b32_e32 v1, s10
	s_cselect_b32 s9, s9, s16
	s_cselect_b32 s8, s8, s15
	v_mov_b32_e32 v2, s11
	v_cmp_lt_i64_e32 vcc, s[8:9], v[1:2]
	s_cbranch_vccnz .LBB201_18
; %bb.19:
	s_lshl_b64 s[8:9], s[8:9], 1
	s_add_u32 s8, s2, s8
	s_addc_u32 s9, s3, s9
	s_sub_u32 s8, s8, s2
	s_subb_u32 s9, s9, s3
	s_ashr_i64 s[8:9], s[8:9], 1
	v_mov_b32_e32 v1, s8
	v_mov_b32_e32 v0, 0
	;; [unrolled: 1-line block ×3, first 2 shown]
	s_mov_b64 s[8:9], 0
	s_mov_b64 s[10:11], s[4:5]
	global_store_dwordx2 v0, v[1:2], s[6:7] offset:32
.LBB201_20:                             ; =>This Inner Loop Header: Depth=1
	s_sub_u32 s12, s10, s8
	s_subb_u32 s13, s11, s9
	s_lshr_b64 s[12:13], s[12:13], 1
	s_add_u32 s12, s12, s8
	s_addc_u32 s13, s13, s9
	s_lshl_b64 s[14:15], s[12:13], 1
	s_add_u32 s14, s2, s14
	s_addc_u32 s15, s3, s15
	global_load_ushort v1, v0, s[14:15]
	s_waitcnt vmcnt(0)
	v_readfirstlane_b32 s14, v1
	s_and_b32 s14, 0xffff, s14
	s_add_u32 s15, s12, 1
	s_addc_u32 s16, s13, 0
	s_cmp_gt_u32 s14, 5
	s_cselect_b32 s10, s12, s10
	s_cselect_b32 s11, s13, s11
	v_mov_b32_e32 v1, s10
	s_cselect_b32 s9, s9, s16
	s_cselect_b32 s8, s8, s15
	v_mov_b32_e32 v2, s11
	v_cmp_ge_i64_e32 vcc, s[8:9], v[1:2]
	s_cbranch_vccz .LBB201_20
.LBB201_21:
	s_lshl_b64 s[8:9], s[8:9], 1
	s_add_u32 s8, s2, s8
	s_addc_u32 s9, s3, s9
	s_sub_u32 s8, s8, s2
	s_subb_u32 s9, s9, s3
	s_ashr_i64 s[8:9], s[8:9], 1
	v_mov_b32_e32 v1, s8
	v_mov_b32_e32 v0, 0
	;; [unrolled: 1-line block ×3, first 2 shown]
	s_mov_b64 s[8:9], -1
	s_mov_b64 vcc, s[0:1]
	global_store_dwordx2 v0, v[1:2], s[6:7] offset:40
	s_cbranch_vccz .LBB201_23
; %bb.22:
	v_mov_b32_e32 v1, v0
	global_store_dwordx2 v0, v[0:1], s[6:7] offset:48
	s_mov_b64 s[8:9], 0
.LBB201_23:
	s_andn2_b64 vcc, exec, s[8:9]
	s_mov_b64 s[8:9], 0
	s_cbranch_vccnz .LBB201_28
; %bb.24:
	v_mov_b32_e32 v0, 0
	s_mov_b64 s[10:11], s[4:5]
.LBB201_25:                             ; =>This Inner Loop Header: Depth=1
	s_sub_u32 s12, s10, s8
	s_subb_u32 s13, s11, s9
	s_lshr_b64 s[12:13], s[12:13], 1
	s_add_u32 s12, s12, s8
	s_addc_u32 s13, s13, s9
	s_lshl_b64 s[14:15], s[12:13], 1
	s_add_u32 s14, s2, s14
	s_addc_u32 s15, s3, s15
	global_load_ushort v1, v0, s[14:15]
	s_waitcnt vmcnt(0)
	v_readfirstlane_b32 s14, v1
	s_and_b32 s14, 0xffff, s14
	s_add_u32 s15, s12, 1
	s_addc_u32 s16, s13, 0
	s_cmp_gt_u32 s14, 6
	s_cselect_b32 s10, s12, s10
	s_cselect_b32 s11, s13, s11
	v_mov_b32_e32 v1, s10
	s_cselect_b32 s9, s9, s16
	s_cselect_b32 s8, s8, s15
	v_mov_b32_e32 v2, s11
	v_cmp_lt_i64_e32 vcc, s[8:9], v[1:2]
	s_cbranch_vccnz .LBB201_25
; %bb.26:
	s_lshl_b64 s[8:9], s[8:9], 1
	s_add_u32 s8, s2, s8
	s_addc_u32 s9, s3, s9
	s_sub_u32 s8, s8, s2
	s_subb_u32 s9, s9, s3
	s_ashr_i64 s[8:9], s[8:9], 1
	v_mov_b32_e32 v1, s8
	v_mov_b32_e32 v0, 0
	;; [unrolled: 1-line block ×3, first 2 shown]
	s_mov_b64 s[8:9], 0
	s_mov_b64 s[10:11], s[4:5]
	global_store_dwordx2 v0, v[1:2], s[6:7] offset:48
.LBB201_27:                             ; =>This Inner Loop Header: Depth=1
	s_sub_u32 s12, s10, s8
	s_subb_u32 s13, s11, s9
	s_lshr_b64 s[12:13], s[12:13], 1
	s_add_u32 s12, s12, s8
	s_addc_u32 s13, s13, s9
	s_lshl_b64 s[14:15], s[12:13], 1
	s_add_u32 s14, s2, s14
	s_addc_u32 s15, s3, s15
	global_load_ushort v1, v0, s[14:15]
	s_waitcnt vmcnt(0)
	v_readfirstlane_b32 s14, v1
	s_and_b32 s14, 0xffff, s14
	s_add_u32 s15, s12, 1
	s_addc_u32 s16, s13, 0
	s_cmp_gt_u32 s14, 7
	s_cselect_b32 s10, s12, s10
	s_cselect_b32 s11, s13, s11
	v_mov_b32_e32 v1, s10
	s_cselect_b32 s9, s9, s16
	s_cselect_b32 s8, s8, s15
	v_mov_b32_e32 v2, s11
	v_cmp_ge_i64_e32 vcc, s[8:9], v[1:2]
	s_cbranch_vccz .LBB201_27
.LBB201_28:
	s_lshl_b64 s[8:9], s[8:9], 1
	s_add_u32 s8, s2, s8
	s_addc_u32 s9, s3, s9
	s_sub_u32 s8, s8, s2
	s_subb_u32 s9, s9, s3
	s_ashr_i64 s[8:9], s[8:9], 1
	v_mov_b32_e32 v1, s8
	v_mov_b32_e32 v0, 0
	;; [unrolled: 1-line block ×3, first 2 shown]
	s_mov_b64 s[8:9], -1
	s_mov_b64 vcc, s[0:1]
	global_store_dwordx2 v0, v[1:2], s[6:7] offset:56
	s_cbranch_vccz .LBB201_30
; %bb.29:
	v_mov_b32_e32 v1, v0
	global_store_dwordx2 v0, v[0:1], s[6:7] offset:64
	s_mov_b64 s[8:9], 0
.LBB201_30:
	s_andn2_b64 vcc, exec, s[8:9]
	s_mov_b64 s[0:1], 0
	s_cbranch_vccnz .LBB201_35
; %bb.31:
	v_mov_b32_e32 v0, 0
	s_mov_b64 s[8:9], s[4:5]
.LBB201_32:                             ; =>This Inner Loop Header: Depth=1
	s_sub_u32 s10, s8, s0
	s_subb_u32 s11, s9, s1
	s_lshr_b64 s[10:11], s[10:11], 1
	s_add_u32 s10, s10, s0
	s_addc_u32 s11, s11, s1
	s_lshl_b64 s[12:13], s[10:11], 1
	s_add_u32 s12, s2, s12
	s_addc_u32 s13, s3, s13
	global_load_ushort v1, v0, s[12:13]
	s_waitcnt vmcnt(0)
	v_readfirstlane_b32 s12, v1
	s_and_b32 s12, 0xffff, s12
	s_add_u32 s13, s10, 1
	s_addc_u32 s14, s11, 0
	s_cmp_gt_u32 s12, 8
	s_cselect_b32 s8, s10, s8
	s_cselect_b32 s9, s11, s9
	v_mov_b32_e32 v1, s8
	s_cselect_b32 s1, s1, s14
	s_cselect_b32 s0, s0, s13
	v_mov_b32_e32 v2, s9
	v_cmp_lt_i64_e32 vcc, s[0:1], v[1:2]
	s_cbranch_vccnz .LBB201_32
; %bb.33:
	s_lshl_b64 s[0:1], s[0:1], 1
	s_add_u32 s0, s2, s0
	s_addc_u32 s1, s3, s1
	s_sub_u32 s0, s0, s2
	s_subb_u32 s1, s1, s3
	s_ashr_i64 s[0:1], s[0:1], 1
	v_mov_b32_e32 v2, s1
	v_mov_b32_e32 v0, 0
	;; [unrolled: 1-line block ×3, first 2 shown]
	s_mov_b64 s[0:1], 0
	global_store_dwordx2 v0, v[1:2], s[6:7] offset:64
.LBB201_34:                             ; =>This Inner Loop Header: Depth=1
	s_sub_u32 s8, s4, s0
	s_subb_u32 s9, s5, s1
	s_lshr_b64 s[8:9], s[8:9], 1
	s_add_u32 s8, s8, s0
	s_addc_u32 s9, s9, s1
	s_lshl_b64 s[10:11], s[8:9], 1
	s_add_u32 s10, s2, s10
	s_addc_u32 s11, s3, s11
	global_load_ushort v1, v0, s[10:11]
	s_waitcnt vmcnt(0)
	v_readfirstlane_b32 s10, v1
	s_and_b32 s10, 0xffff, s10
	s_add_u32 s11, s8, 1
	s_addc_u32 s12, s9, 0
	s_cmp_gt_u32 s10, 9
	s_cselect_b32 s4, s8, s4
	s_cselect_b32 s5, s9, s5
	v_mov_b32_e32 v1, s4
	s_cselect_b32 s1, s1, s12
	s_cselect_b32 s0, s0, s11
	v_mov_b32_e32 v2, s5
	v_cmp_ge_i64_e32 vcc, s[0:1], v[1:2]
	s_cbranch_vccz .LBB201_34
.LBB201_35:
	s_lshl_b64 s[0:1], s[0:1], 1
	s_add_u32 s0, s2, s0
	s_addc_u32 s1, s3, s1
	s_sub_u32 s0, s0, s2
	s_subb_u32 s1, s1, s3
	s_ashr_i64 s[0:1], s[0:1], 1
	v_mov_b32_e32 v0, s0
	v_mov_b32_e32 v2, 0
	;; [unrolled: 1-line block ×3, first 2 shown]
	global_store_dwordx2 v2, v[0:1], s[6:7] offset:72
	s_endpgm
	.section	.rodata,"a",@progbits
	.p2align	6, 0x0
	.amdhsa_kernel _Z18upper_bound_kernelItEvmPT_Pl
		.amdhsa_group_segment_fixed_size 0
		.amdhsa_private_segment_fixed_size 0
		.amdhsa_kernarg_size 24
		.amdhsa_user_sgpr_count 6
		.amdhsa_user_sgpr_private_segment_buffer 1
		.amdhsa_user_sgpr_dispatch_ptr 0
		.amdhsa_user_sgpr_queue_ptr 0
		.amdhsa_user_sgpr_kernarg_segment_ptr 1
		.amdhsa_user_sgpr_dispatch_id 0
		.amdhsa_user_sgpr_flat_scratch_init 0
		.amdhsa_user_sgpr_private_segment_size 0
		.amdhsa_uses_dynamic_stack 0
		.amdhsa_system_sgpr_private_segment_wavefront_offset 0
		.amdhsa_system_sgpr_workgroup_id_x 1
		.amdhsa_system_sgpr_workgroup_id_y 0
		.amdhsa_system_sgpr_workgroup_id_z 0
		.amdhsa_system_sgpr_workgroup_info 0
		.amdhsa_system_vgpr_workitem_id 0
		.amdhsa_next_free_vgpr 3
		.amdhsa_next_free_sgpr 17
		.amdhsa_reserve_vcc 1
		.amdhsa_reserve_flat_scratch 0
		.amdhsa_float_round_mode_32 0
		.amdhsa_float_round_mode_16_64 0
		.amdhsa_float_denorm_mode_32 3
		.amdhsa_float_denorm_mode_16_64 3
		.amdhsa_dx10_clamp 1
		.amdhsa_ieee_mode 1
		.amdhsa_fp16_overflow 0
		.amdhsa_exception_fp_ieee_invalid_op 0
		.amdhsa_exception_fp_denorm_src 0
		.amdhsa_exception_fp_ieee_div_zero 0
		.amdhsa_exception_fp_ieee_overflow 0
		.amdhsa_exception_fp_ieee_underflow 0
		.amdhsa_exception_fp_ieee_inexact 0
		.amdhsa_exception_int_div_zero 0
	.end_amdhsa_kernel
	.section	.text._Z18upper_bound_kernelItEvmPT_Pl,"axG",@progbits,_Z18upper_bound_kernelItEvmPT_Pl,comdat
.Lfunc_end201:
	.size	_Z18upper_bound_kernelItEvmPT_Pl, .Lfunc_end201-_Z18upper_bound_kernelItEvmPT_Pl
                                        ; -- End function
	.set _Z18upper_bound_kernelItEvmPT_Pl.num_vgpr, 3
	.set _Z18upper_bound_kernelItEvmPT_Pl.num_agpr, 0
	.set _Z18upper_bound_kernelItEvmPT_Pl.numbered_sgpr, 17
	.set _Z18upper_bound_kernelItEvmPT_Pl.num_named_barrier, 0
	.set _Z18upper_bound_kernelItEvmPT_Pl.private_seg_size, 0
	.set _Z18upper_bound_kernelItEvmPT_Pl.uses_vcc, 1
	.set _Z18upper_bound_kernelItEvmPT_Pl.uses_flat_scratch, 0
	.set _Z18upper_bound_kernelItEvmPT_Pl.has_dyn_sized_stack, 0
	.set _Z18upper_bound_kernelItEvmPT_Pl.has_recursion, 0
	.set _Z18upper_bound_kernelItEvmPT_Pl.has_indirect_call, 0
	.section	.AMDGPU.csdata,"",@progbits
; Kernel info:
; codeLenInByte = 1780
; TotalNumSgprs: 21
; NumVgprs: 3
; ScratchSize: 0
; MemoryBound: 0
; FloatMode: 240
; IeeeMode: 1
; LDSByteSize: 0 bytes/workgroup (compile time only)
; SGPRBlocks: 2
; VGPRBlocks: 0
; NumSGPRsForWavesPerEU: 21
; NumVGPRsForWavesPerEU: 3
; Occupancy: 10
; WaveLimiterHint : 0
; COMPUTE_PGM_RSRC2:SCRATCH_EN: 0
; COMPUTE_PGM_RSRC2:USER_SGPR: 6
; COMPUTE_PGM_RSRC2:TRAP_HANDLER: 0
; COMPUTE_PGM_RSRC2:TGID_X_EN: 1
; COMPUTE_PGM_RSRC2:TGID_Y_EN: 0
; COMPUTE_PGM_RSRC2:TGID_Z_EN: 0
; COMPUTE_PGM_RSRC2:TIDIG_COMP_CNT: 0
	.section	.text._ZN7rocprim17ROCPRIM_400000_NS6detail17trampoline_kernelINS0_14default_configENS1_27upper_bound_config_selectorItlEEZNS1_14transform_implILb0ES3_S5_N6thrust23THRUST_200600_302600_NS6detail15normal_iteratorINS8_7pointerItNS8_11hip_rocprim5par_tENS8_11use_defaultESE_EEEENSA_INSB_IlSD_SE_SE_EEEEZNS1_13binary_searchIS3_S5_PtSG_SI_NS1_21upper_bound_search_opENS9_16wrapped_functionINS8_6system6detail7generic6detail18binary_search_lessEbEEEE10hipError_tPvRmT1_T2_T3_mmT4_T5_P12ihipStream_tbEUlRKtE_EEST_SX_SY_mSZ_S12_bEUlT_E_NS1_11comp_targetILNS1_3genE0ELNS1_11target_archE4294967295ELNS1_3gpuE0ELNS1_3repE0EEENS1_30default_config_static_selectorELNS0_4arch9wavefront6targetE1EEEvSW_,"axG",@progbits,_ZN7rocprim17ROCPRIM_400000_NS6detail17trampoline_kernelINS0_14default_configENS1_27upper_bound_config_selectorItlEEZNS1_14transform_implILb0ES3_S5_N6thrust23THRUST_200600_302600_NS6detail15normal_iteratorINS8_7pointerItNS8_11hip_rocprim5par_tENS8_11use_defaultESE_EEEENSA_INSB_IlSD_SE_SE_EEEEZNS1_13binary_searchIS3_S5_PtSG_SI_NS1_21upper_bound_search_opENS9_16wrapped_functionINS8_6system6detail7generic6detail18binary_search_lessEbEEEE10hipError_tPvRmT1_T2_T3_mmT4_T5_P12ihipStream_tbEUlRKtE_EEST_SX_SY_mSZ_S12_bEUlT_E_NS1_11comp_targetILNS1_3genE0ELNS1_11target_archE4294967295ELNS1_3gpuE0ELNS1_3repE0EEENS1_30default_config_static_selectorELNS0_4arch9wavefront6targetE1EEEvSW_,comdat
	.protected	_ZN7rocprim17ROCPRIM_400000_NS6detail17trampoline_kernelINS0_14default_configENS1_27upper_bound_config_selectorItlEEZNS1_14transform_implILb0ES3_S5_N6thrust23THRUST_200600_302600_NS6detail15normal_iteratorINS8_7pointerItNS8_11hip_rocprim5par_tENS8_11use_defaultESE_EEEENSA_INSB_IlSD_SE_SE_EEEEZNS1_13binary_searchIS3_S5_PtSG_SI_NS1_21upper_bound_search_opENS9_16wrapped_functionINS8_6system6detail7generic6detail18binary_search_lessEbEEEE10hipError_tPvRmT1_T2_T3_mmT4_T5_P12ihipStream_tbEUlRKtE_EEST_SX_SY_mSZ_S12_bEUlT_E_NS1_11comp_targetILNS1_3genE0ELNS1_11target_archE4294967295ELNS1_3gpuE0ELNS1_3repE0EEENS1_30default_config_static_selectorELNS0_4arch9wavefront6targetE1EEEvSW_ ; -- Begin function _ZN7rocprim17ROCPRIM_400000_NS6detail17trampoline_kernelINS0_14default_configENS1_27upper_bound_config_selectorItlEEZNS1_14transform_implILb0ES3_S5_N6thrust23THRUST_200600_302600_NS6detail15normal_iteratorINS8_7pointerItNS8_11hip_rocprim5par_tENS8_11use_defaultESE_EEEENSA_INSB_IlSD_SE_SE_EEEEZNS1_13binary_searchIS3_S5_PtSG_SI_NS1_21upper_bound_search_opENS9_16wrapped_functionINS8_6system6detail7generic6detail18binary_search_lessEbEEEE10hipError_tPvRmT1_T2_T3_mmT4_T5_P12ihipStream_tbEUlRKtE_EEST_SX_SY_mSZ_S12_bEUlT_E_NS1_11comp_targetILNS1_3genE0ELNS1_11target_archE4294967295ELNS1_3gpuE0ELNS1_3repE0EEENS1_30default_config_static_selectorELNS0_4arch9wavefront6targetE1EEEvSW_
	.globl	_ZN7rocprim17ROCPRIM_400000_NS6detail17trampoline_kernelINS0_14default_configENS1_27upper_bound_config_selectorItlEEZNS1_14transform_implILb0ES3_S5_N6thrust23THRUST_200600_302600_NS6detail15normal_iteratorINS8_7pointerItNS8_11hip_rocprim5par_tENS8_11use_defaultESE_EEEENSA_INSB_IlSD_SE_SE_EEEEZNS1_13binary_searchIS3_S5_PtSG_SI_NS1_21upper_bound_search_opENS9_16wrapped_functionINS8_6system6detail7generic6detail18binary_search_lessEbEEEE10hipError_tPvRmT1_T2_T3_mmT4_T5_P12ihipStream_tbEUlRKtE_EEST_SX_SY_mSZ_S12_bEUlT_E_NS1_11comp_targetILNS1_3genE0ELNS1_11target_archE4294967295ELNS1_3gpuE0ELNS1_3repE0EEENS1_30default_config_static_selectorELNS0_4arch9wavefront6targetE1EEEvSW_
	.p2align	8
	.type	_ZN7rocprim17ROCPRIM_400000_NS6detail17trampoline_kernelINS0_14default_configENS1_27upper_bound_config_selectorItlEEZNS1_14transform_implILb0ES3_S5_N6thrust23THRUST_200600_302600_NS6detail15normal_iteratorINS8_7pointerItNS8_11hip_rocprim5par_tENS8_11use_defaultESE_EEEENSA_INSB_IlSD_SE_SE_EEEEZNS1_13binary_searchIS3_S5_PtSG_SI_NS1_21upper_bound_search_opENS9_16wrapped_functionINS8_6system6detail7generic6detail18binary_search_lessEbEEEE10hipError_tPvRmT1_T2_T3_mmT4_T5_P12ihipStream_tbEUlRKtE_EEST_SX_SY_mSZ_S12_bEUlT_E_NS1_11comp_targetILNS1_3genE0ELNS1_11target_archE4294967295ELNS1_3gpuE0ELNS1_3repE0EEENS1_30default_config_static_selectorELNS0_4arch9wavefront6targetE1EEEvSW_,@function
_ZN7rocprim17ROCPRIM_400000_NS6detail17trampoline_kernelINS0_14default_configENS1_27upper_bound_config_selectorItlEEZNS1_14transform_implILb0ES3_S5_N6thrust23THRUST_200600_302600_NS6detail15normal_iteratorINS8_7pointerItNS8_11hip_rocprim5par_tENS8_11use_defaultESE_EEEENSA_INSB_IlSD_SE_SE_EEEEZNS1_13binary_searchIS3_S5_PtSG_SI_NS1_21upper_bound_search_opENS9_16wrapped_functionINS8_6system6detail7generic6detail18binary_search_lessEbEEEE10hipError_tPvRmT1_T2_T3_mmT4_T5_P12ihipStream_tbEUlRKtE_EEST_SX_SY_mSZ_S12_bEUlT_E_NS1_11comp_targetILNS1_3genE0ELNS1_11target_archE4294967295ELNS1_3gpuE0ELNS1_3repE0EEENS1_30default_config_static_selectorELNS0_4arch9wavefront6targetE1EEEvSW_: ; @_ZN7rocprim17ROCPRIM_400000_NS6detail17trampoline_kernelINS0_14default_configENS1_27upper_bound_config_selectorItlEEZNS1_14transform_implILb0ES3_S5_N6thrust23THRUST_200600_302600_NS6detail15normal_iteratorINS8_7pointerItNS8_11hip_rocprim5par_tENS8_11use_defaultESE_EEEENSA_INSB_IlSD_SE_SE_EEEEZNS1_13binary_searchIS3_S5_PtSG_SI_NS1_21upper_bound_search_opENS9_16wrapped_functionINS8_6system6detail7generic6detail18binary_search_lessEbEEEE10hipError_tPvRmT1_T2_T3_mmT4_T5_P12ihipStream_tbEUlRKtE_EEST_SX_SY_mSZ_S12_bEUlT_E_NS1_11comp_targetILNS1_3genE0ELNS1_11target_archE4294967295ELNS1_3gpuE0ELNS1_3repE0EEENS1_30default_config_static_selectorELNS0_4arch9wavefront6targetE1EEEvSW_
; %bb.0:
	.section	.rodata,"a",@progbits
	.p2align	6, 0x0
	.amdhsa_kernel _ZN7rocprim17ROCPRIM_400000_NS6detail17trampoline_kernelINS0_14default_configENS1_27upper_bound_config_selectorItlEEZNS1_14transform_implILb0ES3_S5_N6thrust23THRUST_200600_302600_NS6detail15normal_iteratorINS8_7pointerItNS8_11hip_rocprim5par_tENS8_11use_defaultESE_EEEENSA_INSB_IlSD_SE_SE_EEEEZNS1_13binary_searchIS3_S5_PtSG_SI_NS1_21upper_bound_search_opENS9_16wrapped_functionINS8_6system6detail7generic6detail18binary_search_lessEbEEEE10hipError_tPvRmT1_T2_T3_mmT4_T5_P12ihipStream_tbEUlRKtE_EEST_SX_SY_mSZ_S12_bEUlT_E_NS1_11comp_targetILNS1_3genE0ELNS1_11target_archE4294967295ELNS1_3gpuE0ELNS1_3repE0EEENS1_30default_config_static_selectorELNS0_4arch9wavefront6targetE1EEEvSW_
		.amdhsa_group_segment_fixed_size 0
		.amdhsa_private_segment_fixed_size 0
		.amdhsa_kernarg_size 56
		.amdhsa_user_sgpr_count 6
		.amdhsa_user_sgpr_private_segment_buffer 1
		.amdhsa_user_sgpr_dispatch_ptr 0
		.amdhsa_user_sgpr_queue_ptr 0
		.amdhsa_user_sgpr_kernarg_segment_ptr 1
		.amdhsa_user_sgpr_dispatch_id 0
		.amdhsa_user_sgpr_flat_scratch_init 0
		.amdhsa_user_sgpr_private_segment_size 0
		.amdhsa_uses_dynamic_stack 0
		.amdhsa_system_sgpr_private_segment_wavefront_offset 0
		.amdhsa_system_sgpr_workgroup_id_x 1
		.amdhsa_system_sgpr_workgroup_id_y 0
		.amdhsa_system_sgpr_workgroup_id_z 0
		.amdhsa_system_sgpr_workgroup_info 0
		.amdhsa_system_vgpr_workitem_id 0
		.amdhsa_next_free_vgpr 1
		.amdhsa_next_free_sgpr 0
		.amdhsa_reserve_vcc 0
		.amdhsa_reserve_flat_scratch 0
		.amdhsa_float_round_mode_32 0
		.amdhsa_float_round_mode_16_64 0
		.amdhsa_float_denorm_mode_32 3
		.amdhsa_float_denorm_mode_16_64 3
		.amdhsa_dx10_clamp 1
		.amdhsa_ieee_mode 1
		.amdhsa_fp16_overflow 0
		.amdhsa_exception_fp_ieee_invalid_op 0
		.amdhsa_exception_fp_denorm_src 0
		.amdhsa_exception_fp_ieee_div_zero 0
		.amdhsa_exception_fp_ieee_overflow 0
		.amdhsa_exception_fp_ieee_underflow 0
		.amdhsa_exception_fp_ieee_inexact 0
		.amdhsa_exception_int_div_zero 0
	.end_amdhsa_kernel
	.section	.text._ZN7rocprim17ROCPRIM_400000_NS6detail17trampoline_kernelINS0_14default_configENS1_27upper_bound_config_selectorItlEEZNS1_14transform_implILb0ES3_S5_N6thrust23THRUST_200600_302600_NS6detail15normal_iteratorINS8_7pointerItNS8_11hip_rocprim5par_tENS8_11use_defaultESE_EEEENSA_INSB_IlSD_SE_SE_EEEEZNS1_13binary_searchIS3_S5_PtSG_SI_NS1_21upper_bound_search_opENS9_16wrapped_functionINS8_6system6detail7generic6detail18binary_search_lessEbEEEE10hipError_tPvRmT1_T2_T3_mmT4_T5_P12ihipStream_tbEUlRKtE_EEST_SX_SY_mSZ_S12_bEUlT_E_NS1_11comp_targetILNS1_3genE0ELNS1_11target_archE4294967295ELNS1_3gpuE0ELNS1_3repE0EEENS1_30default_config_static_selectorELNS0_4arch9wavefront6targetE1EEEvSW_,"axG",@progbits,_ZN7rocprim17ROCPRIM_400000_NS6detail17trampoline_kernelINS0_14default_configENS1_27upper_bound_config_selectorItlEEZNS1_14transform_implILb0ES3_S5_N6thrust23THRUST_200600_302600_NS6detail15normal_iteratorINS8_7pointerItNS8_11hip_rocprim5par_tENS8_11use_defaultESE_EEEENSA_INSB_IlSD_SE_SE_EEEEZNS1_13binary_searchIS3_S5_PtSG_SI_NS1_21upper_bound_search_opENS9_16wrapped_functionINS8_6system6detail7generic6detail18binary_search_lessEbEEEE10hipError_tPvRmT1_T2_T3_mmT4_T5_P12ihipStream_tbEUlRKtE_EEST_SX_SY_mSZ_S12_bEUlT_E_NS1_11comp_targetILNS1_3genE0ELNS1_11target_archE4294967295ELNS1_3gpuE0ELNS1_3repE0EEENS1_30default_config_static_selectorELNS0_4arch9wavefront6targetE1EEEvSW_,comdat
.Lfunc_end202:
	.size	_ZN7rocprim17ROCPRIM_400000_NS6detail17trampoline_kernelINS0_14default_configENS1_27upper_bound_config_selectorItlEEZNS1_14transform_implILb0ES3_S5_N6thrust23THRUST_200600_302600_NS6detail15normal_iteratorINS8_7pointerItNS8_11hip_rocprim5par_tENS8_11use_defaultESE_EEEENSA_INSB_IlSD_SE_SE_EEEEZNS1_13binary_searchIS3_S5_PtSG_SI_NS1_21upper_bound_search_opENS9_16wrapped_functionINS8_6system6detail7generic6detail18binary_search_lessEbEEEE10hipError_tPvRmT1_T2_T3_mmT4_T5_P12ihipStream_tbEUlRKtE_EEST_SX_SY_mSZ_S12_bEUlT_E_NS1_11comp_targetILNS1_3genE0ELNS1_11target_archE4294967295ELNS1_3gpuE0ELNS1_3repE0EEENS1_30default_config_static_selectorELNS0_4arch9wavefront6targetE1EEEvSW_, .Lfunc_end202-_ZN7rocprim17ROCPRIM_400000_NS6detail17trampoline_kernelINS0_14default_configENS1_27upper_bound_config_selectorItlEEZNS1_14transform_implILb0ES3_S5_N6thrust23THRUST_200600_302600_NS6detail15normal_iteratorINS8_7pointerItNS8_11hip_rocprim5par_tENS8_11use_defaultESE_EEEENSA_INSB_IlSD_SE_SE_EEEEZNS1_13binary_searchIS3_S5_PtSG_SI_NS1_21upper_bound_search_opENS9_16wrapped_functionINS8_6system6detail7generic6detail18binary_search_lessEbEEEE10hipError_tPvRmT1_T2_T3_mmT4_T5_P12ihipStream_tbEUlRKtE_EEST_SX_SY_mSZ_S12_bEUlT_E_NS1_11comp_targetILNS1_3genE0ELNS1_11target_archE4294967295ELNS1_3gpuE0ELNS1_3repE0EEENS1_30default_config_static_selectorELNS0_4arch9wavefront6targetE1EEEvSW_
                                        ; -- End function
	.set _ZN7rocprim17ROCPRIM_400000_NS6detail17trampoline_kernelINS0_14default_configENS1_27upper_bound_config_selectorItlEEZNS1_14transform_implILb0ES3_S5_N6thrust23THRUST_200600_302600_NS6detail15normal_iteratorINS8_7pointerItNS8_11hip_rocprim5par_tENS8_11use_defaultESE_EEEENSA_INSB_IlSD_SE_SE_EEEEZNS1_13binary_searchIS3_S5_PtSG_SI_NS1_21upper_bound_search_opENS9_16wrapped_functionINS8_6system6detail7generic6detail18binary_search_lessEbEEEE10hipError_tPvRmT1_T2_T3_mmT4_T5_P12ihipStream_tbEUlRKtE_EEST_SX_SY_mSZ_S12_bEUlT_E_NS1_11comp_targetILNS1_3genE0ELNS1_11target_archE4294967295ELNS1_3gpuE0ELNS1_3repE0EEENS1_30default_config_static_selectorELNS0_4arch9wavefront6targetE1EEEvSW_.num_vgpr, 0
	.set _ZN7rocprim17ROCPRIM_400000_NS6detail17trampoline_kernelINS0_14default_configENS1_27upper_bound_config_selectorItlEEZNS1_14transform_implILb0ES3_S5_N6thrust23THRUST_200600_302600_NS6detail15normal_iteratorINS8_7pointerItNS8_11hip_rocprim5par_tENS8_11use_defaultESE_EEEENSA_INSB_IlSD_SE_SE_EEEEZNS1_13binary_searchIS3_S5_PtSG_SI_NS1_21upper_bound_search_opENS9_16wrapped_functionINS8_6system6detail7generic6detail18binary_search_lessEbEEEE10hipError_tPvRmT1_T2_T3_mmT4_T5_P12ihipStream_tbEUlRKtE_EEST_SX_SY_mSZ_S12_bEUlT_E_NS1_11comp_targetILNS1_3genE0ELNS1_11target_archE4294967295ELNS1_3gpuE0ELNS1_3repE0EEENS1_30default_config_static_selectorELNS0_4arch9wavefront6targetE1EEEvSW_.num_agpr, 0
	.set _ZN7rocprim17ROCPRIM_400000_NS6detail17trampoline_kernelINS0_14default_configENS1_27upper_bound_config_selectorItlEEZNS1_14transform_implILb0ES3_S5_N6thrust23THRUST_200600_302600_NS6detail15normal_iteratorINS8_7pointerItNS8_11hip_rocprim5par_tENS8_11use_defaultESE_EEEENSA_INSB_IlSD_SE_SE_EEEEZNS1_13binary_searchIS3_S5_PtSG_SI_NS1_21upper_bound_search_opENS9_16wrapped_functionINS8_6system6detail7generic6detail18binary_search_lessEbEEEE10hipError_tPvRmT1_T2_T3_mmT4_T5_P12ihipStream_tbEUlRKtE_EEST_SX_SY_mSZ_S12_bEUlT_E_NS1_11comp_targetILNS1_3genE0ELNS1_11target_archE4294967295ELNS1_3gpuE0ELNS1_3repE0EEENS1_30default_config_static_selectorELNS0_4arch9wavefront6targetE1EEEvSW_.numbered_sgpr, 0
	.set _ZN7rocprim17ROCPRIM_400000_NS6detail17trampoline_kernelINS0_14default_configENS1_27upper_bound_config_selectorItlEEZNS1_14transform_implILb0ES3_S5_N6thrust23THRUST_200600_302600_NS6detail15normal_iteratorINS8_7pointerItNS8_11hip_rocprim5par_tENS8_11use_defaultESE_EEEENSA_INSB_IlSD_SE_SE_EEEEZNS1_13binary_searchIS3_S5_PtSG_SI_NS1_21upper_bound_search_opENS9_16wrapped_functionINS8_6system6detail7generic6detail18binary_search_lessEbEEEE10hipError_tPvRmT1_T2_T3_mmT4_T5_P12ihipStream_tbEUlRKtE_EEST_SX_SY_mSZ_S12_bEUlT_E_NS1_11comp_targetILNS1_3genE0ELNS1_11target_archE4294967295ELNS1_3gpuE0ELNS1_3repE0EEENS1_30default_config_static_selectorELNS0_4arch9wavefront6targetE1EEEvSW_.num_named_barrier, 0
	.set _ZN7rocprim17ROCPRIM_400000_NS6detail17trampoline_kernelINS0_14default_configENS1_27upper_bound_config_selectorItlEEZNS1_14transform_implILb0ES3_S5_N6thrust23THRUST_200600_302600_NS6detail15normal_iteratorINS8_7pointerItNS8_11hip_rocprim5par_tENS8_11use_defaultESE_EEEENSA_INSB_IlSD_SE_SE_EEEEZNS1_13binary_searchIS3_S5_PtSG_SI_NS1_21upper_bound_search_opENS9_16wrapped_functionINS8_6system6detail7generic6detail18binary_search_lessEbEEEE10hipError_tPvRmT1_T2_T3_mmT4_T5_P12ihipStream_tbEUlRKtE_EEST_SX_SY_mSZ_S12_bEUlT_E_NS1_11comp_targetILNS1_3genE0ELNS1_11target_archE4294967295ELNS1_3gpuE0ELNS1_3repE0EEENS1_30default_config_static_selectorELNS0_4arch9wavefront6targetE1EEEvSW_.private_seg_size, 0
	.set _ZN7rocprim17ROCPRIM_400000_NS6detail17trampoline_kernelINS0_14default_configENS1_27upper_bound_config_selectorItlEEZNS1_14transform_implILb0ES3_S5_N6thrust23THRUST_200600_302600_NS6detail15normal_iteratorINS8_7pointerItNS8_11hip_rocprim5par_tENS8_11use_defaultESE_EEEENSA_INSB_IlSD_SE_SE_EEEEZNS1_13binary_searchIS3_S5_PtSG_SI_NS1_21upper_bound_search_opENS9_16wrapped_functionINS8_6system6detail7generic6detail18binary_search_lessEbEEEE10hipError_tPvRmT1_T2_T3_mmT4_T5_P12ihipStream_tbEUlRKtE_EEST_SX_SY_mSZ_S12_bEUlT_E_NS1_11comp_targetILNS1_3genE0ELNS1_11target_archE4294967295ELNS1_3gpuE0ELNS1_3repE0EEENS1_30default_config_static_selectorELNS0_4arch9wavefront6targetE1EEEvSW_.uses_vcc, 0
	.set _ZN7rocprim17ROCPRIM_400000_NS6detail17trampoline_kernelINS0_14default_configENS1_27upper_bound_config_selectorItlEEZNS1_14transform_implILb0ES3_S5_N6thrust23THRUST_200600_302600_NS6detail15normal_iteratorINS8_7pointerItNS8_11hip_rocprim5par_tENS8_11use_defaultESE_EEEENSA_INSB_IlSD_SE_SE_EEEEZNS1_13binary_searchIS3_S5_PtSG_SI_NS1_21upper_bound_search_opENS9_16wrapped_functionINS8_6system6detail7generic6detail18binary_search_lessEbEEEE10hipError_tPvRmT1_T2_T3_mmT4_T5_P12ihipStream_tbEUlRKtE_EEST_SX_SY_mSZ_S12_bEUlT_E_NS1_11comp_targetILNS1_3genE0ELNS1_11target_archE4294967295ELNS1_3gpuE0ELNS1_3repE0EEENS1_30default_config_static_selectorELNS0_4arch9wavefront6targetE1EEEvSW_.uses_flat_scratch, 0
	.set _ZN7rocprim17ROCPRIM_400000_NS6detail17trampoline_kernelINS0_14default_configENS1_27upper_bound_config_selectorItlEEZNS1_14transform_implILb0ES3_S5_N6thrust23THRUST_200600_302600_NS6detail15normal_iteratorINS8_7pointerItNS8_11hip_rocprim5par_tENS8_11use_defaultESE_EEEENSA_INSB_IlSD_SE_SE_EEEEZNS1_13binary_searchIS3_S5_PtSG_SI_NS1_21upper_bound_search_opENS9_16wrapped_functionINS8_6system6detail7generic6detail18binary_search_lessEbEEEE10hipError_tPvRmT1_T2_T3_mmT4_T5_P12ihipStream_tbEUlRKtE_EEST_SX_SY_mSZ_S12_bEUlT_E_NS1_11comp_targetILNS1_3genE0ELNS1_11target_archE4294967295ELNS1_3gpuE0ELNS1_3repE0EEENS1_30default_config_static_selectorELNS0_4arch9wavefront6targetE1EEEvSW_.has_dyn_sized_stack, 0
	.set _ZN7rocprim17ROCPRIM_400000_NS6detail17trampoline_kernelINS0_14default_configENS1_27upper_bound_config_selectorItlEEZNS1_14transform_implILb0ES3_S5_N6thrust23THRUST_200600_302600_NS6detail15normal_iteratorINS8_7pointerItNS8_11hip_rocprim5par_tENS8_11use_defaultESE_EEEENSA_INSB_IlSD_SE_SE_EEEEZNS1_13binary_searchIS3_S5_PtSG_SI_NS1_21upper_bound_search_opENS9_16wrapped_functionINS8_6system6detail7generic6detail18binary_search_lessEbEEEE10hipError_tPvRmT1_T2_T3_mmT4_T5_P12ihipStream_tbEUlRKtE_EEST_SX_SY_mSZ_S12_bEUlT_E_NS1_11comp_targetILNS1_3genE0ELNS1_11target_archE4294967295ELNS1_3gpuE0ELNS1_3repE0EEENS1_30default_config_static_selectorELNS0_4arch9wavefront6targetE1EEEvSW_.has_recursion, 0
	.set _ZN7rocprim17ROCPRIM_400000_NS6detail17trampoline_kernelINS0_14default_configENS1_27upper_bound_config_selectorItlEEZNS1_14transform_implILb0ES3_S5_N6thrust23THRUST_200600_302600_NS6detail15normal_iteratorINS8_7pointerItNS8_11hip_rocprim5par_tENS8_11use_defaultESE_EEEENSA_INSB_IlSD_SE_SE_EEEEZNS1_13binary_searchIS3_S5_PtSG_SI_NS1_21upper_bound_search_opENS9_16wrapped_functionINS8_6system6detail7generic6detail18binary_search_lessEbEEEE10hipError_tPvRmT1_T2_T3_mmT4_T5_P12ihipStream_tbEUlRKtE_EEST_SX_SY_mSZ_S12_bEUlT_E_NS1_11comp_targetILNS1_3genE0ELNS1_11target_archE4294967295ELNS1_3gpuE0ELNS1_3repE0EEENS1_30default_config_static_selectorELNS0_4arch9wavefront6targetE1EEEvSW_.has_indirect_call, 0
	.section	.AMDGPU.csdata,"",@progbits
; Kernel info:
; codeLenInByte = 0
; TotalNumSgprs: 4
; NumVgprs: 0
; ScratchSize: 0
; MemoryBound: 0
; FloatMode: 240
; IeeeMode: 1
; LDSByteSize: 0 bytes/workgroup (compile time only)
; SGPRBlocks: 0
; VGPRBlocks: 0
; NumSGPRsForWavesPerEU: 4
; NumVGPRsForWavesPerEU: 1
; Occupancy: 10
; WaveLimiterHint : 0
; COMPUTE_PGM_RSRC2:SCRATCH_EN: 0
; COMPUTE_PGM_RSRC2:USER_SGPR: 6
; COMPUTE_PGM_RSRC2:TRAP_HANDLER: 0
; COMPUTE_PGM_RSRC2:TGID_X_EN: 1
; COMPUTE_PGM_RSRC2:TGID_Y_EN: 0
; COMPUTE_PGM_RSRC2:TGID_Z_EN: 0
; COMPUTE_PGM_RSRC2:TIDIG_COMP_CNT: 0
	.section	.text._ZN7rocprim17ROCPRIM_400000_NS6detail17trampoline_kernelINS0_14default_configENS1_27upper_bound_config_selectorItlEEZNS1_14transform_implILb0ES3_S5_N6thrust23THRUST_200600_302600_NS6detail15normal_iteratorINS8_7pointerItNS8_11hip_rocprim5par_tENS8_11use_defaultESE_EEEENSA_INSB_IlSD_SE_SE_EEEEZNS1_13binary_searchIS3_S5_PtSG_SI_NS1_21upper_bound_search_opENS9_16wrapped_functionINS8_6system6detail7generic6detail18binary_search_lessEbEEEE10hipError_tPvRmT1_T2_T3_mmT4_T5_P12ihipStream_tbEUlRKtE_EEST_SX_SY_mSZ_S12_bEUlT_E_NS1_11comp_targetILNS1_3genE5ELNS1_11target_archE942ELNS1_3gpuE9ELNS1_3repE0EEENS1_30default_config_static_selectorELNS0_4arch9wavefront6targetE1EEEvSW_,"axG",@progbits,_ZN7rocprim17ROCPRIM_400000_NS6detail17trampoline_kernelINS0_14default_configENS1_27upper_bound_config_selectorItlEEZNS1_14transform_implILb0ES3_S5_N6thrust23THRUST_200600_302600_NS6detail15normal_iteratorINS8_7pointerItNS8_11hip_rocprim5par_tENS8_11use_defaultESE_EEEENSA_INSB_IlSD_SE_SE_EEEEZNS1_13binary_searchIS3_S5_PtSG_SI_NS1_21upper_bound_search_opENS9_16wrapped_functionINS8_6system6detail7generic6detail18binary_search_lessEbEEEE10hipError_tPvRmT1_T2_T3_mmT4_T5_P12ihipStream_tbEUlRKtE_EEST_SX_SY_mSZ_S12_bEUlT_E_NS1_11comp_targetILNS1_3genE5ELNS1_11target_archE942ELNS1_3gpuE9ELNS1_3repE0EEENS1_30default_config_static_selectorELNS0_4arch9wavefront6targetE1EEEvSW_,comdat
	.protected	_ZN7rocprim17ROCPRIM_400000_NS6detail17trampoline_kernelINS0_14default_configENS1_27upper_bound_config_selectorItlEEZNS1_14transform_implILb0ES3_S5_N6thrust23THRUST_200600_302600_NS6detail15normal_iteratorINS8_7pointerItNS8_11hip_rocprim5par_tENS8_11use_defaultESE_EEEENSA_INSB_IlSD_SE_SE_EEEEZNS1_13binary_searchIS3_S5_PtSG_SI_NS1_21upper_bound_search_opENS9_16wrapped_functionINS8_6system6detail7generic6detail18binary_search_lessEbEEEE10hipError_tPvRmT1_T2_T3_mmT4_T5_P12ihipStream_tbEUlRKtE_EEST_SX_SY_mSZ_S12_bEUlT_E_NS1_11comp_targetILNS1_3genE5ELNS1_11target_archE942ELNS1_3gpuE9ELNS1_3repE0EEENS1_30default_config_static_selectorELNS0_4arch9wavefront6targetE1EEEvSW_ ; -- Begin function _ZN7rocprim17ROCPRIM_400000_NS6detail17trampoline_kernelINS0_14default_configENS1_27upper_bound_config_selectorItlEEZNS1_14transform_implILb0ES3_S5_N6thrust23THRUST_200600_302600_NS6detail15normal_iteratorINS8_7pointerItNS8_11hip_rocprim5par_tENS8_11use_defaultESE_EEEENSA_INSB_IlSD_SE_SE_EEEEZNS1_13binary_searchIS3_S5_PtSG_SI_NS1_21upper_bound_search_opENS9_16wrapped_functionINS8_6system6detail7generic6detail18binary_search_lessEbEEEE10hipError_tPvRmT1_T2_T3_mmT4_T5_P12ihipStream_tbEUlRKtE_EEST_SX_SY_mSZ_S12_bEUlT_E_NS1_11comp_targetILNS1_3genE5ELNS1_11target_archE942ELNS1_3gpuE9ELNS1_3repE0EEENS1_30default_config_static_selectorELNS0_4arch9wavefront6targetE1EEEvSW_
	.globl	_ZN7rocprim17ROCPRIM_400000_NS6detail17trampoline_kernelINS0_14default_configENS1_27upper_bound_config_selectorItlEEZNS1_14transform_implILb0ES3_S5_N6thrust23THRUST_200600_302600_NS6detail15normal_iteratorINS8_7pointerItNS8_11hip_rocprim5par_tENS8_11use_defaultESE_EEEENSA_INSB_IlSD_SE_SE_EEEEZNS1_13binary_searchIS3_S5_PtSG_SI_NS1_21upper_bound_search_opENS9_16wrapped_functionINS8_6system6detail7generic6detail18binary_search_lessEbEEEE10hipError_tPvRmT1_T2_T3_mmT4_T5_P12ihipStream_tbEUlRKtE_EEST_SX_SY_mSZ_S12_bEUlT_E_NS1_11comp_targetILNS1_3genE5ELNS1_11target_archE942ELNS1_3gpuE9ELNS1_3repE0EEENS1_30default_config_static_selectorELNS0_4arch9wavefront6targetE1EEEvSW_
	.p2align	8
	.type	_ZN7rocprim17ROCPRIM_400000_NS6detail17trampoline_kernelINS0_14default_configENS1_27upper_bound_config_selectorItlEEZNS1_14transform_implILb0ES3_S5_N6thrust23THRUST_200600_302600_NS6detail15normal_iteratorINS8_7pointerItNS8_11hip_rocprim5par_tENS8_11use_defaultESE_EEEENSA_INSB_IlSD_SE_SE_EEEEZNS1_13binary_searchIS3_S5_PtSG_SI_NS1_21upper_bound_search_opENS9_16wrapped_functionINS8_6system6detail7generic6detail18binary_search_lessEbEEEE10hipError_tPvRmT1_T2_T3_mmT4_T5_P12ihipStream_tbEUlRKtE_EEST_SX_SY_mSZ_S12_bEUlT_E_NS1_11comp_targetILNS1_3genE5ELNS1_11target_archE942ELNS1_3gpuE9ELNS1_3repE0EEENS1_30default_config_static_selectorELNS0_4arch9wavefront6targetE1EEEvSW_,@function
_ZN7rocprim17ROCPRIM_400000_NS6detail17trampoline_kernelINS0_14default_configENS1_27upper_bound_config_selectorItlEEZNS1_14transform_implILb0ES3_S5_N6thrust23THRUST_200600_302600_NS6detail15normal_iteratorINS8_7pointerItNS8_11hip_rocprim5par_tENS8_11use_defaultESE_EEEENSA_INSB_IlSD_SE_SE_EEEEZNS1_13binary_searchIS3_S5_PtSG_SI_NS1_21upper_bound_search_opENS9_16wrapped_functionINS8_6system6detail7generic6detail18binary_search_lessEbEEEE10hipError_tPvRmT1_T2_T3_mmT4_T5_P12ihipStream_tbEUlRKtE_EEST_SX_SY_mSZ_S12_bEUlT_E_NS1_11comp_targetILNS1_3genE5ELNS1_11target_archE942ELNS1_3gpuE9ELNS1_3repE0EEENS1_30default_config_static_selectorELNS0_4arch9wavefront6targetE1EEEvSW_: ; @_ZN7rocprim17ROCPRIM_400000_NS6detail17trampoline_kernelINS0_14default_configENS1_27upper_bound_config_selectorItlEEZNS1_14transform_implILb0ES3_S5_N6thrust23THRUST_200600_302600_NS6detail15normal_iteratorINS8_7pointerItNS8_11hip_rocprim5par_tENS8_11use_defaultESE_EEEENSA_INSB_IlSD_SE_SE_EEEEZNS1_13binary_searchIS3_S5_PtSG_SI_NS1_21upper_bound_search_opENS9_16wrapped_functionINS8_6system6detail7generic6detail18binary_search_lessEbEEEE10hipError_tPvRmT1_T2_T3_mmT4_T5_P12ihipStream_tbEUlRKtE_EEST_SX_SY_mSZ_S12_bEUlT_E_NS1_11comp_targetILNS1_3genE5ELNS1_11target_archE942ELNS1_3gpuE9ELNS1_3repE0EEENS1_30default_config_static_selectorELNS0_4arch9wavefront6targetE1EEEvSW_
; %bb.0:
	.section	.rodata,"a",@progbits
	.p2align	6, 0x0
	.amdhsa_kernel _ZN7rocprim17ROCPRIM_400000_NS6detail17trampoline_kernelINS0_14default_configENS1_27upper_bound_config_selectorItlEEZNS1_14transform_implILb0ES3_S5_N6thrust23THRUST_200600_302600_NS6detail15normal_iteratorINS8_7pointerItNS8_11hip_rocprim5par_tENS8_11use_defaultESE_EEEENSA_INSB_IlSD_SE_SE_EEEEZNS1_13binary_searchIS3_S5_PtSG_SI_NS1_21upper_bound_search_opENS9_16wrapped_functionINS8_6system6detail7generic6detail18binary_search_lessEbEEEE10hipError_tPvRmT1_T2_T3_mmT4_T5_P12ihipStream_tbEUlRKtE_EEST_SX_SY_mSZ_S12_bEUlT_E_NS1_11comp_targetILNS1_3genE5ELNS1_11target_archE942ELNS1_3gpuE9ELNS1_3repE0EEENS1_30default_config_static_selectorELNS0_4arch9wavefront6targetE1EEEvSW_
		.amdhsa_group_segment_fixed_size 0
		.amdhsa_private_segment_fixed_size 0
		.amdhsa_kernarg_size 56
		.amdhsa_user_sgpr_count 6
		.amdhsa_user_sgpr_private_segment_buffer 1
		.amdhsa_user_sgpr_dispatch_ptr 0
		.amdhsa_user_sgpr_queue_ptr 0
		.amdhsa_user_sgpr_kernarg_segment_ptr 1
		.amdhsa_user_sgpr_dispatch_id 0
		.amdhsa_user_sgpr_flat_scratch_init 0
		.amdhsa_user_sgpr_private_segment_size 0
		.amdhsa_uses_dynamic_stack 0
		.amdhsa_system_sgpr_private_segment_wavefront_offset 0
		.amdhsa_system_sgpr_workgroup_id_x 1
		.amdhsa_system_sgpr_workgroup_id_y 0
		.amdhsa_system_sgpr_workgroup_id_z 0
		.amdhsa_system_sgpr_workgroup_info 0
		.amdhsa_system_vgpr_workitem_id 0
		.amdhsa_next_free_vgpr 1
		.amdhsa_next_free_sgpr 0
		.amdhsa_reserve_vcc 0
		.amdhsa_reserve_flat_scratch 0
		.amdhsa_float_round_mode_32 0
		.amdhsa_float_round_mode_16_64 0
		.amdhsa_float_denorm_mode_32 3
		.amdhsa_float_denorm_mode_16_64 3
		.amdhsa_dx10_clamp 1
		.amdhsa_ieee_mode 1
		.amdhsa_fp16_overflow 0
		.amdhsa_exception_fp_ieee_invalid_op 0
		.amdhsa_exception_fp_denorm_src 0
		.amdhsa_exception_fp_ieee_div_zero 0
		.amdhsa_exception_fp_ieee_overflow 0
		.amdhsa_exception_fp_ieee_underflow 0
		.amdhsa_exception_fp_ieee_inexact 0
		.amdhsa_exception_int_div_zero 0
	.end_amdhsa_kernel
	.section	.text._ZN7rocprim17ROCPRIM_400000_NS6detail17trampoline_kernelINS0_14default_configENS1_27upper_bound_config_selectorItlEEZNS1_14transform_implILb0ES3_S5_N6thrust23THRUST_200600_302600_NS6detail15normal_iteratorINS8_7pointerItNS8_11hip_rocprim5par_tENS8_11use_defaultESE_EEEENSA_INSB_IlSD_SE_SE_EEEEZNS1_13binary_searchIS3_S5_PtSG_SI_NS1_21upper_bound_search_opENS9_16wrapped_functionINS8_6system6detail7generic6detail18binary_search_lessEbEEEE10hipError_tPvRmT1_T2_T3_mmT4_T5_P12ihipStream_tbEUlRKtE_EEST_SX_SY_mSZ_S12_bEUlT_E_NS1_11comp_targetILNS1_3genE5ELNS1_11target_archE942ELNS1_3gpuE9ELNS1_3repE0EEENS1_30default_config_static_selectorELNS0_4arch9wavefront6targetE1EEEvSW_,"axG",@progbits,_ZN7rocprim17ROCPRIM_400000_NS6detail17trampoline_kernelINS0_14default_configENS1_27upper_bound_config_selectorItlEEZNS1_14transform_implILb0ES3_S5_N6thrust23THRUST_200600_302600_NS6detail15normal_iteratorINS8_7pointerItNS8_11hip_rocprim5par_tENS8_11use_defaultESE_EEEENSA_INSB_IlSD_SE_SE_EEEEZNS1_13binary_searchIS3_S5_PtSG_SI_NS1_21upper_bound_search_opENS9_16wrapped_functionINS8_6system6detail7generic6detail18binary_search_lessEbEEEE10hipError_tPvRmT1_T2_T3_mmT4_T5_P12ihipStream_tbEUlRKtE_EEST_SX_SY_mSZ_S12_bEUlT_E_NS1_11comp_targetILNS1_3genE5ELNS1_11target_archE942ELNS1_3gpuE9ELNS1_3repE0EEENS1_30default_config_static_selectorELNS0_4arch9wavefront6targetE1EEEvSW_,comdat
.Lfunc_end203:
	.size	_ZN7rocprim17ROCPRIM_400000_NS6detail17trampoline_kernelINS0_14default_configENS1_27upper_bound_config_selectorItlEEZNS1_14transform_implILb0ES3_S5_N6thrust23THRUST_200600_302600_NS6detail15normal_iteratorINS8_7pointerItNS8_11hip_rocprim5par_tENS8_11use_defaultESE_EEEENSA_INSB_IlSD_SE_SE_EEEEZNS1_13binary_searchIS3_S5_PtSG_SI_NS1_21upper_bound_search_opENS9_16wrapped_functionINS8_6system6detail7generic6detail18binary_search_lessEbEEEE10hipError_tPvRmT1_T2_T3_mmT4_T5_P12ihipStream_tbEUlRKtE_EEST_SX_SY_mSZ_S12_bEUlT_E_NS1_11comp_targetILNS1_3genE5ELNS1_11target_archE942ELNS1_3gpuE9ELNS1_3repE0EEENS1_30default_config_static_selectorELNS0_4arch9wavefront6targetE1EEEvSW_, .Lfunc_end203-_ZN7rocprim17ROCPRIM_400000_NS6detail17trampoline_kernelINS0_14default_configENS1_27upper_bound_config_selectorItlEEZNS1_14transform_implILb0ES3_S5_N6thrust23THRUST_200600_302600_NS6detail15normal_iteratorINS8_7pointerItNS8_11hip_rocprim5par_tENS8_11use_defaultESE_EEEENSA_INSB_IlSD_SE_SE_EEEEZNS1_13binary_searchIS3_S5_PtSG_SI_NS1_21upper_bound_search_opENS9_16wrapped_functionINS8_6system6detail7generic6detail18binary_search_lessEbEEEE10hipError_tPvRmT1_T2_T3_mmT4_T5_P12ihipStream_tbEUlRKtE_EEST_SX_SY_mSZ_S12_bEUlT_E_NS1_11comp_targetILNS1_3genE5ELNS1_11target_archE942ELNS1_3gpuE9ELNS1_3repE0EEENS1_30default_config_static_selectorELNS0_4arch9wavefront6targetE1EEEvSW_
                                        ; -- End function
	.set _ZN7rocprim17ROCPRIM_400000_NS6detail17trampoline_kernelINS0_14default_configENS1_27upper_bound_config_selectorItlEEZNS1_14transform_implILb0ES3_S5_N6thrust23THRUST_200600_302600_NS6detail15normal_iteratorINS8_7pointerItNS8_11hip_rocprim5par_tENS8_11use_defaultESE_EEEENSA_INSB_IlSD_SE_SE_EEEEZNS1_13binary_searchIS3_S5_PtSG_SI_NS1_21upper_bound_search_opENS9_16wrapped_functionINS8_6system6detail7generic6detail18binary_search_lessEbEEEE10hipError_tPvRmT1_T2_T3_mmT4_T5_P12ihipStream_tbEUlRKtE_EEST_SX_SY_mSZ_S12_bEUlT_E_NS1_11comp_targetILNS1_3genE5ELNS1_11target_archE942ELNS1_3gpuE9ELNS1_3repE0EEENS1_30default_config_static_selectorELNS0_4arch9wavefront6targetE1EEEvSW_.num_vgpr, 0
	.set _ZN7rocprim17ROCPRIM_400000_NS6detail17trampoline_kernelINS0_14default_configENS1_27upper_bound_config_selectorItlEEZNS1_14transform_implILb0ES3_S5_N6thrust23THRUST_200600_302600_NS6detail15normal_iteratorINS8_7pointerItNS8_11hip_rocprim5par_tENS8_11use_defaultESE_EEEENSA_INSB_IlSD_SE_SE_EEEEZNS1_13binary_searchIS3_S5_PtSG_SI_NS1_21upper_bound_search_opENS9_16wrapped_functionINS8_6system6detail7generic6detail18binary_search_lessEbEEEE10hipError_tPvRmT1_T2_T3_mmT4_T5_P12ihipStream_tbEUlRKtE_EEST_SX_SY_mSZ_S12_bEUlT_E_NS1_11comp_targetILNS1_3genE5ELNS1_11target_archE942ELNS1_3gpuE9ELNS1_3repE0EEENS1_30default_config_static_selectorELNS0_4arch9wavefront6targetE1EEEvSW_.num_agpr, 0
	.set _ZN7rocprim17ROCPRIM_400000_NS6detail17trampoline_kernelINS0_14default_configENS1_27upper_bound_config_selectorItlEEZNS1_14transform_implILb0ES3_S5_N6thrust23THRUST_200600_302600_NS6detail15normal_iteratorINS8_7pointerItNS8_11hip_rocprim5par_tENS8_11use_defaultESE_EEEENSA_INSB_IlSD_SE_SE_EEEEZNS1_13binary_searchIS3_S5_PtSG_SI_NS1_21upper_bound_search_opENS9_16wrapped_functionINS8_6system6detail7generic6detail18binary_search_lessEbEEEE10hipError_tPvRmT1_T2_T3_mmT4_T5_P12ihipStream_tbEUlRKtE_EEST_SX_SY_mSZ_S12_bEUlT_E_NS1_11comp_targetILNS1_3genE5ELNS1_11target_archE942ELNS1_3gpuE9ELNS1_3repE0EEENS1_30default_config_static_selectorELNS0_4arch9wavefront6targetE1EEEvSW_.numbered_sgpr, 0
	.set _ZN7rocprim17ROCPRIM_400000_NS6detail17trampoline_kernelINS0_14default_configENS1_27upper_bound_config_selectorItlEEZNS1_14transform_implILb0ES3_S5_N6thrust23THRUST_200600_302600_NS6detail15normal_iteratorINS8_7pointerItNS8_11hip_rocprim5par_tENS8_11use_defaultESE_EEEENSA_INSB_IlSD_SE_SE_EEEEZNS1_13binary_searchIS3_S5_PtSG_SI_NS1_21upper_bound_search_opENS9_16wrapped_functionINS8_6system6detail7generic6detail18binary_search_lessEbEEEE10hipError_tPvRmT1_T2_T3_mmT4_T5_P12ihipStream_tbEUlRKtE_EEST_SX_SY_mSZ_S12_bEUlT_E_NS1_11comp_targetILNS1_3genE5ELNS1_11target_archE942ELNS1_3gpuE9ELNS1_3repE0EEENS1_30default_config_static_selectorELNS0_4arch9wavefront6targetE1EEEvSW_.num_named_barrier, 0
	.set _ZN7rocprim17ROCPRIM_400000_NS6detail17trampoline_kernelINS0_14default_configENS1_27upper_bound_config_selectorItlEEZNS1_14transform_implILb0ES3_S5_N6thrust23THRUST_200600_302600_NS6detail15normal_iteratorINS8_7pointerItNS8_11hip_rocprim5par_tENS8_11use_defaultESE_EEEENSA_INSB_IlSD_SE_SE_EEEEZNS1_13binary_searchIS3_S5_PtSG_SI_NS1_21upper_bound_search_opENS9_16wrapped_functionINS8_6system6detail7generic6detail18binary_search_lessEbEEEE10hipError_tPvRmT1_T2_T3_mmT4_T5_P12ihipStream_tbEUlRKtE_EEST_SX_SY_mSZ_S12_bEUlT_E_NS1_11comp_targetILNS1_3genE5ELNS1_11target_archE942ELNS1_3gpuE9ELNS1_3repE0EEENS1_30default_config_static_selectorELNS0_4arch9wavefront6targetE1EEEvSW_.private_seg_size, 0
	.set _ZN7rocprim17ROCPRIM_400000_NS6detail17trampoline_kernelINS0_14default_configENS1_27upper_bound_config_selectorItlEEZNS1_14transform_implILb0ES3_S5_N6thrust23THRUST_200600_302600_NS6detail15normal_iteratorINS8_7pointerItNS8_11hip_rocprim5par_tENS8_11use_defaultESE_EEEENSA_INSB_IlSD_SE_SE_EEEEZNS1_13binary_searchIS3_S5_PtSG_SI_NS1_21upper_bound_search_opENS9_16wrapped_functionINS8_6system6detail7generic6detail18binary_search_lessEbEEEE10hipError_tPvRmT1_T2_T3_mmT4_T5_P12ihipStream_tbEUlRKtE_EEST_SX_SY_mSZ_S12_bEUlT_E_NS1_11comp_targetILNS1_3genE5ELNS1_11target_archE942ELNS1_3gpuE9ELNS1_3repE0EEENS1_30default_config_static_selectorELNS0_4arch9wavefront6targetE1EEEvSW_.uses_vcc, 0
	.set _ZN7rocprim17ROCPRIM_400000_NS6detail17trampoline_kernelINS0_14default_configENS1_27upper_bound_config_selectorItlEEZNS1_14transform_implILb0ES3_S5_N6thrust23THRUST_200600_302600_NS6detail15normal_iteratorINS8_7pointerItNS8_11hip_rocprim5par_tENS8_11use_defaultESE_EEEENSA_INSB_IlSD_SE_SE_EEEEZNS1_13binary_searchIS3_S5_PtSG_SI_NS1_21upper_bound_search_opENS9_16wrapped_functionINS8_6system6detail7generic6detail18binary_search_lessEbEEEE10hipError_tPvRmT1_T2_T3_mmT4_T5_P12ihipStream_tbEUlRKtE_EEST_SX_SY_mSZ_S12_bEUlT_E_NS1_11comp_targetILNS1_3genE5ELNS1_11target_archE942ELNS1_3gpuE9ELNS1_3repE0EEENS1_30default_config_static_selectorELNS0_4arch9wavefront6targetE1EEEvSW_.uses_flat_scratch, 0
	.set _ZN7rocprim17ROCPRIM_400000_NS6detail17trampoline_kernelINS0_14default_configENS1_27upper_bound_config_selectorItlEEZNS1_14transform_implILb0ES3_S5_N6thrust23THRUST_200600_302600_NS6detail15normal_iteratorINS8_7pointerItNS8_11hip_rocprim5par_tENS8_11use_defaultESE_EEEENSA_INSB_IlSD_SE_SE_EEEEZNS1_13binary_searchIS3_S5_PtSG_SI_NS1_21upper_bound_search_opENS9_16wrapped_functionINS8_6system6detail7generic6detail18binary_search_lessEbEEEE10hipError_tPvRmT1_T2_T3_mmT4_T5_P12ihipStream_tbEUlRKtE_EEST_SX_SY_mSZ_S12_bEUlT_E_NS1_11comp_targetILNS1_3genE5ELNS1_11target_archE942ELNS1_3gpuE9ELNS1_3repE0EEENS1_30default_config_static_selectorELNS0_4arch9wavefront6targetE1EEEvSW_.has_dyn_sized_stack, 0
	.set _ZN7rocprim17ROCPRIM_400000_NS6detail17trampoline_kernelINS0_14default_configENS1_27upper_bound_config_selectorItlEEZNS1_14transform_implILb0ES3_S5_N6thrust23THRUST_200600_302600_NS6detail15normal_iteratorINS8_7pointerItNS8_11hip_rocprim5par_tENS8_11use_defaultESE_EEEENSA_INSB_IlSD_SE_SE_EEEEZNS1_13binary_searchIS3_S5_PtSG_SI_NS1_21upper_bound_search_opENS9_16wrapped_functionINS8_6system6detail7generic6detail18binary_search_lessEbEEEE10hipError_tPvRmT1_T2_T3_mmT4_T5_P12ihipStream_tbEUlRKtE_EEST_SX_SY_mSZ_S12_bEUlT_E_NS1_11comp_targetILNS1_3genE5ELNS1_11target_archE942ELNS1_3gpuE9ELNS1_3repE0EEENS1_30default_config_static_selectorELNS0_4arch9wavefront6targetE1EEEvSW_.has_recursion, 0
	.set _ZN7rocprim17ROCPRIM_400000_NS6detail17trampoline_kernelINS0_14default_configENS1_27upper_bound_config_selectorItlEEZNS1_14transform_implILb0ES3_S5_N6thrust23THRUST_200600_302600_NS6detail15normal_iteratorINS8_7pointerItNS8_11hip_rocprim5par_tENS8_11use_defaultESE_EEEENSA_INSB_IlSD_SE_SE_EEEEZNS1_13binary_searchIS3_S5_PtSG_SI_NS1_21upper_bound_search_opENS9_16wrapped_functionINS8_6system6detail7generic6detail18binary_search_lessEbEEEE10hipError_tPvRmT1_T2_T3_mmT4_T5_P12ihipStream_tbEUlRKtE_EEST_SX_SY_mSZ_S12_bEUlT_E_NS1_11comp_targetILNS1_3genE5ELNS1_11target_archE942ELNS1_3gpuE9ELNS1_3repE0EEENS1_30default_config_static_selectorELNS0_4arch9wavefront6targetE1EEEvSW_.has_indirect_call, 0
	.section	.AMDGPU.csdata,"",@progbits
; Kernel info:
; codeLenInByte = 0
; TotalNumSgprs: 4
; NumVgprs: 0
; ScratchSize: 0
; MemoryBound: 0
; FloatMode: 240
; IeeeMode: 1
; LDSByteSize: 0 bytes/workgroup (compile time only)
; SGPRBlocks: 0
; VGPRBlocks: 0
; NumSGPRsForWavesPerEU: 4
; NumVGPRsForWavesPerEU: 1
; Occupancy: 10
; WaveLimiterHint : 0
; COMPUTE_PGM_RSRC2:SCRATCH_EN: 0
; COMPUTE_PGM_RSRC2:USER_SGPR: 6
; COMPUTE_PGM_RSRC2:TRAP_HANDLER: 0
; COMPUTE_PGM_RSRC2:TGID_X_EN: 1
; COMPUTE_PGM_RSRC2:TGID_Y_EN: 0
; COMPUTE_PGM_RSRC2:TGID_Z_EN: 0
; COMPUTE_PGM_RSRC2:TIDIG_COMP_CNT: 0
	.section	.text._ZN7rocprim17ROCPRIM_400000_NS6detail17trampoline_kernelINS0_14default_configENS1_27upper_bound_config_selectorItlEEZNS1_14transform_implILb0ES3_S5_N6thrust23THRUST_200600_302600_NS6detail15normal_iteratorINS8_7pointerItNS8_11hip_rocprim5par_tENS8_11use_defaultESE_EEEENSA_INSB_IlSD_SE_SE_EEEEZNS1_13binary_searchIS3_S5_PtSG_SI_NS1_21upper_bound_search_opENS9_16wrapped_functionINS8_6system6detail7generic6detail18binary_search_lessEbEEEE10hipError_tPvRmT1_T2_T3_mmT4_T5_P12ihipStream_tbEUlRKtE_EEST_SX_SY_mSZ_S12_bEUlT_E_NS1_11comp_targetILNS1_3genE4ELNS1_11target_archE910ELNS1_3gpuE8ELNS1_3repE0EEENS1_30default_config_static_selectorELNS0_4arch9wavefront6targetE1EEEvSW_,"axG",@progbits,_ZN7rocprim17ROCPRIM_400000_NS6detail17trampoline_kernelINS0_14default_configENS1_27upper_bound_config_selectorItlEEZNS1_14transform_implILb0ES3_S5_N6thrust23THRUST_200600_302600_NS6detail15normal_iteratorINS8_7pointerItNS8_11hip_rocprim5par_tENS8_11use_defaultESE_EEEENSA_INSB_IlSD_SE_SE_EEEEZNS1_13binary_searchIS3_S5_PtSG_SI_NS1_21upper_bound_search_opENS9_16wrapped_functionINS8_6system6detail7generic6detail18binary_search_lessEbEEEE10hipError_tPvRmT1_T2_T3_mmT4_T5_P12ihipStream_tbEUlRKtE_EEST_SX_SY_mSZ_S12_bEUlT_E_NS1_11comp_targetILNS1_3genE4ELNS1_11target_archE910ELNS1_3gpuE8ELNS1_3repE0EEENS1_30default_config_static_selectorELNS0_4arch9wavefront6targetE1EEEvSW_,comdat
	.protected	_ZN7rocprim17ROCPRIM_400000_NS6detail17trampoline_kernelINS0_14default_configENS1_27upper_bound_config_selectorItlEEZNS1_14transform_implILb0ES3_S5_N6thrust23THRUST_200600_302600_NS6detail15normal_iteratorINS8_7pointerItNS8_11hip_rocprim5par_tENS8_11use_defaultESE_EEEENSA_INSB_IlSD_SE_SE_EEEEZNS1_13binary_searchIS3_S5_PtSG_SI_NS1_21upper_bound_search_opENS9_16wrapped_functionINS8_6system6detail7generic6detail18binary_search_lessEbEEEE10hipError_tPvRmT1_T2_T3_mmT4_T5_P12ihipStream_tbEUlRKtE_EEST_SX_SY_mSZ_S12_bEUlT_E_NS1_11comp_targetILNS1_3genE4ELNS1_11target_archE910ELNS1_3gpuE8ELNS1_3repE0EEENS1_30default_config_static_selectorELNS0_4arch9wavefront6targetE1EEEvSW_ ; -- Begin function _ZN7rocprim17ROCPRIM_400000_NS6detail17trampoline_kernelINS0_14default_configENS1_27upper_bound_config_selectorItlEEZNS1_14transform_implILb0ES3_S5_N6thrust23THRUST_200600_302600_NS6detail15normal_iteratorINS8_7pointerItNS8_11hip_rocprim5par_tENS8_11use_defaultESE_EEEENSA_INSB_IlSD_SE_SE_EEEEZNS1_13binary_searchIS3_S5_PtSG_SI_NS1_21upper_bound_search_opENS9_16wrapped_functionINS8_6system6detail7generic6detail18binary_search_lessEbEEEE10hipError_tPvRmT1_T2_T3_mmT4_T5_P12ihipStream_tbEUlRKtE_EEST_SX_SY_mSZ_S12_bEUlT_E_NS1_11comp_targetILNS1_3genE4ELNS1_11target_archE910ELNS1_3gpuE8ELNS1_3repE0EEENS1_30default_config_static_selectorELNS0_4arch9wavefront6targetE1EEEvSW_
	.globl	_ZN7rocprim17ROCPRIM_400000_NS6detail17trampoline_kernelINS0_14default_configENS1_27upper_bound_config_selectorItlEEZNS1_14transform_implILb0ES3_S5_N6thrust23THRUST_200600_302600_NS6detail15normal_iteratorINS8_7pointerItNS8_11hip_rocprim5par_tENS8_11use_defaultESE_EEEENSA_INSB_IlSD_SE_SE_EEEEZNS1_13binary_searchIS3_S5_PtSG_SI_NS1_21upper_bound_search_opENS9_16wrapped_functionINS8_6system6detail7generic6detail18binary_search_lessEbEEEE10hipError_tPvRmT1_T2_T3_mmT4_T5_P12ihipStream_tbEUlRKtE_EEST_SX_SY_mSZ_S12_bEUlT_E_NS1_11comp_targetILNS1_3genE4ELNS1_11target_archE910ELNS1_3gpuE8ELNS1_3repE0EEENS1_30default_config_static_selectorELNS0_4arch9wavefront6targetE1EEEvSW_
	.p2align	8
	.type	_ZN7rocprim17ROCPRIM_400000_NS6detail17trampoline_kernelINS0_14default_configENS1_27upper_bound_config_selectorItlEEZNS1_14transform_implILb0ES3_S5_N6thrust23THRUST_200600_302600_NS6detail15normal_iteratorINS8_7pointerItNS8_11hip_rocprim5par_tENS8_11use_defaultESE_EEEENSA_INSB_IlSD_SE_SE_EEEEZNS1_13binary_searchIS3_S5_PtSG_SI_NS1_21upper_bound_search_opENS9_16wrapped_functionINS8_6system6detail7generic6detail18binary_search_lessEbEEEE10hipError_tPvRmT1_T2_T3_mmT4_T5_P12ihipStream_tbEUlRKtE_EEST_SX_SY_mSZ_S12_bEUlT_E_NS1_11comp_targetILNS1_3genE4ELNS1_11target_archE910ELNS1_3gpuE8ELNS1_3repE0EEENS1_30default_config_static_selectorELNS0_4arch9wavefront6targetE1EEEvSW_,@function
_ZN7rocprim17ROCPRIM_400000_NS6detail17trampoline_kernelINS0_14default_configENS1_27upper_bound_config_selectorItlEEZNS1_14transform_implILb0ES3_S5_N6thrust23THRUST_200600_302600_NS6detail15normal_iteratorINS8_7pointerItNS8_11hip_rocprim5par_tENS8_11use_defaultESE_EEEENSA_INSB_IlSD_SE_SE_EEEEZNS1_13binary_searchIS3_S5_PtSG_SI_NS1_21upper_bound_search_opENS9_16wrapped_functionINS8_6system6detail7generic6detail18binary_search_lessEbEEEE10hipError_tPvRmT1_T2_T3_mmT4_T5_P12ihipStream_tbEUlRKtE_EEST_SX_SY_mSZ_S12_bEUlT_E_NS1_11comp_targetILNS1_3genE4ELNS1_11target_archE910ELNS1_3gpuE8ELNS1_3repE0EEENS1_30default_config_static_selectorELNS0_4arch9wavefront6targetE1EEEvSW_: ; @_ZN7rocprim17ROCPRIM_400000_NS6detail17trampoline_kernelINS0_14default_configENS1_27upper_bound_config_selectorItlEEZNS1_14transform_implILb0ES3_S5_N6thrust23THRUST_200600_302600_NS6detail15normal_iteratorINS8_7pointerItNS8_11hip_rocprim5par_tENS8_11use_defaultESE_EEEENSA_INSB_IlSD_SE_SE_EEEEZNS1_13binary_searchIS3_S5_PtSG_SI_NS1_21upper_bound_search_opENS9_16wrapped_functionINS8_6system6detail7generic6detail18binary_search_lessEbEEEE10hipError_tPvRmT1_T2_T3_mmT4_T5_P12ihipStream_tbEUlRKtE_EEST_SX_SY_mSZ_S12_bEUlT_E_NS1_11comp_targetILNS1_3genE4ELNS1_11target_archE910ELNS1_3gpuE8ELNS1_3repE0EEENS1_30default_config_static_selectorELNS0_4arch9wavefront6targetE1EEEvSW_
; %bb.0:
	.section	.rodata,"a",@progbits
	.p2align	6, 0x0
	.amdhsa_kernel _ZN7rocprim17ROCPRIM_400000_NS6detail17trampoline_kernelINS0_14default_configENS1_27upper_bound_config_selectorItlEEZNS1_14transform_implILb0ES3_S5_N6thrust23THRUST_200600_302600_NS6detail15normal_iteratorINS8_7pointerItNS8_11hip_rocprim5par_tENS8_11use_defaultESE_EEEENSA_INSB_IlSD_SE_SE_EEEEZNS1_13binary_searchIS3_S5_PtSG_SI_NS1_21upper_bound_search_opENS9_16wrapped_functionINS8_6system6detail7generic6detail18binary_search_lessEbEEEE10hipError_tPvRmT1_T2_T3_mmT4_T5_P12ihipStream_tbEUlRKtE_EEST_SX_SY_mSZ_S12_bEUlT_E_NS1_11comp_targetILNS1_3genE4ELNS1_11target_archE910ELNS1_3gpuE8ELNS1_3repE0EEENS1_30default_config_static_selectorELNS0_4arch9wavefront6targetE1EEEvSW_
		.amdhsa_group_segment_fixed_size 0
		.amdhsa_private_segment_fixed_size 0
		.amdhsa_kernarg_size 56
		.amdhsa_user_sgpr_count 6
		.amdhsa_user_sgpr_private_segment_buffer 1
		.amdhsa_user_sgpr_dispatch_ptr 0
		.amdhsa_user_sgpr_queue_ptr 0
		.amdhsa_user_sgpr_kernarg_segment_ptr 1
		.amdhsa_user_sgpr_dispatch_id 0
		.amdhsa_user_sgpr_flat_scratch_init 0
		.amdhsa_user_sgpr_private_segment_size 0
		.amdhsa_uses_dynamic_stack 0
		.amdhsa_system_sgpr_private_segment_wavefront_offset 0
		.amdhsa_system_sgpr_workgroup_id_x 1
		.amdhsa_system_sgpr_workgroup_id_y 0
		.amdhsa_system_sgpr_workgroup_id_z 0
		.amdhsa_system_sgpr_workgroup_info 0
		.amdhsa_system_vgpr_workitem_id 0
		.amdhsa_next_free_vgpr 1
		.amdhsa_next_free_sgpr 0
		.amdhsa_reserve_vcc 0
		.amdhsa_reserve_flat_scratch 0
		.amdhsa_float_round_mode_32 0
		.amdhsa_float_round_mode_16_64 0
		.amdhsa_float_denorm_mode_32 3
		.amdhsa_float_denorm_mode_16_64 3
		.amdhsa_dx10_clamp 1
		.amdhsa_ieee_mode 1
		.amdhsa_fp16_overflow 0
		.amdhsa_exception_fp_ieee_invalid_op 0
		.amdhsa_exception_fp_denorm_src 0
		.amdhsa_exception_fp_ieee_div_zero 0
		.amdhsa_exception_fp_ieee_overflow 0
		.amdhsa_exception_fp_ieee_underflow 0
		.amdhsa_exception_fp_ieee_inexact 0
		.amdhsa_exception_int_div_zero 0
	.end_amdhsa_kernel
	.section	.text._ZN7rocprim17ROCPRIM_400000_NS6detail17trampoline_kernelINS0_14default_configENS1_27upper_bound_config_selectorItlEEZNS1_14transform_implILb0ES3_S5_N6thrust23THRUST_200600_302600_NS6detail15normal_iteratorINS8_7pointerItNS8_11hip_rocprim5par_tENS8_11use_defaultESE_EEEENSA_INSB_IlSD_SE_SE_EEEEZNS1_13binary_searchIS3_S5_PtSG_SI_NS1_21upper_bound_search_opENS9_16wrapped_functionINS8_6system6detail7generic6detail18binary_search_lessEbEEEE10hipError_tPvRmT1_T2_T3_mmT4_T5_P12ihipStream_tbEUlRKtE_EEST_SX_SY_mSZ_S12_bEUlT_E_NS1_11comp_targetILNS1_3genE4ELNS1_11target_archE910ELNS1_3gpuE8ELNS1_3repE0EEENS1_30default_config_static_selectorELNS0_4arch9wavefront6targetE1EEEvSW_,"axG",@progbits,_ZN7rocprim17ROCPRIM_400000_NS6detail17trampoline_kernelINS0_14default_configENS1_27upper_bound_config_selectorItlEEZNS1_14transform_implILb0ES3_S5_N6thrust23THRUST_200600_302600_NS6detail15normal_iteratorINS8_7pointerItNS8_11hip_rocprim5par_tENS8_11use_defaultESE_EEEENSA_INSB_IlSD_SE_SE_EEEEZNS1_13binary_searchIS3_S5_PtSG_SI_NS1_21upper_bound_search_opENS9_16wrapped_functionINS8_6system6detail7generic6detail18binary_search_lessEbEEEE10hipError_tPvRmT1_T2_T3_mmT4_T5_P12ihipStream_tbEUlRKtE_EEST_SX_SY_mSZ_S12_bEUlT_E_NS1_11comp_targetILNS1_3genE4ELNS1_11target_archE910ELNS1_3gpuE8ELNS1_3repE0EEENS1_30default_config_static_selectorELNS0_4arch9wavefront6targetE1EEEvSW_,comdat
.Lfunc_end204:
	.size	_ZN7rocprim17ROCPRIM_400000_NS6detail17trampoline_kernelINS0_14default_configENS1_27upper_bound_config_selectorItlEEZNS1_14transform_implILb0ES3_S5_N6thrust23THRUST_200600_302600_NS6detail15normal_iteratorINS8_7pointerItNS8_11hip_rocprim5par_tENS8_11use_defaultESE_EEEENSA_INSB_IlSD_SE_SE_EEEEZNS1_13binary_searchIS3_S5_PtSG_SI_NS1_21upper_bound_search_opENS9_16wrapped_functionINS8_6system6detail7generic6detail18binary_search_lessEbEEEE10hipError_tPvRmT1_T2_T3_mmT4_T5_P12ihipStream_tbEUlRKtE_EEST_SX_SY_mSZ_S12_bEUlT_E_NS1_11comp_targetILNS1_3genE4ELNS1_11target_archE910ELNS1_3gpuE8ELNS1_3repE0EEENS1_30default_config_static_selectorELNS0_4arch9wavefront6targetE1EEEvSW_, .Lfunc_end204-_ZN7rocprim17ROCPRIM_400000_NS6detail17trampoline_kernelINS0_14default_configENS1_27upper_bound_config_selectorItlEEZNS1_14transform_implILb0ES3_S5_N6thrust23THRUST_200600_302600_NS6detail15normal_iteratorINS8_7pointerItNS8_11hip_rocprim5par_tENS8_11use_defaultESE_EEEENSA_INSB_IlSD_SE_SE_EEEEZNS1_13binary_searchIS3_S5_PtSG_SI_NS1_21upper_bound_search_opENS9_16wrapped_functionINS8_6system6detail7generic6detail18binary_search_lessEbEEEE10hipError_tPvRmT1_T2_T3_mmT4_T5_P12ihipStream_tbEUlRKtE_EEST_SX_SY_mSZ_S12_bEUlT_E_NS1_11comp_targetILNS1_3genE4ELNS1_11target_archE910ELNS1_3gpuE8ELNS1_3repE0EEENS1_30default_config_static_selectorELNS0_4arch9wavefront6targetE1EEEvSW_
                                        ; -- End function
	.set _ZN7rocprim17ROCPRIM_400000_NS6detail17trampoline_kernelINS0_14default_configENS1_27upper_bound_config_selectorItlEEZNS1_14transform_implILb0ES3_S5_N6thrust23THRUST_200600_302600_NS6detail15normal_iteratorINS8_7pointerItNS8_11hip_rocprim5par_tENS8_11use_defaultESE_EEEENSA_INSB_IlSD_SE_SE_EEEEZNS1_13binary_searchIS3_S5_PtSG_SI_NS1_21upper_bound_search_opENS9_16wrapped_functionINS8_6system6detail7generic6detail18binary_search_lessEbEEEE10hipError_tPvRmT1_T2_T3_mmT4_T5_P12ihipStream_tbEUlRKtE_EEST_SX_SY_mSZ_S12_bEUlT_E_NS1_11comp_targetILNS1_3genE4ELNS1_11target_archE910ELNS1_3gpuE8ELNS1_3repE0EEENS1_30default_config_static_selectorELNS0_4arch9wavefront6targetE1EEEvSW_.num_vgpr, 0
	.set _ZN7rocprim17ROCPRIM_400000_NS6detail17trampoline_kernelINS0_14default_configENS1_27upper_bound_config_selectorItlEEZNS1_14transform_implILb0ES3_S5_N6thrust23THRUST_200600_302600_NS6detail15normal_iteratorINS8_7pointerItNS8_11hip_rocprim5par_tENS8_11use_defaultESE_EEEENSA_INSB_IlSD_SE_SE_EEEEZNS1_13binary_searchIS3_S5_PtSG_SI_NS1_21upper_bound_search_opENS9_16wrapped_functionINS8_6system6detail7generic6detail18binary_search_lessEbEEEE10hipError_tPvRmT1_T2_T3_mmT4_T5_P12ihipStream_tbEUlRKtE_EEST_SX_SY_mSZ_S12_bEUlT_E_NS1_11comp_targetILNS1_3genE4ELNS1_11target_archE910ELNS1_3gpuE8ELNS1_3repE0EEENS1_30default_config_static_selectorELNS0_4arch9wavefront6targetE1EEEvSW_.num_agpr, 0
	.set _ZN7rocprim17ROCPRIM_400000_NS6detail17trampoline_kernelINS0_14default_configENS1_27upper_bound_config_selectorItlEEZNS1_14transform_implILb0ES3_S5_N6thrust23THRUST_200600_302600_NS6detail15normal_iteratorINS8_7pointerItNS8_11hip_rocprim5par_tENS8_11use_defaultESE_EEEENSA_INSB_IlSD_SE_SE_EEEEZNS1_13binary_searchIS3_S5_PtSG_SI_NS1_21upper_bound_search_opENS9_16wrapped_functionINS8_6system6detail7generic6detail18binary_search_lessEbEEEE10hipError_tPvRmT1_T2_T3_mmT4_T5_P12ihipStream_tbEUlRKtE_EEST_SX_SY_mSZ_S12_bEUlT_E_NS1_11comp_targetILNS1_3genE4ELNS1_11target_archE910ELNS1_3gpuE8ELNS1_3repE0EEENS1_30default_config_static_selectorELNS0_4arch9wavefront6targetE1EEEvSW_.numbered_sgpr, 0
	.set _ZN7rocprim17ROCPRIM_400000_NS6detail17trampoline_kernelINS0_14default_configENS1_27upper_bound_config_selectorItlEEZNS1_14transform_implILb0ES3_S5_N6thrust23THRUST_200600_302600_NS6detail15normal_iteratorINS8_7pointerItNS8_11hip_rocprim5par_tENS8_11use_defaultESE_EEEENSA_INSB_IlSD_SE_SE_EEEEZNS1_13binary_searchIS3_S5_PtSG_SI_NS1_21upper_bound_search_opENS9_16wrapped_functionINS8_6system6detail7generic6detail18binary_search_lessEbEEEE10hipError_tPvRmT1_T2_T3_mmT4_T5_P12ihipStream_tbEUlRKtE_EEST_SX_SY_mSZ_S12_bEUlT_E_NS1_11comp_targetILNS1_3genE4ELNS1_11target_archE910ELNS1_3gpuE8ELNS1_3repE0EEENS1_30default_config_static_selectorELNS0_4arch9wavefront6targetE1EEEvSW_.num_named_barrier, 0
	.set _ZN7rocprim17ROCPRIM_400000_NS6detail17trampoline_kernelINS0_14default_configENS1_27upper_bound_config_selectorItlEEZNS1_14transform_implILb0ES3_S5_N6thrust23THRUST_200600_302600_NS6detail15normal_iteratorINS8_7pointerItNS8_11hip_rocprim5par_tENS8_11use_defaultESE_EEEENSA_INSB_IlSD_SE_SE_EEEEZNS1_13binary_searchIS3_S5_PtSG_SI_NS1_21upper_bound_search_opENS9_16wrapped_functionINS8_6system6detail7generic6detail18binary_search_lessEbEEEE10hipError_tPvRmT1_T2_T3_mmT4_T5_P12ihipStream_tbEUlRKtE_EEST_SX_SY_mSZ_S12_bEUlT_E_NS1_11comp_targetILNS1_3genE4ELNS1_11target_archE910ELNS1_3gpuE8ELNS1_3repE0EEENS1_30default_config_static_selectorELNS0_4arch9wavefront6targetE1EEEvSW_.private_seg_size, 0
	.set _ZN7rocprim17ROCPRIM_400000_NS6detail17trampoline_kernelINS0_14default_configENS1_27upper_bound_config_selectorItlEEZNS1_14transform_implILb0ES3_S5_N6thrust23THRUST_200600_302600_NS6detail15normal_iteratorINS8_7pointerItNS8_11hip_rocprim5par_tENS8_11use_defaultESE_EEEENSA_INSB_IlSD_SE_SE_EEEEZNS1_13binary_searchIS3_S5_PtSG_SI_NS1_21upper_bound_search_opENS9_16wrapped_functionINS8_6system6detail7generic6detail18binary_search_lessEbEEEE10hipError_tPvRmT1_T2_T3_mmT4_T5_P12ihipStream_tbEUlRKtE_EEST_SX_SY_mSZ_S12_bEUlT_E_NS1_11comp_targetILNS1_3genE4ELNS1_11target_archE910ELNS1_3gpuE8ELNS1_3repE0EEENS1_30default_config_static_selectorELNS0_4arch9wavefront6targetE1EEEvSW_.uses_vcc, 0
	.set _ZN7rocprim17ROCPRIM_400000_NS6detail17trampoline_kernelINS0_14default_configENS1_27upper_bound_config_selectorItlEEZNS1_14transform_implILb0ES3_S5_N6thrust23THRUST_200600_302600_NS6detail15normal_iteratorINS8_7pointerItNS8_11hip_rocprim5par_tENS8_11use_defaultESE_EEEENSA_INSB_IlSD_SE_SE_EEEEZNS1_13binary_searchIS3_S5_PtSG_SI_NS1_21upper_bound_search_opENS9_16wrapped_functionINS8_6system6detail7generic6detail18binary_search_lessEbEEEE10hipError_tPvRmT1_T2_T3_mmT4_T5_P12ihipStream_tbEUlRKtE_EEST_SX_SY_mSZ_S12_bEUlT_E_NS1_11comp_targetILNS1_3genE4ELNS1_11target_archE910ELNS1_3gpuE8ELNS1_3repE0EEENS1_30default_config_static_selectorELNS0_4arch9wavefront6targetE1EEEvSW_.uses_flat_scratch, 0
	.set _ZN7rocprim17ROCPRIM_400000_NS6detail17trampoline_kernelINS0_14default_configENS1_27upper_bound_config_selectorItlEEZNS1_14transform_implILb0ES3_S5_N6thrust23THRUST_200600_302600_NS6detail15normal_iteratorINS8_7pointerItNS8_11hip_rocprim5par_tENS8_11use_defaultESE_EEEENSA_INSB_IlSD_SE_SE_EEEEZNS1_13binary_searchIS3_S5_PtSG_SI_NS1_21upper_bound_search_opENS9_16wrapped_functionINS8_6system6detail7generic6detail18binary_search_lessEbEEEE10hipError_tPvRmT1_T2_T3_mmT4_T5_P12ihipStream_tbEUlRKtE_EEST_SX_SY_mSZ_S12_bEUlT_E_NS1_11comp_targetILNS1_3genE4ELNS1_11target_archE910ELNS1_3gpuE8ELNS1_3repE0EEENS1_30default_config_static_selectorELNS0_4arch9wavefront6targetE1EEEvSW_.has_dyn_sized_stack, 0
	.set _ZN7rocprim17ROCPRIM_400000_NS6detail17trampoline_kernelINS0_14default_configENS1_27upper_bound_config_selectorItlEEZNS1_14transform_implILb0ES3_S5_N6thrust23THRUST_200600_302600_NS6detail15normal_iteratorINS8_7pointerItNS8_11hip_rocprim5par_tENS8_11use_defaultESE_EEEENSA_INSB_IlSD_SE_SE_EEEEZNS1_13binary_searchIS3_S5_PtSG_SI_NS1_21upper_bound_search_opENS9_16wrapped_functionINS8_6system6detail7generic6detail18binary_search_lessEbEEEE10hipError_tPvRmT1_T2_T3_mmT4_T5_P12ihipStream_tbEUlRKtE_EEST_SX_SY_mSZ_S12_bEUlT_E_NS1_11comp_targetILNS1_3genE4ELNS1_11target_archE910ELNS1_3gpuE8ELNS1_3repE0EEENS1_30default_config_static_selectorELNS0_4arch9wavefront6targetE1EEEvSW_.has_recursion, 0
	.set _ZN7rocprim17ROCPRIM_400000_NS6detail17trampoline_kernelINS0_14default_configENS1_27upper_bound_config_selectorItlEEZNS1_14transform_implILb0ES3_S5_N6thrust23THRUST_200600_302600_NS6detail15normal_iteratorINS8_7pointerItNS8_11hip_rocprim5par_tENS8_11use_defaultESE_EEEENSA_INSB_IlSD_SE_SE_EEEEZNS1_13binary_searchIS3_S5_PtSG_SI_NS1_21upper_bound_search_opENS9_16wrapped_functionINS8_6system6detail7generic6detail18binary_search_lessEbEEEE10hipError_tPvRmT1_T2_T3_mmT4_T5_P12ihipStream_tbEUlRKtE_EEST_SX_SY_mSZ_S12_bEUlT_E_NS1_11comp_targetILNS1_3genE4ELNS1_11target_archE910ELNS1_3gpuE8ELNS1_3repE0EEENS1_30default_config_static_selectorELNS0_4arch9wavefront6targetE1EEEvSW_.has_indirect_call, 0
	.section	.AMDGPU.csdata,"",@progbits
; Kernel info:
; codeLenInByte = 0
; TotalNumSgprs: 4
; NumVgprs: 0
; ScratchSize: 0
; MemoryBound: 0
; FloatMode: 240
; IeeeMode: 1
; LDSByteSize: 0 bytes/workgroup (compile time only)
; SGPRBlocks: 0
; VGPRBlocks: 0
; NumSGPRsForWavesPerEU: 4
; NumVGPRsForWavesPerEU: 1
; Occupancy: 10
; WaveLimiterHint : 0
; COMPUTE_PGM_RSRC2:SCRATCH_EN: 0
; COMPUTE_PGM_RSRC2:USER_SGPR: 6
; COMPUTE_PGM_RSRC2:TRAP_HANDLER: 0
; COMPUTE_PGM_RSRC2:TGID_X_EN: 1
; COMPUTE_PGM_RSRC2:TGID_Y_EN: 0
; COMPUTE_PGM_RSRC2:TGID_Z_EN: 0
; COMPUTE_PGM_RSRC2:TIDIG_COMP_CNT: 0
	.section	.text._ZN7rocprim17ROCPRIM_400000_NS6detail17trampoline_kernelINS0_14default_configENS1_27upper_bound_config_selectorItlEEZNS1_14transform_implILb0ES3_S5_N6thrust23THRUST_200600_302600_NS6detail15normal_iteratorINS8_7pointerItNS8_11hip_rocprim5par_tENS8_11use_defaultESE_EEEENSA_INSB_IlSD_SE_SE_EEEEZNS1_13binary_searchIS3_S5_PtSG_SI_NS1_21upper_bound_search_opENS9_16wrapped_functionINS8_6system6detail7generic6detail18binary_search_lessEbEEEE10hipError_tPvRmT1_T2_T3_mmT4_T5_P12ihipStream_tbEUlRKtE_EEST_SX_SY_mSZ_S12_bEUlT_E_NS1_11comp_targetILNS1_3genE3ELNS1_11target_archE908ELNS1_3gpuE7ELNS1_3repE0EEENS1_30default_config_static_selectorELNS0_4arch9wavefront6targetE1EEEvSW_,"axG",@progbits,_ZN7rocprim17ROCPRIM_400000_NS6detail17trampoline_kernelINS0_14default_configENS1_27upper_bound_config_selectorItlEEZNS1_14transform_implILb0ES3_S5_N6thrust23THRUST_200600_302600_NS6detail15normal_iteratorINS8_7pointerItNS8_11hip_rocprim5par_tENS8_11use_defaultESE_EEEENSA_INSB_IlSD_SE_SE_EEEEZNS1_13binary_searchIS3_S5_PtSG_SI_NS1_21upper_bound_search_opENS9_16wrapped_functionINS8_6system6detail7generic6detail18binary_search_lessEbEEEE10hipError_tPvRmT1_T2_T3_mmT4_T5_P12ihipStream_tbEUlRKtE_EEST_SX_SY_mSZ_S12_bEUlT_E_NS1_11comp_targetILNS1_3genE3ELNS1_11target_archE908ELNS1_3gpuE7ELNS1_3repE0EEENS1_30default_config_static_selectorELNS0_4arch9wavefront6targetE1EEEvSW_,comdat
	.protected	_ZN7rocprim17ROCPRIM_400000_NS6detail17trampoline_kernelINS0_14default_configENS1_27upper_bound_config_selectorItlEEZNS1_14transform_implILb0ES3_S5_N6thrust23THRUST_200600_302600_NS6detail15normal_iteratorINS8_7pointerItNS8_11hip_rocprim5par_tENS8_11use_defaultESE_EEEENSA_INSB_IlSD_SE_SE_EEEEZNS1_13binary_searchIS3_S5_PtSG_SI_NS1_21upper_bound_search_opENS9_16wrapped_functionINS8_6system6detail7generic6detail18binary_search_lessEbEEEE10hipError_tPvRmT1_T2_T3_mmT4_T5_P12ihipStream_tbEUlRKtE_EEST_SX_SY_mSZ_S12_bEUlT_E_NS1_11comp_targetILNS1_3genE3ELNS1_11target_archE908ELNS1_3gpuE7ELNS1_3repE0EEENS1_30default_config_static_selectorELNS0_4arch9wavefront6targetE1EEEvSW_ ; -- Begin function _ZN7rocprim17ROCPRIM_400000_NS6detail17trampoline_kernelINS0_14default_configENS1_27upper_bound_config_selectorItlEEZNS1_14transform_implILb0ES3_S5_N6thrust23THRUST_200600_302600_NS6detail15normal_iteratorINS8_7pointerItNS8_11hip_rocprim5par_tENS8_11use_defaultESE_EEEENSA_INSB_IlSD_SE_SE_EEEEZNS1_13binary_searchIS3_S5_PtSG_SI_NS1_21upper_bound_search_opENS9_16wrapped_functionINS8_6system6detail7generic6detail18binary_search_lessEbEEEE10hipError_tPvRmT1_T2_T3_mmT4_T5_P12ihipStream_tbEUlRKtE_EEST_SX_SY_mSZ_S12_bEUlT_E_NS1_11comp_targetILNS1_3genE3ELNS1_11target_archE908ELNS1_3gpuE7ELNS1_3repE0EEENS1_30default_config_static_selectorELNS0_4arch9wavefront6targetE1EEEvSW_
	.globl	_ZN7rocprim17ROCPRIM_400000_NS6detail17trampoline_kernelINS0_14default_configENS1_27upper_bound_config_selectorItlEEZNS1_14transform_implILb0ES3_S5_N6thrust23THRUST_200600_302600_NS6detail15normal_iteratorINS8_7pointerItNS8_11hip_rocprim5par_tENS8_11use_defaultESE_EEEENSA_INSB_IlSD_SE_SE_EEEEZNS1_13binary_searchIS3_S5_PtSG_SI_NS1_21upper_bound_search_opENS9_16wrapped_functionINS8_6system6detail7generic6detail18binary_search_lessEbEEEE10hipError_tPvRmT1_T2_T3_mmT4_T5_P12ihipStream_tbEUlRKtE_EEST_SX_SY_mSZ_S12_bEUlT_E_NS1_11comp_targetILNS1_3genE3ELNS1_11target_archE908ELNS1_3gpuE7ELNS1_3repE0EEENS1_30default_config_static_selectorELNS0_4arch9wavefront6targetE1EEEvSW_
	.p2align	8
	.type	_ZN7rocprim17ROCPRIM_400000_NS6detail17trampoline_kernelINS0_14default_configENS1_27upper_bound_config_selectorItlEEZNS1_14transform_implILb0ES3_S5_N6thrust23THRUST_200600_302600_NS6detail15normal_iteratorINS8_7pointerItNS8_11hip_rocprim5par_tENS8_11use_defaultESE_EEEENSA_INSB_IlSD_SE_SE_EEEEZNS1_13binary_searchIS3_S5_PtSG_SI_NS1_21upper_bound_search_opENS9_16wrapped_functionINS8_6system6detail7generic6detail18binary_search_lessEbEEEE10hipError_tPvRmT1_T2_T3_mmT4_T5_P12ihipStream_tbEUlRKtE_EEST_SX_SY_mSZ_S12_bEUlT_E_NS1_11comp_targetILNS1_3genE3ELNS1_11target_archE908ELNS1_3gpuE7ELNS1_3repE0EEENS1_30default_config_static_selectorELNS0_4arch9wavefront6targetE1EEEvSW_,@function
_ZN7rocprim17ROCPRIM_400000_NS6detail17trampoline_kernelINS0_14default_configENS1_27upper_bound_config_selectorItlEEZNS1_14transform_implILb0ES3_S5_N6thrust23THRUST_200600_302600_NS6detail15normal_iteratorINS8_7pointerItNS8_11hip_rocprim5par_tENS8_11use_defaultESE_EEEENSA_INSB_IlSD_SE_SE_EEEEZNS1_13binary_searchIS3_S5_PtSG_SI_NS1_21upper_bound_search_opENS9_16wrapped_functionINS8_6system6detail7generic6detail18binary_search_lessEbEEEE10hipError_tPvRmT1_T2_T3_mmT4_T5_P12ihipStream_tbEUlRKtE_EEST_SX_SY_mSZ_S12_bEUlT_E_NS1_11comp_targetILNS1_3genE3ELNS1_11target_archE908ELNS1_3gpuE7ELNS1_3repE0EEENS1_30default_config_static_selectorELNS0_4arch9wavefront6targetE1EEEvSW_: ; @_ZN7rocprim17ROCPRIM_400000_NS6detail17trampoline_kernelINS0_14default_configENS1_27upper_bound_config_selectorItlEEZNS1_14transform_implILb0ES3_S5_N6thrust23THRUST_200600_302600_NS6detail15normal_iteratorINS8_7pointerItNS8_11hip_rocprim5par_tENS8_11use_defaultESE_EEEENSA_INSB_IlSD_SE_SE_EEEEZNS1_13binary_searchIS3_S5_PtSG_SI_NS1_21upper_bound_search_opENS9_16wrapped_functionINS8_6system6detail7generic6detail18binary_search_lessEbEEEE10hipError_tPvRmT1_T2_T3_mmT4_T5_P12ihipStream_tbEUlRKtE_EEST_SX_SY_mSZ_S12_bEUlT_E_NS1_11comp_targetILNS1_3genE3ELNS1_11target_archE908ELNS1_3gpuE7ELNS1_3repE0EEENS1_30default_config_static_selectorELNS0_4arch9wavefront6targetE1EEEvSW_
; %bb.0:
	.section	.rodata,"a",@progbits
	.p2align	6, 0x0
	.amdhsa_kernel _ZN7rocprim17ROCPRIM_400000_NS6detail17trampoline_kernelINS0_14default_configENS1_27upper_bound_config_selectorItlEEZNS1_14transform_implILb0ES3_S5_N6thrust23THRUST_200600_302600_NS6detail15normal_iteratorINS8_7pointerItNS8_11hip_rocprim5par_tENS8_11use_defaultESE_EEEENSA_INSB_IlSD_SE_SE_EEEEZNS1_13binary_searchIS3_S5_PtSG_SI_NS1_21upper_bound_search_opENS9_16wrapped_functionINS8_6system6detail7generic6detail18binary_search_lessEbEEEE10hipError_tPvRmT1_T2_T3_mmT4_T5_P12ihipStream_tbEUlRKtE_EEST_SX_SY_mSZ_S12_bEUlT_E_NS1_11comp_targetILNS1_3genE3ELNS1_11target_archE908ELNS1_3gpuE7ELNS1_3repE0EEENS1_30default_config_static_selectorELNS0_4arch9wavefront6targetE1EEEvSW_
		.amdhsa_group_segment_fixed_size 0
		.amdhsa_private_segment_fixed_size 0
		.amdhsa_kernarg_size 56
		.amdhsa_user_sgpr_count 6
		.amdhsa_user_sgpr_private_segment_buffer 1
		.amdhsa_user_sgpr_dispatch_ptr 0
		.amdhsa_user_sgpr_queue_ptr 0
		.amdhsa_user_sgpr_kernarg_segment_ptr 1
		.amdhsa_user_sgpr_dispatch_id 0
		.amdhsa_user_sgpr_flat_scratch_init 0
		.amdhsa_user_sgpr_private_segment_size 0
		.amdhsa_uses_dynamic_stack 0
		.amdhsa_system_sgpr_private_segment_wavefront_offset 0
		.amdhsa_system_sgpr_workgroup_id_x 1
		.amdhsa_system_sgpr_workgroup_id_y 0
		.amdhsa_system_sgpr_workgroup_id_z 0
		.amdhsa_system_sgpr_workgroup_info 0
		.amdhsa_system_vgpr_workitem_id 0
		.amdhsa_next_free_vgpr 1
		.amdhsa_next_free_sgpr 0
		.amdhsa_reserve_vcc 0
		.amdhsa_reserve_flat_scratch 0
		.amdhsa_float_round_mode_32 0
		.amdhsa_float_round_mode_16_64 0
		.amdhsa_float_denorm_mode_32 3
		.amdhsa_float_denorm_mode_16_64 3
		.amdhsa_dx10_clamp 1
		.amdhsa_ieee_mode 1
		.amdhsa_fp16_overflow 0
		.amdhsa_exception_fp_ieee_invalid_op 0
		.amdhsa_exception_fp_denorm_src 0
		.amdhsa_exception_fp_ieee_div_zero 0
		.amdhsa_exception_fp_ieee_overflow 0
		.amdhsa_exception_fp_ieee_underflow 0
		.amdhsa_exception_fp_ieee_inexact 0
		.amdhsa_exception_int_div_zero 0
	.end_amdhsa_kernel
	.section	.text._ZN7rocprim17ROCPRIM_400000_NS6detail17trampoline_kernelINS0_14default_configENS1_27upper_bound_config_selectorItlEEZNS1_14transform_implILb0ES3_S5_N6thrust23THRUST_200600_302600_NS6detail15normal_iteratorINS8_7pointerItNS8_11hip_rocprim5par_tENS8_11use_defaultESE_EEEENSA_INSB_IlSD_SE_SE_EEEEZNS1_13binary_searchIS3_S5_PtSG_SI_NS1_21upper_bound_search_opENS9_16wrapped_functionINS8_6system6detail7generic6detail18binary_search_lessEbEEEE10hipError_tPvRmT1_T2_T3_mmT4_T5_P12ihipStream_tbEUlRKtE_EEST_SX_SY_mSZ_S12_bEUlT_E_NS1_11comp_targetILNS1_3genE3ELNS1_11target_archE908ELNS1_3gpuE7ELNS1_3repE0EEENS1_30default_config_static_selectorELNS0_4arch9wavefront6targetE1EEEvSW_,"axG",@progbits,_ZN7rocprim17ROCPRIM_400000_NS6detail17trampoline_kernelINS0_14default_configENS1_27upper_bound_config_selectorItlEEZNS1_14transform_implILb0ES3_S5_N6thrust23THRUST_200600_302600_NS6detail15normal_iteratorINS8_7pointerItNS8_11hip_rocprim5par_tENS8_11use_defaultESE_EEEENSA_INSB_IlSD_SE_SE_EEEEZNS1_13binary_searchIS3_S5_PtSG_SI_NS1_21upper_bound_search_opENS9_16wrapped_functionINS8_6system6detail7generic6detail18binary_search_lessEbEEEE10hipError_tPvRmT1_T2_T3_mmT4_T5_P12ihipStream_tbEUlRKtE_EEST_SX_SY_mSZ_S12_bEUlT_E_NS1_11comp_targetILNS1_3genE3ELNS1_11target_archE908ELNS1_3gpuE7ELNS1_3repE0EEENS1_30default_config_static_selectorELNS0_4arch9wavefront6targetE1EEEvSW_,comdat
.Lfunc_end205:
	.size	_ZN7rocprim17ROCPRIM_400000_NS6detail17trampoline_kernelINS0_14default_configENS1_27upper_bound_config_selectorItlEEZNS1_14transform_implILb0ES3_S5_N6thrust23THRUST_200600_302600_NS6detail15normal_iteratorINS8_7pointerItNS8_11hip_rocprim5par_tENS8_11use_defaultESE_EEEENSA_INSB_IlSD_SE_SE_EEEEZNS1_13binary_searchIS3_S5_PtSG_SI_NS1_21upper_bound_search_opENS9_16wrapped_functionINS8_6system6detail7generic6detail18binary_search_lessEbEEEE10hipError_tPvRmT1_T2_T3_mmT4_T5_P12ihipStream_tbEUlRKtE_EEST_SX_SY_mSZ_S12_bEUlT_E_NS1_11comp_targetILNS1_3genE3ELNS1_11target_archE908ELNS1_3gpuE7ELNS1_3repE0EEENS1_30default_config_static_selectorELNS0_4arch9wavefront6targetE1EEEvSW_, .Lfunc_end205-_ZN7rocprim17ROCPRIM_400000_NS6detail17trampoline_kernelINS0_14default_configENS1_27upper_bound_config_selectorItlEEZNS1_14transform_implILb0ES3_S5_N6thrust23THRUST_200600_302600_NS6detail15normal_iteratorINS8_7pointerItNS8_11hip_rocprim5par_tENS8_11use_defaultESE_EEEENSA_INSB_IlSD_SE_SE_EEEEZNS1_13binary_searchIS3_S5_PtSG_SI_NS1_21upper_bound_search_opENS9_16wrapped_functionINS8_6system6detail7generic6detail18binary_search_lessEbEEEE10hipError_tPvRmT1_T2_T3_mmT4_T5_P12ihipStream_tbEUlRKtE_EEST_SX_SY_mSZ_S12_bEUlT_E_NS1_11comp_targetILNS1_3genE3ELNS1_11target_archE908ELNS1_3gpuE7ELNS1_3repE0EEENS1_30default_config_static_selectorELNS0_4arch9wavefront6targetE1EEEvSW_
                                        ; -- End function
	.set _ZN7rocprim17ROCPRIM_400000_NS6detail17trampoline_kernelINS0_14default_configENS1_27upper_bound_config_selectorItlEEZNS1_14transform_implILb0ES3_S5_N6thrust23THRUST_200600_302600_NS6detail15normal_iteratorINS8_7pointerItNS8_11hip_rocprim5par_tENS8_11use_defaultESE_EEEENSA_INSB_IlSD_SE_SE_EEEEZNS1_13binary_searchIS3_S5_PtSG_SI_NS1_21upper_bound_search_opENS9_16wrapped_functionINS8_6system6detail7generic6detail18binary_search_lessEbEEEE10hipError_tPvRmT1_T2_T3_mmT4_T5_P12ihipStream_tbEUlRKtE_EEST_SX_SY_mSZ_S12_bEUlT_E_NS1_11comp_targetILNS1_3genE3ELNS1_11target_archE908ELNS1_3gpuE7ELNS1_3repE0EEENS1_30default_config_static_selectorELNS0_4arch9wavefront6targetE1EEEvSW_.num_vgpr, 0
	.set _ZN7rocprim17ROCPRIM_400000_NS6detail17trampoline_kernelINS0_14default_configENS1_27upper_bound_config_selectorItlEEZNS1_14transform_implILb0ES3_S5_N6thrust23THRUST_200600_302600_NS6detail15normal_iteratorINS8_7pointerItNS8_11hip_rocprim5par_tENS8_11use_defaultESE_EEEENSA_INSB_IlSD_SE_SE_EEEEZNS1_13binary_searchIS3_S5_PtSG_SI_NS1_21upper_bound_search_opENS9_16wrapped_functionINS8_6system6detail7generic6detail18binary_search_lessEbEEEE10hipError_tPvRmT1_T2_T3_mmT4_T5_P12ihipStream_tbEUlRKtE_EEST_SX_SY_mSZ_S12_bEUlT_E_NS1_11comp_targetILNS1_3genE3ELNS1_11target_archE908ELNS1_3gpuE7ELNS1_3repE0EEENS1_30default_config_static_selectorELNS0_4arch9wavefront6targetE1EEEvSW_.num_agpr, 0
	.set _ZN7rocprim17ROCPRIM_400000_NS6detail17trampoline_kernelINS0_14default_configENS1_27upper_bound_config_selectorItlEEZNS1_14transform_implILb0ES3_S5_N6thrust23THRUST_200600_302600_NS6detail15normal_iteratorINS8_7pointerItNS8_11hip_rocprim5par_tENS8_11use_defaultESE_EEEENSA_INSB_IlSD_SE_SE_EEEEZNS1_13binary_searchIS3_S5_PtSG_SI_NS1_21upper_bound_search_opENS9_16wrapped_functionINS8_6system6detail7generic6detail18binary_search_lessEbEEEE10hipError_tPvRmT1_T2_T3_mmT4_T5_P12ihipStream_tbEUlRKtE_EEST_SX_SY_mSZ_S12_bEUlT_E_NS1_11comp_targetILNS1_3genE3ELNS1_11target_archE908ELNS1_3gpuE7ELNS1_3repE0EEENS1_30default_config_static_selectorELNS0_4arch9wavefront6targetE1EEEvSW_.numbered_sgpr, 0
	.set _ZN7rocprim17ROCPRIM_400000_NS6detail17trampoline_kernelINS0_14default_configENS1_27upper_bound_config_selectorItlEEZNS1_14transform_implILb0ES3_S5_N6thrust23THRUST_200600_302600_NS6detail15normal_iteratorINS8_7pointerItNS8_11hip_rocprim5par_tENS8_11use_defaultESE_EEEENSA_INSB_IlSD_SE_SE_EEEEZNS1_13binary_searchIS3_S5_PtSG_SI_NS1_21upper_bound_search_opENS9_16wrapped_functionINS8_6system6detail7generic6detail18binary_search_lessEbEEEE10hipError_tPvRmT1_T2_T3_mmT4_T5_P12ihipStream_tbEUlRKtE_EEST_SX_SY_mSZ_S12_bEUlT_E_NS1_11comp_targetILNS1_3genE3ELNS1_11target_archE908ELNS1_3gpuE7ELNS1_3repE0EEENS1_30default_config_static_selectorELNS0_4arch9wavefront6targetE1EEEvSW_.num_named_barrier, 0
	.set _ZN7rocprim17ROCPRIM_400000_NS6detail17trampoline_kernelINS0_14default_configENS1_27upper_bound_config_selectorItlEEZNS1_14transform_implILb0ES3_S5_N6thrust23THRUST_200600_302600_NS6detail15normal_iteratorINS8_7pointerItNS8_11hip_rocprim5par_tENS8_11use_defaultESE_EEEENSA_INSB_IlSD_SE_SE_EEEEZNS1_13binary_searchIS3_S5_PtSG_SI_NS1_21upper_bound_search_opENS9_16wrapped_functionINS8_6system6detail7generic6detail18binary_search_lessEbEEEE10hipError_tPvRmT1_T2_T3_mmT4_T5_P12ihipStream_tbEUlRKtE_EEST_SX_SY_mSZ_S12_bEUlT_E_NS1_11comp_targetILNS1_3genE3ELNS1_11target_archE908ELNS1_3gpuE7ELNS1_3repE0EEENS1_30default_config_static_selectorELNS0_4arch9wavefront6targetE1EEEvSW_.private_seg_size, 0
	.set _ZN7rocprim17ROCPRIM_400000_NS6detail17trampoline_kernelINS0_14default_configENS1_27upper_bound_config_selectorItlEEZNS1_14transform_implILb0ES3_S5_N6thrust23THRUST_200600_302600_NS6detail15normal_iteratorINS8_7pointerItNS8_11hip_rocprim5par_tENS8_11use_defaultESE_EEEENSA_INSB_IlSD_SE_SE_EEEEZNS1_13binary_searchIS3_S5_PtSG_SI_NS1_21upper_bound_search_opENS9_16wrapped_functionINS8_6system6detail7generic6detail18binary_search_lessEbEEEE10hipError_tPvRmT1_T2_T3_mmT4_T5_P12ihipStream_tbEUlRKtE_EEST_SX_SY_mSZ_S12_bEUlT_E_NS1_11comp_targetILNS1_3genE3ELNS1_11target_archE908ELNS1_3gpuE7ELNS1_3repE0EEENS1_30default_config_static_selectorELNS0_4arch9wavefront6targetE1EEEvSW_.uses_vcc, 0
	.set _ZN7rocprim17ROCPRIM_400000_NS6detail17trampoline_kernelINS0_14default_configENS1_27upper_bound_config_selectorItlEEZNS1_14transform_implILb0ES3_S5_N6thrust23THRUST_200600_302600_NS6detail15normal_iteratorINS8_7pointerItNS8_11hip_rocprim5par_tENS8_11use_defaultESE_EEEENSA_INSB_IlSD_SE_SE_EEEEZNS1_13binary_searchIS3_S5_PtSG_SI_NS1_21upper_bound_search_opENS9_16wrapped_functionINS8_6system6detail7generic6detail18binary_search_lessEbEEEE10hipError_tPvRmT1_T2_T3_mmT4_T5_P12ihipStream_tbEUlRKtE_EEST_SX_SY_mSZ_S12_bEUlT_E_NS1_11comp_targetILNS1_3genE3ELNS1_11target_archE908ELNS1_3gpuE7ELNS1_3repE0EEENS1_30default_config_static_selectorELNS0_4arch9wavefront6targetE1EEEvSW_.uses_flat_scratch, 0
	.set _ZN7rocprim17ROCPRIM_400000_NS6detail17trampoline_kernelINS0_14default_configENS1_27upper_bound_config_selectorItlEEZNS1_14transform_implILb0ES3_S5_N6thrust23THRUST_200600_302600_NS6detail15normal_iteratorINS8_7pointerItNS8_11hip_rocprim5par_tENS8_11use_defaultESE_EEEENSA_INSB_IlSD_SE_SE_EEEEZNS1_13binary_searchIS3_S5_PtSG_SI_NS1_21upper_bound_search_opENS9_16wrapped_functionINS8_6system6detail7generic6detail18binary_search_lessEbEEEE10hipError_tPvRmT1_T2_T3_mmT4_T5_P12ihipStream_tbEUlRKtE_EEST_SX_SY_mSZ_S12_bEUlT_E_NS1_11comp_targetILNS1_3genE3ELNS1_11target_archE908ELNS1_3gpuE7ELNS1_3repE0EEENS1_30default_config_static_selectorELNS0_4arch9wavefront6targetE1EEEvSW_.has_dyn_sized_stack, 0
	.set _ZN7rocprim17ROCPRIM_400000_NS6detail17trampoline_kernelINS0_14default_configENS1_27upper_bound_config_selectorItlEEZNS1_14transform_implILb0ES3_S5_N6thrust23THRUST_200600_302600_NS6detail15normal_iteratorINS8_7pointerItNS8_11hip_rocprim5par_tENS8_11use_defaultESE_EEEENSA_INSB_IlSD_SE_SE_EEEEZNS1_13binary_searchIS3_S5_PtSG_SI_NS1_21upper_bound_search_opENS9_16wrapped_functionINS8_6system6detail7generic6detail18binary_search_lessEbEEEE10hipError_tPvRmT1_T2_T3_mmT4_T5_P12ihipStream_tbEUlRKtE_EEST_SX_SY_mSZ_S12_bEUlT_E_NS1_11comp_targetILNS1_3genE3ELNS1_11target_archE908ELNS1_3gpuE7ELNS1_3repE0EEENS1_30default_config_static_selectorELNS0_4arch9wavefront6targetE1EEEvSW_.has_recursion, 0
	.set _ZN7rocprim17ROCPRIM_400000_NS6detail17trampoline_kernelINS0_14default_configENS1_27upper_bound_config_selectorItlEEZNS1_14transform_implILb0ES3_S5_N6thrust23THRUST_200600_302600_NS6detail15normal_iteratorINS8_7pointerItNS8_11hip_rocprim5par_tENS8_11use_defaultESE_EEEENSA_INSB_IlSD_SE_SE_EEEEZNS1_13binary_searchIS3_S5_PtSG_SI_NS1_21upper_bound_search_opENS9_16wrapped_functionINS8_6system6detail7generic6detail18binary_search_lessEbEEEE10hipError_tPvRmT1_T2_T3_mmT4_T5_P12ihipStream_tbEUlRKtE_EEST_SX_SY_mSZ_S12_bEUlT_E_NS1_11comp_targetILNS1_3genE3ELNS1_11target_archE908ELNS1_3gpuE7ELNS1_3repE0EEENS1_30default_config_static_selectorELNS0_4arch9wavefront6targetE1EEEvSW_.has_indirect_call, 0
	.section	.AMDGPU.csdata,"",@progbits
; Kernel info:
; codeLenInByte = 0
; TotalNumSgprs: 4
; NumVgprs: 0
; ScratchSize: 0
; MemoryBound: 0
; FloatMode: 240
; IeeeMode: 1
; LDSByteSize: 0 bytes/workgroup (compile time only)
; SGPRBlocks: 0
; VGPRBlocks: 0
; NumSGPRsForWavesPerEU: 4
; NumVGPRsForWavesPerEU: 1
; Occupancy: 10
; WaveLimiterHint : 0
; COMPUTE_PGM_RSRC2:SCRATCH_EN: 0
; COMPUTE_PGM_RSRC2:USER_SGPR: 6
; COMPUTE_PGM_RSRC2:TRAP_HANDLER: 0
; COMPUTE_PGM_RSRC2:TGID_X_EN: 1
; COMPUTE_PGM_RSRC2:TGID_Y_EN: 0
; COMPUTE_PGM_RSRC2:TGID_Z_EN: 0
; COMPUTE_PGM_RSRC2:TIDIG_COMP_CNT: 0
	.section	.text._ZN7rocprim17ROCPRIM_400000_NS6detail17trampoline_kernelINS0_14default_configENS1_27upper_bound_config_selectorItlEEZNS1_14transform_implILb0ES3_S5_N6thrust23THRUST_200600_302600_NS6detail15normal_iteratorINS8_7pointerItNS8_11hip_rocprim5par_tENS8_11use_defaultESE_EEEENSA_INSB_IlSD_SE_SE_EEEEZNS1_13binary_searchIS3_S5_PtSG_SI_NS1_21upper_bound_search_opENS9_16wrapped_functionINS8_6system6detail7generic6detail18binary_search_lessEbEEEE10hipError_tPvRmT1_T2_T3_mmT4_T5_P12ihipStream_tbEUlRKtE_EEST_SX_SY_mSZ_S12_bEUlT_E_NS1_11comp_targetILNS1_3genE2ELNS1_11target_archE906ELNS1_3gpuE6ELNS1_3repE0EEENS1_30default_config_static_selectorELNS0_4arch9wavefront6targetE1EEEvSW_,"axG",@progbits,_ZN7rocprim17ROCPRIM_400000_NS6detail17trampoline_kernelINS0_14default_configENS1_27upper_bound_config_selectorItlEEZNS1_14transform_implILb0ES3_S5_N6thrust23THRUST_200600_302600_NS6detail15normal_iteratorINS8_7pointerItNS8_11hip_rocprim5par_tENS8_11use_defaultESE_EEEENSA_INSB_IlSD_SE_SE_EEEEZNS1_13binary_searchIS3_S5_PtSG_SI_NS1_21upper_bound_search_opENS9_16wrapped_functionINS8_6system6detail7generic6detail18binary_search_lessEbEEEE10hipError_tPvRmT1_T2_T3_mmT4_T5_P12ihipStream_tbEUlRKtE_EEST_SX_SY_mSZ_S12_bEUlT_E_NS1_11comp_targetILNS1_3genE2ELNS1_11target_archE906ELNS1_3gpuE6ELNS1_3repE0EEENS1_30default_config_static_selectorELNS0_4arch9wavefront6targetE1EEEvSW_,comdat
	.protected	_ZN7rocprim17ROCPRIM_400000_NS6detail17trampoline_kernelINS0_14default_configENS1_27upper_bound_config_selectorItlEEZNS1_14transform_implILb0ES3_S5_N6thrust23THRUST_200600_302600_NS6detail15normal_iteratorINS8_7pointerItNS8_11hip_rocprim5par_tENS8_11use_defaultESE_EEEENSA_INSB_IlSD_SE_SE_EEEEZNS1_13binary_searchIS3_S5_PtSG_SI_NS1_21upper_bound_search_opENS9_16wrapped_functionINS8_6system6detail7generic6detail18binary_search_lessEbEEEE10hipError_tPvRmT1_T2_T3_mmT4_T5_P12ihipStream_tbEUlRKtE_EEST_SX_SY_mSZ_S12_bEUlT_E_NS1_11comp_targetILNS1_3genE2ELNS1_11target_archE906ELNS1_3gpuE6ELNS1_3repE0EEENS1_30default_config_static_selectorELNS0_4arch9wavefront6targetE1EEEvSW_ ; -- Begin function _ZN7rocprim17ROCPRIM_400000_NS6detail17trampoline_kernelINS0_14default_configENS1_27upper_bound_config_selectorItlEEZNS1_14transform_implILb0ES3_S5_N6thrust23THRUST_200600_302600_NS6detail15normal_iteratorINS8_7pointerItNS8_11hip_rocprim5par_tENS8_11use_defaultESE_EEEENSA_INSB_IlSD_SE_SE_EEEEZNS1_13binary_searchIS3_S5_PtSG_SI_NS1_21upper_bound_search_opENS9_16wrapped_functionINS8_6system6detail7generic6detail18binary_search_lessEbEEEE10hipError_tPvRmT1_T2_T3_mmT4_T5_P12ihipStream_tbEUlRKtE_EEST_SX_SY_mSZ_S12_bEUlT_E_NS1_11comp_targetILNS1_3genE2ELNS1_11target_archE906ELNS1_3gpuE6ELNS1_3repE0EEENS1_30default_config_static_selectorELNS0_4arch9wavefront6targetE1EEEvSW_
	.globl	_ZN7rocprim17ROCPRIM_400000_NS6detail17trampoline_kernelINS0_14default_configENS1_27upper_bound_config_selectorItlEEZNS1_14transform_implILb0ES3_S5_N6thrust23THRUST_200600_302600_NS6detail15normal_iteratorINS8_7pointerItNS8_11hip_rocprim5par_tENS8_11use_defaultESE_EEEENSA_INSB_IlSD_SE_SE_EEEEZNS1_13binary_searchIS3_S5_PtSG_SI_NS1_21upper_bound_search_opENS9_16wrapped_functionINS8_6system6detail7generic6detail18binary_search_lessEbEEEE10hipError_tPvRmT1_T2_T3_mmT4_T5_P12ihipStream_tbEUlRKtE_EEST_SX_SY_mSZ_S12_bEUlT_E_NS1_11comp_targetILNS1_3genE2ELNS1_11target_archE906ELNS1_3gpuE6ELNS1_3repE0EEENS1_30default_config_static_selectorELNS0_4arch9wavefront6targetE1EEEvSW_
	.p2align	8
	.type	_ZN7rocprim17ROCPRIM_400000_NS6detail17trampoline_kernelINS0_14default_configENS1_27upper_bound_config_selectorItlEEZNS1_14transform_implILb0ES3_S5_N6thrust23THRUST_200600_302600_NS6detail15normal_iteratorINS8_7pointerItNS8_11hip_rocprim5par_tENS8_11use_defaultESE_EEEENSA_INSB_IlSD_SE_SE_EEEEZNS1_13binary_searchIS3_S5_PtSG_SI_NS1_21upper_bound_search_opENS9_16wrapped_functionINS8_6system6detail7generic6detail18binary_search_lessEbEEEE10hipError_tPvRmT1_T2_T3_mmT4_T5_P12ihipStream_tbEUlRKtE_EEST_SX_SY_mSZ_S12_bEUlT_E_NS1_11comp_targetILNS1_3genE2ELNS1_11target_archE906ELNS1_3gpuE6ELNS1_3repE0EEENS1_30default_config_static_selectorELNS0_4arch9wavefront6targetE1EEEvSW_,@function
_ZN7rocprim17ROCPRIM_400000_NS6detail17trampoline_kernelINS0_14default_configENS1_27upper_bound_config_selectorItlEEZNS1_14transform_implILb0ES3_S5_N6thrust23THRUST_200600_302600_NS6detail15normal_iteratorINS8_7pointerItNS8_11hip_rocprim5par_tENS8_11use_defaultESE_EEEENSA_INSB_IlSD_SE_SE_EEEEZNS1_13binary_searchIS3_S5_PtSG_SI_NS1_21upper_bound_search_opENS9_16wrapped_functionINS8_6system6detail7generic6detail18binary_search_lessEbEEEE10hipError_tPvRmT1_T2_T3_mmT4_T5_P12ihipStream_tbEUlRKtE_EEST_SX_SY_mSZ_S12_bEUlT_E_NS1_11comp_targetILNS1_3genE2ELNS1_11target_archE906ELNS1_3gpuE6ELNS1_3repE0EEENS1_30default_config_static_selectorELNS0_4arch9wavefront6targetE1EEEvSW_: ; @_ZN7rocprim17ROCPRIM_400000_NS6detail17trampoline_kernelINS0_14default_configENS1_27upper_bound_config_selectorItlEEZNS1_14transform_implILb0ES3_S5_N6thrust23THRUST_200600_302600_NS6detail15normal_iteratorINS8_7pointerItNS8_11hip_rocprim5par_tENS8_11use_defaultESE_EEEENSA_INSB_IlSD_SE_SE_EEEEZNS1_13binary_searchIS3_S5_PtSG_SI_NS1_21upper_bound_search_opENS9_16wrapped_functionINS8_6system6detail7generic6detail18binary_search_lessEbEEEE10hipError_tPvRmT1_T2_T3_mmT4_T5_P12ihipStream_tbEUlRKtE_EEST_SX_SY_mSZ_S12_bEUlT_E_NS1_11comp_targetILNS1_3genE2ELNS1_11target_archE906ELNS1_3gpuE6ELNS1_3repE0EEENS1_30default_config_static_selectorELNS0_4arch9wavefront6targetE1EEEvSW_
; %bb.0:
	s_load_dwordx8 s[8:15], s[4:5], 0x0
	s_load_dwordx4 s[16:19], s[4:5], 0x20
	s_load_dword s2, s[4:5], 0x38
	s_waitcnt lgkmcnt(0)
	s_lshl_b64 s[0:1], s[10:11], 1
	s_add_u32 s3, s8, s0
	s_addc_u32 s4, s9, s1
	s_lshl_b64 s[0:1], s[10:11], 3
	s_add_u32 s20, s14, s0
	s_addc_u32 s21, s15, s1
	s_lshl_b32 s8, s6, 10
	s_mov_b32 s9, 0
	s_add_i32 s2, s2, -1
	s_lshl_b64 s[0:1], s[8:9], 1
	s_add_u32 s13, s3, s0
	s_addc_u32 s14, s4, s1
	s_cmp_lg_u32 s6, s2
	s_cbranch_scc0 .LBB206_14
; %bb.1:
	v_lshlrev_b32_e32 v1, 1, v0
	v_mov_b32_e32 v2, s14
	v_add_co_u32_e32 v1, vcc, s13, v1
	v_addc_co_u32_e32 v2, vcc, 0, v2, vcc
	flat_load_ushort v7, v[1:2] offset:512
	flat_load_ushort v9, v[1:2] offset:1024
	;; [unrolled: 1-line block ×3, first 2 shown]
	s_cmp_lg_u64 s[18:19], 0
	s_cselect_b64 s[2:3], -1, 0
	s_cmp_eq_u64 s[18:19], 0
	s_mov_b64 s[0:1], 0
	s_cbranch_scc1 .LBB206_15
; %bb.2:
	flat_load_ushort v5, v[1:2]
	v_mov_b32_e32 v1, 0
	v_mov_b32_e32 v3, s18
	;; [unrolled: 1-line block ×5, first 2 shown]
.LBB206_3:                              ; =>This Inner Loop Header: Depth=1
	v_sub_co_u32_e32 v12, vcc, v3, v1
	v_subb_co_u32_e32 v13, vcc, v4, v2, vcc
	v_lshrrev_b64 v[14:15], 1, v[12:13]
	v_lshrrev_b64 v[12:13], 6, v[12:13]
	v_add_co_u32_e32 v8, vcc, v14, v1
	v_addc_co_u32_e32 v10, vcc, v15, v2, vcc
	v_add_co_u32_e32 v12, vcc, v8, v12
	v_addc_co_u32_e32 v13, vcc, v10, v13, vcc
	v_lshlrev_b64 v[14:15], 1, v[12:13]
	v_add_co_u32_e32 v14, vcc, s16, v14
	v_addc_co_u32_e32 v15, vcc, v6, v15, vcc
	global_load_ushort v8, v[14:15], off
	v_add_co_u32_e32 v10, vcc, 1, v12
	v_addc_co_u32_e32 v14, vcc, 0, v13, vcc
	s_waitcnt vmcnt(0) lgkmcnt(0)
	v_cmp_lt_u16_e32 vcc, v5, v8
	v_cndmask_b32_e32 v4, v4, v13, vcc
	v_cndmask_b32_e32 v3, v3, v12, vcc
	;; [unrolled: 1-line block ×4, first 2 shown]
	v_cmp_ge_u64_e32 vcc, v[1:2], v[3:4]
	s_or_b64 s[0:1], vcc, s[0:1]
	s_andn2_b64 exec, exec, s[0:1]
	s_cbranch_execnz .LBB206_3
; %bb.4:
	s_or_b64 exec, exec, s[0:1]
	v_cndmask_b32_e64 v3, 0, 1, s[2:3]
	v_cmp_ne_u32_e64 s[0:1], 1, v3
	s_andn2_b64 vcc, exec, s[2:3]
	s_cbranch_vccnz .LBB206_16
.LBB206_5:
	v_mov_b32_e32 v3, 0
	v_mov_b32_e32 v5, s18
	s_mov_b64 s[2:3], 0
	v_mov_b32_e32 v4, 0
	v_mov_b32_e32 v6, s19
	;; [unrolled: 1-line block ×3, first 2 shown]
.LBB206_6:                              ; =>This Inner Loop Header: Depth=1
	v_sub_co_u32_e32 v12, vcc, v5, v3
	v_subb_co_u32_e32 v13, vcc, v6, v4, vcc
	v_lshrrev_b64 v[14:15], 1, v[12:13]
	v_lshrrev_b64 v[12:13], 6, v[12:13]
	v_add_co_u32_e32 v10, vcc, v14, v3
	v_addc_co_u32_e32 v14, vcc, v15, v4, vcc
	v_add_co_u32_e32 v12, vcc, v10, v12
	v_addc_co_u32_e32 v13, vcc, v14, v13, vcc
	v_lshlrev_b64 v[14:15], 1, v[12:13]
	v_add_co_u32_e32 v14, vcc, s16, v14
	v_addc_co_u32_e32 v15, vcc, v8, v15, vcc
	global_load_ushort v10, v[14:15], off
	v_add_co_u32_e32 v14, vcc, 1, v12
	v_addc_co_u32_e32 v15, vcc, 0, v13, vcc
	s_waitcnt vmcnt(0) lgkmcnt(0)
	v_cmp_lt_u16_e32 vcc, v7, v10
	v_cndmask_b32_e32 v6, v6, v13, vcc
	v_cndmask_b32_e32 v5, v5, v12, vcc
	;; [unrolled: 1-line block ×4, first 2 shown]
	v_cmp_ge_u64_e32 vcc, v[3:4], v[5:6]
	s_or_b64 s[2:3], vcc, s[2:3]
	s_andn2_b64 exec, exec, s[2:3]
	s_cbranch_execnz .LBB206_6
; %bb.7:
	s_or_b64 exec, exec, s[2:3]
	s_and_b64 vcc, exec, s[0:1]
	s_cbranch_vccnz .LBB206_17
.LBB206_8:
	v_mov_b32_e32 v5, 0
	s_waitcnt vmcnt(0) lgkmcnt(0)
	v_mov_b32_e32 v7, s18
	s_mov_b64 s[2:3], 0
	v_mov_b32_e32 v6, 0
	v_mov_b32_e32 v8, s19
	;; [unrolled: 1-line block ×3, first 2 shown]
.LBB206_9:                              ; =>This Inner Loop Header: Depth=1
	v_sub_co_u32_e32 v12, vcc, v7, v5
	v_subb_co_u32_e32 v13, vcc, v8, v6, vcc
	v_lshrrev_b64 v[14:15], 1, v[12:13]
	v_lshrrev_b64 v[12:13], 6, v[12:13]
	v_add_co_u32_e32 v14, vcc, v14, v5
	v_addc_co_u32_e32 v15, vcc, v15, v6, vcc
	v_add_co_u32_e32 v12, vcc, v14, v12
	v_addc_co_u32_e32 v13, vcc, v15, v13, vcc
	v_lshlrev_b64 v[14:15], 1, v[12:13]
	v_add_co_u32_e32 v14, vcc, s16, v14
	v_addc_co_u32_e32 v15, vcc, v10, v15, vcc
	global_load_ushort v14, v[14:15], off
	v_add_co_u32_e32 v15, vcc, 1, v12
	v_addc_co_u32_e32 v16, vcc, 0, v13, vcc
	s_waitcnt vmcnt(0)
	v_cmp_lt_u16_e32 vcc, v9, v14
	v_cndmask_b32_e32 v8, v8, v13, vcc
	v_cndmask_b32_e32 v7, v7, v12, vcc
	;; [unrolled: 1-line block ×4, first 2 shown]
	v_cmp_ge_u64_e32 vcc, v[5:6], v[7:8]
	s_or_b64 s[2:3], vcc, s[2:3]
	s_andn2_b64 exec, exec, s[2:3]
	s_cbranch_execnz .LBB206_9
; %bb.10:
	s_or_b64 exec, exec, s[2:3]
	s_and_b64 vcc, exec, s[0:1]
	s_cbranch_vccnz .LBB206_18
.LBB206_11:
	s_waitcnt vmcnt(0) lgkmcnt(0)
	v_mov_b32_e32 v7, 0
	v_mov_b32_e32 v9, s18
	s_mov_b64 s[0:1], 0
	v_mov_b32_e32 v8, 0
	v_mov_b32_e32 v10, s19
	;; [unrolled: 1-line block ×3, first 2 shown]
.LBB206_12:                             ; =>This Inner Loop Header: Depth=1
	v_sub_co_u32_e32 v13, vcc, v9, v7
	v_subb_co_u32_e32 v14, vcc, v10, v8, vcc
	v_lshrrev_b64 v[15:16], 1, v[13:14]
	v_lshrrev_b64 v[13:14], 6, v[13:14]
	v_add_co_u32_e32 v15, vcc, v15, v7
	v_addc_co_u32_e32 v16, vcc, v16, v8, vcc
	v_add_co_u32_e32 v13, vcc, v15, v13
	v_addc_co_u32_e32 v14, vcc, v16, v14, vcc
	v_lshlrev_b64 v[15:16], 1, v[13:14]
	v_add_co_u32_e32 v15, vcc, s16, v15
	v_addc_co_u32_e32 v16, vcc, v12, v16, vcc
	global_load_ushort v15, v[15:16], off
	v_add_co_u32_e32 v16, vcc, 1, v13
	v_addc_co_u32_e32 v17, vcc, 0, v14, vcc
	s_waitcnt vmcnt(0)
	v_cmp_lt_u16_e32 vcc, v11, v15
	v_cndmask_b32_e32 v10, v10, v14, vcc
	v_cndmask_b32_e32 v9, v9, v13, vcc
	;; [unrolled: 1-line block ×4, first 2 shown]
	v_cmp_ge_u64_e32 vcc, v[7:8], v[9:10]
	s_or_b64 s[0:1], vcc, s[0:1]
	s_andn2_b64 exec, exec, s[0:1]
	s_cbranch_execnz .LBB206_12
; %bb.13:
	s_or_b64 exec, exec, s[0:1]
	s_branch .LBB206_19
.LBB206_14:
	s_mov_b64 s[6:7], 0
                                        ; implicit-def: $vgpr7_vgpr8
                                        ; implicit-def: $vgpr11_vgpr12
	s_cbranch_execnz .LBB206_20
	s_branch .LBB206_59
.LBB206_15:
	v_mov_b32_e32 v1, 0
	v_mov_b32_e32 v2, 0
	v_cndmask_b32_e64 v3, 0, 1, s[2:3]
	v_cmp_ne_u32_e64 s[0:1], 1, v3
	s_andn2_b64 vcc, exec, s[2:3]
	s_cbranch_vccz .LBB206_5
.LBB206_16:
	v_mov_b32_e32 v3, 0
	v_mov_b32_e32 v4, 0
	s_and_b64 vcc, exec, s[0:1]
	s_cbranch_vccz .LBB206_8
.LBB206_17:
	v_mov_b32_e32 v5, 0
	v_mov_b32_e32 v6, 0
	s_and_b64 vcc, exec, s[0:1]
	s_cbranch_vccz .LBB206_11
.LBB206_18:
	s_waitcnt vmcnt(0) lgkmcnt(0)
	v_mov_b32_e32 v7, 0
	v_mov_b32_e32 v8, 0
.LBB206_19:
	s_lshl_b64 s[0:1], s[8:9], 3
	s_add_u32 s0, s20, s0
	s_addc_u32 s1, s21, s1
	v_lshlrev_b32_e32 v9, 3, v0
	v_mov_b32_e32 v10, s1
	v_add_co_u32_e32 v11, vcc, s0, v9
	v_addc_co_u32_e32 v12, vcc, 0, v10, vcc
	flat_store_dwordx2 v[11:12], v[1:2]
	flat_store_dwordx2 v[11:12], v[3:4] offset:2048
	v_add_co_u32_e32 v1, vcc, 0x1000, v11
	v_addc_co_u32_e32 v2, vcc, 0, v12, vcc
	flat_store_dwordx2 v[1:2], v[5:6]
	s_mov_b64 s[6:7], -1
	s_branch .LBB206_59
.LBB206_20:
	s_sub_i32 s10, s12, s8
	v_mov_b32_e32 v1, 0
	v_cmp_gt_u32_e64 s[0:1], s10, v0
	v_mov_b32_e32 v2, v1
	s_and_saveexec_b64 s[2:3], s[0:1]
	s_cbranch_execz .LBB206_22
; %bb.21:
	v_lshlrev_b32_e32 v2, 1, v0
	v_mov_b32_e32 v3, s14
	v_add_co_u32_e32 v2, vcc, s13, v2
	v_addc_co_u32_e32 v3, vcc, 0, v3, vcc
	flat_load_ushort v2, v[2:3]
	v_mov_b32_e32 v3, v1
	s_waitcnt vmcnt(0) lgkmcnt(0)
	v_and_b32_e32 v2, 0xffff, v2
	v_mov_b32_e32 v1, v2
	v_mov_b32_e32 v2, v3
.LBB206_22:
	s_or_b64 exec, exec, s[2:3]
	v_or_b32_e32 v3, 0x100, v0
	v_cmp_gt_u32_e64 s[2:3], s10, v3
	s_and_saveexec_b64 s[4:5], s[2:3]
	s_cbranch_execz .LBB206_24
; %bb.23:
	v_lshlrev_b32_e32 v3, 1, v0
	v_mov_b32_e32 v4, s14
	v_add_co_u32_e32 v3, vcc, s13, v3
	v_addc_co_u32_e32 v4, vcc, 0, v4, vcc
	flat_load_ushort v3, v[3:4] offset:512
	s_mov_b32 s6, 0x5040100
	s_waitcnt vmcnt(0) lgkmcnt(0)
	v_perm_b32 v1, v3, v1, s6
.LBB206_24:
	s_or_b64 exec, exec, s[4:5]
	v_or_b32_e32 v3, 0x200, v0
	v_cmp_gt_u32_e64 s[4:5], s10, v3
	s_and_saveexec_b64 s[6:7], s[4:5]
	s_cbranch_execz .LBB206_26
; %bb.25:
	v_lshlrev_b32_e32 v3, 1, v0
	v_mov_b32_e32 v4, s14
	v_add_co_u32_e32 v3, vcc, s13, v3
	v_addc_co_u32_e32 v4, vcc, 0, v4, vcc
	flat_load_ushort v3, v[3:4] offset:1024
	s_mov_b32 s11, 0xffff
	s_waitcnt vmcnt(0) lgkmcnt(0)
	v_bfi_b32 v2, s11, v3, v2
.LBB206_26:
	s_or_b64 exec, exec, s[6:7]
	v_or_b32_e32 v3, 0x300, v0
	v_cmp_gt_u32_e64 s[6:7], s10, v3
	s_and_saveexec_b64 s[10:11], s[6:7]
	s_cbranch_execz .LBB206_28
; %bb.27:
	v_lshlrev_b32_e32 v3, 1, v0
	v_mov_b32_e32 v4, s14
	v_add_co_u32_e32 v3, vcc, s13, v3
	v_addc_co_u32_e32 v4, vcc, 0, v4, vcc
	flat_load_ushort v3, v[3:4] offset:1536
	s_mov_b32 s12, 0x5040100
	s_waitcnt vmcnt(0) lgkmcnt(0)
	v_perm_b32 v2, v3, v2, s12
.LBB206_28:
	s_or_b64 exec, exec, s[10:11]
	s_cmp_lg_u64 s[18:19], 0
	s_cselect_b64 s[10:11], -1, 0
                                        ; implicit-def: $vgpr3_vgpr4
	s_and_saveexec_b64 s[12:13], s[0:1]
	s_cbranch_execnz .LBB206_32
; %bb.29:
	s_or_b64 exec, exec, s[12:13]
                                        ; implicit-def: $vgpr5_vgpr6
	s_and_saveexec_b64 s[12:13], s[2:3]
	s_cbranch_execnz .LBB206_37
.LBB206_30:
	s_or_b64 exec, exec, s[12:13]
                                        ; implicit-def: $vgpr9_vgpr10
	s_and_saveexec_b64 s[12:13], s[4:5]
	s_cbranch_execnz .LBB206_42
.LBB206_31:
	s_or_b64 exec, exec, s[12:13]
                                        ; implicit-def: $vgpr7_vgpr8
	s_and_saveexec_b64 s[12:13], s[6:7]
	s_cbranch_execnz .LBB206_47
	s_branch .LBB206_52
.LBB206_32:
	s_andn2_b64 vcc, exec, s[10:11]
	s_cbranch_vccnz .LBB206_36
; %bb.33:
	v_mov_b32_e32 v3, 0
	v_mov_b32_e32 v5, s18
	s_mov_b64 s[14:15], 0
	v_mov_b32_e32 v4, 0
	v_mov_b32_e32 v6, s19
	;; [unrolled: 1-line block ×3, first 2 shown]
.LBB206_34:                             ; =>This Inner Loop Header: Depth=1
	v_sub_co_u32_e32 v8, vcc, v5, v3
	v_subb_co_u32_e32 v9, vcc, v6, v4, vcc
	v_lshrrev_b64 v[10:11], 1, v[8:9]
	v_lshrrev_b64 v[8:9], 6, v[8:9]
	v_add_co_u32_e32 v10, vcc, v10, v3
	v_addc_co_u32_e32 v11, vcc, v11, v4, vcc
	v_add_co_u32_e32 v8, vcc, v10, v8
	v_addc_co_u32_e32 v9, vcc, v11, v9, vcc
	v_lshlrev_b64 v[10:11], 1, v[8:9]
	v_add_co_u32_e32 v10, vcc, s16, v10
	v_addc_co_u32_e32 v11, vcc, v7, v11, vcc
	global_load_ushort v10, v[10:11], off
	v_add_co_u32_e32 v11, vcc, 1, v8
	v_addc_co_u32_e32 v12, vcc, 0, v9, vcc
	s_waitcnt vmcnt(0)
	v_cmp_lt_u16_e32 vcc, v1, v10
	v_cndmask_b32_e32 v6, v6, v9, vcc
	v_cndmask_b32_e32 v5, v5, v8, vcc
	;; [unrolled: 1-line block ×4, first 2 shown]
	v_cmp_ge_u64_e32 vcc, v[3:4], v[5:6]
	s_or_b64 s[14:15], vcc, s[14:15]
	s_andn2_b64 exec, exec, s[14:15]
	s_cbranch_execnz .LBB206_34
; %bb.35:
	s_or_b64 exec, exec, s[14:15]
	s_or_b64 exec, exec, s[12:13]
                                        ; implicit-def: $vgpr5_vgpr6
	s_and_saveexec_b64 s[12:13], s[2:3]
	s_cbranch_execz .LBB206_30
	s_branch .LBB206_37
.LBB206_36:
	v_mov_b32_e32 v3, 0
	v_mov_b32_e32 v4, 0
	s_or_b64 exec, exec, s[12:13]
                                        ; implicit-def: $vgpr5_vgpr6
	s_and_saveexec_b64 s[12:13], s[2:3]
	s_cbranch_execz .LBB206_30
.LBB206_37:
	s_andn2_b64 vcc, exec, s[10:11]
	s_cbranch_vccnz .LBB206_41
; %bb.38:
	v_mov_b32_e32 v5, 0
	v_mov_b32_e32 v7, s18
	s_mov_b64 s[14:15], 0
	v_mov_b32_e32 v6, 0
	v_mov_b32_e32 v8, s19
	;; [unrolled: 1-line block ×3, first 2 shown]
.LBB206_39:                             ; =>This Inner Loop Header: Depth=1
	v_sub_co_u32_e32 v10, vcc, v7, v5
	v_subb_co_u32_e32 v11, vcc, v8, v6, vcc
	v_lshrrev_b64 v[12:13], 1, v[10:11]
	v_lshrrev_b64 v[10:11], 6, v[10:11]
	v_add_co_u32_e32 v12, vcc, v12, v5
	v_addc_co_u32_e32 v13, vcc, v13, v6, vcc
	v_add_co_u32_e32 v10, vcc, v12, v10
	v_addc_co_u32_e32 v11, vcc, v13, v11, vcc
	v_lshlrev_b64 v[12:13], 1, v[10:11]
	v_add_co_u32_e32 v12, vcc, s16, v12
	v_addc_co_u32_e32 v13, vcc, v9, v13, vcc
	global_load_ushort v12, v[12:13], off
	v_add_co_u32_e32 v13, vcc, 1, v10
	v_addc_co_u32_e32 v14, vcc, 0, v11, vcc
	s_waitcnt vmcnt(0)
	v_cmp_lt_u16_sdwa vcc, v1, v12 src0_sel:WORD_1 src1_sel:DWORD
	v_cndmask_b32_e32 v8, v8, v11, vcc
	v_cndmask_b32_e32 v7, v7, v10, vcc
	;; [unrolled: 1-line block ×4, first 2 shown]
	v_cmp_ge_u64_e32 vcc, v[5:6], v[7:8]
	s_or_b64 s[14:15], vcc, s[14:15]
	s_andn2_b64 exec, exec, s[14:15]
	s_cbranch_execnz .LBB206_39
; %bb.40:
	s_or_b64 exec, exec, s[14:15]
	s_or_b64 exec, exec, s[12:13]
                                        ; implicit-def: $vgpr9_vgpr10
	s_and_saveexec_b64 s[12:13], s[4:5]
	s_cbranch_execz .LBB206_31
	s_branch .LBB206_42
.LBB206_41:
	v_mov_b32_e32 v5, 0
	v_mov_b32_e32 v6, 0
	s_or_b64 exec, exec, s[12:13]
                                        ; implicit-def: $vgpr9_vgpr10
	s_and_saveexec_b64 s[12:13], s[4:5]
	s_cbranch_execz .LBB206_31
.LBB206_42:
	s_andn2_b64 vcc, exec, s[10:11]
	s_cbranch_vccnz .LBB206_46
; %bb.43:
	v_mov_b32_e32 v9, 0
	v_mov_b32_e32 v7, s18
	s_mov_b64 s[14:15], 0
	v_mov_b32_e32 v10, 0
	v_mov_b32_e32 v8, s19
	;; [unrolled: 1-line block ×3, first 2 shown]
.LBB206_44:                             ; =>This Inner Loop Header: Depth=1
	v_sub_co_u32_e32 v11, vcc, v7, v9
	v_subb_co_u32_e32 v12, vcc, v8, v10, vcc
	v_lshrrev_b64 v[13:14], 1, v[11:12]
	v_lshrrev_b64 v[11:12], 6, v[11:12]
	v_add_co_u32_e32 v13, vcc, v13, v9
	v_addc_co_u32_e32 v14, vcc, v14, v10, vcc
	v_add_co_u32_e32 v11, vcc, v13, v11
	v_addc_co_u32_e32 v12, vcc, v14, v12, vcc
	v_lshlrev_b64 v[13:14], 1, v[11:12]
	v_add_co_u32_e32 v13, vcc, s16, v13
	v_addc_co_u32_e32 v14, vcc, v1, v14, vcc
	global_load_ushort v13, v[13:14], off
	v_add_co_u32_e32 v14, vcc, 1, v11
	v_addc_co_u32_e32 v15, vcc, 0, v12, vcc
	s_waitcnt vmcnt(0)
	v_cmp_lt_u16_e32 vcc, v2, v13
	v_cndmask_b32_e32 v8, v8, v12, vcc
	v_cndmask_b32_e32 v7, v7, v11, vcc
	;; [unrolled: 1-line block ×4, first 2 shown]
	v_cmp_ge_u64_e32 vcc, v[9:10], v[7:8]
	s_or_b64 s[14:15], vcc, s[14:15]
	s_andn2_b64 exec, exec, s[14:15]
	s_cbranch_execnz .LBB206_44
; %bb.45:
	s_or_b64 exec, exec, s[14:15]
	s_or_b64 exec, exec, s[12:13]
                                        ; implicit-def: $vgpr7_vgpr8
	s_and_saveexec_b64 s[12:13], s[6:7]
	s_cbranch_execnz .LBB206_47
	s_branch .LBB206_52
.LBB206_46:
	v_mov_b32_e32 v9, 0
	v_mov_b32_e32 v10, 0
	s_or_b64 exec, exec, s[12:13]
                                        ; implicit-def: $vgpr7_vgpr8
	s_and_saveexec_b64 s[12:13], s[6:7]
	s_cbranch_execz .LBB206_52
.LBB206_47:
	s_andn2_b64 vcc, exec, s[10:11]
	s_cbranch_vccnz .LBB206_51
; %bb.48:
	v_mov_b32_e32 v7, 0
	v_mov_b32_e32 v11, s18
	s_mov_b64 s[10:11], 0
	v_mov_b32_e32 v8, 0
	v_mov_b32_e32 v12, s19
	;; [unrolled: 1-line block ×3, first 2 shown]
.LBB206_49:                             ; =>This Inner Loop Header: Depth=1
	v_sub_co_u32_e32 v13, vcc, v11, v7
	v_subb_co_u32_e32 v14, vcc, v12, v8, vcc
	v_lshrrev_b64 v[15:16], 1, v[13:14]
	v_lshrrev_b64 v[13:14], 6, v[13:14]
	v_add_co_u32_e32 v15, vcc, v15, v7
	v_addc_co_u32_e32 v16, vcc, v16, v8, vcc
	v_add_co_u32_e32 v13, vcc, v15, v13
	v_addc_co_u32_e32 v14, vcc, v16, v14, vcc
	v_lshlrev_b64 v[15:16], 1, v[13:14]
	v_add_co_u32_e32 v15, vcc, s16, v15
	v_addc_co_u32_e32 v16, vcc, v1, v16, vcc
	global_load_ushort v15, v[15:16], off
	v_add_co_u32_e32 v16, vcc, 1, v13
	v_addc_co_u32_e32 v17, vcc, 0, v14, vcc
	s_waitcnt vmcnt(0)
	v_cmp_lt_u16_sdwa vcc, v2, v15 src0_sel:WORD_1 src1_sel:DWORD
	v_cndmask_b32_e32 v12, v12, v14, vcc
	v_cndmask_b32_e32 v11, v11, v13, vcc
	v_cndmask_b32_e32 v8, v17, v8, vcc
	v_cndmask_b32_e32 v7, v16, v7, vcc
	v_cmp_ge_u64_e32 vcc, v[7:8], v[11:12]
	s_or_b64 s[10:11], vcc, s[10:11]
	s_andn2_b64 exec, exec, s[10:11]
	s_cbranch_execnz .LBB206_49
; %bb.50:
	s_or_b64 exec, exec, s[10:11]
	s_branch .LBB206_52
.LBB206_51:
	v_mov_b32_e32 v7, 0
	v_mov_b32_e32 v8, 0
.LBB206_52:
	s_or_b64 exec, exec, s[12:13]
	s_lshl_b64 s[8:9], s[8:9], 3
	s_add_u32 s8, s20, s8
	s_addc_u32 s9, s21, s9
	v_lshlrev_b32_e32 v0, 3, v0
	v_mov_b32_e32 v1, s9
	v_add_co_u32_e32 v11, vcc, s8, v0
	v_addc_co_u32_e32 v12, vcc, 0, v1, vcc
	s_and_saveexec_b64 s[8:9], s[0:1]
	s_xor_b64 s[0:1], exec, s[8:9]
	s_cbranch_execz .LBB206_54
; %bb.53:
	flat_store_dwordx2 v[11:12], v[3:4]
.LBB206_54:
	s_or_b64 exec, exec, s[0:1]
	s_and_saveexec_b64 s[0:1], s[2:3]
	s_cbranch_execz .LBB206_56
; %bb.55:
	flat_store_dwordx2 v[11:12], v[5:6] offset:2048
.LBB206_56:
	s_or_b64 exec, exec, s[0:1]
	s_and_saveexec_b64 s[0:1], s[4:5]
	s_cbranch_execz .LBB206_58
; %bb.57:
	v_add_co_u32_e32 v0, vcc, 0x1000, v11
	v_addc_co_u32_e32 v1, vcc, 0, v12, vcc
	flat_store_dwordx2 v[0:1], v[9:10]
.LBB206_58:
	s_or_b64 exec, exec, s[0:1]
.LBB206_59:
	s_and_saveexec_b64 s[0:1], s[6:7]
	s_cbranch_execnz .LBB206_61
; %bb.60:
	s_endpgm
.LBB206_61:
	v_add_co_u32_e32 v0, vcc, 0x1000, v11
	v_addc_co_u32_e32 v1, vcc, 0, v12, vcc
	flat_store_dwordx2 v[0:1], v[7:8] offset:2048
	s_endpgm
	.section	.rodata,"a",@progbits
	.p2align	6, 0x0
	.amdhsa_kernel _ZN7rocprim17ROCPRIM_400000_NS6detail17trampoline_kernelINS0_14default_configENS1_27upper_bound_config_selectorItlEEZNS1_14transform_implILb0ES3_S5_N6thrust23THRUST_200600_302600_NS6detail15normal_iteratorINS8_7pointerItNS8_11hip_rocprim5par_tENS8_11use_defaultESE_EEEENSA_INSB_IlSD_SE_SE_EEEEZNS1_13binary_searchIS3_S5_PtSG_SI_NS1_21upper_bound_search_opENS9_16wrapped_functionINS8_6system6detail7generic6detail18binary_search_lessEbEEEE10hipError_tPvRmT1_T2_T3_mmT4_T5_P12ihipStream_tbEUlRKtE_EEST_SX_SY_mSZ_S12_bEUlT_E_NS1_11comp_targetILNS1_3genE2ELNS1_11target_archE906ELNS1_3gpuE6ELNS1_3repE0EEENS1_30default_config_static_selectorELNS0_4arch9wavefront6targetE1EEEvSW_
		.amdhsa_group_segment_fixed_size 0
		.amdhsa_private_segment_fixed_size 0
		.amdhsa_kernarg_size 312
		.amdhsa_user_sgpr_count 6
		.amdhsa_user_sgpr_private_segment_buffer 1
		.amdhsa_user_sgpr_dispatch_ptr 0
		.amdhsa_user_sgpr_queue_ptr 0
		.amdhsa_user_sgpr_kernarg_segment_ptr 1
		.amdhsa_user_sgpr_dispatch_id 0
		.amdhsa_user_sgpr_flat_scratch_init 0
		.amdhsa_user_sgpr_private_segment_size 0
		.amdhsa_uses_dynamic_stack 0
		.amdhsa_system_sgpr_private_segment_wavefront_offset 0
		.amdhsa_system_sgpr_workgroup_id_x 1
		.amdhsa_system_sgpr_workgroup_id_y 0
		.amdhsa_system_sgpr_workgroup_id_z 0
		.amdhsa_system_sgpr_workgroup_info 0
		.amdhsa_system_vgpr_workitem_id 0
		.amdhsa_next_free_vgpr 18
		.amdhsa_next_free_sgpr 22
		.amdhsa_reserve_vcc 1
		.amdhsa_reserve_flat_scratch 0
		.amdhsa_float_round_mode_32 0
		.amdhsa_float_round_mode_16_64 0
		.amdhsa_float_denorm_mode_32 3
		.amdhsa_float_denorm_mode_16_64 3
		.amdhsa_dx10_clamp 1
		.amdhsa_ieee_mode 1
		.amdhsa_fp16_overflow 0
		.amdhsa_exception_fp_ieee_invalid_op 0
		.amdhsa_exception_fp_denorm_src 0
		.amdhsa_exception_fp_ieee_div_zero 0
		.amdhsa_exception_fp_ieee_overflow 0
		.amdhsa_exception_fp_ieee_underflow 0
		.amdhsa_exception_fp_ieee_inexact 0
		.amdhsa_exception_int_div_zero 0
	.end_amdhsa_kernel
	.section	.text._ZN7rocprim17ROCPRIM_400000_NS6detail17trampoline_kernelINS0_14default_configENS1_27upper_bound_config_selectorItlEEZNS1_14transform_implILb0ES3_S5_N6thrust23THRUST_200600_302600_NS6detail15normal_iteratorINS8_7pointerItNS8_11hip_rocprim5par_tENS8_11use_defaultESE_EEEENSA_INSB_IlSD_SE_SE_EEEEZNS1_13binary_searchIS3_S5_PtSG_SI_NS1_21upper_bound_search_opENS9_16wrapped_functionINS8_6system6detail7generic6detail18binary_search_lessEbEEEE10hipError_tPvRmT1_T2_T3_mmT4_T5_P12ihipStream_tbEUlRKtE_EEST_SX_SY_mSZ_S12_bEUlT_E_NS1_11comp_targetILNS1_3genE2ELNS1_11target_archE906ELNS1_3gpuE6ELNS1_3repE0EEENS1_30default_config_static_selectorELNS0_4arch9wavefront6targetE1EEEvSW_,"axG",@progbits,_ZN7rocprim17ROCPRIM_400000_NS6detail17trampoline_kernelINS0_14default_configENS1_27upper_bound_config_selectorItlEEZNS1_14transform_implILb0ES3_S5_N6thrust23THRUST_200600_302600_NS6detail15normal_iteratorINS8_7pointerItNS8_11hip_rocprim5par_tENS8_11use_defaultESE_EEEENSA_INSB_IlSD_SE_SE_EEEEZNS1_13binary_searchIS3_S5_PtSG_SI_NS1_21upper_bound_search_opENS9_16wrapped_functionINS8_6system6detail7generic6detail18binary_search_lessEbEEEE10hipError_tPvRmT1_T2_T3_mmT4_T5_P12ihipStream_tbEUlRKtE_EEST_SX_SY_mSZ_S12_bEUlT_E_NS1_11comp_targetILNS1_3genE2ELNS1_11target_archE906ELNS1_3gpuE6ELNS1_3repE0EEENS1_30default_config_static_selectorELNS0_4arch9wavefront6targetE1EEEvSW_,comdat
.Lfunc_end206:
	.size	_ZN7rocprim17ROCPRIM_400000_NS6detail17trampoline_kernelINS0_14default_configENS1_27upper_bound_config_selectorItlEEZNS1_14transform_implILb0ES3_S5_N6thrust23THRUST_200600_302600_NS6detail15normal_iteratorINS8_7pointerItNS8_11hip_rocprim5par_tENS8_11use_defaultESE_EEEENSA_INSB_IlSD_SE_SE_EEEEZNS1_13binary_searchIS3_S5_PtSG_SI_NS1_21upper_bound_search_opENS9_16wrapped_functionINS8_6system6detail7generic6detail18binary_search_lessEbEEEE10hipError_tPvRmT1_T2_T3_mmT4_T5_P12ihipStream_tbEUlRKtE_EEST_SX_SY_mSZ_S12_bEUlT_E_NS1_11comp_targetILNS1_3genE2ELNS1_11target_archE906ELNS1_3gpuE6ELNS1_3repE0EEENS1_30default_config_static_selectorELNS0_4arch9wavefront6targetE1EEEvSW_, .Lfunc_end206-_ZN7rocprim17ROCPRIM_400000_NS6detail17trampoline_kernelINS0_14default_configENS1_27upper_bound_config_selectorItlEEZNS1_14transform_implILb0ES3_S5_N6thrust23THRUST_200600_302600_NS6detail15normal_iteratorINS8_7pointerItNS8_11hip_rocprim5par_tENS8_11use_defaultESE_EEEENSA_INSB_IlSD_SE_SE_EEEEZNS1_13binary_searchIS3_S5_PtSG_SI_NS1_21upper_bound_search_opENS9_16wrapped_functionINS8_6system6detail7generic6detail18binary_search_lessEbEEEE10hipError_tPvRmT1_T2_T3_mmT4_T5_P12ihipStream_tbEUlRKtE_EEST_SX_SY_mSZ_S12_bEUlT_E_NS1_11comp_targetILNS1_3genE2ELNS1_11target_archE906ELNS1_3gpuE6ELNS1_3repE0EEENS1_30default_config_static_selectorELNS0_4arch9wavefront6targetE1EEEvSW_
                                        ; -- End function
	.set _ZN7rocprim17ROCPRIM_400000_NS6detail17trampoline_kernelINS0_14default_configENS1_27upper_bound_config_selectorItlEEZNS1_14transform_implILb0ES3_S5_N6thrust23THRUST_200600_302600_NS6detail15normal_iteratorINS8_7pointerItNS8_11hip_rocprim5par_tENS8_11use_defaultESE_EEEENSA_INSB_IlSD_SE_SE_EEEEZNS1_13binary_searchIS3_S5_PtSG_SI_NS1_21upper_bound_search_opENS9_16wrapped_functionINS8_6system6detail7generic6detail18binary_search_lessEbEEEE10hipError_tPvRmT1_T2_T3_mmT4_T5_P12ihipStream_tbEUlRKtE_EEST_SX_SY_mSZ_S12_bEUlT_E_NS1_11comp_targetILNS1_3genE2ELNS1_11target_archE906ELNS1_3gpuE6ELNS1_3repE0EEENS1_30default_config_static_selectorELNS0_4arch9wavefront6targetE1EEEvSW_.num_vgpr, 18
	.set _ZN7rocprim17ROCPRIM_400000_NS6detail17trampoline_kernelINS0_14default_configENS1_27upper_bound_config_selectorItlEEZNS1_14transform_implILb0ES3_S5_N6thrust23THRUST_200600_302600_NS6detail15normal_iteratorINS8_7pointerItNS8_11hip_rocprim5par_tENS8_11use_defaultESE_EEEENSA_INSB_IlSD_SE_SE_EEEEZNS1_13binary_searchIS3_S5_PtSG_SI_NS1_21upper_bound_search_opENS9_16wrapped_functionINS8_6system6detail7generic6detail18binary_search_lessEbEEEE10hipError_tPvRmT1_T2_T3_mmT4_T5_P12ihipStream_tbEUlRKtE_EEST_SX_SY_mSZ_S12_bEUlT_E_NS1_11comp_targetILNS1_3genE2ELNS1_11target_archE906ELNS1_3gpuE6ELNS1_3repE0EEENS1_30default_config_static_selectorELNS0_4arch9wavefront6targetE1EEEvSW_.num_agpr, 0
	.set _ZN7rocprim17ROCPRIM_400000_NS6detail17trampoline_kernelINS0_14default_configENS1_27upper_bound_config_selectorItlEEZNS1_14transform_implILb0ES3_S5_N6thrust23THRUST_200600_302600_NS6detail15normal_iteratorINS8_7pointerItNS8_11hip_rocprim5par_tENS8_11use_defaultESE_EEEENSA_INSB_IlSD_SE_SE_EEEEZNS1_13binary_searchIS3_S5_PtSG_SI_NS1_21upper_bound_search_opENS9_16wrapped_functionINS8_6system6detail7generic6detail18binary_search_lessEbEEEE10hipError_tPvRmT1_T2_T3_mmT4_T5_P12ihipStream_tbEUlRKtE_EEST_SX_SY_mSZ_S12_bEUlT_E_NS1_11comp_targetILNS1_3genE2ELNS1_11target_archE906ELNS1_3gpuE6ELNS1_3repE0EEENS1_30default_config_static_selectorELNS0_4arch9wavefront6targetE1EEEvSW_.numbered_sgpr, 22
	.set _ZN7rocprim17ROCPRIM_400000_NS6detail17trampoline_kernelINS0_14default_configENS1_27upper_bound_config_selectorItlEEZNS1_14transform_implILb0ES3_S5_N6thrust23THRUST_200600_302600_NS6detail15normal_iteratorINS8_7pointerItNS8_11hip_rocprim5par_tENS8_11use_defaultESE_EEEENSA_INSB_IlSD_SE_SE_EEEEZNS1_13binary_searchIS3_S5_PtSG_SI_NS1_21upper_bound_search_opENS9_16wrapped_functionINS8_6system6detail7generic6detail18binary_search_lessEbEEEE10hipError_tPvRmT1_T2_T3_mmT4_T5_P12ihipStream_tbEUlRKtE_EEST_SX_SY_mSZ_S12_bEUlT_E_NS1_11comp_targetILNS1_3genE2ELNS1_11target_archE906ELNS1_3gpuE6ELNS1_3repE0EEENS1_30default_config_static_selectorELNS0_4arch9wavefront6targetE1EEEvSW_.num_named_barrier, 0
	.set _ZN7rocprim17ROCPRIM_400000_NS6detail17trampoline_kernelINS0_14default_configENS1_27upper_bound_config_selectorItlEEZNS1_14transform_implILb0ES3_S5_N6thrust23THRUST_200600_302600_NS6detail15normal_iteratorINS8_7pointerItNS8_11hip_rocprim5par_tENS8_11use_defaultESE_EEEENSA_INSB_IlSD_SE_SE_EEEEZNS1_13binary_searchIS3_S5_PtSG_SI_NS1_21upper_bound_search_opENS9_16wrapped_functionINS8_6system6detail7generic6detail18binary_search_lessEbEEEE10hipError_tPvRmT1_T2_T3_mmT4_T5_P12ihipStream_tbEUlRKtE_EEST_SX_SY_mSZ_S12_bEUlT_E_NS1_11comp_targetILNS1_3genE2ELNS1_11target_archE906ELNS1_3gpuE6ELNS1_3repE0EEENS1_30default_config_static_selectorELNS0_4arch9wavefront6targetE1EEEvSW_.private_seg_size, 0
	.set _ZN7rocprim17ROCPRIM_400000_NS6detail17trampoline_kernelINS0_14default_configENS1_27upper_bound_config_selectorItlEEZNS1_14transform_implILb0ES3_S5_N6thrust23THRUST_200600_302600_NS6detail15normal_iteratorINS8_7pointerItNS8_11hip_rocprim5par_tENS8_11use_defaultESE_EEEENSA_INSB_IlSD_SE_SE_EEEEZNS1_13binary_searchIS3_S5_PtSG_SI_NS1_21upper_bound_search_opENS9_16wrapped_functionINS8_6system6detail7generic6detail18binary_search_lessEbEEEE10hipError_tPvRmT1_T2_T3_mmT4_T5_P12ihipStream_tbEUlRKtE_EEST_SX_SY_mSZ_S12_bEUlT_E_NS1_11comp_targetILNS1_3genE2ELNS1_11target_archE906ELNS1_3gpuE6ELNS1_3repE0EEENS1_30default_config_static_selectorELNS0_4arch9wavefront6targetE1EEEvSW_.uses_vcc, 1
	.set _ZN7rocprim17ROCPRIM_400000_NS6detail17trampoline_kernelINS0_14default_configENS1_27upper_bound_config_selectorItlEEZNS1_14transform_implILb0ES3_S5_N6thrust23THRUST_200600_302600_NS6detail15normal_iteratorINS8_7pointerItNS8_11hip_rocprim5par_tENS8_11use_defaultESE_EEEENSA_INSB_IlSD_SE_SE_EEEEZNS1_13binary_searchIS3_S5_PtSG_SI_NS1_21upper_bound_search_opENS9_16wrapped_functionINS8_6system6detail7generic6detail18binary_search_lessEbEEEE10hipError_tPvRmT1_T2_T3_mmT4_T5_P12ihipStream_tbEUlRKtE_EEST_SX_SY_mSZ_S12_bEUlT_E_NS1_11comp_targetILNS1_3genE2ELNS1_11target_archE906ELNS1_3gpuE6ELNS1_3repE0EEENS1_30default_config_static_selectorELNS0_4arch9wavefront6targetE1EEEvSW_.uses_flat_scratch, 0
	.set _ZN7rocprim17ROCPRIM_400000_NS6detail17trampoline_kernelINS0_14default_configENS1_27upper_bound_config_selectorItlEEZNS1_14transform_implILb0ES3_S5_N6thrust23THRUST_200600_302600_NS6detail15normal_iteratorINS8_7pointerItNS8_11hip_rocprim5par_tENS8_11use_defaultESE_EEEENSA_INSB_IlSD_SE_SE_EEEEZNS1_13binary_searchIS3_S5_PtSG_SI_NS1_21upper_bound_search_opENS9_16wrapped_functionINS8_6system6detail7generic6detail18binary_search_lessEbEEEE10hipError_tPvRmT1_T2_T3_mmT4_T5_P12ihipStream_tbEUlRKtE_EEST_SX_SY_mSZ_S12_bEUlT_E_NS1_11comp_targetILNS1_3genE2ELNS1_11target_archE906ELNS1_3gpuE6ELNS1_3repE0EEENS1_30default_config_static_selectorELNS0_4arch9wavefront6targetE1EEEvSW_.has_dyn_sized_stack, 0
	.set _ZN7rocprim17ROCPRIM_400000_NS6detail17trampoline_kernelINS0_14default_configENS1_27upper_bound_config_selectorItlEEZNS1_14transform_implILb0ES3_S5_N6thrust23THRUST_200600_302600_NS6detail15normal_iteratorINS8_7pointerItNS8_11hip_rocprim5par_tENS8_11use_defaultESE_EEEENSA_INSB_IlSD_SE_SE_EEEEZNS1_13binary_searchIS3_S5_PtSG_SI_NS1_21upper_bound_search_opENS9_16wrapped_functionINS8_6system6detail7generic6detail18binary_search_lessEbEEEE10hipError_tPvRmT1_T2_T3_mmT4_T5_P12ihipStream_tbEUlRKtE_EEST_SX_SY_mSZ_S12_bEUlT_E_NS1_11comp_targetILNS1_3genE2ELNS1_11target_archE906ELNS1_3gpuE6ELNS1_3repE0EEENS1_30default_config_static_selectorELNS0_4arch9wavefront6targetE1EEEvSW_.has_recursion, 0
	.set _ZN7rocprim17ROCPRIM_400000_NS6detail17trampoline_kernelINS0_14default_configENS1_27upper_bound_config_selectorItlEEZNS1_14transform_implILb0ES3_S5_N6thrust23THRUST_200600_302600_NS6detail15normal_iteratorINS8_7pointerItNS8_11hip_rocprim5par_tENS8_11use_defaultESE_EEEENSA_INSB_IlSD_SE_SE_EEEEZNS1_13binary_searchIS3_S5_PtSG_SI_NS1_21upper_bound_search_opENS9_16wrapped_functionINS8_6system6detail7generic6detail18binary_search_lessEbEEEE10hipError_tPvRmT1_T2_T3_mmT4_T5_P12ihipStream_tbEUlRKtE_EEST_SX_SY_mSZ_S12_bEUlT_E_NS1_11comp_targetILNS1_3genE2ELNS1_11target_archE906ELNS1_3gpuE6ELNS1_3repE0EEENS1_30default_config_static_selectorELNS0_4arch9wavefront6targetE1EEEvSW_.has_indirect_call, 0
	.section	.AMDGPU.csdata,"",@progbits
; Kernel info:
; codeLenInByte = 2136
; TotalNumSgprs: 26
; NumVgprs: 18
; ScratchSize: 0
; MemoryBound: 0
; FloatMode: 240
; IeeeMode: 1
; LDSByteSize: 0 bytes/workgroup (compile time only)
; SGPRBlocks: 3
; VGPRBlocks: 4
; NumSGPRsForWavesPerEU: 26
; NumVGPRsForWavesPerEU: 18
; Occupancy: 10
; WaveLimiterHint : 1
; COMPUTE_PGM_RSRC2:SCRATCH_EN: 0
; COMPUTE_PGM_RSRC2:USER_SGPR: 6
; COMPUTE_PGM_RSRC2:TRAP_HANDLER: 0
; COMPUTE_PGM_RSRC2:TGID_X_EN: 1
; COMPUTE_PGM_RSRC2:TGID_Y_EN: 0
; COMPUTE_PGM_RSRC2:TGID_Z_EN: 0
; COMPUTE_PGM_RSRC2:TIDIG_COMP_CNT: 0
	.section	.text._ZN7rocprim17ROCPRIM_400000_NS6detail17trampoline_kernelINS0_14default_configENS1_27upper_bound_config_selectorItlEEZNS1_14transform_implILb0ES3_S5_N6thrust23THRUST_200600_302600_NS6detail15normal_iteratorINS8_7pointerItNS8_11hip_rocprim5par_tENS8_11use_defaultESE_EEEENSA_INSB_IlSD_SE_SE_EEEEZNS1_13binary_searchIS3_S5_PtSG_SI_NS1_21upper_bound_search_opENS9_16wrapped_functionINS8_6system6detail7generic6detail18binary_search_lessEbEEEE10hipError_tPvRmT1_T2_T3_mmT4_T5_P12ihipStream_tbEUlRKtE_EEST_SX_SY_mSZ_S12_bEUlT_E_NS1_11comp_targetILNS1_3genE10ELNS1_11target_archE1201ELNS1_3gpuE5ELNS1_3repE0EEENS1_30default_config_static_selectorELNS0_4arch9wavefront6targetE1EEEvSW_,"axG",@progbits,_ZN7rocprim17ROCPRIM_400000_NS6detail17trampoline_kernelINS0_14default_configENS1_27upper_bound_config_selectorItlEEZNS1_14transform_implILb0ES3_S5_N6thrust23THRUST_200600_302600_NS6detail15normal_iteratorINS8_7pointerItNS8_11hip_rocprim5par_tENS8_11use_defaultESE_EEEENSA_INSB_IlSD_SE_SE_EEEEZNS1_13binary_searchIS3_S5_PtSG_SI_NS1_21upper_bound_search_opENS9_16wrapped_functionINS8_6system6detail7generic6detail18binary_search_lessEbEEEE10hipError_tPvRmT1_T2_T3_mmT4_T5_P12ihipStream_tbEUlRKtE_EEST_SX_SY_mSZ_S12_bEUlT_E_NS1_11comp_targetILNS1_3genE10ELNS1_11target_archE1201ELNS1_3gpuE5ELNS1_3repE0EEENS1_30default_config_static_selectorELNS0_4arch9wavefront6targetE1EEEvSW_,comdat
	.protected	_ZN7rocprim17ROCPRIM_400000_NS6detail17trampoline_kernelINS0_14default_configENS1_27upper_bound_config_selectorItlEEZNS1_14transform_implILb0ES3_S5_N6thrust23THRUST_200600_302600_NS6detail15normal_iteratorINS8_7pointerItNS8_11hip_rocprim5par_tENS8_11use_defaultESE_EEEENSA_INSB_IlSD_SE_SE_EEEEZNS1_13binary_searchIS3_S5_PtSG_SI_NS1_21upper_bound_search_opENS9_16wrapped_functionINS8_6system6detail7generic6detail18binary_search_lessEbEEEE10hipError_tPvRmT1_T2_T3_mmT4_T5_P12ihipStream_tbEUlRKtE_EEST_SX_SY_mSZ_S12_bEUlT_E_NS1_11comp_targetILNS1_3genE10ELNS1_11target_archE1201ELNS1_3gpuE5ELNS1_3repE0EEENS1_30default_config_static_selectorELNS0_4arch9wavefront6targetE1EEEvSW_ ; -- Begin function _ZN7rocprim17ROCPRIM_400000_NS6detail17trampoline_kernelINS0_14default_configENS1_27upper_bound_config_selectorItlEEZNS1_14transform_implILb0ES3_S5_N6thrust23THRUST_200600_302600_NS6detail15normal_iteratorINS8_7pointerItNS8_11hip_rocprim5par_tENS8_11use_defaultESE_EEEENSA_INSB_IlSD_SE_SE_EEEEZNS1_13binary_searchIS3_S5_PtSG_SI_NS1_21upper_bound_search_opENS9_16wrapped_functionINS8_6system6detail7generic6detail18binary_search_lessEbEEEE10hipError_tPvRmT1_T2_T3_mmT4_T5_P12ihipStream_tbEUlRKtE_EEST_SX_SY_mSZ_S12_bEUlT_E_NS1_11comp_targetILNS1_3genE10ELNS1_11target_archE1201ELNS1_3gpuE5ELNS1_3repE0EEENS1_30default_config_static_selectorELNS0_4arch9wavefront6targetE1EEEvSW_
	.globl	_ZN7rocprim17ROCPRIM_400000_NS6detail17trampoline_kernelINS0_14default_configENS1_27upper_bound_config_selectorItlEEZNS1_14transform_implILb0ES3_S5_N6thrust23THRUST_200600_302600_NS6detail15normal_iteratorINS8_7pointerItNS8_11hip_rocprim5par_tENS8_11use_defaultESE_EEEENSA_INSB_IlSD_SE_SE_EEEEZNS1_13binary_searchIS3_S5_PtSG_SI_NS1_21upper_bound_search_opENS9_16wrapped_functionINS8_6system6detail7generic6detail18binary_search_lessEbEEEE10hipError_tPvRmT1_T2_T3_mmT4_T5_P12ihipStream_tbEUlRKtE_EEST_SX_SY_mSZ_S12_bEUlT_E_NS1_11comp_targetILNS1_3genE10ELNS1_11target_archE1201ELNS1_3gpuE5ELNS1_3repE0EEENS1_30default_config_static_selectorELNS0_4arch9wavefront6targetE1EEEvSW_
	.p2align	8
	.type	_ZN7rocprim17ROCPRIM_400000_NS6detail17trampoline_kernelINS0_14default_configENS1_27upper_bound_config_selectorItlEEZNS1_14transform_implILb0ES3_S5_N6thrust23THRUST_200600_302600_NS6detail15normal_iteratorINS8_7pointerItNS8_11hip_rocprim5par_tENS8_11use_defaultESE_EEEENSA_INSB_IlSD_SE_SE_EEEEZNS1_13binary_searchIS3_S5_PtSG_SI_NS1_21upper_bound_search_opENS9_16wrapped_functionINS8_6system6detail7generic6detail18binary_search_lessEbEEEE10hipError_tPvRmT1_T2_T3_mmT4_T5_P12ihipStream_tbEUlRKtE_EEST_SX_SY_mSZ_S12_bEUlT_E_NS1_11comp_targetILNS1_3genE10ELNS1_11target_archE1201ELNS1_3gpuE5ELNS1_3repE0EEENS1_30default_config_static_selectorELNS0_4arch9wavefront6targetE1EEEvSW_,@function
_ZN7rocprim17ROCPRIM_400000_NS6detail17trampoline_kernelINS0_14default_configENS1_27upper_bound_config_selectorItlEEZNS1_14transform_implILb0ES3_S5_N6thrust23THRUST_200600_302600_NS6detail15normal_iteratorINS8_7pointerItNS8_11hip_rocprim5par_tENS8_11use_defaultESE_EEEENSA_INSB_IlSD_SE_SE_EEEEZNS1_13binary_searchIS3_S5_PtSG_SI_NS1_21upper_bound_search_opENS9_16wrapped_functionINS8_6system6detail7generic6detail18binary_search_lessEbEEEE10hipError_tPvRmT1_T2_T3_mmT4_T5_P12ihipStream_tbEUlRKtE_EEST_SX_SY_mSZ_S12_bEUlT_E_NS1_11comp_targetILNS1_3genE10ELNS1_11target_archE1201ELNS1_3gpuE5ELNS1_3repE0EEENS1_30default_config_static_selectorELNS0_4arch9wavefront6targetE1EEEvSW_: ; @_ZN7rocprim17ROCPRIM_400000_NS6detail17trampoline_kernelINS0_14default_configENS1_27upper_bound_config_selectorItlEEZNS1_14transform_implILb0ES3_S5_N6thrust23THRUST_200600_302600_NS6detail15normal_iteratorINS8_7pointerItNS8_11hip_rocprim5par_tENS8_11use_defaultESE_EEEENSA_INSB_IlSD_SE_SE_EEEEZNS1_13binary_searchIS3_S5_PtSG_SI_NS1_21upper_bound_search_opENS9_16wrapped_functionINS8_6system6detail7generic6detail18binary_search_lessEbEEEE10hipError_tPvRmT1_T2_T3_mmT4_T5_P12ihipStream_tbEUlRKtE_EEST_SX_SY_mSZ_S12_bEUlT_E_NS1_11comp_targetILNS1_3genE10ELNS1_11target_archE1201ELNS1_3gpuE5ELNS1_3repE0EEENS1_30default_config_static_selectorELNS0_4arch9wavefront6targetE1EEEvSW_
; %bb.0:
	.section	.rodata,"a",@progbits
	.p2align	6, 0x0
	.amdhsa_kernel _ZN7rocprim17ROCPRIM_400000_NS6detail17trampoline_kernelINS0_14default_configENS1_27upper_bound_config_selectorItlEEZNS1_14transform_implILb0ES3_S5_N6thrust23THRUST_200600_302600_NS6detail15normal_iteratorINS8_7pointerItNS8_11hip_rocprim5par_tENS8_11use_defaultESE_EEEENSA_INSB_IlSD_SE_SE_EEEEZNS1_13binary_searchIS3_S5_PtSG_SI_NS1_21upper_bound_search_opENS9_16wrapped_functionINS8_6system6detail7generic6detail18binary_search_lessEbEEEE10hipError_tPvRmT1_T2_T3_mmT4_T5_P12ihipStream_tbEUlRKtE_EEST_SX_SY_mSZ_S12_bEUlT_E_NS1_11comp_targetILNS1_3genE10ELNS1_11target_archE1201ELNS1_3gpuE5ELNS1_3repE0EEENS1_30default_config_static_selectorELNS0_4arch9wavefront6targetE1EEEvSW_
		.amdhsa_group_segment_fixed_size 0
		.amdhsa_private_segment_fixed_size 0
		.amdhsa_kernarg_size 56
		.amdhsa_user_sgpr_count 6
		.amdhsa_user_sgpr_private_segment_buffer 1
		.amdhsa_user_sgpr_dispatch_ptr 0
		.amdhsa_user_sgpr_queue_ptr 0
		.amdhsa_user_sgpr_kernarg_segment_ptr 1
		.amdhsa_user_sgpr_dispatch_id 0
		.amdhsa_user_sgpr_flat_scratch_init 0
		.amdhsa_user_sgpr_private_segment_size 0
		.amdhsa_uses_dynamic_stack 0
		.amdhsa_system_sgpr_private_segment_wavefront_offset 0
		.amdhsa_system_sgpr_workgroup_id_x 1
		.amdhsa_system_sgpr_workgroup_id_y 0
		.amdhsa_system_sgpr_workgroup_id_z 0
		.amdhsa_system_sgpr_workgroup_info 0
		.amdhsa_system_vgpr_workitem_id 0
		.amdhsa_next_free_vgpr 1
		.amdhsa_next_free_sgpr 0
		.amdhsa_reserve_vcc 0
		.amdhsa_reserve_flat_scratch 0
		.amdhsa_float_round_mode_32 0
		.amdhsa_float_round_mode_16_64 0
		.amdhsa_float_denorm_mode_32 3
		.amdhsa_float_denorm_mode_16_64 3
		.amdhsa_dx10_clamp 1
		.amdhsa_ieee_mode 1
		.amdhsa_fp16_overflow 0
		.amdhsa_exception_fp_ieee_invalid_op 0
		.amdhsa_exception_fp_denorm_src 0
		.amdhsa_exception_fp_ieee_div_zero 0
		.amdhsa_exception_fp_ieee_overflow 0
		.amdhsa_exception_fp_ieee_underflow 0
		.amdhsa_exception_fp_ieee_inexact 0
		.amdhsa_exception_int_div_zero 0
	.end_amdhsa_kernel
	.section	.text._ZN7rocprim17ROCPRIM_400000_NS6detail17trampoline_kernelINS0_14default_configENS1_27upper_bound_config_selectorItlEEZNS1_14transform_implILb0ES3_S5_N6thrust23THRUST_200600_302600_NS6detail15normal_iteratorINS8_7pointerItNS8_11hip_rocprim5par_tENS8_11use_defaultESE_EEEENSA_INSB_IlSD_SE_SE_EEEEZNS1_13binary_searchIS3_S5_PtSG_SI_NS1_21upper_bound_search_opENS9_16wrapped_functionINS8_6system6detail7generic6detail18binary_search_lessEbEEEE10hipError_tPvRmT1_T2_T3_mmT4_T5_P12ihipStream_tbEUlRKtE_EEST_SX_SY_mSZ_S12_bEUlT_E_NS1_11comp_targetILNS1_3genE10ELNS1_11target_archE1201ELNS1_3gpuE5ELNS1_3repE0EEENS1_30default_config_static_selectorELNS0_4arch9wavefront6targetE1EEEvSW_,"axG",@progbits,_ZN7rocprim17ROCPRIM_400000_NS6detail17trampoline_kernelINS0_14default_configENS1_27upper_bound_config_selectorItlEEZNS1_14transform_implILb0ES3_S5_N6thrust23THRUST_200600_302600_NS6detail15normal_iteratorINS8_7pointerItNS8_11hip_rocprim5par_tENS8_11use_defaultESE_EEEENSA_INSB_IlSD_SE_SE_EEEEZNS1_13binary_searchIS3_S5_PtSG_SI_NS1_21upper_bound_search_opENS9_16wrapped_functionINS8_6system6detail7generic6detail18binary_search_lessEbEEEE10hipError_tPvRmT1_T2_T3_mmT4_T5_P12ihipStream_tbEUlRKtE_EEST_SX_SY_mSZ_S12_bEUlT_E_NS1_11comp_targetILNS1_3genE10ELNS1_11target_archE1201ELNS1_3gpuE5ELNS1_3repE0EEENS1_30default_config_static_selectorELNS0_4arch9wavefront6targetE1EEEvSW_,comdat
.Lfunc_end207:
	.size	_ZN7rocprim17ROCPRIM_400000_NS6detail17trampoline_kernelINS0_14default_configENS1_27upper_bound_config_selectorItlEEZNS1_14transform_implILb0ES3_S5_N6thrust23THRUST_200600_302600_NS6detail15normal_iteratorINS8_7pointerItNS8_11hip_rocprim5par_tENS8_11use_defaultESE_EEEENSA_INSB_IlSD_SE_SE_EEEEZNS1_13binary_searchIS3_S5_PtSG_SI_NS1_21upper_bound_search_opENS9_16wrapped_functionINS8_6system6detail7generic6detail18binary_search_lessEbEEEE10hipError_tPvRmT1_T2_T3_mmT4_T5_P12ihipStream_tbEUlRKtE_EEST_SX_SY_mSZ_S12_bEUlT_E_NS1_11comp_targetILNS1_3genE10ELNS1_11target_archE1201ELNS1_3gpuE5ELNS1_3repE0EEENS1_30default_config_static_selectorELNS0_4arch9wavefront6targetE1EEEvSW_, .Lfunc_end207-_ZN7rocprim17ROCPRIM_400000_NS6detail17trampoline_kernelINS0_14default_configENS1_27upper_bound_config_selectorItlEEZNS1_14transform_implILb0ES3_S5_N6thrust23THRUST_200600_302600_NS6detail15normal_iteratorINS8_7pointerItNS8_11hip_rocprim5par_tENS8_11use_defaultESE_EEEENSA_INSB_IlSD_SE_SE_EEEEZNS1_13binary_searchIS3_S5_PtSG_SI_NS1_21upper_bound_search_opENS9_16wrapped_functionINS8_6system6detail7generic6detail18binary_search_lessEbEEEE10hipError_tPvRmT1_T2_T3_mmT4_T5_P12ihipStream_tbEUlRKtE_EEST_SX_SY_mSZ_S12_bEUlT_E_NS1_11comp_targetILNS1_3genE10ELNS1_11target_archE1201ELNS1_3gpuE5ELNS1_3repE0EEENS1_30default_config_static_selectorELNS0_4arch9wavefront6targetE1EEEvSW_
                                        ; -- End function
	.set _ZN7rocprim17ROCPRIM_400000_NS6detail17trampoline_kernelINS0_14default_configENS1_27upper_bound_config_selectorItlEEZNS1_14transform_implILb0ES3_S5_N6thrust23THRUST_200600_302600_NS6detail15normal_iteratorINS8_7pointerItNS8_11hip_rocprim5par_tENS8_11use_defaultESE_EEEENSA_INSB_IlSD_SE_SE_EEEEZNS1_13binary_searchIS3_S5_PtSG_SI_NS1_21upper_bound_search_opENS9_16wrapped_functionINS8_6system6detail7generic6detail18binary_search_lessEbEEEE10hipError_tPvRmT1_T2_T3_mmT4_T5_P12ihipStream_tbEUlRKtE_EEST_SX_SY_mSZ_S12_bEUlT_E_NS1_11comp_targetILNS1_3genE10ELNS1_11target_archE1201ELNS1_3gpuE5ELNS1_3repE0EEENS1_30default_config_static_selectorELNS0_4arch9wavefront6targetE1EEEvSW_.num_vgpr, 0
	.set _ZN7rocprim17ROCPRIM_400000_NS6detail17trampoline_kernelINS0_14default_configENS1_27upper_bound_config_selectorItlEEZNS1_14transform_implILb0ES3_S5_N6thrust23THRUST_200600_302600_NS6detail15normal_iteratorINS8_7pointerItNS8_11hip_rocprim5par_tENS8_11use_defaultESE_EEEENSA_INSB_IlSD_SE_SE_EEEEZNS1_13binary_searchIS3_S5_PtSG_SI_NS1_21upper_bound_search_opENS9_16wrapped_functionINS8_6system6detail7generic6detail18binary_search_lessEbEEEE10hipError_tPvRmT1_T2_T3_mmT4_T5_P12ihipStream_tbEUlRKtE_EEST_SX_SY_mSZ_S12_bEUlT_E_NS1_11comp_targetILNS1_3genE10ELNS1_11target_archE1201ELNS1_3gpuE5ELNS1_3repE0EEENS1_30default_config_static_selectorELNS0_4arch9wavefront6targetE1EEEvSW_.num_agpr, 0
	.set _ZN7rocprim17ROCPRIM_400000_NS6detail17trampoline_kernelINS0_14default_configENS1_27upper_bound_config_selectorItlEEZNS1_14transform_implILb0ES3_S5_N6thrust23THRUST_200600_302600_NS6detail15normal_iteratorINS8_7pointerItNS8_11hip_rocprim5par_tENS8_11use_defaultESE_EEEENSA_INSB_IlSD_SE_SE_EEEEZNS1_13binary_searchIS3_S5_PtSG_SI_NS1_21upper_bound_search_opENS9_16wrapped_functionINS8_6system6detail7generic6detail18binary_search_lessEbEEEE10hipError_tPvRmT1_T2_T3_mmT4_T5_P12ihipStream_tbEUlRKtE_EEST_SX_SY_mSZ_S12_bEUlT_E_NS1_11comp_targetILNS1_3genE10ELNS1_11target_archE1201ELNS1_3gpuE5ELNS1_3repE0EEENS1_30default_config_static_selectorELNS0_4arch9wavefront6targetE1EEEvSW_.numbered_sgpr, 0
	.set _ZN7rocprim17ROCPRIM_400000_NS6detail17trampoline_kernelINS0_14default_configENS1_27upper_bound_config_selectorItlEEZNS1_14transform_implILb0ES3_S5_N6thrust23THRUST_200600_302600_NS6detail15normal_iteratorINS8_7pointerItNS8_11hip_rocprim5par_tENS8_11use_defaultESE_EEEENSA_INSB_IlSD_SE_SE_EEEEZNS1_13binary_searchIS3_S5_PtSG_SI_NS1_21upper_bound_search_opENS9_16wrapped_functionINS8_6system6detail7generic6detail18binary_search_lessEbEEEE10hipError_tPvRmT1_T2_T3_mmT4_T5_P12ihipStream_tbEUlRKtE_EEST_SX_SY_mSZ_S12_bEUlT_E_NS1_11comp_targetILNS1_3genE10ELNS1_11target_archE1201ELNS1_3gpuE5ELNS1_3repE0EEENS1_30default_config_static_selectorELNS0_4arch9wavefront6targetE1EEEvSW_.num_named_barrier, 0
	.set _ZN7rocprim17ROCPRIM_400000_NS6detail17trampoline_kernelINS0_14default_configENS1_27upper_bound_config_selectorItlEEZNS1_14transform_implILb0ES3_S5_N6thrust23THRUST_200600_302600_NS6detail15normal_iteratorINS8_7pointerItNS8_11hip_rocprim5par_tENS8_11use_defaultESE_EEEENSA_INSB_IlSD_SE_SE_EEEEZNS1_13binary_searchIS3_S5_PtSG_SI_NS1_21upper_bound_search_opENS9_16wrapped_functionINS8_6system6detail7generic6detail18binary_search_lessEbEEEE10hipError_tPvRmT1_T2_T3_mmT4_T5_P12ihipStream_tbEUlRKtE_EEST_SX_SY_mSZ_S12_bEUlT_E_NS1_11comp_targetILNS1_3genE10ELNS1_11target_archE1201ELNS1_3gpuE5ELNS1_3repE0EEENS1_30default_config_static_selectorELNS0_4arch9wavefront6targetE1EEEvSW_.private_seg_size, 0
	.set _ZN7rocprim17ROCPRIM_400000_NS6detail17trampoline_kernelINS0_14default_configENS1_27upper_bound_config_selectorItlEEZNS1_14transform_implILb0ES3_S5_N6thrust23THRUST_200600_302600_NS6detail15normal_iteratorINS8_7pointerItNS8_11hip_rocprim5par_tENS8_11use_defaultESE_EEEENSA_INSB_IlSD_SE_SE_EEEEZNS1_13binary_searchIS3_S5_PtSG_SI_NS1_21upper_bound_search_opENS9_16wrapped_functionINS8_6system6detail7generic6detail18binary_search_lessEbEEEE10hipError_tPvRmT1_T2_T3_mmT4_T5_P12ihipStream_tbEUlRKtE_EEST_SX_SY_mSZ_S12_bEUlT_E_NS1_11comp_targetILNS1_3genE10ELNS1_11target_archE1201ELNS1_3gpuE5ELNS1_3repE0EEENS1_30default_config_static_selectorELNS0_4arch9wavefront6targetE1EEEvSW_.uses_vcc, 0
	.set _ZN7rocprim17ROCPRIM_400000_NS6detail17trampoline_kernelINS0_14default_configENS1_27upper_bound_config_selectorItlEEZNS1_14transform_implILb0ES3_S5_N6thrust23THRUST_200600_302600_NS6detail15normal_iteratorINS8_7pointerItNS8_11hip_rocprim5par_tENS8_11use_defaultESE_EEEENSA_INSB_IlSD_SE_SE_EEEEZNS1_13binary_searchIS3_S5_PtSG_SI_NS1_21upper_bound_search_opENS9_16wrapped_functionINS8_6system6detail7generic6detail18binary_search_lessEbEEEE10hipError_tPvRmT1_T2_T3_mmT4_T5_P12ihipStream_tbEUlRKtE_EEST_SX_SY_mSZ_S12_bEUlT_E_NS1_11comp_targetILNS1_3genE10ELNS1_11target_archE1201ELNS1_3gpuE5ELNS1_3repE0EEENS1_30default_config_static_selectorELNS0_4arch9wavefront6targetE1EEEvSW_.uses_flat_scratch, 0
	.set _ZN7rocprim17ROCPRIM_400000_NS6detail17trampoline_kernelINS0_14default_configENS1_27upper_bound_config_selectorItlEEZNS1_14transform_implILb0ES3_S5_N6thrust23THRUST_200600_302600_NS6detail15normal_iteratorINS8_7pointerItNS8_11hip_rocprim5par_tENS8_11use_defaultESE_EEEENSA_INSB_IlSD_SE_SE_EEEEZNS1_13binary_searchIS3_S5_PtSG_SI_NS1_21upper_bound_search_opENS9_16wrapped_functionINS8_6system6detail7generic6detail18binary_search_lessEbEEEE10hipError_tPvRmT1_T2_T3_mmT4_T5_P12ihipStream_tbEUlRKtE_EEST_SX_SY_mSZ_S12_bEUlT_E_NS1_11comp_targetILNS1_3genE10ELNS1_11target_archE1201ELNS1_3gpuE5ELNS1_3repE0EEENS1_30default_config_static_selectorELNS0_4arch9wavefront6targetE1EEEvSW_.has_dyn_sized_stack, 0
	.set _ZN7rocprim17ROCPRIM_400000_NS6detail17trampoline_kernelINS0_14default_configENS1_27upper_bound_config_selectorItlEEZNS1_14transform_implILb0ES3_S5_N6thrust23THRUST_200600_302600_NS6detail15normal_iteratorINS8_7pointerItNS8_11hip_rocprim5par_tENS8_11use_defaultESE_EEEENSA_INSB_IlSD_SE_SE_EEEEZNS1_13binary_searchIS3_S5_PtSG_SI_NS1_21upper_bound_search_opENS9_16wrapped_functionINS8_6system6detail7generic6detail18binary_search_lessEbEEEE10hipError_tPvRmT1_T2_T3_mmT4_T5_P12ihipStream_tbEUlRKtE_EEST_SX_SY_mSZ_S12_bEUlT_E_NS1_11comp_targetILNS1_3genE10ELNS1_11target_archE1201ELNS1_3gpuE5ELNS1_3repE0EEENS1_30default_config_static_selectorELNS0_4arch9wavefront6targetE1EEEvSW_.has_recursion, 0
	.set _ZN7rocprim17ROCPRIM_400000_NS6detail17trampoline_kernelINS0_14default_configENS1_27upper_bound_config_selectorItlEEZNS1_14transform_implILb0ES3_S5_N6thrust23THRUST_200600_302600_NS6detail15normal_iteratorINS8_7pointerItNS8_11hip_rocprim5par_tENS8_11use_defaultESE_EEEENSA_INSB_IlSD_SE_SE_EEEEZNS1_13binary_searchIS3_S5_PtSG_SI_NS1_21upper_bound_search_opENS9_16wrapped_functionINS8_6system6detail7generic6detail18binary_search_lessEbEEEE10hipError_tPvRmT1_T2_T3_mmT4_T5_P12ihipStream_tbEUlRKtE_EEST_SX_SY_mSZ_S12_bEUlT_E_NS1_11comp_targetILNS1_3genE10ELNS1_11target_archE1201ELNS1_3gpuE5ELNS1_3repE0EEENS1_30default_config_static_selectorELNS0_4arch9wavefront6targetE1EEEvSW_.has_indirect_call, 0
	.section	.AMDGPU.csdata,"",@progbits
; Kernel info:
; codeLenInByte = 0
; TotalNumSgprs: 4
; NumVgprs: 0
; ScratchSize: 0
; MemoryBound: 0
; FloatMode: 240
; IeeeMode: 1
; LDSByteSize: 0 bytes/workgroup (compile time only)
; SGPRBlocks: 0
; VGPRBlocks: 0
; NumSGPRsForWavesPerEU: 4
; NumVGPRsForWavesPerEU: 1
; Occupancy: 10
; WaveLimiterHint : 0
; COMPUTE_PGM_RSRC2:SCRATCH_EN: 0
; COMPUTE_PGM_RSRC2:USER_SGPR: 6
; COMPUTE_PGM_RSRC2:TRAP_HANDLER: 0
; COMPUTE_PGM_RSRC2:TGID_X_EN: 1
; COMPUTE_PGM_RSRC2:TGID_Y_EN: 0
; COMPUTE_PGM_RSRC2:TGID_Z_EN: 0
; COMPUTE_PGM_RSRC2:TIDIG_COMP_CNT: 0
	.section	.text._ZN7rocprim17ROCPRIM_400000_NS6detail17trampoline_kernelINS0_14default_configENS1_27upper_bound_config_selectorItlEEZNS1_14transform_implILb0ES3_S5_N6thrust23THRUST_200600_302600_NS6detail15normal_iteratorINS8_7pointerItNS8_11hip_rocprim5par_tENS8_11use_defaultESE_EEEENSA_INSB_IlSD_SE_SE_EEEEZNS1_13binary_searchIS3_S5_PtSG_SI_NS1_21upper_bound_search_opENS9_16wrapped_functionINS8_6system6detail7generic6detail18binary_search_lessEbEEEE10hipError_tPvRmT1_T2_T3_mmT4_T5_P12ihipStream_tbEUlRKtE_EEST_SX_SY_mSZ_S12_bEUlT_E_NS1_11comp_targetILNS1_3genE10ELNS1_11target_archE1200ELNS1_3gpuE4ELNS1_3repE0EEENS1_30default_config_static_selectorELNS0_4arch9wavefront6targetE1EEEvSW_,"axG",@progbits,_ZN7rocprim17ROCPRIM_400000_NS6detail17trampoline_kernelINS0_14default_configENS1_27upper_bound_config_selectorItlEEZNS1_14transform_implILb0ES3_S5_N6thrust23THRUST_200600_302600_NS6detail15normal_iteratorINS8_7pointerItNS8_11hip_rocprim5par_tENS8_11use_defaultESE_EEEENSA_INSB_IlSD_SE_SE_EEEEZNS1_13binary_searchIS3_S5_PtSG_SI_NS1_21upper_bound_search_opENS9_16wrapped_functionINS8_6system6detail7generic6detail18binary_search_lessEbEEEE10hipError_tPvRmT1_T2_T3_mmT4_T5_P12ihipStream_tbEUlRKtE_EEST_SX_SY_mSZ_S12_bEUlT_E_NS1_11comp_targetILNS1_3genE10ELNS1_11target_archE1200ELNS1_3gpuE4ELNS1_3repE0EEENS1_30default_config_static_selectorELNS0_4arch9wavefront6targetE1EEEvSW_,comdat
	.protected	_ZN7rocprim17ROCPRIM_400000_NS6detail17trampoline_kernelINS0_14default_configENS1_27upper_bound_config_selectorItlEEZNS1_14transform_implILb0ES3_S5_N6thrust23THRUST_200600_302600_NS6detail15normal_iteratorINS8_7pointerItNS8_11hip_rocprim5par_tENS8_11use_defaultESE_EEEENSA_INSB_IlSD_SE_SE_EEEEZNS1_13binary_searchIS3_S5_PtSG_SI_NS1_21upper_bound_search_opENS9_16wrapped_functionINS8_6system6detail7generic6detail18binary_search_lessEbEEEE10hipError_tPvRmT1_T2_T3_mmT4_T5_P12ihipStream_tbEUlRKtE_EEST_SX_SY_mSZ_S12_bEUlT_E_NS1_11comp_targetILNS1_3genE10ELNS1_11target_archE1200ELNS1_3gpuE4ELNS1_3repE0EEENS1_30default_config_static_selectorELNS0_4arch9wavefront6targetE1EEEvSW_ ; -- Begin function _ZN7rocprim17ROCPRIM_400000_NS6detail17trampoline_kernelINS0_14default_configENS1_27upper_bound_config_selectorItlEEZNS1_14transform_implILb0ES3_S5_N6thrust23THRUST_200600_302600_NS6detail15normal_iteratorINS8_7pointerItNS8_11hip_rocprim5par_tENS8_11use_defaultESE_EEEENSA_INSB_IlSD_SE_SE_EEEEZNS1_13binary_searchIS3_S5_PtSG_SI_NS1_21upper_bound_search_opENS9_16wrapped_functionINS8_6system6detail7generic6detail18binary_search_lessEbEEEE10hipError_tPvRmT1_T2_T3_mmT4_T5_P12ihipStream_tbEUlRKtE_EEST_SX_SY_mSZ_S12_bEUlT_E_NS1_11comp_targetILNS1_3genE10ELNS1_11target_archE1200ELNS1_3gpuE4ELNS1_3repE0EEENS1_30default_config_static_selectorELNS0_4arch9wavefront6targetE1EEEvSW_
	.globl	_ZN7rocprim17ROCPRIM_400000_NS6detail17trampoline_kernelINS0_14default_configENS1_27upper_bound_config_selectorItlEEZNS1_14transform_implILb0ES3_S5_N6thrust23THRUST_200600_302600_NS6detail15normal_iteratorINS8_7pointerItNS8_11hip_rocprim5par_tENS8_11use_defaultESE_EEEENSA_INSB_IlSD_SE_SE_EEEEZNS1_13binary_searchIS3_S5_PtSG_SI_NS1_21upper_bound_search_opENS9_16wrapped_functionINS8_6system6detail7generic6detail18binary_search_lessEbEEEE10hipError_tPvRmT1_T2_T3_mmT4_T5_P12ihipStream_tbEUlRKtE_EEST_SX_SY_mSZ_S12_bEUlT_E_NS1_11comp_targetILNS1_3genE10ELNS1_11target_archE1200ELNS1_3gpuE4ELNS1_3repE0EEENS1_30default_config_static_selectorELNS0_4arch9wavefront6targetE1EEEvSW_
	.p2align	8
	.type	_ZN7rocprim17ROCPRIM_400000_NS6detail17trampoline_kernelINS0_14default_configENS1_27upper_bound_config_selectorItlEEZNS1_14transform_implILb0ES3_S5_N6thrust23THRUST_200600_302600_NS6detail15normal_iteratorINS8_7pointerItNS8_11hip_rocprim5par_tENS8_11use_defaultESE_EEEENSA_INSB_IlSD_SE_SE_EEEEZNS1_13binary_searchIS3_S5_PtSG_SI_NS1_21upper_bound_search_opENS9_16wrapped_functionINS8_6system6detail7generic6detail18binary_search_lessEbEEEE10hipError_tPvRmT1_T2_T3_mmT4_T5_P12ihipStream_tbEUlRKtE_EEST_SX_SY_mSZ_S12_bEUlT_E_NS1_11comp_targetILNS1_3genE10ELNS1_11target_archE1200ELNS1_3gpuE4ELNS1_3repE0EEENS1_30default_config_static_selectorELNS0_4arch9wavefront6targetE1EEEvSW_,@function
_ZN7rocprim17ROCPRIM_400000_NS6detail17trampoline_kernelINS0_14default_configENS1_27upper_bound_config_selectorItlEEZNS1_14transform_implILb0ES3_S5_N6thrust23THRUST_200600_302600_NS6detail15normal_iteratorINS8_7pointerItNS8_11hip_rocprim5par_tENS8_11use_defaultESE_EEEENSA_INSB_IlSD_SE_SE_EEEEZNS1_13binary_searchIS3_S5_PtSG_SI_NS1_21upper_bound_search_opENS9_16wrapped_functionINS8_6system6detail7generic6detail18binary_search_lessEbEEEE10hipError_tPvRmT1_T2_T3_mmT4_T5_P12ihipStream_tbEUlRKtE_EEST_SX_SY_mSZ_S12_bEUlT_E_NS1_11comp_targetILNS1_3genE10ELNS1_11target_archE1200ELNS1_3gpuE4ELNS1_3repE0EEENS1_30default_config_static_selectorELNS0_4arch9wavefront6targetE1EEEvSW_: ; @_ZN7rocprim17ROCPRIM_400000_NS6detail17trampoline_kernelINS0_14default_configENS1_27upper_bound_config_selectorItlEEZNS1_14transform_implILb0ES3_S5_N6thrust23THRUST_200600_302600_NS6detail15normal_iteratorINS8_7pointerItNS8_11hip_rocprim5par_tENS8_11use_defaultESE_EEEENSA_INSB_IlSD_SE_SE_EEEEZNS1_13binary_searchIS3_S5_PtSG_SI_NS1_21upper_bound_search_opENS9_16wrapped_functionINS8_6system6detail7generic6detail18binary_search_lessEbEEEE10hipError_tPvRmT1_T2_T3_mmT4_T5_P12ihipStream_tbEUlRKtE_EEST_SX_SY_mSZ_S12_bEUlT_E_NS1_11comp_targetILNS1_3genE10ELNS1_11target_archE1200ELNS1_3gpuE4ELNS1_3repE0EEENS1_30default_config_static_selectorELNS0_4arch9wavefront6targetE1EEEvSW_
; %bb.0:
	.section	.rodata,"a",@progbits
	.p2align	6, 0x0
	.amdhsa_kernel _ZN7rocprim17ROCPRIM_400000_NS6detail17trampoline_kernelINS0_14default_configENS1_27upper_bound_config_selectorItlEEZNS1_14transform_implILb0ES3_S5_N6thrust23THRUST_200600_302600_NS6detail15normal_iteratorINS8_7pointerItNS8_11hip_rocprim5par_tENS8_11use_defaultESE_EEEENSA_INSB_IlSD_SE_SE_EEEEZNS1_13binary_searchIS3_S5_PtSG_SI_NS1_21upper_bound_search_opENS9_16wrapped_functionINS8_6system6detail7generic6detail18binary_search_lessEbEEEE10hipError_tPvRmT1_T2_T3_mmT4_T5_P12ihipStream_tbEUlRKtE_EEST_SX_SY_mSZ_S12_bEUlT_E_NS1_11comp_targetILNS1_3genE10ELNS1_11target_archE1200ELNS1_3gpuE4ELNS1_3repE0EEENS1_30default_config_static_selectorELNS0_4arch9wavefront6targetE1EEEvSW_
		.amdhsa_group_segment_fixed_size 0
		.amdhsa_private_segment_fixed_size 0
		.amdhsa_kernarg_size 56
		.amdhsa_user_sgpr_count 6
		.amdhsa_user_sgpr_private_segment_buffer 1
		.amdhsa_user_sgpr_dispatch_ptr 0
		.amdhsa_user_sgpr_queue_ptr 0
		.amdhsa_user_sgpr_kernarg_segment_ptr 1
		.amdhsa_user_sgpr_dispatch_id 0
		.amdhsa_user_sgpr_flat_scratch_init 0
		.amdhsa_user_sgpr_private_segment_size 0
		.amdhsa_uses_dynamic_stack 0
		.amdhsa_system_sgpr_private_segment_wavefront_offset 0
		.amdhsa_system_sgpr_workgroup_id_x 1
		.amdhsa_system_sgpr_workgroup_id_y 0
		.amdhsa_system_sgpr_workgroup_id_z 0
		.amdhsa_system_sgpr_workgroup_info 0
		.amdhsa_system_vgpr_workitem_id 0
		.amdhsa_next_free_vgpr 1
		.amdhsa_next_free_sgpr 0
		.amdhsa_reserve_vcc 0
		.amdhsa_reserve_flat_scratch 0
		.amdhsa_float_round_mode_32 0
		.amdhsa_float_round_mode_16_64 0
		.amdhsa_float_denorm_mode_32 3
		.amdhsa_float_denorm_mode_16_64 3
		.amdhsa_dx10_clamp 1
		.amdhsa_ieee_mode 1
		.amdhsa_fp16_overflow 0
		.amdhsa_exception_fp_ieee_invalid_op 0
		.amdhsa_exception_fp_denorm_src 0
		.amdhsa_exception_fp_ieee_div_zero 0
		.amdhsa_exception_fp_ieee_overflow 0
		.amdhsa_exception_fp_ieee_underflow 0
		.amdhsa_exception_fp_ieee_inexact 0
		.amdhsa_exception_int_div_zero 0
	.end_amdhsa_kernel
	.section	.text._ZN7rocprim17ROCPRIM_400000_NS6detail17trampoline_kernelINS0_14default_configENS1_27upper_bound_config_selectorItlEEZNS1_14transform_implILb0ES3_S5_N6thrust23THRUST_200600_302600_NS6detail15normal_iteratorINS8_7pointerItNS8_11hip_rocprim5par_tENS8_11use_defaultESE_EEEENSA_INSB_IlSD_SE_SE_EEEEZNS1_13binary_searchIS3_S5_PtSG_SI_NS1_21upper_bound_search_opENS9_16wrapped_functionINS8_6system6detail7generic6detail18binary_search_lessEbEEEE10hipError_tPvRmT1_T2_T3_mmT4_T5_P12ihipStream_tbEUlRKtE_EEST_SX_SY_mSZ_S12_bEUlT_E_NS1_11comp_targetILNS1_3genE10ELNS1_11target_archE1200ELNS1_3gpuE4ELNS1_3repE0EEENS1_30default_config_static_selectorELNS0_4arch9wavefront6targetE1EEEvSW_,"axG",@progbits,_ZN7rocprim17ROCPRIM_400000_NS6detail17trampoline_kernelINS0_14default_configENS1_27upper_bound_config_selectorItlEEZNS1_14transform_implILb0ES3_S5_N6thrust23THRUST_200600_302600_NS6detail15normal_iteratorINS8_7pointerItNS8_11hip_rocprim5par_tENS8_11use_defaultESE_EEEENSA_INSB_IlSD_SE_SE_EEEEZNS1_13binary_searchIS3_S5_PtSG_SI_NS1_21upper_bound_search_opENS9_16wrapped_functionINS8_6system6detail7generic6detail18binary_search_lessEbEEEE10hipError_tPvRmT1_T2_T3_mmT4_T5_P12ihipStream_tbEUlRKtE_EEST_SX_SY_mSZ_S12_bEUlT_E_NS1_11comp_targetILNS1_3genE10ELNS1_11target_archE1200ELNS1_3gpuE4ELNS1_3repE0EEENS1_30default_config_static_selectorELNS0_4arch9wavefront6targetE1EEEvSW_,comdat
.Lfunc_end208:
	.size	_ZN7rocprim17ROCPRIM_400000_NS6detail17trampoline_kernelINS0_14default_configENS1_27upper_bound_config_selectorItlEEZNS1_14transform_implILb0ES3_S5_N6thrust23THRUST_200600_302600_NS6detail15normal_iteratorINS8_7pointerItNS8_11hip_rocprim5par_tENS8_11use_defaultESE_EEEENSA_INSB_IlSD_SE_SE_EEEEZNS1_13binary_searchIS3_S5_PtSG_SI_NS1_21upper_bound_search_opENS9_16wrapped_functionINS8_6system6detail7generic6detail18binary_search_lessEbEEEE10hipError_tPvRmT1_T2_T3_mmT4_T5_P12ihipStream_tbEUlRKtE_EEST_SX_SY_mSZ_S12_bEUlT_E_NS1_11comp_targetILNS1_3genE10ELNS1_11target_archE1200ELNS1_3gpuE4ELNS1_3repE0EEENS1_30default_config_static_selectorELNS0_4arch9wavefront6targetE1EEEvSW_, .Lfunc_end208-_ZN7rocprim17ROCPRIM_400000_NS6detail17trampoline_kernelINS0_14default_configENS1_27upper_bound_config_selectorItlEEZNS1_14transform_implILb0ES3_S5_N6thrust23THRUST_200600_302600_NS6detail15normal_iteratorINS8_7pointerItNS8_11hip_rocprim5par_tENS8_11use_defaultESE_EEEENSA_INSB_IlSD_SE_SE_EEEEZNS1_13binary_searchIS3_S5_PtSG_SI_NS1_21upper_bound_search_opENS9_16wrapped_functionINS8_6system6detail7generic6detail18binary_search_lessEbEEEE10hipError_tPvRmT1_T2_T3_mmT4_T5_P12ihipStream_tbEUlRKtE_EEST_SX_SY_mSZ_S12_bEUlT_E_NS1_11comp_targetILNS1_3genE10ELNS1_11target_archE1200ELNS1_3gpuE4ELNS1_3repE0EEENS1_30default_config_static_selectorELNS0_4arch9wavefront6targetE1EEEvSW_
                                        ; -- End function
	.set _ZN7rocprim17ROCPRIM_400000_NS6detail17trampoline_kernelINS0_14default_configENS1_27upper_bound_config_selectorItlEEZNS1_14transform_implILb0ES3_S5_N6thrust23THRUST_200600_302600_NS6detail15normal_iteratorINS8_7pointerItNS8_11hip_rocprim5par_tENS8_11use_defaultESE_EEEENSA_INSB_IlSD_SE_SE_EEEEZNS1_13binary_searchIS3_S5_PtSG_SI_NS1_21upper_bound_search_opENS9_16wrapped_functionINS8_6system6detail7generic6detail18binary_search_lessEbEEEE10hipError_tPvRmT1_T2_T3_mmT4_T5_P12ihipStream_tbEUlRKtE_EEST_SX_SY_mSZ_S12_bEUlT_E_NS1_11comp_targetILNS1_3genE10ELNS1_11target_archE1200ELNS1_3gpuE4ELNS1_3repE0EEENS1_30default_config_static_selectorELNS0_4arch9wavefront6targetE1EEEvSW_.num_vgpr, 0
	.set _ZN7rocprim17ROCPRIM_400000_NS6detail17trampoline_kernelINS0_14default_configENS1_27upper_bound_config_selectorItlEEZNS1_14transform_implILb0ES3_S5_N6thrust23THRUST_200600_302600_NS6detail15normal_iteratorINS8_7pointerItNS8_11hip_rocprim5par_tENS8_11use_defaultESE_EEEENSA_INSB_IlSD_SE_SE_EEEEZNS1_13binary_searchIS3_S5_PtSG_SI_NS1_21upper_bound_search_opENS9_16wrapped_functionINS8_6system6detail7generic6detail18binary_search_lessEbEEEE10hipError_tPvRmT1_T2_T3_mmT4_T5_P12ihipStream_tbEUlRKtE_EEST_SX_SY_mSZ_S12_bEUlT_E_NS1_11comp_targetILNS1_3genE10ELNS1_11target_archE1200ELNS1_3gpuE4ELNS1_3repE0EEENS1_30default_config_static_selectorELNS0_4arch9wavefront6targetE1EEEvSW_.num_agpr, 0
	.set _ZN7rocprim17ROCPRIM_400000_NS6detail17trampoline_kernelINS0_14default_configENS1_27upper_bound_config_selectorItlEEZNS1_14transform_implILb0ES3_S5_N6thrust23THRUST_200600_302600_NS6detail15normal_iteratorINS8_7pointerItNS8_11hip_rocprim5par_tENS8_11use_defaultESE_EEEENSA_INSB_IlSD_SE_SE_EEEEZNS1_13binary_searchIS3_S5_PtSG_SI_NS1_21upper_bound_search_opENS9_16wrapped_functionINS8_6system6detail7generic6detail18binary_search_lessEbEEEE10hipError_tPvRmT1_T2_T3_mmT4_T5_P12ihipStream_tbEUlRKtE_EEST_SX_SY_mSZ_S12_bEUlT_E_NS1_11comp_targetILNS1_3genE10ELNS1_11target_archE1200ELNS1_3gpuE4ELNS1_3repE0EEENS1_30default_config_static_selectorELNS0_4arch9wavefront6targetE1EEEvSW_.numbered_sgpr, 0
	.set _ZN7rocprim17ROCPRIM_400000_NS6detail17trampoline_kernelINS0_14default_configENS1_27upper_bound_config_selectorItlEEZNS1_14transform_implILb0ES3_S5_N6thrust23THRUST_200600_302600_NS6detail15normal_iteratorINS8_7pointerItNS8_11hip_rocprim5par_tENS8_11use_defaultESE_EEEENSA_INSB_IlSD_SE_SE_EEEEZNS1_13binary_searchIS3_S5_PtSG_SI_NS1_21upper_bound_search_opENS9_16wrapped_functionINS8_6system6detail7generic6detail18binary_search_lessEbEEEE10hipError_tPvRmT1_T2_T3_mmT4_T5_P12ihipStream_tbEUlRKtE_EEST_SX_SY_mSZ_S12_bEUlT_E_NS1_11comp_targetILNS1_3genE10ELNS1_11target_archE1200ELNS1_3gpuE4ELNS1_3repE0EEENS1_30default_config_static_selectorELNS0_4arch9wavefront6targetE1EEEvSW_.num_named_barrier, 0
	.set _ZN7rocprim17ROCPRIM_400000_NS6detail17trampoline_kernelINS0_14default_configENS1_27upper_bound_config_selectorItlEEZNS1_14transform_implILb0ES3_S5_N6thrust23THRUST_200600_302600_NS6detail15normal_iteratorINS8_7pointerItNS8_11hip_rocprim5par_tENS8_11use_defaultESE_EEEENSA_INSB_IlSD_SE_SE_EEEEZNS1_13binary_searchIS3_S5_PtSG_SI_NS1_21upper_bound_search_opENS9_16wrapped_functionINS8_6system6detail7generic6detail18binary_search_lessEbEEEE10hipError_tPvRmT1_T2_T3_mmT4_T5_P12ihipStream_tbEUlRKtE_EEST_SX_SY_mSZ_S12_bEUlT_E_NS1_11comp_targetILNS1_3genE10ELNS1_11target_archE1200ELNS1_3gpuE4ELNS1_3repE0EEENS1_30default_config_static_selectorELNS0_4arch9wavefront6targetE1EEEvSW_.private_seg_size, 0
	.set _ZN7rocprim17ROCPRIM_400000_NS6detail17trampoline_kernelINS0_14default_configENS1_27upper_bound_config_selectorItlEEZNS1_14transform_implILb0ES3_S5_N6thrust23THRUST_200600_302600_NS6detail15normal_iteratorINS8_7pointerItNS8_11hip_rocprim5par_tENS8_11use_defaultESE_EEEENSA_INSB_IlSD_SE_SE_EEEEZNS1_13binary_searchIS3_S5_PtSG_SI_NS1_21upper_bound_search_opENS9_16wrapped_functionINS8_6system6detail7generic6detail18binary_search_lessEbEEEE10hipError_tPvRmT1_T2_T3_mmT4_T5_P12ihipStream_tbEUlRKtE_EEST_SX_SY_mSZ_S12_bEUlT_E_NS1_11comp_targetILNS1_3genE10ELNS1_11target_archE1200ELNS1_3gpuE4ELNS1_3repE0EEENS1_30default_config_static_selectorELNS0_4arch9wavefront6targetE1EEEvSW_.uses_vcc, 0
	.set _ZN7rocprim17ROCPRIM_400000_NS6detail17trampoline_kernelINS0_14default_configENS1_27upper_bound_config_selectorItlEEZNS1_14transform_implILb0ES3_S5_N6thrust23THRUST_200600_302600_NS6detail15normal_iteratorINS8_7pointerItNS8_11hip_rocprim5par_tENS8_11use_defaultESE_EEEENSA_INSB_IlSD_SE_SE_EEEEZNS1_13binary_searchIS3_S5_PtSG_SI_NS1_21upper_bound_search_opENS9_16wrapped_functionINS8_6system6detail7generic6detail18binary_search_lessEbEEEE10hipError_tPvRmT1_T2_T3_mmT4_T5_P12ihipStream_tbEUlRKtE_EEST_SX_SY_mSZ_S12_bEUlT_E_NS1_11comp_targetILNS1_3genE10ELNS1_11target_archE1200ELNS1_3gpuE4ELNS1_3repE0EEENS1_30default_config_static_selectorELNS0_4arch9wavefront6targetE1EEEvSW_.uses_flat_scratch, 0
	.set _ZN7rocprim17ROCPRIM_400000_NS6detail17trampoline_kernelINS0_14default_configENS1_27upper_bound_config_selectorItlEEZNS1_14transform_implILb0ES3_S5_N6thrust23THRUST_200600_302600_NS6detail15normal_iteratorINS8_7pointerItNS8_11hip_rocprim5par_tENS8_11use_defaultESE_EEEENSA_INSB_IlSD_SE_SE_EEEEZNS1_13binary_searchIS3_S5_PtSG_SI_NS1_21upper_bound_search_opENS9_16wrapped_functionINS8_6system6detail7generic6detail18binary_search_lessEbEEEE10hipError_tPvRmT1_T2_T3_mmT4_T5_P12ihipStream_tbEUlRKtE_EEST_SX_SY_mSZ_S12_bEUlT_E_NS1_11comp_targetILNS1_3genE10ELNS1_11target_archE1200ELNS1_3gpuE4ELNS1_3repE0EEENS1_30default_config_static_selectorELNS0_4arch9wavefront6targetE1EEEvSW_.has_dyn_sized_stack, 0
	.set _ZN7rocprim17ROCPRIM_400000_NS6detail17trampoline_kernelINS0_14default_configENS1_27upper_bound_config_selectorItlEEZNS1_14transform_implILb0ES3_S5_N6thrust23THRUST_200600_302600_NS6detail15normal_iteratorINS8_7pointerItNS8_11hip_rocprim5par_tENS8_11use_defaultESE_EEEENSA_INSB_IlSD_SE_SE_EEEEZNS1_13binary_searchIS3_S5_PtSG_SI_NS1_21upper_bound_search_opENS9_16wrapped_functionINS8_6system6detail7generic6detail18binary_search_lessEbEEEE10hipError_tPvRmT1_T2_T3_mmT4_T5_P12ihipStream_tbEUlRKtE_EEST_SX_SY_mSZ_S12_bEUlT_E_NS1_11comp_targetILNS1_3genE10ELNS1_11target_archE1200ELNS1_3gpuE4ELNS1_3repE0EEENS1_30default_config_static_selectorELNS0_4arch9wavefront6targetE1EEEvSW_.has_recursion, 0
	.set _ZN7rocprim17ROCPRIM_400000_NS6detail17trampoline_kernelINS0_14default_configENS1_27upper_bound_config_selectorItlEEZNS1_14transform_implILb0ES3_S5_N6thrust23THRUST_200600_302600_NS6detail15normal_iteratorINS8_7pointerItNS8_11hip_rocprim5par_tENS8_11use_defaultESE_EEEENSA_INSB_IlSD_SE_SE_EEEEZNS1_13binary_searchIS3_S5_PtSG_SI_NS1_21upper_bound_search_opENS9_16wrapped_functionINS8_6system6detail7generic6detail18binary_search_lessEbEEEE10hipError_tPvRmT1_T2_T3_mmT4_T5_P12ihipStream_tbEUlRKtE_EEST_SX_SY_mSZ_S12_bEUlT_E_NS1_11comp_targetILNS1_3genE10ELNS1_11target_archE1200ELNS1_3gpuE4ELNS1_3repE0EEENS1_30default_config_static_selectorELNS0_4arch9wavefront6targetE1EEEvSW_.has_indirect_call, 0
	.section	.AMDGPU.csdata,"",@progbits
; Kernel info:
; codeLenInByte = 0
; TotalNumSgprs: 4
; NumVgprs: 0
; ScratchSize: 0
; MemoryBound: 0
; FloatMode: 240
; IeeeMode: 1
; LDSByteSize: 0 bytes/workgroup (compile time only)
; SGPRBlocks: 0
; VGPRBlocks: 0
; NumSGPRsForWavesPerEU: 4
; NumVGPRsForWavesPerEU: 1
; Occupancy: 10
; WaveLimiterHint : 0
; COMPUTE_PGM_RSRC2:SCRATCH_EN: 0
; COMPUTE_PGM_RSRC2:USER_SGPR: 6
; COMPUTE_PGM_RSRC2:TRAP_HANDLER: 0
; COMPUTE_PGM_RSRC2:TGID_X_EN: 1
; COMPUTE_PGM_RSRC2:TGID_Y_EN: 0
; COMPUTE_PGM_RSRC2:TGID_Z_EN: 0
; COMPUTE_PGM_RSRC2:TIDIG_COMP_CNT: 0
	.section	.text._ZN7rocprim17ROCPRIM_400000_NS6detail17trampoline_kernelINS0_14default_configENS1_27upper_bound_config_selectorItlEEZNS1_14transform_implILb0ES3_S5_N6thrust23THRUST_200600_302600_NS6detail15normal_iteratorINS8_7pointerItNS8_11hip_rocprim5par_tENS8_11use_defaultESE_EEEENSA_INSB_IlSD_SE_SE_EEEEZNS1_13binary_searchIS3_S5_PtSG_SI_NS1_21upper_bound_search_opENS9_16wrapped_functionINS8_6system6detail7generic6detail18binary_search_lessEbEEEE10hipError_tPvRmT1_T2_T3_mmT4_T5_P12ihipStream_tbEUlRKtE_EEST_SX_SY_mSZ_S12_bEUlT_E_NS1_11comp_targetILNS1_3genE9ELNS1_11target_archE1100ELNS1_3gpuE3ELNS1_3repE0EEENS1_30default_config_static_selectorELNS0_4arch9wavefront6targetE1EEEvSW_,"axG",@progbits,_ZN7rocprim17ROCPRIM_400000_NS6detail17trampoline_kernelINS0_14default_configENS1_27upper_bound_config_selectorItlEEZNS1_14transform_implILb0ES3_S5_N6thrust23THRUST_200600_302600_NS6detail15normal_iteratorINS8_7pointerItNS8_11hip_rocprim5par_tENS8_11use_defaultESE_EEEENSA_INSB_IlSD_SE_SE_EEEEZNS1_13binary_searchIS3_S5_PtSG_SI_NS1_21upper_bound_search_opENS9_16wrapped_functionINS8_6system6detail7generic6detail18binary_search_lessEbEEEE10hipError_tPvRmT1_T2_T3_mmT4_T5_P12ihipStream_tbEUlRKtE_EEST_SX_SY_mSZ_S12_bEUlT_E_NS1_11comp_targetILNS1_3genE9ELNS1_11target_archE1100ELNS1_3gpuE3ELNS1_3repE0EEENS1_30default_config_static_selectorELNS0_4arch9wavefront6targetE1EEEvSW_,comdat
	.protected	_ZN7rocprim17ROCPRIM_400000_NS6detail17trampoline_kernelINS0_14default_configENS1_27upper_bound_config_selectorItlEEZNS1_14transform_implILb0ES3_S5_N6thrust23THRUST_200600_302600_NS6detail15normal_iteratorINS8_7pointerItNS8_11hip_rocprim5par_tENS8_11use_defaultESE_EEEENSA_INSB_IlSD_SE_SE_EEEEZNS1_13binary_searchIS3_S5_PtSG_SI_NS1_21upper_bound_search_opENS9_16wrapped_functionINS8_6system6detail7generic6detail18binary_search_lessEbEEEE10hipError_tPvRmT1_T2_T3_mmT4_T5_P12ihipStream_tbEUlRKtE_EEST_SX_SY_mSZ_S12_bEUlT_E_NS1_11comp_targetILNS1_3genE9ELNS1_11target_archE1100ELNS1_3gpuE3ELNS1_3repE0EEENS1_30default_config_static_selectorELNS0_4arch9wavefront6targetE1EEEvSW_ ; -- Begin function _ZN7rocprim17ROCPRIM_400000_NS6detail17trampoline_kernelINS0_14default_configENS1_27upper_bound_config_selectorItlEEZNS1_14transform_implILb0ES3_S5_N6thrust23THRUST_200600_302600_NS6detail15normal_iteratorINS8_7pointerItNS8_11hip_rocprim5par_tENS8_11use_defaultESE_EEEENSA_INSB_IlSD_SE_SE_EEEEZNS1_13binary_searchIS3_S5_PtSG_SI_NS1_21upper_bound_search_opENS9_16wrapped_functionINS8_6system6detail7generic6detail18binary_search_lessEbEEEE10hipError_tPvRmT1_T2_T3_mmT4_T5_P12ihipStream_tbEUlRKtE_EEST_SX_SY_mSZ_S12_bEUlT_E_NS1_11comp_targetILNS1_3genE9ELNS1_11target_archE1100ELNS1_3gpuE3ELNS1_3repE0EEENS1_30default_config_static_selectorELNS0_4arch9wavefront6targetE1EEEvSW_
	.globl	_ZN7rocprim17ROCPRIM_400000_NS6detail17trampoline_kernelINS0_14default_configENS1_27upper_bound_config_selectorItlEEZNS1_14transform_implILb0ES3_S5_N6thrust23THRUST_200600_302600_NS6detail15normal_iteratorINS8_7pointerItNS8_11hip_rocprim5par_tENS8_11use_defaultESE_EEEENSA_INSB_IlSD_SE_SE_EEEEZNS1_13binary_searchIS3_S5_PtSG_SI_NS1_21upper_bound_search_opENS9_16wrapped_functionINS8_6system6detail7generic6detail18binary_search_lessEbEEEE10hipError_tPvRmT1_T2_T3_mmT4_T5_P12ihipStream_tbEUlRKtE_EEST_SX_SY_mSZ_S12_bEUlT_E_NS1_11comp_targetILNS1_3genE9ELNS1_11target_archE1100ELNS1_3gpuE3ELNS1_3repE0EEENS1_30default_config_static_selectorELNS0_4arch9wavefront6targetE1EEEvSW_
	.p2align	8
	.type	_ZN7rocprim17ROCPRIM_400000_NS6detail17trampoline_kernelINS0_14default_configENS1_27upper_bound_config_selectorItlEEZNS1_14transform_implILb0ES3_S5_N6thrust23THRUST_200600_302600_NS6detail15normal_iteratorINS8_7pointerItNS8_11hip_rocprim5par_tENS8_11use_defaultESE_EEEENSA_INSB_IlSD_SE_SE_EEEEZNS1_13binary_searchIS3_S5_PtSG_SI_NS1_21upper_bound_search_opENS9_16wrapped_functionINS8_6system6detail7generic6detail18binary_search_lessEbEEEE10hipError_tPvRmT1_T2_T3_mmT4_T5_P12ihipStream_tbEUlRKtE_EEST_SX_SY_mSZ_S12_bEUlT_E_NS1_11comp_targetILNS1_3genE9ELNS1_11target_archE1100ELNS1_3gpuE3ELNS1_3repE0EEENS1_30default_config_static_selectorELNS0_4arch9wavefront6targetE1EEEvSW_,@function
_ZN7rocprim17ROCPRIM_400000_NS6detail17trampoline_kernelINS0_14default_configENS1_27upper_bound_config_selectorItlEEZNS1_14transform_implILb0ES3_S5_N6thrust23THRUST_200600_302600_NS6detail15normal_iteratorINS8_7pointerItNS8_11hip_rocprim5par_tENS8_11use_defaultESE_EEEENSA_INSB_IlSD_SE_SE_EEEEZNS1_13binary_searchIS3_S5_PtSG_SI_NS1_21upper_bound_search_opENS9_16wrapped_functionINS8_6system6detail7generic6detail18binary_search_lessEbEEEE10hipError_tPvRmT1_T2_T3_mmT4_T5_P12ihipStream_tbEUlRKtE_EEST_SX_SY_mSZ_S12_bEUlT_E_NS1_11comp_targetILNS1_3genE9ELNS1_11target_archE1100ELNS1_3gpuE3ELNS1_3repE0EEENS1_30default_config_static_selectorELNS0_4arch9wavefront6targetE1EEEvSW_: ; @_ZN7rocprim17ROCPRIM_400000_NS6detail17trampoline_kernelINS0_14default_configENS1_27upper_bound_config_selectorItlEEZNS1_14transform_implILb0ES3_S5_N6thrust23THRUST_200600_302600_NS6detail15normal_iteratorINS8_7pointerItNS8_11hip_rocprim5par_tENS8_11use_defaultESE_EEEENSA_INSB_IlSD_SE_SE_EEEEZNS1_13binary_searchIS3_S5_PtSG_SI_NS1_21upper_bound_search_opENS9_16wrapped_functionINS8_6system6detail7generic6detail18binary_search_lessEbEEEE10hipError_tPvRmT1_T2_T3_mmT4_T5_P12ihipStream_tbEUlRKtE_EEST_SX_SY_mSZ_S12_bEUlT_E_NS1_11comp_targetILNS1_3genE9ELNS1_11target_archE1100ELNS1_3gpuE3ELNS1_3repE0EEENS1_30default_config_static_selectorELNS0_4arch9wavefront6targetE1EEEvSW_
; %bb.0:
	.section	.rodata,"a",@progbits
	.p2align	6, 0x0
	.amdhsa_kernel _ZN7rocprim17ROCPRIM_400000_NS6detail17trampoline_kernelINS0_14default_configENS1_27upper_bound_config_selectorItlEEZNS1_14transform_implILb0ES3_S5_N6thrust23THRUST_200600_302600_NS6detail15normal_iteratorINS8_7pointerItNS8_11hip_rocprim5par_tENS8_11use_defaultESE_EEEENSA_INSB_IlSD_SE_SE_EEEEZNS1_13binary_searchIS3_S5_PtSG_SI_NS1_21upper_bound_search_opENS9_16wrapped_functionINS8_6system6detail7generic6detail18binary_search_lessEbEEEE10hipError_tPvRmT1_T2_T3_mmT4_T5_P12ihipStream_tbEUlRKtE_EEST_SX_SY_mSZ_S12_bEUlT_E_NS1_11comp_targetILNS1_3genE9ELNS1_11target_archE1100ELNS1_3gpuE3ELNS1_3repE0EEENS1_30default_config_static_selectorELNS0_4arch9wavefront6targetE1EEEvSW_
		.amdhsa_group_segment_fixed_size 0
		.amdhsa_private_segment_fixed_size 0
		.amdhsa_kernarg_size 56
		.amdhsa_user_sgpr_count 6
		.amdhsa_user_sgpr_private_segment_buffer 1
		.amdhsa_user_sgpr_dispatch_ptr 0
		.amdhsa_user_sgpr_queue_ptr 0
		.amdhsa_user_sgpr_kernarg_segment_ptr 1
		.amdhsa_user_sgpr_dispatch_id 0
		.amdhsa_user_sgpr_flat_scratch_init 0
		.amdhsa_user_sgpr_private_segment_size 0
		.amdhsa_uses_dynamic_stack 0
		.amdhsa_system_sgpr_private_segment_wavefront_offset 0
		.amdhsa_system_sgpr_workgroup_id_x 1
		.amdhsa_system_sgpr_workgroup_id_y 0
		.amdhsa_system_sgpr_workgroup_id_z 0
		.amdhsa_system_sgpr_workgroup_info 0
		.amdhsa_system_vgpr_workitem_id 0
		.amdhsa_next_free_vgpr 1
		.amdhsa_next_free_sgpr 0
		.amdhsa_reserve_vcc 0
		.amdhsa_reserve_flat_scratch 0
		.amdhsa_float_round_mode_32 0
		.amdhsa_float_round_mode_16_64 0
		.amdhsa_float_denorm_mode_32 3
		.amdhsa_float_denorm_mode_16_64 3
		.amdhsa_dx10_clamp 1
		.amdhsa_ieee_mode 1
		.amdhsa_fp16_overflow 0
		.amdhsa_exception_fp_ieee_invalid_op 0
		.amdhsa_exception_fp_denorm_src 0
		.amdhsa_exception_fp_ieee_div_zero 0
		.amdhsa_exception_fp_ieee_overflow 0
		.amdhsa_exception_fp_ieee_underflow 0
		.amdhsa_exception_fp_ieee_inexact 0
		.amdhsa_exception_int_div_zero 0
	.end_amdhsa_kernel
	.section	.text._ZN7rocprim17ROCPRIM_400000_NS6detail17trampoline_kernelINS0_14default_configENS1_27upper_bound_config_selectorItlEEZNS1_14transform_implILb0ES3_S5_N6thrust23THRUST_200600_302600_NS6detail15normal_iteratorINS8_7pointerItNS8_11hip_rocprim5par_tENS8_11use_defaultESE_EEEENSA_INSB_IlSD_SE_SE_EEEEZNS1_13binary_searchIS3_S5_PtSG_SI_NS1_21upper_bound_search_opENS9_16wrapped_functionINS8_6system6detail7generic6detail18binary_search_lessEbEEEE10hipError_tPvRmT1_T2_T3_mmT4_T5_P12ihipStream_tbEUlRKtE_EEST_SX_SY_mSZ_S12_bEUlT_E_NS1_11comp_targetILNS1_3genE9ELNS1_11target_archE1100ELNS1_3gpuE3ELNS1_3repE0EEENS1_30default_config_static_selectorELNS0_4arch9wavefront6targetE1EEEvSW_,"axG",@progbits,_ZN7rocprim17ROCPRIM_400000_NS6detail17trampoline_kernelINS0_14default_configENS1_27upper_bound_config_selectorItlEEZNS1_14transform_implILb0ES3_S5_N6thrust23THRUST_200600_302600_NS6detail15normal_iteratorINS8_7pointerItNS8_11hip_rocprim5par_tENS8_11use_defaultESE_EEEENSA_INSB_IlSD_SE_SE_EEEEZNS1_13binary_searchIS3_S5_PtSG_SI_NS1_21upper_bound_search_opENS9_16wrapped_functionINS8_6system6detail7generic6detail18binary_search_lessEbEEEE10hipError_tPvRmT1_T2_T3_mmT4_T5_P12ihipStream_tbEUlRKtE_EEST_SX_SY_mSZ_S12_bEUlT_E_NS1_11comp_targetILNS1_3genE9ELNS1_11target_archE1100ELNS1_3gpuE3ELNS1_3repE0EEENS1_30default_config_static_selectorELNS0_4arch9wavefront6targetE1EEEvSW_,comdat
.Lfunc_end209:
	.size	_ZN7rocprim17ROCPRIM_400000_NS6detail17trampoline_kernelINS0_14default_configENS1_27upper_bound_config_selectorItlEEZNS1_14transform_implILb0ES3_S5_N6thrust23THRUST_200600_302600_NS6detail15normal_iteratorINS8_7pointerItNS8_11hip_rocprim5par_tENS8_11use_defaultESE_EEEENSA_INSB_IlSD_SE_SE_EEEEZNS1_13binary_searchIS3_S5_PtSG_SI_NS1_21upper_bound_search_opENS9_16wrapped_functionINS8_6system6detail7generic6detail18binary_search_lessEbEEEE10hipError_tPvRmT1_T2_T3_mmT4_T5_P12ihipStream_tbEUlRKtE_EEST_SX_SY_mSZ_S12_bEUlT_E_NS1_11comp_targetILNS1_3genE9ELNS1_11target_archE1100ELNS1_3gpuE3ELNS1_3repE0EEENS1_30default_config_static_selectorELNS0_4arch9wavefront6targetE1EEEvSW_, .Lfunc_end209-_ZN7rocprim17ROCPRIM_400000_NS6detail17trampoline_kernelINS0_14default_configENS1_27upper_bound_config_selectorItlEEZNS1_14transform_implILb0ES3_S5_N6thrust23THRUST_200600_302600_NS6detail15normal_iteratorINS8_7pointerItNS8_11hip_rocprim5par_tENS8_11use_defaultESE_EEEENSA_INSB_IlSD_SE_SE_EEEEZNS1_13binary_searchIS3_S5_PtSG_SI_NS1_21upper_bound_search_opENS9_16wrapped_functionINS8_6system6detail7generic6detail18binary_search_lessEbEEEE10hipError_tPvRmT1_T2_T3_mmT4_T5_P12ihipStream_tbEUlRKtE_EEST_SX_SY_mSZ_S12_bEUlT_E_NS1_11comp_targetILNS1_3genE9ELNS1_11target_archE1100ELNS1_3gpuE3ELNS1_3repE0EEENS1_30default_config_static_selectorELNS0_4arch9wavefront6targetE1EEEvSW_
                                        ; -- End function
	.set _ZN7rocprim17ROCPRIM_400000_NS6detail17trampoline_kernelINS0_14default_configENS1_27upper_bound_config_selectorItlEEZNS1_14transform_implILb0ES3_S5_N6thrust23THRUST_200600_302600_NS6detail15normal_iteratorINS8_7pointerItNS8_11hip_rocprim5par_tENS8_11use_defaultESE_EEEENSA_INSB_IlSD_SE_SE_EEEEZNS1_13binary_searchIS3_S5_PtSG_SI_NS1_21upper_bound_search_opENS9_16wrapped_functionINS8_6system6detail7generic6detail18binary_search_lessEbEEEE10hipError_tPvRmT1_T2_T3_mmT4_T5_P12ihipStream_tbEUlRKtE_EEST_SX_SY_mSZ_S12_bEUlT_E_NS1_11comp_targetILNS1_3genE9ELNS1_11target_archE1100ELNS1_3gpuE3ELNS1_3repE0EEENS1_30default_config_static_selectorELNS0_4arch9wavefront6targetE1EEEvSW_.num_vgpr, 0
	.set _ZN7rocprim17ROCPRIM_400000_NS6detail17trampoline_kernelINS0_14default_configENS1_27upper_bound_config_selectorItlEEZNS1_14transform_implILb0ES3_S5_N6thrust23THRUST_200600_302600_NS6detail15normal_iteratorINS8_7pointerItNS8_11hip_rocprim5par_tENS8_11use_defaultESE_EEEENSA_INSB_IlSD_SE_SE_EEEEZNS1_13binary_searchIS3_S5_PtSG_SI_NS1_21upper_bound_search_opENS9_16wrapped_functionINS8_6system6detail7generic6detail18binary_search_lessEbEEEE10hipError_tPvRmT1_T2_T3_mmT4_T5_P12ihipStream_tbEUlRKtE_EEST_SX_SY_mSZ_S12_bEUlT_E_NS1_11comp_targetILNS1_3genE9ELNS1_11target_archE1100ELNS1_3gpuE3ELNS1_3repE0EEENS1_30default_config_static_selectorELNS0_4arch9wavefront6targetE1EEEvSW_.num_agpr, 0
	.set _ZN7rocprim17ROCPRIM_400000_NS6detail17trampoline_kernelINS0_14default_configENS1_27upper_bound_config_selectorItlEEZNS1_14transform_implILb0ES3_S5_N6thrust23THRUST_200600_302600_NS6detail15normal_iteratorINS8_7pointerItNS8_11hip_rocprim5par_tENS8_11use_defaultESE_EEEENSA_INSB_IlSD_SE_SE_EEEEZNS1_13binary_searchIS3_S5_PtSG_SI_NS1_21upper_bound_search_opENS9_16wrapped_functionINS8_6system6detail7generic6detail18binary_search_lessEbEEEE10hipError_tPvRmT1_T2_T3_mmT4_T5_P12ihipStream_tbEUlRKtE_EEST_SX_SY_mSZ_S12_bEUlT_E_NS1_11comp_targetILNS1_3genE9ELNS1_11target_archE1100ELNS1_3gpuE3ELNS1_3repE0EEENS1_30default_config_static_selectorELNS0_4arch9wavefront6targetE1EEEvSW_.numbered_sgpr, 0
	.set _ZN7rocprim17ROCPRIM_400000_NS6detail17trampoline_kernelINS0_14default_configENS1_27upper_bound_config_selectorItlEEZNS1_14transform_implILb0ES3_S5_N6thrust23THRUST_200600_302600_NS6detail15normal_iteratorINS8_7pointerItNS8_11hip_rocprim5par_tENS8_11use_defaultESE_EEEENSA_INSB_IlSD_SE_SE_EEEEZNS1_13binary_searchIS3_S5_PtSG_SI_NS1_21upper_bound_search_opENS9_16wrapped_functionINS8_6system6detail7generic6detail18binary_search_lessEbEEEE10hipError_tPvRmT1_T2_T3_mmT4_T5_P12ihipStream_tbEUlRKtE_EEST_SX_SY_mSZ_S12_bEUlT_E_NS1_11comp_targetILNS1_3genE9ELNS1_11target_archE1100ELNS1_3gpuE3ELNS1_3repE0EEENS1_30default_config_static_selectorELNS0_4arch9wavefront6targetE1EEEvSW_.num_named_barrier, 0
	.set _ZN7rocprim17ROCPRIM_400000_NS6detail17trampoline_kernelINS0_14default_configENS1_27upper_bound_config_selectorItlEEZNS1_14transform_implILb0ES3_S5_N6thrust23THRUST_200600_302600_NS6detail15normal_iteratorINS8_7pointerItNS8_11hip_rocprim5par_tENS8_11use_defaultESE_EEEENSA_INSB_IlSD_SE_SE_EEEEZNS1_13binary_searchIS3_S5_PtSG_SI_NS1_21upper_bound_search_opENS9_16wrapped_functionINS8_6system6detail7generic6detail18binary_search_lessEbEEEE10hipError_tPvRmT1_T2_T3_mmT4_T5_P12ihipStream_tbEUlRKtE_EEST_SX_SY_mSZ_S12_bEUlT_E_NS1_11comp_targetILNS1_3genE9ELNS1_11target_archE1100ELNS1_3gpuE3ELNS1_3repE0EEENS1_30default_config_static_selectorELNS0_4arch9wavefront6targetE1EEEvSW_.private_seg_size, 0
	.set _ZN7rocprim17ROCPRIM_400000_NS6detail17trampoline_kernelINS0_14default_configENS1_27upper_bound_config_selectorItlEEZNS1_14transform_implILb0ES3_S5_N6thrust23THRUST_200600_302600_NS6detail15normal_iteratorINS8_7pointerItNS8_11hip_rocprim5par_tENS8_11use_defaultESE_EEEENSA_INSB_IlSD_SE_SE_EEEEZNS1_13binary_searchIS3_S5_PtSG_SI_NS1_21upper_bound_search_opENS9_16wrapped_functionINS8_6system6detail7generic6detail18binary_search_lessEbEEEE10hipError_tPvRmT1_T2_T3_mmT4_T5_P12ihipStream_tbEUlRKtE_EEST_SX_SY_mSZ_S12_bEUlT_E_NS1_11comp_targetILNS1_3genE9ELNS1_11target_archE1100ELNS1_3gpuE3ELNS1_3repE0EEENS1_30default_config_static_selectorELNS0_4arch9wavefront6targetE1EEEvSW_.uses_vcc, 0
	.set _ZN7rocprim17ROCPRIM_400000_NS6detail17trampoline_kernelINS0_14default_configENS1_27upper_bound_config_selectorItlEEZNS1_14transform_implILb0ES3_S5_N6thrust23THRUST_200600_302600_NS6detail15normal_iteratorINS8_7pointerItNS8_11hip_rocprim5par_tENS8_11use_defaultESE_EEEENSA_INSB_IlSD_SE_SE_EEEEZNS1_13binary_searchIS3_S5_PtSG_SI_NS1_21upper_bound_search_opENS9_16wrapped_functionINS8_6system6detail7generic6detail18binary_search_lessEbEEEE10hipError_tPvRmT1_T2_T3_mmT4_T5_P12ihipStream_tbEUlRKtE_EEST_SX_SY_mSZ_S12_bEUlT_E_NS1_11comp_targetILNS1_3genE9ELNS1_11target_archE1100ELNS1_3gpuE3ELNS1_3repE0EEENS1_30default_config_static_selectorELNS0_4arch9wavefront6targetE1EEEvSW_.uses_flat_scratch, 0
	.set _ZN7rocprim17ROCPRIM_400000_NS6detail17trampoline_kernelINS0_14default_configENS1_27upper_bound_config_selectorItlEEZNS1_14transform_implILb0ES3_S5_N6thrust23THRUST_200600_302600_NS6detail15normal_iteratorINS8_7pointerItNS8_11hip_rocprim5par_tENS8_11use_defaultESE_EEEENSA_INSB_IlSD_SE_SE_EEEEZNS1_13binary_searchIS3_S5_PtSG_SI_NS1_21upper_bound_search_opENS9_16wrapped_functionINS8_6system6detail7generic6detail18binary_search_lessEbEEEE10hipError_tPvRmT1_T2_T3_mmT4_T5_P12ihipStream_tbEUlRKtE_EEST_SX_SY_mSZ_S12_bEUlT_E_NS1_11comp_targetILNS1_3genE9ELNS1_11target_archE1100ELNS1_3gpuE3ELNS1_3repE0EEENS1_30default_config_static_selectorELNS0_4arch9wavefront6targetE1EEEvSW_.has_dyn_sized_stack, 0
	.set _ZN7rocprim17ROCPRIM_400000_NS6detail17trampoline_kernelINS0_14default_configENS1_27upper_bound_config_selectorItlEEZNS1_14transform_implILb0ES3_S5_N6thrust23THRUST_200600_302600_NS6detail15normal_iteratorINS8_7pointerItNS8_11hip_rocprim5par_tENS8_11use_defaultESE_EEEENSA_INSB_IlSD_SE_SE_EEEEZNS1_13binary_searchIS3_S5_PtSG_SI_NS1_21upper_bound_search_opENS9_16wrapped_functionINS8_6system6detail7generic6detail18binary_search_lessEbEEEE10hipError_tPvRmT1_T2_T3_mmT4_T5_P12ihipStream_tbEUlRKtE_EEST_SX_SY_mSZ_S12_bEUlT_E_NS1_11comp_targetILNS1_3genE9ELNS1_11target_archE1100ELNS1_3gpuE3ELNS1_3repE0EEENS1_30default_config_static_selectorELNS0_4arch9wavefront6targetE1EEEvSW_.has_recursion, 0
	.set _ZN7rocprim17ROCPRIM_400000_NS6detail17trampoline_kernelINS0_14default_configENS1_27upper_bound_config_selectorItlEEZNS1_14transform_implILb0ES3_S5_N6thrust23THRUST_200600_302600_NS6detail15normal_iteratorINS8_7pointerItNS8_11hip_rocprim5par_tENS8_11use_defaultESE_EEEENSA_INSB_IlSD_SE_SE_EEEEZNS1_13binary_searchIS3_S5_PtSG_SI_NS1_21upper_bound_search_opENS9_16wrapped_functionINS8_6system6detail7generic6detail18binary_search_lessEbEEEE10hipError_tPvRmT1_T2_T3_mmT4_T5_P12ihipStream_tbEUlRKtE_EEST_SX_SY_mSZ_S12_bEUlT_E_NS1_11comp_targetILNS1_3genE9ELNS1_11target_archE1100ELNS1_3gpuE3ELNS1_3repE0EEENS1_30default_config_static_selectorELNS0_4arch9wavefront6targetE1EEEvSW_.has_indirect_call, 0
	.section	.AMDGPU.csdata,"",@progbits
; Kernel info:
; codeLenInByte = 0
; TotalNumSgprs: 4
; NumVgprs: 0
; ScratchSize: 0
; MemoryBound: 0
; FloatMode: 240
; IeeeMode: 1
; LDSByteSize: 0 bytes/workgroup (compile time only)
; SGPRBlocks: 0
; VGPRBlocks: 0
; NumSGPRsForWavesPerEU: 4
; NumVGPRsForWavesPerEU: 1
; Occupancy: 10
; WaveLimiterHint : 0
; COMPUTE_PGM_RSRC2:SCRATCH_EN: 0
; COMPUTE_PGM_RSRC2:USER_SGPR: 6
; COMPUTE_PGM_RSRC2:TRAP_HANDLER: 0
; COMPUTE_PGM_RSRC2:TGID_X_EN: 1
; COMPUTE_PGM_RSRC2:TGID_Y_EN: 0
; COMPUTE_PGM_RSRC2:TGID_Z_EN: 0
; COMPUTE_PGM_RSRC2:TIDIG_COMP_CNT: 0
	.section	.text._ZN7rocprim17ROCPRIM_400000_NS6detail17trampoline_kernelINS0_14default_configENS1_27upper_bound_config_selectorItlEEZNS1_14transform_implILb0ES3_S5_N6thrust23THRUST_200600_302600_NS6detail15normal_iteratorINS8_7pointerItNS8_11hip_rocprim5par_tENS8_11use_defaultESE_EEEENSA_INSB_IlSD_SE_SE_EEEEZNS1_13binary_searchIS3_S5_PtSG_SI_NS1_21upper_bound_search_opENS9_16wrapped_functionINS8_6system6detail7generic6detail18binary_search_lessEbEEEE10hipError_tPvRmT1_T2_T3_mmT4_T5_P12ihipStream_tbEUlRKtE_EEST_SX_SY_mSZ_S12_bEUlT_E_NS1_11comp_targetILNS1_3genE8ELNS1_11target_archE1030ELNS1_3gpuE2ELNS1_3repE0EEENS1_30default_config_static_selectorELNS0_4arch9wavefront6targetE1EEEvSW_,"axG",@progbits,_ZN7rocprim17ROCPRIM_400000_NS6detail17trampoline_kernelINS0_14default_configENS1_27upper_bound_config_selectorItlEEZNS1_14transform_implILb0ES3_S5_N6thrust23THRUST_200600_302600_NS6detail15normal_iteratorINS8_7pointerItNS8_11hip_rocprim5par_tENS8_11use_defaultESE_EEEENSA_INSB_IlSD_SE_SE_EEEEZNS1_13binary_searchIS3_S5_PtSG_SI_NS1_21upper_bound_search_opENS9_16wrapped_functionINS8_6system6detail7generic6detail18binary_search_lessEbEEEE10hipError_tPvRmT1_T2_T3_mmT4_T5_P12ihipStream_tbEUlRKtE_EEST_SX_SY_mSZ_S12_bEUlT_E_NS1_11comp_targetILNS1_3genE8ELNS1_11target_archE1030ELNS1_3gpuE2ELNS1_3repE0EEENS1_30default_config_static_selectorELNS0_4arch9wavefront6targetE1EEEvSW_,comdat
	.protected	_ZN7rocprim17ROCPRIM_400000_NS6detail17trampoline_kernelINS0_14default_configENS1_27upper_bound_config_selectorItlEEZNS1_14transform_implILb0ES3_S5_N6thrust23THRUST_200600_302600_NS6detail15normal_iteratorINS8_7pointerItNS8_11hip_rocprim5par_tENS8_11use_defaultESE_EEEENSA_INSB_IlSD_SE_SE_EEEEZNS1_13binary_searchIS3_S5_PtSG_SI_NS1_21upper_bound_search_opENS9_16wrapped_functionINS8_6system6detail7generic6detail18binary_search_lessEbEEEE10hipError_tPvRmT1_T2_T3_mmT4_T5_P12ihipStream_tbEUlRKtE_EEST_SX_SY_mSZ_S12_bEUlT_E_NS1_11comp_targetILNS1_3genE8ELNS1_11target_archE1030ELNS1_3gpuE2ELNS1_3repE0EEENS1_30default_config_static_selectorELNS0_4arch9wavefront6targetE1EEEvSW_ ; -- Begin function _ZN7rocprim17ROCPRIM_400000_NS6detail17trampoline_kernelINS0_14default_configENS1_27upper_bound_config_selectorItlEEZNS1_14transform_implILb0ES3_S5_N6thrust23THRUST_200600_302600_NS6detail15normal_iteratorINS8_7pointerItNS8_11hip_rocprim5par_tENS8_11use_defaultESE_EEEENSA_INSB_IlSD_SE_SE_EEEEZNS1_13binary_searchIS3_S5_PtSG_SI_NS1_21upper_bound_search_opENS9_16wrapped_functionINS8_6system6detail7generic6detail18binary_search_lessEbEEEE10hipError_tPvRmT1_T2_T3_mmT4_T5_P12ihipStream_tbEUlRKtE_EEST_SX_SY_mSZ_S12_bEUlT_E_NS1_11comp_targetILNS1_3genE8ELNS1_11target_archE1030ELNS1_3gpuE2ELNS1_3repE0EEENS1_30default_config_static_selectorELNS0_4arch9wavefront6targetE1EEEvSW_
	.globl	_ZN7rocprim17ROCPRIM_400000_NS6detail17trampoline_kernelINS0_14default_configENS1_27upper_bound_config_selectorItlEEZNS1_14transform_implILb0ES3_S5_N6thrust23THRUST_200600_302600_NS6detail15normal_iteratorINS8_7pointerItNS8_11hip_rocprim5par_tENS8_11use_defaultESE_EEEENSA_INSB_IlSD_SE_SE_EEEEZNS1_13binary_searchIS3_S5_PtSG_SI_NS1_21upper_bound_search_opENS9_16wrapped_functionINS8_6system6detail7generic6detail18binary_search_lessEbEEEE10hipError_tPvRmT1_T2_T3_mmT4_T5_P12ihipStream_tbEUlRKtE_EEST_SX_SY_mSZ_S12_bEUlT_E_NS1_11comp_targetILNS1_3genE8ELNS1_11target_archE1030ELNS1_3gpuE2ELNS1_3repE0EEENS1_30default_config_static_selectorELNS0_4arch9wavefront6targetE1EEEvSW_
	.p2align	8
	.type	_ZN7rocprim17ROCPRIM_400000_NS6detail17trampoline_kernelINS0_14default_configENS1_27upper_bound_config_selectorItlEEZNS1_14transform_implILb0ES3_S5_N6thrust23THRUST_200600_302600_NS6detail15normal_iteratorINS8_7pointerItNS8_11hip_rocprim5par_tENS8_11use_defaultESE_EEEENSA_INSB_IlSD_SE_SE_EEEEZNS1_13binary_searchIS3_S5_PtSG_SI_NS1_21upper_bound_search_opENS9_16wrapped_functionINS8_6system6detail7generic6detail18binary_search_lessEbEEEE10hipError_tPvRmT1_T2_T3_mmT4_T5_P12ihipStream_tbEUlRKtE_EEST_SX_SY_mSZ_S12_bEUlT_E_NS1_11comp_targetILNS1_3genE8ELNS1_11target_archE1030ELNS1_3gpuE2ELNS1_3repE0EEENS1_30default_config_static_selectorELNS0_4arch9wavefront6targetE1EEEvSW_,@function
_ZN7rocprim17ROCPRIM_400000_NS6detail17trampoline_kernelINS0_14default_configENS1_27upper_bound_config_selectorItlEEZNS1_14transform_implILb0ES3_S5_N6thrust23THRUST_200600_302600_NS6detail15normal_iteratorINS8_7pointerItNS8_11hip_rocprim5par_tENS8_11use_defaultESE_EEEENSA_INSB_IlSD_SE_SE_EEEEZNS1_13binary_searchIS3_S5_PtSG_SI_NS1_21upper_bound_search_opENS9_16wrapped_functionINS8_6system6detail7generic6detail18binary_search_lessEbEEEE10hipError_tPvRmT1_T2_T3_mmT4_T5_P12ihipStream_tbEUlRKtE_EEST_SX_SY_mSZ_S12_bEUlT_E_NS1_11comp_targetILNS1_3genE8ELNS1_11target_archE1030ELNS1_3gpuE2ELNS1_3repE0EEENS1_30default_config_static_selectorELNS0_4arch9wavefront6targetE1EEEvSW_: ; @_ZN7rocprim17ROCPRIM_400000_NS6detail17trampoline_kernelINS0_14default_configENS1_27upper_bound_config_selectorItlEEZNS1_14transform_implILb0ES3_S5_N6thrust23THRUST_200600_302600_NS6detail15normal_iteratorINS8_7pointerItNS8_11hip_rocprim5par_tENS8_11use_defaultESE_EEEENSA_INSB_IlSD_SE_SE_EEEEZNS1_13binary_searchIS3_S5_PtSG_SI_NS1_21upper_bound_search_opENS9_16wrapped_functionINS8_6system6detail7generic6detail18binary_search_lessEbEEEE10hipError_tPvRmT1_T2_T3_mmT4_T5_P12ihipStream_tbEUlRKtE_EEST_SX_SY_mSZ_S12_bEUlT_E_NS1_11comp_targetILNS1_3genE8ELNS1_11target_archE1030ELNS1_3gpuE2ELNS1_3repE0EEENS1_30default_config_static_selectorELNS0_4arch9wavefront6targetE1EEEvSW_
; %bb.0:
	.section	.rodata,"a",@progbits
	.p2align	6, 0x0
	.amdhsa_kernel _ZN7rocprim17ROCPRIM_400000_NS6detail17trampoline_kernelINS0_14default_configENS1_27upper_bound_config_selectorItlEEZNS1_14transform_implILb0ES3_S5_N6thrust23THRUST_200600_302600_NS6detail15normal_iteratorINS8_7pointerItNS8_11hip_rocprim5par_tENS8_11use_defaultESE_EEEENSA_INSB_IlSD_SE_SE_EEEEZNS1_13binary_searchIS3_S5_PtSG_SI_NS1_21upper_bound_search_opENS9_16wrapped_functionINS8_6system6detail7generic6detail18binary_search_lessEbEEEE10hipError_tPvRmT1_T2_T3_mmT4_T5_P12ihipStream_tbEUlRKtE_EEST_SX_SY_mSZ_S12_bEUlT_E_NS1_11comp_targetILNS1_3genE8ELNS1_11target_archE1030ELNS1_3gpuE2ELNS1_3repE0EEENS1_30default_config_static_selectorELNS0_4arch9wavefront6targetE1EEEvSW_
		.amdhsa_group_segment_fixed_size 0
		.amdhsa_private_segment_fixed_size 0
		.amdhsa_kernarg_size 56
		.amdhsa_user_sgpr_count 6
		.amdhsa_user_sgpr_private_segment_buffer 1
		.amdhsa_user_sgpr_dispatch_ptr 0
		.amdhsa_user_sgpr_queue_ptr 0
		.amdhsa_user_sgpr_kernarg_segment_ptr 1
		.amdhsa_user_sgpr_dispatch_id 0
		.amdhsa_user_sgpr_flat_scratch_init 0
		.amdhsa_user_sgpr_private_segment_size 0
		.amdhsa_uses_dynamic_stack 0
		.amdhsa_system_sgpr_private_segment_wavefront_offset 0
		.amdhsa_system_sgpr_workgroup_id_x 1
		.amdhsa_system_sgpr_workgroup_id_y 0
		.amdhsa_system_sgpr_workgroup_id_z 0
		.amdhsa_system_sgpr_workgroup_info 0
		.amdhsa_system_vgpr_workitem_id 0
		.amdhsa_next_free_vgpr 1
		.amdhsa_next_free_sgpr 0
		.amdhsa_reserve_vcc 0
		.amdhsa_reserve_flat_scratch 0
		.amdhsa_float_round_mode_32 0
		.amdhsa_float_round_mode_16_64 0
		.amdhsa_float_denorm_mode_32 3
		.amdhsa_float_denorm_mode_16_64 3
		.amdhsa_dx10_clamp 1
		.amdhsa_ieee_mode 1
		.amdhsa_fp16_overflow 0
		.amdhsa_exception_fp_ieee_invalid_op 0
		.amdhsa_exception_fp_denorm_src 0
		.amdhsa_exception_fp_ieee_div_zero 0
		.amdhsa_exception_fp_ieee_overflow 0
		.amdhsa_exception_fp_ieee_underflow 0
		.amdhsa_exception_fp_ieee_inexact 0
		.amdhsa_exception_int_div_zero 0
	.end_amdhsa_kernel
	.section	.text._ZN7rocprim17ROCPRIM_400000_NS6detail17trampoline_kernelINS0_14default_configENS1_27upper_bound_config_selectorItlEEZNS1_14transform_implILb0ES3_S5_N6thrust23THRUST_200600_302600_NS6detail15normal_iteratorINS8_7pointerItNS8_11hip_rocprim5par_tENS8_11use_defaultESE_EEEENSA_INSB_IlSD_SE_SE_EEEEZNS1_13binary_searchIS3_S5_PtSG_SI_NS1_21upper_bound_search_opENS9_16wrapped_functionINS8_6system6detail7generic6detail18binary_search_lessEbEEEE10hipError_tPvRmT1_T2_T3_mmT4_T5_P12ihipStream_tbEUlRKtE_EEST_SX_SY_mSZ_S12_bEUlT_E_NS1_11comp_targetILNS1_3genE8ELNS1_11target_archE1030ELNS1_3gpuE2ELNS1_3repE0EEENS1_30default_config_static_selectorELNS0_4arch9wavefront6targetE1EEEvSW_,"axG",@progbits,_ZN7rocprim17ROCPRIM_400000_NS6detail17trampoline_kernelINS0_14default_configENS1_27upper_bound_config_selectorItlEEZNS1_14transform_implILb0ES3_S5_N6thrust23THRUST_200600_302600_NS6detail15normal_iteratorINS8_7pointerItNS8_11hip_rocprim5par_tENS8_11use_defaultESE_EEEENSA_INSB_IlSD_SE_SE_EEEEZNS1_13binary_searchIS3_S5_PtSG_SI_NS1_21upper_bound_search_opENS9_16wrapped_functionINS8_6system6detail7generic6detail18binary_search_lessEbEEEE10hipError_tPvRmT1_T2_T3_mmT4_T5_P12ihipStream_tbEUlRKtE_EEST_SX_SY_mSZ_S12_bEUlT_E_NS1_11comp_targetILNS1_3genE8ELNS1_11target_archE1030ELNS1_3gpuE2ELNS1_3repE0EEENS1_30default_config_static_selectorELNS0_4arch9wavefront6targetE1EEEvSW_,comdat
.Lfunc_end210:
	.size	_ZN7rocprim17ROCPRIM_400000_NS6detail17trampoline_kernelINS0_14default_configENS1_27upper_bound_config_selectorItlEEZNS1_14transform_implILb0ES3_S5_N6thrust23THRUST_200600_302600_NS6detail15normal_iteratorINS8_7pointerItNS8_11hip_rocprim5par_tENS8_11use_defaultESE_EEEENSA_INSB_IlSD_SE_SE_EEEEZNS1_13binary_searchIS3_S5_PtSG_SI_NS1_21upper_bound_search_opENS9_16wrapped_functionINS8_6system6detail7generic6detail18binary_search_lessEbEEEE10hipError_tPvRmT1_T2_T3_mmT4_T5_P12ihipStream_tbEUlRKtE_EEST_SX_SY_mSZ_S12_bEUlT_E_NS1_11comp_targetILNS1_3genE8ELNS1_11target_archE1030ELNS1_3gpuE2ELNS1_3repE0EEENS1_30default_config_static_selectorELNS0_4arch9wavefront6targetE1EEEvSW_, .Lfunc_end210-_ZN7rocprim17ROCPRIM_400000_NS6detail17trampoline_kernelINS0_14default_configENS1_27upper_bound_config_selectorItlEEZNS1_14transform_implILb0ES3_S5_N6thrust23THRUST_200600_302600_NS6detail15normal_iteratorINS8_7pointerItNS8_11hip_rocprim5par_tENS8_11use_defaultESE_EEEENSA_INSB_IlSD_SE_SE_EEEEZNS1_13binary_searchIS3_S5_PtSG_SI_NS1_21upper_bound_search_opENS9_16wrapped_functionINS8_6system6detail7generic6detail18binary_search_lessEbEEEE10hipError_tPvRmT1_T2_T3_mmT4_T5_P12ihipStream_tbEUlRKtE_EEST_SX_SY_mSZ_S12_bEUlT_E_NS1_11comp_targetILNS1_3genE8ELNS1_11target_archE1030ELNS1_3gpuE2ELNS1_3repE0EEENS1_30default_config_static_selectorELNS0_4arch9wavefront6targetE1EEEvSW_
                                        ; -- End function
	.set _ZN7rocprim17ROCPRIM_400000_NS6detail17trampoline_kernelINS0_14default_configENS1_27upper_bound_config_selectorItlEEZNS1_14transform_implILb0ES3_S5_N6thrust23THRUST_200600_302600_NS6detail15normal_iteratorINS8_7pointerItNS8_11hip_rocprim5par_tENS8_11use_defaultESE_EEEENSA_INSB_IlSD_SE_SE_EEEEZNS1_13binary_searchIS3_S5_PtSG_SI_NS1_21upper_bound_search_opENS9_16wrapped_functionINS8_6system6detail7generic6detail18binary_search_lessEbEEEE10hipError_tPvRmT1_T2_T3_mmT4_T5_P12ihipStream_tbEUlRKtE_EEST_SX_SY_mSZ_S12_bEUlT_E_NS1_11comp_targetILNS1_3genE8ELNS1_11target_archE1030ELNS1_3gpuE2ELNS1_3repE0EEENS1_30default_config_static_selectorELNS0_4arch9wavefront6targetE1EEEvSW_.num_vgpr, 0
	.set _ZN7rocprim17ROCPRIM_400000_NS6detail17trampoline_kernelINS0_14default_configENS1_27upper_bound_config_selectorItlEEZNS1_14transform_implILb0ES3_S5_N6thrust23THRUST_200600_302600_NS6detail15normal_iteratorINS8_7pointerItNS8_11hip_rocprim5par_tENS8_11use_defaultESE_EEEENSA_INSB_IlSD_SE_SE_EEEEZNS1_13binary_searchIS3_S5_PtSG_SI_NS1_21upper_bound_search_opENS9_16wrapped_functionINS8_6system6detail7generic6detail18binary_search_lessEbEEEE10hipError_tPvRmT1_T2_T3_mmT4_T5_P12ihipStream_tbEUlRKtE_EEST_SX_SY_mSZ_S12_bEUlT_E_NS1_11comp_targetILNS1_3genE8ELNS1_11target_archE1030ELNS1_3gpuE2ELNS1_3repE0EEENS1_30default_config_static_selectorELNS0_4arch9wavefront6targetE1EEEvSW_.num_agpr, 0
	.set _ZN7rocprim17ROCPRIM_400000_NS6detail17trampoline_kernelINS0_14default_configENS1_27upper_bound_config_selectorItlEEZNS1_14transform_implILb0ES3_S5_N6thrust23THRUST_200600_302600_NS6detail15normal_iteratorINS8_7pointerItNS8_11hip_rocprim5par_tENS8_11use_defaultESE_EEEENSA_INSB_IlSD_SE_SE_EEEEZNS1_13binary_searchIS3_S5_PtSG_SI_NS1_21upper_bound_search_opENS9_16wrapped_functionINS8_6system6detail7generic6detail18binary_search_lessEbEEEE10hipError_tPvRmT1_T2_T3_mmT4_T5_P12ihipStream_tbEUlRKtE_EEST_SX_SY_mSZ_S12_bEUlT_E_NS1_11comp_targetILNS1_3genE8ELNS1_11target_archE1030ELNS1_3gpuE2ELNS1_3repE0EEENS1_30default_config_static_selectorELNS0_4arch9wavefront6targetE1EEEvSW_.numbered_sgpr, 0
	.set _ZN7rocprim17ROCPRIM_400000_NS6detail17trampoline_kernelINS0_14default_configENS1_27upper_bound_config_selectorItlEEZNS1_14transform_implILb0ES3_S5_N6thrust23THRUST_200600_302600_NS6detail15normal_iteratorINS8_7pointerItNS8_11hip_rocprim5par_tENS8_11use_defaultESE_EEEENSA_INSB_IlSD_SE_SE_EEEEZNS1_13binary_searchIS3_S5_PtSG_SI_NS1_21upper_bound_search_opENS9_16wrapped_functionINS8_6system6detail7generic6detail18binary_search_lessEbEEEE10hipError_tPvRmT1_T2_T3_mmT4_T5_P12ihipStream_tbEUlRKtE_EEST_SX_SY_mSZ_S12_bEUlT_E_NS1_11comp_targetILNS1_3genE8ELNS1_11target_archE1030ELNS1_3gpuE2ELNS1_3repE0EEENS1_30default_config_static_selectorELNS0_4arch9wavefront6targetE1EEEvSW_.num_named_barrier, 0
	.set _ZN7rocprim17ROCPRIM_400000_NS6detail17trampoline_kernelINS0_14default_configENS1_27upper_bound_config_selectorItlEEZNS1_14transform_implILb0ES3_S5_N6thrust23THRUST_200600_302600_NS6detail15normal_iteratorINS8_7pointerItNS8_11hip_rocprim5par_tENS8_11use_defaultESE_EEEENSA_INSB_IlSD_SE_SE_EEEEZNS1_13binary_searchIS3_S5_PtSG_SI_NS1_21upper_bound_search_opENS9_16wrapped_functionINS8_6system6detail7generic6detail18binary_search_lessEbEEEE10hipError_tPvRmT1_T2_T3_mmT4_T5_P12ihipStream_tbEUlRKtE_EEST_SX_SY_mSZ_S12_bEUlT_E_NS1_11comp_targetILNS1_3genE8ELNS1_11target_archE1030ELNS1_3gpuE2ELNS1_3repE0EEENS1_30default_config_static_selectorELNS0_4arch9wavefront6targetE1EEEvSW_.private_seg_size, 0
	.set _ZN7rocprim17ROCPRIM_400000_NS6detail17trampoline_kernelINS0_14default_configENS1_27upper_bound_config_selectorItlEEZNS1_14transform_implILb0ES3_S5_N6thrust23THRUST_200600_302600_NS6detail15normal_iteratorINS8_7pointerItNS8_11hip_rocprim5par_tENS8_11use_defaultESE_EEEENSA_INSB_IlSD_SE_SE_EEEEZNS1_13binary_searchIS3_S5_PtSG_SI_NS1_21upper_bound_search_opENS9_16wrapped_functionINS8_6system6detail7generic6detail18binary_search_lessEbEEEE10hipError_tPvRmT1_T2_T3_mmT4_T5_P12ihipStream_tbEUlRKtE_EEST_SX_SY_mSZ_S12_bEUlT_E_NS1_11comp_targetILNS1_3genE8ELNS1_11target_archE1030ELNS1_3gpuE2ELNS1_3repE0EEENS1_30default_config_static_selectorELNS0_4arch9wavefront6targetE1EEEvSW_.uses_vcc, 0
	.set _ZN7rocprim17ROCPRIM_400000_NS6detail17trampoline_kernelINS0_14default_configENS1_27upper_bound_config_selectorItlEEZNS1_14transform_implILb0ES3_S5_N6thrust23THRUST_200600_302600_NS6detail15normal_iteratorINS8_7pointerItNS8_11hip_rocprim5par_tENS8_11use_defaultESE_EEEENSA_INSB_IlSD_SE_SE_EEEEZNS1_13binary_searchIS3_S5_PtSG_SI_NS1_21upper_bound_search_opENS9_16wrapped_functionINS8_6system6detail7generic6detail18binary_search_lessEbEEEE10hipError_tPvRmT1_T2_T3_mmT4_T5_P12ihipStream_tbEUlRKtE_EEST_SX_SY_mSZ_S12_bEUlT_E_NS1_11comp_targetILNS1_3genE8ELNS1_11target_archE1030ELNS1_3gpuE2ELNS1_3repE0EEENS1_30default_config_static_selectorELNS0_4arch9wavefront6targetE1EEEvSW_.uses_flat_scratch, 0
	.set _ZN7rocprim17ROCPRIM_400000_NS6detail17trampoline_kernelINS0_14default_configENS1_27upper_bound_config_selectorItlEEZNS1_14transform_implILb0ES3_S5_N6thrust23THRUST_200600_302600_NS6detail15normal_iteratorINS8_7pointerItNS8_11hip_rocprim5par_tENS8_11use_defaultESE_EEEENSA_INSB_IlSD_SE_SE_EEEEZNS1_13binary_searchIS3_S5_PtSG_SI_NS1_21upper_bound_search_opENS9_16wrapped_functionINS8_6system6detail7generic6detail18binary_search_lessEbEEEE10hipError_tPvRmT1_T2_T3_mmT4_T5_P12ihipStream_tbEUlRKtE_EEST_SX_SY_mSZ_S12_bEUlT_E_NS1_11comp_targetILNS1_3genE8ELNS1_11target_archE1030ELNS1_3gpuE2ELNS1_3repE0EEENS1_30default_config_static_selectorELNS0_4arch9wavefront6targetE1EEEvSW_.has_dyn_sized_stack, 0
	.set _ZN7rocprim17ROCPRIM_400000_NS6detail17trampoline_kernelINS0_14default_configENS1_27upper_bound_config_selectorItlEEZNS1_14transform_implILb0ES3_S5_N6thrust23THRUST_200600_302600_NS6detail15normal_iteratorINS8_7pointerItNS8_11hip_rocprim5par_tENS8_11use_defaultESE_EEEENSA_INSB_IlSD_SE_SE_EEEEZNS1_13binary_searchIS3_S5_PtSG_SI_NS1_21upper_bound_search_opENS9_16wrapped_functionINS8_6system6detail7generic6detail18binary_search_lessEbEEEE10hipError_tPvRmT1_T2_T3_mmT4_T5_P12ihipStream_tbEUlRKtE_EEST_SX_SY_mSZ_S12_bEUlT_E_NS1_11comp_targetILNS1_3genE8ELNS1_11target_archE1030ELNS1_3gpuE2ELNS1_3repE0EEENS1_30default_config_static_selectorELNS0_4arch9wavefront6targetE1EEEvSW_.has_recursion, 0
	.set _ZN7rocprim17ROCPRIM_400000_NS6detail17trampoline_kernelINS0_14default_configENS1_27upper_bound_config_selectorItlEEZNS1_14transform_implILb0ES3_S5_N6thrust23THRUST_200600_302600_NS6detail15normal_iteratorINS8_7pointerItNS8_11hip_rocprim5par_tENS8_11use_defaultESE_EEEENSA_INSB_IlSD_SE_SE_EEEEZNS1_13binary_searchIS3_S5_PtSG_SI_NS1_21upper_bound_search_opENS9_16wrapped_functionINS8_6system6detail7generic6detail18binary_search_lessEbEEEE10hipError_tPvRmT1_T2_T3_mmT4_T5_P12ihipStream_tbEUlRKtE_EEST_SX_SY_mSZ_S12_bEUlT_E_NS1_11comp_targetILNS1_3genE8ELNS1_11target_archE1030ELNS1_3gpuE2ELNS1_3repE0EEENS1_30default_config_static_selectorELNS0_4arch9wavefront6targetE1EEEvSW_.has_indirect_call, 0
	.section	.AMDGPU.csdata,"",@progbits
; Kernel info:
; codeLenInByte = 0
; TotalNumSgprs: 4
; NumVgprs: 0
; ScratchSize: 0
; MemoryBound: 0
; FloatMode: 240
; IeeeMode: 1
; LDSByteSize: 0 bytes/workgroup (compile time only)
; SGPRBlocks: 0
; VGPRBlocks: 0
; NumSGPRsForWavesPerEU: 4
; NumVGPRsForWavesPerEU: 1
; Occupancy: 10
; WaveLimiterHint : 0
; COMPUTE_PGM_RSRC2:SCRATCH_EN: 0
; COMPUTE_PGM_RSRC2:USER_SGPR: 6
; COMPUTE_PGM_RSRC2:TRAP_HANDLER: 0
; COMPUTE_PGM_RSRC2:TGID_X_EN: 1
; COMPUTE_PGM_RSRC2:TGID_Y_EN: 0
; COMPUTE_PGM_RSRC2:TGID_Z_EN: 0
; COMPUTE_PGM_RSRC2:TIDIG_COMP_CNT: 0
	.section	.text._Z18upper_bound_kernelIxEvmPT_Pl,"axG",@progbits,_Z18upper_bound_kernelIxEvmPT_Pl,comdat
	.protected	_Z18upper_bound_kernelIxEvmPT_Pl ; -- Begin function _Z18upper_bound_kernelIxEvmPT_Pl
	.globl	_Z18upper_bound_kernelIxEvmPT_Pl
	.p2align	8
	.type	_Z18upper_bound_kernelIxEvmPT_Pl,@function
_Z18upper_bound_kernelIxEvmPT_Pl:       ; @_Z18upper_bound_kernelIxEvmPT_Pl
; %bb.0:
	s_load_dwordx4 s[0:3], s[4:5], 0x0
	s_load_dwordx2 s[6:7], s[4:5], 0x10
	s_mov_b64 s[8:9], -1
	s_waitcnt lgkmcnt(0)
	s_lshl_b64 s[0:1], s[0:1], 3
	s_add_u32 s0, s2, s0
	s_addc_u32 s1, s3, s1
	s_sub_u32 s0, s0, s2
	s_subb_u32 s1, s1, s3
	s_ashr_i64 s[4:5], s[0:1], 3
	v_cmp_lt_i64_e64 s[0:1], s[4:5], 1
	s_and_b64 s[0:1], exec, s[0:1]
	s_mov_b64 vcc, s[0:1]
	s_cbranch_vccz .LBB211_2
; %bb.1:
	v_mov_b32_e32 v0, 0
	v_mov_b32_e32 v1, v0
	global_store_dwordx2 v0, v[0:1], s[6:7]
	s_mov_b64 s[8:9], 0
.LBB211_2:
	s_andn2_b64 vcc, exec, s[8:9]
	s_mov_b64 s[8:9], 0
	s_cbranch_vccnz .LBB211_7
; %bb.3:
	s_mov_b64 s[10:11], s[4:5]
.LBB211_4:                              ; =>This Inner Loop Header: Depth=1
	s_sub_u32 s12, s10, s8
	s_subb_u32 s13, s11, s9
	s_lshr_b64 s[12:13], s[12:13], 1
	s_add_u32 s12, s12, s8
	s_addc_u32 s13, s13, s9
	s_lshl_b64 s[14:15], s[12:13], 3
	s_add_u32 s14, s2, s14
	s_addc_u32 s15, s3, s15
	s_load_dwordx2 s[14:15], s[14:15], 0x0
	s_add_u32 s16, s12, 1
	s_addc_u32 s17, s13, 0
	s_waitcnt lgkmcnt(0)
	v_cmp_gt_i64_e64 s[14:15], s[14:15], 0
	s_and_b64 s[14:15], s[14:15], exec
	s_cselect_b32 s10, s12, s10
	s_cselect_b32 s11, s13, s11
	v_mov_b32_e32 v0, s10
	s_cselect_b32 s9, s9, s17
	s_cselect_b32 s8, s8, s16
	v_mov_b32_e32 v1, s11
	v_cmp_lt_i64_e32 vcc, s[8:9], v[0:1]
	s_cbranch_vccnz .LBB211_4
; %bb.5:
	s_lshl_b64 s[8:9], s[8:9], 3
	s_add_u32 s8, s2, s8
	s_addc_u32 s9, s3, s9
	s_sub_u32 s8, s8, s2
	s_subb_u32 s9, s9, s3
	s_ashr_i64 s[8:9], s[8:9], 3
	v_mov_b32_e32 v0, s8
	v_mov_b32_e32 v2, 0
	;; [unrolled: 1-line block ×3, first 2 shown]
	s_mov_b64 s[8:9], 0
	s_mov_b64 s[10:11], s[4:5]
	global_store_dwordx2 v2, v[0:1], s[6:7]
.LBB211_6:                              ; =>This Inner Loop Header: Depth=1
	s_sub_u32 s12, s10, s8
	s_subb_u32 s13, s11, s9
	s_lshr_b64 s[12:13], s[12:13], 1
	s_add_u32 s12, s12, s8
	s_addc_u32 s13, s13, s9
	s_lshl_b64 s[14:15], s[12:13], 3
	s_add_u32 s14, s2, s14
	s_addc_u32 s15, s3, s15
	s_load_dwordx2 s[14:15], s[14:15], 0x0
	s_add_u32 s16, s12, 1
	s_addc_u32 s17, s13, 0
	s_waitcnt lgkmcnt(0)
	v_cmp_gt_i64_e64 s[14:15], s[14:15], 1
	s_and_b64 s[14:15], s[14:15], exec
	s_cselect_b32 s10, s12, s10
	s_cselect_b32 s11, s13, s11
	v_mov_b32_e32 v0, s10
	s_cselect_b32 s9, s9, s17
	s_cselect_b32 s8, s8, s16
	v_mov_b32_e32 v1, s11
	v_cmp_ge_i64_e32 vcc, s[8:9], v[0:1]
	s_cbranch_vccz .LBB211_6
.LBB211_7:
	s_lshl_b64 s[8:9], s[8:9], 3
	s_add_u32 s8, s2, s8
	s_addc_u32 s9, s3, s9
	s_sub_u32 s8, s8, s2
	s_subb_u32 s9, s9, s3
	s_ashr_i64 s[8:9], s[8:9], 3
	v_mov_b32_e32 v1, s8
	v_mov_b32_e32 v0, 0
	;; [unrolled: 1-line block ×3, first 2 shown]
	s_mov_b64 s[8:9], -1
	s_mov_b64 vcc, s[0:1]
	global_store_dwordx2 v0, v[1:2], s[6:7] offset:8
	s_cbranch_vccz .LBB211_9
; %bb.8:
	v_mov_b32_e32 v1, v0
	global_store_dwordx2 v0, v[0:1], s[6:7] offset:16
	s_mov_b64 s[8:9], 0
.LBB211_9:
	s_andn2_b64 vcc, exec, s[8:9]
	s_mov_b64 s[8:9], 0
	s_cbranch_vccnz .LBB211_14
; %bb.10:
	s_mov_b64 s[10:11], s[4:5]
.LBB211_11:                             ; =>This Inner Loop Header: Depth=1
	s_sub_u32 s12, s10, s8
	s_subb_u32 s13, s11, s9
	s_lshr_b64 s[12:13], s[12:13], 1
	s_add_u32 s12, s12, s8
	s_addc_u32 s13, s13, s9
	s_lshl_b64 s[14:15], s[12:13], 3
	s_add_u32 s14, s2, s14
	s_addc_u32 s15, s3, s15
	s_load_dwordx2 s[14:15], s[14:15], 0x0
	s_add_u32 s16, s12, 1
	s_addc_u32 s17, s13, 0
	s_waitcnt lgkmcnt(0)
	v_cmp_gt_i64_e64 s[14:15], s[14:15], 2
	s_and_b64 s[14:15], s[14:15], exec
	s_cselect_b32 s10, s12, s10
	s_cselect_b32 s11, s13, s11
	v_mov_b32_e32 v0, s10
	s_cselect_b32 s9, s9, s17
	s_cselect_b32 s8, s8, s16
	v_mov_b32_e32 v1, s11
	v_cmp_lt_i64_e32 vcc, s[8:9], v[0:1]
	s_cbranch_vccnz .LBB211_11
; %bb.12:
	s_lshl_b64 s[8:9], s[8:9], 3
	s_add_u32 s8, s2, s8
	s_addc_u32 s9, s3, s9
	s_sub_u32 s8, s8, s2
	s_subb_u32 s9, s9, s3
	s_ashr_i64 s[8:9], s[8:9], 3
	v_mov_b32_e32 v0, s8
	v_mov_b32_e32 v2, 0
	;; [unrolled: 1-line block ×3, first 2 shown]
	s_mov_b64 s[8:9], 0
	s_mov_b64 s[10:11], s[4:5]
	global_store_dwordx2 v2, v[0:1], s[6:7] offset:16
.LBB211_13:                             ; =>This Inner Loop Header: Depth=1
	s_sub_u32 s12, s10, s8
	s_subb_u32 s13, s11, s9
	s_lshr_b64 s[12:13], s[12:13], 1
	s_add_u32 s12, s12, s8
	s_addc_u32 s13, s13, s9
	s_lshl_b64 s[14:15], s[12:13], 3
	s_add_u32 s14, s2, s14
	s_addc_u32 s15, s3, s15
	s_load_dwordx2 s[14:15], s[14:15], 0x0
	s_add_u32 s16, s12, 1
	s_addc_u32 s17, s13, 0
	s_waitcnt lgkmcnt(0)
	v_cmp_gt_i64_e64 s[14:15], s[14:15], 3
	s_and_b64 s[14:15], s[14:15], exec
	s_cselect_b32 s10, s12, s10
	s_cselect_b32 s11, s13, s11
	v_mov_b32_e32 v0, s10
	s_cselect_b32 s9, s9, s17
	s_cselect_b32 s8, s8, s16
	v_mov_b32_e32 v1, s11
	v_cmp_ge_i64_e32 vcc, s[8:9], v[0:1]
	s_cbranch_vccz .LBB211_13
.LBB211_14:
	s_lshl_b64 s[8:9], s[8:9], 3
	s_add_u32 s8, s2, s8
	s_addc_u32 s9, s3, s9
	s_sub_u32 s8, s8, s2
	s_subb_u32 s9, s9, s3
	s_ashr_i64 s[8:9], s[8:9], 3
	v_mov_b32_e32 v1, s8
	v_mov_b32_e32 v0, 0
	;; [unrolled: 1-line block ×3, first 2 shown]
	s_mov_b64 s[8:9], -1
	s_mov_b64 vcc, s[0:1]
	global_store_dwordx2 v0, v[1:2], s[6:7] offset:24
	s_cbranch_vccz .LBB211_16
; %bb.15:
	v_mov_b32_e32 v1, v0
	global_store_dwordx2 v0, v[0:1], s[6:7] offset:32
	s_mov_b64 s[8:9], 0
.LBB211_16:
	s_andn2_b64 vcc, exec, s[8:9]
	s_mov_b64 s[8:9], 0
	s_cbranch_vccnz .LBB211_21
; %bb.17:
	s_mov_b64 s[10:11], s[4:5]
.LBB211_18:                             ; =>This Inner Loop Header: Depth=1
	s_sub_u32 s12, s10, s8
	s_subb_u32 s13, s11, s9
	s_lshr_b64 s[12:13], s[12:13], 1
	s_add_u32 s12, s12, s8
	s_addc_u32 s13, s13, s9
	s_lshl_b64 s[14:15], s[12:13], 3
	s_add_u32 s14, s2, s14
	s_addc_u32 s15, s3, s15
	s_load_dwordx2 s[14:15], s[14:15], 0x0
	s_add_u32 s16, s12, 1
	s_addc_u32 s17, s13, 0
	s_waitcnt lgkmcnt(0)
	v_cmp_gt_i64_e64 s[14:15], s[14:15], 4
	s_and_b64 s[14:15], s[14:15], exec
	s_cselect_b32 s10, s12, s10
	s_cselect_b32 s11, s13, s11
	v_mov_b32_e32 v0, s10
	s_cselect_b32 s9, s9, s17
	s_cselect_b32 s8, s8, s16
	v_mov_b32_e32 v1, s11
	v_cmp_lt_i64_e32 vcc, s[8:9], v[0:1]
	s_cbranch_vccnz .LBB211_18
; %bb.19:
	s_lshl_b64 s[8:9], s[8:9], 3
	s_add_u32 s8, s2, s8
	s_addc_u32 s9, s3, s9
	s_sub_u32 s8, s8, s2
	s_subb_u32 s9, s9, s3
	s_ashr_i64 s[8:9], s[8:9], 3
	v_mov_b32_e32 v0, s8
	v_mov_b32_e32 v2, 0
	;; [unrolled: 1-line block ×3, first 2 shown]
	s_mov_b64 s[8:9], 0
	s_mov_b64 s[10:11], s[4:5]
	global_store_dwordx2 v2, v[0:1], s[6:7] offset:32
.LBB211_20:                             ; =>This Inner Loop Header: Depth=1
	s_sub_u32 s12, s10, s8
	s_subb_u32 s13, s11, s9
	s_lshr_b64 s[12:13], s[12:13], 1
	s_add_u32 s12, s12, s8
	s_addc_u32 s13, s13, s9
	s_lshl_b64 s[14:15], s[12:13], 3
	s_add_u32 s14, s2, s14
	s_addc_u32 s15, s3, s15
	s_load_dwordx2 s[14:15], s[14:15], 0x0
	s_add_u32 s16, s12, 1
	s_addc_u32 s17, s13, 0
	s_waitcnt lgkmcnt(0)
	v_cmp_gt_i64_e64 s[14:15], s[14:15], 5
	s_and_b64 s[14:15], s[14:15], exec
	s_cselect_b32 s10, s12, s10
	s_cselect_b32 s11, s13, s11
	v_mov_b32_e32 v0, s10
	s_cselect_b32 s9, s9, s17
	s_cselect_b32 s8, s8, s16
	v_mov_b32_e32 v1, s11
	v_cmp_ge_i64_e32 vcc, s[8:9], v[0:1]
	s_cbranch_vccz .LBB211_20
.LBB211_21:
	s_lshl_b64 s[8:9], s[8:9], 3
	s_add_u32 s8, s2, s8
	s_addc_u32 s9, s3, s9
	s_sub_u32 s8, s8, s2
	s_subb_u32 s9, s9, s3
	s_ashr_i64 s[8:9], s[8:9], 3
	v_mov_b32_e32 v1, s8
	v_mov_b32_e32 v0, 0
	;; [unrolled: 1-line block ×3, first 2 shown]
	s_mov_b64 s[8:9], -1
	s_mov_b64 vcc, s[0:1]
	global_store_dwordx2 v0, v[1:2], s[6:7] offset:40
	s_cbranch_vccz .LBB211_23
; %bb.22:
	v_mov_b32_e32 v1, v0
	global_store_dwordx2 v0, v[0:1], s[6:7] offset:48
	s_mov_b64 s[8:9], 0
.LBB211_23:
	s_andn2_b64 vcc, exec, s[8:9]
	s_mov_b64 s[8:9], 0
	s_cbranch_vccnz .LBB211_28
; %bb.24:
	s_mov_b64 s[10:11], s[4:5]
.LBB211_25:                             ; =>This Inner Loop Header: Depth=1
	s_sub_u32 s12, s10, s8
	s_subb_u32 s13, s11, s9
	s_lshr_b64 s[12:13], s[12:13], 1
	s_add_u32 s12, s12, s8
	s_addc_u32 s13, s13, s9
	s_lshl_b64 s[14:15], s[12:13], 3
	s_add_u32 s14, s2, s14
	s_addc_u32 s15, s3, s15
	s_load_dwordx2 s[14:15], s[14:15], 0x0
	s_add_u32 s16, s12, 1
	s_addc_u32 s17, s13, 0
	s_waitcnt lgkmcnt(0)
	v_cmp_gt_i64_e64 s[14:15], s[14:15], 6
	s_and_b64 s[14:15], s[14:15], exec
	s_cselect_b32 s10, s12, s10
	s_cselect_b32 s11, s13, s11
	v_mov_b32_e32 v0, s10
	s_cselect_b32 s9, s9, s17
	s_cselect_b32 s8, s8, s16
	v_mov_b32_e32 v1, s11
	v_cmp_lt_i64_e32 vcc, s[8:9], v[0:1]
	s_cbranch_vccnz .LBB211_25
; %bb.26:
	s_lshl_b64 s[8:9], s[8:9], 3
	s_add_u32 s8, s2, s8
	s_addc_u32 s9, s3, s9
	s_sub_u32 s8, s8, s2
	s_subb_u32 s9, s9, s3
	s_ashr_i64 s[8:9], s[8:9], 3
	v_mov_b32_e32 v0, s8
	v_mov_b32_e32 v2, 0
	;; [unrolled: 1-line block ×3, first 2 shown]
	s_mov_b64 s[8:9], 0
	s_mov_b64 s[10:11], s[4:5]
	global_store_dwordx2 v2, v[0:1], s[6:7] offset:48
.LBB211_27:                             ; =>This Inner Loop Header: Depth=1
	s_sub_u32 s12, s10, s8
	s_subb_u32 s13, s11, s9
	s_lshr_b64 s[12:13], s[12:13], 1
	s_add_u32 s12, s12, s8
	s_addc_u32 s13, s13, s9
	s_lshl_b64 s[14:15], s[12:13], 3
	s_add_u32 s14, s2, s14
	s_addc_u32 s15, s3, s15
	s_load_dwordx2 s[14:15], s[14:15], 0x0
	s_add_u32 s16, s12, 1
	s_addc_u32 s17, s13, 0
	s_waitcnt lgkmcnt(0)
	v_cmp_gt_i64_e64 s[14:15], s[14:15], 7
	s_and_b64 s[14:15], s[14:15], exec
	s_cselect_b32 s10, s12, s10
	s_cselect_b32 s11, s13, s11
	v_mov_b32_e32 v0, s10
	s_cselect_b32 s9, s9, s17
	s_cselect_b32 s8, s8, s16
	v_mov_b32_e32 v1, s11
	v_cmp_ge_i64_e32 vcc, s[8:9], v[0:1]
	s_cbranch_vccz .LBB211_27
.LBB211_28:
	s_lshl_b64 s[8:9], s[8:9], 3
	s_add_u32 s8, s2, s8
	s_addc_u32 s9, s3, s9
	s_sub_u32 s8, s8, s2
	s_subb_u32 s9, s9, s3
	s_ashr_i64 s[8:9], s[8:9], 3
	v_mov_b32_e32 v1, s8
	v_mov_b32_e32 v0, 0
	v_mov_b32_e32 v2, s9
	s_mov_b64 s[8:9], -1
	s_mov_b64 vcc, s[0:1]
	global_store_dwordx2 v0, v[1:2], s[6:7] offset:56
	s_cbranch_vccz .LBB211_30
; %bb.29:
	v_mov_b32_e32 v1, v0
	global_store_dwordx2 v0, v[0:1], s[6:7] offset:64
	s_mov_b64 s[8:9], 0
.LBB211_30:
	s_andn2_b64 vcc, exec, s[8:9]
	s_mov_b64 s[0:1], 0
	s_cbranch_vccnz .LBB211_35
; %bb.31:
	s_mov_b64 s[8:9], s[4:5]
.LBB211_32:                             ; =>This Inner Loop Header: Depth=1
	s_sub_u32 s10, s8, s0
	s_subb_u32 s11, s9, s1
	s_lshr_b64 s[10:11], s[10:11], 1
	s_add_u32 s10, s10, s0
	s_addc_u32 s11, s11, s1
	s_lshl_b64 s[12:13], s[10:11], 3
	s_add_u32 s12, s2, s12
	s_addc_u32 s13, s3, s13
	s_load_dwordx2 s[12:13], s[12:13], 0x0
	s_add_u32 s14, s10, 1
	s_addc_u32 s15, s11, 0
	s_waitcnt lgkmcnt(0)
	v_cmp_gt_i64_e64 s[12:13], s[12:13], 8
	s_and_b64 s[12:13], s[12:13], exec
	s_cselect_b32 s8, s10, s8
	s_cselect_b32 s9, s11, s9
	v_mov_b32_e32 v0, s8
	s_cselect_b32 s1, s1, s15
	s_cselect_b32 s0, s0, s14
	v_mov_b32_e32 v1, s9
	v_cmp_lt_i64_e32 vcc, s[0:1], v[0:1]
	s_cbranch_vccnz .LBB211_32
; %bb.33:
	s_lshl_b64 s[0:1], s[0:1], 3
	s_add_u32 s0, s2, s0
	s_addc_u32 s1, s3, s1
	s_sub_u32 s0, s0, s2
	s_subb_u32 s1, s1, s3
	s_ashr_i64 s[0:1], s[0:1], 3
	v_mov_b32_e32 v0, s0
	v_mov_b32_e32 v2, 0
	;; [unrolled: 1-line block ×3, first 2 shown]
	s_mov_b64 s[0:1], 0
	global_store_dwordx2 v2, v[0:1], s[6:7] offset:64
.LBB211_34:                             ; =>This Inner Loop Header: Depth=1
	s_sub_u32 s8, s4, s0
	s_subb_u32 s9, s5, s1
	s_lshr_b64 s[8:9], s[8:9], 1
	s_add_u32 s8, s8, s0
	s_addc_u32 s9, s9, s1
	s_lshl_b64 s[10:11], s[8:9], 3
	s_add_u32 s10, s2, s10
	s_addc_u32 s11, s3, s11
	s_load_dwordx2 s[10:11], s[10:11], 0x0
	s_add_u32 s12, s8, 1
	s_addc_u32 s13, s9, 0
	s_waitcnt lgkmcnt(0)
	v_cmp_gt_i64_e64 s[10:11], s[10:11], 9
	s_and_b64 s[10:11], s[10:11], exec
	s_cselect_b32 s4, s8, s4
	s_cselect_b32 s5, s9, s5
	v_mov_b32_e32 v0, s4
	s_cselect_b32 s1, s1, s13
	s_cselect_b32 s0, s0, s12
	v_mov_b32_e32 v1, s5
	v_cmp_ge_i64_e32 vcc, s[0:1], v[0:1]
	s_cbranch_vccz .LBB211_34
.LBB211_35:
	s_lshl_b64 s[0:1], s[0:1], 3
	s_add_u32 s0, s2, s0
	s_addc_u32 s1, s3, s1
	s_sub_u32 s0, s0, s2
	s_subb_u32 s1, s1, s3
	s_ashr_i64 s[0:1], s[0:1], 3
	v_mov_b32_e32 v0, s0
	v_mov_b32_e32 v2, 0
	;; [unrolled: 1-line block ×3, first 2 shown]
	global_store_dwordx2 v2, v[0:1], s[6:7] offset:72
	s_endpgm
	.section	.rodata,"a",@progbits
	.p2align	6, 0x0
	.amdhsa_kernel _Z18upper_bound_kernelIxEvmPT_Pl
		.amdhsa_group_segment_fixed_size 0
		.amdhsa_private_segment_fixed_size 0
		.amdhsa_kernarg_size 24
		.amdhsa_user_sgpr_count 6
		.amdhsa_user_sgpr_private_segment_buffer 1
		.amdhsa_user_sgpr_dispatch_ptr 0
		.amdhsa_user_sgpr_queue_ptr 0
		.amdhsa_user_sgpr_kernarg_segment_ptr 1
		.amdhsa_user_sgpr_dispatch_id 0
		.amdhsa_user_sgpr_flat_scratch_init 0
		.amdhsa_user_sgpr_private_segment_size 0
		.amdhsa_uses_dynamic_stack 0
		.amdhsa_system_sgpr_private_segment_wavefront_offset 0
		.amdhsa_system_sgpr_workgroup_id_x 1
		.amdhsa_system_sgpr_workgroup_id_y 0
		.amdhsa_system_sgpr_workgroup_id_z 0
		.amdhsa_system_sgpr_workgroup_info 0
		.amdhsa_system_vgpr_workitem_id 0
		.amdhsa_next_free_vgpr 3
		.amdhsa_next_free_sgpr 18
		.amdhsa_reserve_vcc 1
		.amdhsa_reserve_flat_scratch 0
		.amdhsa_float_round_mode_32 0
		.amdhsa_float_round_mode_16_64 0
		.amdhsa_float_denorm_mode_32 3
		.amdhsa_float_denorm_mode_16_64 3
		.amdhsa_dx10_clamp 1
		.amdhsa_ieee_mode 1
		.amdhsa_fp16_overflow 0
		.amdhsa_exception_fp_ieee_invalid_op 0
		.amdhsa_exception_fp_denorm_src 0
		.amdhsa_exception_fp_ieee_div_zero 0
		.amdhsa_exception_fp_ieee_overflow 0
		.amdhsa_exception_fp_ieee_underflow 0
		.amdhsa_exception_fp_ieee_inexact 0
		.amdhsa_exception_int_div_zero 0
	.end_amdhsa_kernel
	.section	.text._Z18upper_bound_kernelIxEvmPT_Pl,"axG",@progbits,_Z18upper_bound_kernelIxEvmPT_Pl,comdat
.Lfunc_end211:
	.size	_Z18upper_bound_kernelIxEvmPT_Pl, .Lfunc_end211-_Z18upper_bound_kernelIxEvmPT_Pl
                                        ; -- End function
	.set _Z18upper_bound_kernelIxEvmPT_Pl.num_vgpr, 3
	.set _Z18upper_bound_kernelIxEvmPT_Pl.num_agpr, 0
	.set _Z18upper_bound_kernelIxEvmPT_Pl.numbered_sgpr, 18
	.set _Z18upper_bound_kernelIxEvmPT_Pl.num_named_barrier, 0
	.set _Z18upper_bound_kernelIxEvmPT_Pl.private_seg_size, 0
	.set _Z18upper_bound_kernelIxEvmPT_Pl.uses_vcc, 1
	.set _Z18upper_bound_kernelIxEvmPT_Pl.uses_flat_scratch, 0
	.set _Z18upper_bound_kernelIxEvmPT_Pl.has_dyn_sized_stack, 0
	.set _Z18upper_bound_kernelIxEvmPT_Pl.has_recursion, 0
	.set _Z18upper_bound_kernelIxEvmPT_Pl.has_indirect_call, 0
	.section	.AMDGPU.csdata,"",@progbits
; Kernel info:
; codeLenInByte = 1720
; TotalNumSgprs: 22
; NumVgprs: 3
; ScratchSize: 0
; MemoryBound: 0
; FloatMode: 240
; IeeeMode: 1
; LDSByteSize: 0 bytes/workgroup (compile time only)
; SGPRBlocks: 2
; VGPRBlocks: 0
; NumSGPRsForWavesPerEU: 22
; NumVGPRsForWavesPerEU: 3
; Occupancy: 10
; WaveLimiterHint : 0
; COMPUTE_PGM_RSRC2:SCRATCH_EN: 0
; COMPUTE_PGM_RSRC2:USER_SGPR: 6
; COMPUTE_PGM_RSRC2:TRAP_HANDLER: 0
; COMPUTE_PGM_RSRC2:TGID_X_EN: 1
; COMPUTE_PGM_RSRC2:TGID_Y_EN: 0
; COMPUTE_PGM_RSRC2:TGID_Z_EN: 0
; COMPUTE_PGM_RSRC2:TIDIG_COMP_CNT: 0
	.section	.text._ZN7rocprim17ROCPRIM_400000_NS6detail17trampoline_kernelINS0_14default_configENS1_27upper_bound_config_selectorIxlEEZNS1_14transform_implILb0ES3_S5_N6thrust23THRUST_200600_302600_NS6detail15normal_iteratorINS8_7pointerIxNS8_11hip_rocprim5par_tENS8_11use_defaultESE_EEEENSA_INSB_IlSD_SE_SE_EEEEZNS1_13binary_searchIS3_S5_PxSG_SI_NS1_21upper_bound_search_opENS9_16wrapped_functionINS8_6system6detail7generic6detail18binary_search_lessEbEEEE10hipError_tPvRmT1_T2_T3_mmT4_T5_P12ihipStream_tbEUlRKxE_EEST_SX_SY_mSZ_S12_bEUlT_E_NS1_11comp_targetILNS1_3genE0ELNS1_11target_archE4294967295ELNS1_3gpuE0ELNS1_3repE0EEENS1_30default_config_static_selectorELNS0_4arch9wavefront6targetE1EEEvSW_,"axG",@progbits,_ZN7rocprim17ROCPRIM_400000_NS6detail17trampoline_kernelINS0_14default_configENS1_27upper_bound_config_selectorIxlEEZNS1_14transform_implILb0ES3_S5_N6thrust23THRUST_200600_302600_NS6detail15normal_iteratorINS8_7pointerIxNS8_11hip_rocprim5par_tENS8_11use_defaultESE_EEEENSA_INSB_IlSD_SE_SE_EEEEZNS1_13binary_searchIS3_S5_PxSG_SI_NS1_21upper_bound_search_opENS9_16wrapped_functionINS8_6system6detail7generic6detail18binary_search_lessEbEEEE10hipError_tPvRmT1_T2_T3_mmT4_T5_P12ihipStream_tbEUlRKxE_EEST_SX_SY_mSZ_S12_bEUlT_E_NS1_11comp_targetILNS1_3genE0ELNS1_11target_archE4294967295ELNS1_3gpuE0ELNS1_3repE0EEENS1_30default_config_static_selectorELNS0_4arch9wavefront6targetE1EEEvSW_,comdat
	.protected	_ZN7rocprim17ROCPRIM_400000_NS6detail17trampoline_kernelINS0_14default_configENS1_27upper_bound_config_selectorIxlEEZNS1_14transform_implILb0ES3_S5_N6thrust23THRUST_200600_302600_NS6detail15normal_iteratorINS8_7pointerIxNS8_11hip_rocprim5par_tENS8_11use_defaultESE_EEEENSA_INSB_IlSD_SE_SE_EEEEZNS1_13binary_searchIS3_S5_PxSG_SI_NS1_21upper_bound_search_opENS9_16wrapped_functionINS8_6system6detail7generic6detail18binary_search_lessEbEEEE10hipError_tPvRmT1_T2_T3_mmT4_T5_P12ihipStream_tbEUlRKxE_EEST_SX_SY_mSZ_S12_bEUlT_E_NS1_11comp_targetILNS1_3genE0ELNS1_11target_archE4294967295ELNS1_3gpuE0ELNS1_3repE0EEENS1_30default_config_static_selectorELNS0_4arch9wavefront6targetE1EEEvSW_ ; -- Begin function _ZN7rocprim17ROCPRIM_400000_NS6detail17trampoline_kernelINS0_14default_configENS1_27upper_bound_config_selectorIxlEEZNS1_14transform_implILb0ES3_S5_N6thrust23THRUST_200600_302600_NS6detail15normal_iteratorINS8_7pointerIxNS8_11hip_rocprim5par_tENS8_11use_defaultESE_EEEENSA_INSB_IlSD_SE_SE_EEEEZNS1_13binary_searchIS3_S5_PxSG_SI_NS1_21upper_bound_search_opENS9_16wrapped_functionINS8_6system6detail7generic6detail18binary_search_lessEbEEEE10hipError_tPvRmT1_T2_T3_mmT4_T5_P12ihipStream_tbEUlRKxE_EEST_SX_SY_mSZ_S12_bEUlT_E_NS1_11comp_targetILNS1_3genE0ELNS1_11target_archE4294967295ELNS1_3gpuE0ELNS1_3repE0EEENS1_30default_config_static_selectorELNS0_4arch9wavefront6targetE1EEEvSW_
	.globl	_ZN7rocprim17ROCPRIM_400000_NS6detail17trampoline_kernelINS0_14default_configENS1_27upper_bound_config_selectorIxlEEZNS1_14transform_implILb0ES3_S5_N6thrust23THRUST_200600_302600_NS6detail15normal_iteratorINS8_7pointerIxNS8_11hip_rocprim5par_tENS8_11use_defaultESE_EEEENSA_INSB_IlSD_SE_SE_EEEEZNS1_13binary_searchIS3_S5_PxSG_SI_NS1_21upper_bound_search_opENS9_16wrapped_functionINS8_6system6detail7generic6detail18binary_search_lessEbEEEE10hipError_tPvRmT1_T2_T3_mmT4_T5_P12ihipStream_tbEUlRKxE_EEST_SX_SY_mSZ_S12_bEUlT_E_NS1_11comp_targetILNS1_3genE0ELNS1_11target_archE4294967295ELNS1_3gpuE0ELNS1_3repE0EEENS1_30default_config_static_selectorELNS0_4arch9wavefront6targetE1EEEvSW_
	.p2align	8
	.type	_ZN7rocprim17ROCPRIM_400000_NS6detail17trampoline_kernelINS0_14default_configENS1_27upper_bound_config_selectorIxlEEZNS1_14transform_implILb0ES3_S5_N6thrust23THRUST_200600_302600_NS6detail15normal_iteratorINS8_7pointerIxNS8_11hip_rocprim5par_tENS8_11use_defaultESE_EEEENSA_INSB_IlSD_SE_SE_EEEEZNS1_13binary_searchIS3_S5_PxSG_SI_NS1_21upper_bound_search_opENS9_16wrapped_functionINS8_6system6detail7generic6detail18binary_search_lessEbEEEE10hipError_tPvRmT1_T2_T3_mmT4_T5_P12ihipStream_tbEUlRKxE_EEST_SX_SY_mSZ_S12_bEUlT_E_NS1_11comp_targetILNS1_3genE0ELNS1_11target_archE4294967295ELNS1_3gpuE0ELNS1_3repE0EEENS1_30default_config_static_selectorELNS0_4arch9wavefront6targetE1EEEvSW_,@function
_ZN7rocprim17ROCPRIM_400000_NS6detail17trampoline_kernelINS0_14default_configENS1_27upper_bound_config_selectorIxlEEZNS1_14transform_implILb0ES3_S5_N6thrust23THRUST_200600_302600_NS6detail15normal_iteratorINS8_7pointerIxNS8_11hip_rocprim5par_tENS8_11use_defaultESE_EEEENSA_INSB_IlSD_SE_SE_EEEEZNS1_13binary_searchIS3_S5_PxSG_SI_NS1_21upper_bound_search_opENS9_16wrapped_functionINS8_6system6detail7generic6detail18binary_search_lessEbEEEE10hipError_tPvRmT1_T2_T3_mmT4_T5_P12ihipStream_tbEUlRKxE_EEST_SX_SY_mSZ_S12_bEUlT_E_NS1_11comp_targetILNS1_3genE0ELNS1_11target_archE4294967295ELNS1_3gpuE0ELNS1_3repE0EEENS1_30default_config_static_selectorELNS0_4arch9wavefront6targetE1EEEvSW_: ; @_ZN7rocprim17ROCPRIM_400000_NS6detail17trampoline_kernelINS0_14default_configENS1_27upper_bound_config_selectorIxlEEZNS1_14transform_implILb0ES3_S5_N6thrust23THRUST_200600_302600_NS6detail15normal_iteratorINS8_7pointerIxNS8_11hip_rocprim5par_tENS8_11use_defaultESE_EEEENSA_INSB_IlSD_SE_SE_EEEEZNS1_13binary_searchIS3_S5_PxSG_SI_NS1_21upper_bound_search_opENS9_16wrapped_functionINS8_6system6detail7generic6detail18binary_search_lessEbEEEE10hipError_tPvRmT1_T2_T3_mmT4_T5_P12ihipStream_tbEUlRKxE_EEST_SX_SY_mSZ_S12_bEUlT_E_NS1_11comp_targetILNS1_3genE0ELNS1_11target_archE4294967295ELNS1_3gpuE0ELNS1_3repE0EEENS1_30default_config_static_selectorELNS0_4arch9wavefront6targetE1EEEvSW_
; %bb.0:
	.section	.rodata,"a",@progbits
	.p2align	6, 0x0
	.amdhsa_kernel _ZN7rocprim17ROCPRIM_400000_NS6detail17trampoline_kernelINS0_14default_configENS1_27upper_bound_config_selectorIxlEEZNS1_14transform_implILb0ES3_S5_N6thrust23THRUST_200600_302600_NS6detail15normal_iteratorINS8_7pointerIxNS8_11hip_rocprim5par_tENS8_11use_defaultESE_EEEENSA_INSB_IlSD_SE_SE_EEEEZNS1_13binary_searchIS3_S5_PxSG_SI_NS1_21upper_bound_search_opENS9_16wrapped_functionINS8_6system6detail7generic6detail18binary_search_lessEbEEEE10hipError_tPvRmT1_T2_T3_mmT4_T5_P12ihipStream_tbEUlRKxE_EEST_SX_SY_mSZ_S12_bEUlT_E_NS1_11comp_targetILNS1_3genE0ELNS1_11target_archE4294967295ELNS1_3gpuE0ELNS1_3repE0EEENS1_30default_config_static_selectorELNS0_4arch9wavefront6targetE1EEEvSW_
		.amdhsa_group_segment_fixed_size 0
		.amdhsa_private_segment_fixed_size 0
		.amdhsa_kernarg_size 56
		.amdhsa_user_sgpr_count 6
		.amdhsa_user_sgpr_private_segment_buffer 1
		.amdhsa_user_sgpr_dispatch_ptr 0
		.amdhsa_user_sgpr_queue_ptr 0
		.amdhsa_user_sgpr_kernarg_segment_ptr 1
		.amdhsa_user_sgpr_dispatch_id 0
		.amdhsa_user_sgpr_flat_scratch_init 0
		.amdhsa_user_sgpr_private_segment_size 0
		.amdhsa_uses_dynamic_stack 0
		.amdhsa_system_sgpr_private_segment_wavefront_offset 0
		.amdhsa_system_sgpr_workgroup_id_x 1
		.amdhsa_system_sgpr_workgroup_id_y 0
		.amdhsa_system_sgpr_workgroup_id_z 0
		.amdhsa_system_sgpr_workgroup_info 0
		.amdhsa_system_vgpr_workitem_id 0
		.amdhsa_next_free_vgpr 1
		.amdhsa_next_free_sgpr 0
		.amdhsa_reserve_vcc 0
		.amdhsa_reserve_flat_scratch 0
		.amdhsa_float_round_mode_32 0
		.amdhsa_float_round_mode_16_64 0
		.amdhsa_float_denorm_mode_32 3
		.amdhsa_float_denorm_mode_16_64 3
		.amdhsa_dx10_clamp 1
		.amdhsa_ieee_mode 1
		.amdhsa_fp16_overflow 0
		.amdhsa_exception_fp_ieee_invalid_op 0
		.amdhsa_exception_fp_denorm_src 0
		.amdhsa_exception_fp_ieee_div_zero 0
		.amdhsa_exception_fp_ieee_overflow 0
		.amdhsa_exception_fp_ieee_underflow 0
		.amdhsa_exception_fp_ieee_inexact 0
		.amdhsa_exception_int_div_zero 0
	.end_amdhsa_kernel
	.section	.text._ZN7rocprim17ROCPRIM_400000_NS6detail17trampoline_kernelINS0_14default_configENS1_27upper_bound_config_selectorIxlEEZNS1_14transform_implILb0ES3_S5_N6thrust23THRUST_200600_302600_NS6detail15normal_iteratorINS8_7pointerIxNS8_11hip_rocprim5par_tENS8_11use_defaultESE_EEEENSA_INSB_IlSD_SE_SE_EEEEZNS1_13binary_searchIS3_S5_PxSG_SI_NS1_21upper_bound_search_opENS9_16wrapped_functionINS8_6system6detail7generic6detail18binary_search_lessEbEEEE10hipError_tPvRmT1_T2_T3_mmT4_T5_P12ihipStream_tbEUlRKxE_EEST_SX_SY_mSZ_S12_bEUlT_E_NS1_11comp_targetILNS1_3genE0ELNS1_11target_archE4294967295ELNS1_3gpuE0ELNS1_3repE0EEENS1_30default_config_static_selectorELNS0_4arch9wavefront6targetE1EEEvSW_,"axG",@progbits,_ZN7rocprim17ROCPRIM_400000_NS6detail17trampoline_kernelINS0_14default_configENS1_27upper_bound_config_selectorIxlEEZNS1_14transform_implILb0ES3_S5_N6thrust23THRUST_200600_302600_NS6detail15normal_iteratorINS8_7pointerIxNS8_11hip_rocprim5par_tENS8_11use_defaultESE_EEEENSA_INSB_IlSD_SE_SE_EEEEZNS1_13binary_searchIS3_S5_PxSG_SI_NS1_21upper_bound_search_opENS9_16wrapped_functionINS8_6system6detail7generic6detail18binary_search_lessEbEEEE10hipError_tPvRmT1_T2_T3_mmT4_T5_P12ihipStream_tbEUlRKxE_EEST_SX_SY_mSZ_S12_bEUlT_E_NS1_11comp_targetILNS1_3genE0ELNS1_11target_archE4294967295ELNS1_3gpuE0ELNS1_3repE0EEENS1_30default_config_static_selectorELNS0_4arch9wavefront6targetE1EEEvSW_,comdat
.Lfunc_end212:
	.size	_ZN7rocprim17ROCPRIM_400000_NS6detail17trampoline_kernelINS0_14default_configENS1_27upper_bound_config_selectorIxlEEZNS1_14transform_implILb0ES3_S5_N6thrust23THRUST_200600_302600_NS6detail15normal_iteratorINS8_7pointerIxNS8_11hip_rocprim5par_tENS8_11use_defaultESE_EEEENSA_INSB_IlSD_SE_SE_EEEEZNS1_13binary_searchIS3_S5_PxSG_SI_NS1_21upper_bound_search_opENS9_16wrapped_functionINS8_6system6detail7generic6detail18binary_search_lessEbEEEE10hipError_tPvRmT1_T2_T3_mmT4_T5_P12ihipStream_tbEUlRKxE_EEST_SX_SY_mSZ_S12_bEUlT_E_NS1_11comp_targetILNS1_3genE0ELNS1_11target_archE4294967295ELNS1_3gpuE0ELNS1_3repE0EEENS1_30default_config_static_selectorELNS0_4arch9wavefront6targetE1EEEvSW_, .Lfunc_end212-_ZN7rocprim17ROCPRIM_400000_NS6detail17trampoline_kernelINS0_14default_configENS1_27upper_bound_config_selectorIxlEEZNS1_14transform_implILb0ES3_S5_N6thrust23THRUST_200600_302600_NS6detail15normal_iteratorINS8_7pointerIxNS8_11hip_rocprim5par_tENS8_11use_defaultESE_EEEENSA_INSB_IlSD_SE_SE_EEEEZNS1_13binary_searchIS3_S5_PxSG_SI_NS1_21upper_bound_search_opENS9_16wrapped_functionINS8_6system6detail7generic6detail18binary_search_lessEbEEEE10hipError_tPvRmT1_T2_T3_mmT4_T5_P12ihipStream_tbEUlRKxE_EEST_SX_SY_mSZ_S12_bEUlT_E_NS1_11comp_targetILNS1_3genE0ELNS1_11target_archE4294967295ELNS1_3gpuE0ELNS1_3repE0EEENS1_30default_config_static_selectorELNS0_4arch9wavefront6targetE1EEEvSW_
                                        ; -- End function
	.set _ZN7rocprim17ROCPRIM_400000_NS6detail17trampoline_kernelINS0_14default_configENS1_27upper_bound_config_selectorIxlEEZNS1_14transform_implILb0ES3_S5_N6thrust23THRUST_200600_302600_NS6detail15normal_iteratorINS8_7pointerIxNS8_11hip_rocprim5par_tENS8_11use_defaultESE_EEEENSA_INSB_IlSD_SE_SE_EEEEZNS1_13binary_searchIS3_S5_PxSG_SI_NS1_21upper_bound_search_opENS9_16wrapped_functionINS8_6system6detail7generic6detail18binary_search_lessEbEEEE10hipError_tPvRmT1_T2_T3_mmT4_T5_P12ihipStream_tbEUlRKxE_EEST_SX_SY_mSZ_S12_bEUlT_E_NS1_11comp_targetILNS1_3genE0ELNS1_11target_archE4294967295ELNS1_3gpuE0ELNS1_3repE0EEENS1_30default_config_static_selectorELNS0_4arch9wavefront6targetE1EEEvSW_.num_vgpr, 0
	.set _ZN7rocprim17ROCPRIM_400000_NS6detail17trampoline_kernelINS0_14default_configENS1_27upper_bound_config_selectorIxlEEZNS1_14transform_implILb0ES3_S5_N6thrust23THRUST_200600_302600_NS6detail15normal_iteratorINS8_7pointerIxNS8_11hip_rocprim5par_tENS8_11use_defaultESE_EEEENSA_INSB_IlSD_SE_SE_EEEEZNS1_13binary_searchIS3_S5_PxSG_SI_NS1_21upper_bound_search_opENS9_16wrapped_functionINS8_6system6detail7generic6detail18binary_search_lessEbEEEE10hipError_tPvRmT1_T2_T3_mmT4_T5_P12ihipStream_tbEUlRKxE_EEST_SX_SY_mSZ_S12_bEUlT_E_NS1_11comp_targetILNS1_3genE0ELNS1_11target_archE4294967295ELNS1_3gpuE0ELNS1_3repE0EEENS1_30default_config_static_selectorELNS0_4arch9wavefront6targetE1EEEvSW_.num_agpr, 0
	.set _ZN7rocprim17ROCPRIM_400000_NS6detail17trampoline_kernelINS0_14default_configENS1_27upper_bound_config_selectorIxlEEZNS1_14transform_implILb0ES3_S5_N6thrust23THRUST_200600_302600_NS6detail15normal_iteratorINS8_7pointerIxNS8_11hip_rocprim5par_tENS8_11use_defaultESE_EEEENSA_INSB_IlSD_SE_SE_EEEEZNS1_13binary_searchIS3_S5_PxSG_SI_NS1_21upper_bound_search_opENS9_16wrapped_functionINS8_6system6detail7generic6detail18binary_search_lessEbEEEE10hipError_tPvRmT1_T2_T3_mmT4_T5_P12ihipStream_tbEUlRKxE_EEST_SX_SY_mSZ_S12_bEUlT_E_NS1_11comp_targetILNS1_3genE0ELNS1_11target_archE4294967295ELNS1_3gpuE0ELNS1_3repE0EEENS1_30default_config_static_selectorELNS0_4arch9wavefront6targetE1EEEvSW_.numbered_sgpr, 0
	.set _ZN7rocprim17ROCPRIM_400000_NS6detail17trampoline_kernelINS0_14default_configENS1_27upper_bound_config_selectorIxlEEZNS1_14transform_implILb0ES3_S5_N6thrust23THRUST_200600_302600_NS6detail15normal_iteratorINS8_7pointerIxNS8_11hip_rocprim5par_tENS8_11use_defaultESE_EEEENSA_INSB_IlSD_SE_SE_EEEEZNS1_13binary_searchIS3_S5_PxSG_SI_NS1_21upper_bound_search_opENS9_16wrapped_functionINS8_6system6detail7generic6detail18binary_search_lessEbEEEE10hipError_tPvRmT1_T2_T3_mmT4_T5_P12ihipStream_tbEUlRKxE_EEST_SX_SY_mSZ_S12_bEUlT_E_NS1_11comp_targetILNS1_3genE0ELNS1_11target_archE4294967295ELNS1_3gpuE0ELNS1_3repE0EEENS1_30default_config_static_selectorELNS0_4arch9wavefront6targetE1EEEvSW_.num_named_barrier, 0
	.set _ZN7rocprim17ROCPRIM_400000_NS6detail17trampoline_kernelINS0_14default_configENS1_27upper_bound_config_selectorIxlEEZNS1_14transform_implILb0ES3_S5_N6thrust23THRUST_200600_302600_NS6detail15normal_iteratorINS8_7pointerIxNS8_11hip_rocprim5par_tENS8_11use_defaultESE_EEEENSA_INSB_IlSD_SE_SE_EEEEZNS1_13binary_searchIS3_S5_PxSG_SI_NS1_21upper_bound_search_opENS9_16wrapped_functionINS8_6system6detail7generic6detail18binary_search_lessEbEEEE10hipError_tPvRmT1_T2_T3_mmT4_T5_P12ihipStream_tbEUlRKxE_EEST_SX_SY_mSZ_S12_bEUlT_E_NS1_11comp_targetILNS1_3genE0ELNS1_11target_archE4294967295ELNS1_3gpuE0ELNS1_3repE0EEENS1_30default_config_static_selectorELNS0_4arch9wavefront6targetE1EEEvSW_.private_seg_size, 0
	.set _ZN7rocprim17ROCPRIM_400000_NS6detail17trampoline_kernelINS0_14default_configENS1_27upper_bound_config_selectorIxlEEZNS1_14transform_implILb0ES3_S5_N6thrust23THRUST_200600_302600_NS6detail15normal_iteratorINS8_7pointerIxNS8_11hip_rocprim5par_tENS8_11use_defaultESE_EEEENSA_INSB_IlSD_SE_SE_EEEEZNS1_13binary_searchIS3_S5_PxSG_SI_NS1_21upper_bound_search_opENS9_16wrapped_functionINS8_6system6detail7generic6detail18binary_search_lessEbEEEE10hipError_tPvRmT1_T2_T3_mmT4_T5_P12ihipStream_tbEUlRKxE_EEST_SX_SY_mSZ_S12_bEUlT_E_NS1_11comp_targetILNS1_3genE0ELNS1_11target_archE4294967295ELNS1_3gpuE0ELNS1_3repE0EEENS1_30default_config_static_selectorELNS0_4arch9wavefront6targetE1EEEvSW_.uses_vcc, 0
	.set _ZN7rocprim17ROCPRIM_400000_NS6detail17trampoline_kernelINS0_14default_configENS1_27upper_bound_config_selectorIxlEEZNS1_14transform_implILb0ES3_S5_N6thrust23THRUST_200600_302600_NS6detail15normal_iteratorINS8_7pointerIxNS8_11hip_rocprim5par_tENS8_11use_defaultESE_EEEENSA_INSB_IlSD_SE_SE_EEEEZNS1_13binary_searchIS3_S5_PxSG_SI_NS1_21upper_bound_search_opENS9_16wrapped_functionINS8_6system6detail7generic6detail18binary_search_lessEbEEEE10hipError_tPvRmT1_T2_T3_mmT4_T5_P12ihipStream_tbEUlRKxE_EEST_SX_SY_mSZ_S12_bEUlT_E_NS1_11comp_targetILNS1_3genE0ELNS1_11target_archE4294967295ELNS1_3gpuE0ELNS1_3repE0EEENS1_30default_config_static_selectorELNS0_4arch9wavefront6targetE1EEEvSW_.uses_flat_scratch, 0
	.set _ZN7rocprim17ROCPRIM_400000_NS6detail17trampoline_kernelINS0_14default_configENS1_27upper_bound_config_selectorIxlEEZNS1_14transform_implILb0ES3_S5_N6thrust23THRUST_200600_302600_NS6detail15normal_iteratorINS8_7pointerIxNS8_11hip_rocprim5par_tENS8_11use_defaultESE_EEEENSA_INSB_IlSD_SE_SE_EEEEZNS1_13binary_searchIS3_S5_PxSG_SI_NS1_21upper_bound_search_opENS9_16wrapped_functionINS8_6system6detail7generic6detail18binary_search_lessEbEEEE10hipError_tPvRmT1_T2_T3_mmT4_T5_P12ihipStream_tbEUlRKxE_EEST_SX_SY_mSZ_S12_bEUlT_E_NS1_11comp_targetILNS1_3genE0ELNS1_11target_archE4294967295ELNS1_3gpuE0ELNS1_3repE0EEENS1_30default_config_static_selectorELNS0_4arch9wavefront6targetE1EEEvSW_.has_dyn_sized_stack, 0
	.set _ZN7rocprim17ROCPRIM_400000_NS6detail17trampoline_kernelINS0_14default_configENS1_27upper_bound_config_selectorIxlEEZNS1_14transform_implILb0ES3_S5_N6thrust23THRUST_200600_302600_NS6detail15normal_iteratorINS8_7pointerIxNS8_11hip_rocprim5par_tENS8_11use_defaultESE_EEEENSA_INSB_IlSD_SE_SE_EEEEZNS1_13binary_searchIS3_S5_PxSG_SI_NS1_21upper_bound_search_opENS9_16wrapped_functionINS8_6system6detail7generic6detail18binary_search_lessEbEEEE10hipError_tPvRmT1_T2_T3_mmT4_T5_P12ihipStream_tbEUlRKxE_EEST_SX_SY_mSZ_S12_bEUlT_E_NS1_11comp_targetILNS1_3genE0ELNS1_11target_archE4294967295ELNS1_3gpuE0ELNS1_3repE0EEENS1_30default_config_static_selectorELNS0_4arch9wavefront6targetE1EEEvSW_.has_recursion, 0
	.set _ZN7rocprim17ROCPRIM_400000_NS6detail17trampoline_kernelINS0_14default_configENS1_27upper_bound_config_selectorIxlEEZNS1_14transform_implILb0ES3_S5_N6thrust23THRUST_200600_302600_NS6detail15normal_iteratorINS8_7pointerIxNS8_11hip_rocprim5par_tENS8_11use_defaultESE_EEEENSA_INSB_IlSD_SE_SE_EEEEZNS1_13binary_searchIS3_S5_PxSG_SI_NS1_21upper_bound_search_opENS9_16wrapped_functionINS8_6system6detail7generic6detail18binary_search_lessEbEEEE10hipError_tPvRmT1_T2_T3_mmT4_T5_P12ihipStream_tbEUlRKxE_EEST_SX_SY_mSZ_S12_bEUlT_E_NS1_11comp_targetILNS1_3genE0ELNS1_11target_archE4294967295ELNS1_3gpuE0ELNS1_3repE0EEENS1_30default_config_static_selectorELNS0_4arch9wavefront6targetE1EEEvSW_.has_indirect_call, 0
	.section	.AMDGPU.csdata,"",@progbits
; Kernel info:
; codeLenInByte = 0
; TotalNumSgprs: 4
; NumVgprs: 0
; ScratchSize: 0
; MemoryBound: 0
; FloatMode: 240
; IeeeMode: 1
; LDSByteSize: 0 bytes/workgroup (compile time only)
; SGPRBlocks: 0
; VGPRBlocks: 0
; NumSGPRsForWavesPerEU: 4
; NumVGPRsForWavesPerEU: 1
; Occupancy: 10
; WaveLimiterHint : 0
; COMPUTE_PGM_RSRC2:SCRATCH_EN: 0
; COMPUTE_PGM_RSRC2:USER_SGPR: 6
; COMPUTE_PGM_RSRC2:TRAP_HANDLER: 0
; COMPUTE_PGM_RSRC2:TGID_X_EN: 1
; COMPUTE_PGM_RSRC2:TGID_Y_EN: 0
; COMPUTE_PGM_RSRC2:TGID_Z_EN: 0
; COMPUTE_PGM_RSRC2:TIDIG_COMP_CNT: 0
	.section	.text._ZN7rocprim17ROCPRIM_400000_NS6detail17trampoline_kernelINS0_14default_configENS1_27upper_bound_config_selectorIxlEEZNS1_14transform_implILb0ES3_S5_N6thrust23THRUST_200600_302600_NS6detail15normal_iteratorINS8_7pointerIxNS8_11hip_rocprim5par_tENS8_11use_defaultESE_EEEENSA_INSB_IlSD_SE_SE_EEEEZNS1_13binary_searchIS3_S5_PxSG_SI_NS1_21upper_bound_search_opENS9_16wrapped_functionINS8_6system6detail7generic6detail18binary_search_lessEbEEEE10hipError_tPvRmT1_T2_T3_mmT4_T5_P12ihipStream_tbEUlRKxE_EEST_SX_SY_mSZ_S12_bEUlT_E_NS1_11comp_targetILNS1_3genE5ELNS1_11target_archE942ELNS1_3gpuE9ELNS1_3repE0EEENS1_30default_config_static_selectorELNS0_4arch9wavefront6targetE1EEEvSW_,"axG",@progbits,_ZN7rocprim17ROCPRIM_400000_NS6detail17trampoline_kernelINS0_14default_configENS1_27upper_bound_config_selectorIxlEEZNS1_14transform_implILb0ES3_S5_N6thrust23THRUST_200600_302600_NS6detail15normal_iteratorINS8_7pointerIxNS8_11hip_rocprim5par_tENS8_11use_defaultESE_EEEENSA_INSB_IlSD_SE_SE_EEEEZNS1_13binary_searchIS3_S5_PxSG_SI_NS1_21upper_bound_search_opENS9_16wrapped_functionINS8_6system6detail7generic6detail18binary_search_lessEbEEEE10hipError_tPvRmT1_T2_T3_mmT4_T5_P12ihipStream_tbEUlRKxE_EEST_SX_SY_mSZ_S12_bEUlT_E_NS1_11comp_targetILNS1_3genE5ELNS1_11target_archE942ELNS1_3gpuE9ELNS1_3repE0EEENS1_30default_config_static_selectorELNS0_4arch9wavefront6targetE1EEEvSW_,comdat
	.protected	_ZN7rocprim17ROCPRIM_400000_NS6detail17trampoline_kernelINS0_14default_configENS1_27upper_bound_config_selectorIxlEEZNS1_14transform_implILb0ES3_S5_N6thrust23THRUST_200600_302600_NS6detail15normal_iteratorINS8_7pointerIxNS8_11hip_rocprim5par_tENS8_11use_defaultESE_EEEENSA_INSB_IlSD_SE_SE_EEEEZNS1_13binary_searchIS3_S5_PxSG_SI_NS1_21upper_bound_search_opENS9_16wrapped_functionINS8_6system6detail7generic6detail18binary_search_lessEbEEEE10hipError_tPvRmT1_T2_T3_mmT4_T5_P12ihipStream_tbEUlRKxE_EEST_SX_SY_mSZ_S12_bEUlT_E_NS1_11comp_targetILNS1_3genE5ELNS1_11target_archE942ELNS1_3gpuE9ELNS1_3repE0EEENS1_30default_config_static_selectorELNS0_4arch9wavefront6targetE1EEEvSW_ ; -- Begin function _ZN7rocprim17ROCPRIM_400000_NS6detail17trampoline_kernelINS0_14default_configENS1_27upper_bound_config_selectorIxlEEZNS1_14transform_implILb0ES3_S5_N6thrust23THRUST_200600_302600_NS6detail15normal_iteratorINS8_7pointerIxNS8_11hip_rocprim5par_tENS8_11use_defaultESE_EEEENSA_INSB_IlSD_SE_SE_EEEEZNS1_13binary_searchIS3_S5_PxSG_SI_NS1_21upper_bound_search_opENS9_16wrapped_functionINS8_6system6detail7generic6detail18binary_search_lessEbEEEE10hipError_tPvRmT1_T2_T3_mmT4_T5_P12ihipStream_tbEUlRKxE_EEST_SX_SY_mSZ_S12_bEUlT_E_NS1_11comp_targetILNS1_3genE5ELNS1_11target_archE942ELNS1_3gpuE9ELNS1_3repE0EEENS1_30default_config_static_selectorELNS0_4arch9wavefront6targetE1EEEvSW_
	.globl	_ZN7rocprim17ROCPRIM_400000_NS6detail17trampoline_kernelINS0_14default_configENS1_27upper_bound_config_selectorIxlEEZNS1_14transform_implILb0ES3_S5_N6thrust23THRUST_200600_302600_NS6detail15normal_iteratorINS8_7pointerIxNS8_11hip_rocprim5par_tENS8_11use_defaultESE_EEEENSA_INSB_IlSD_SE_SE_EEEEZNS1_13binary_searchIS3_S5_PxSG_SI_NS1_21upper_bound_search_opENS9_16wrapped_functionINS8_6system6detail7generic6detail18binary_search_lessEbEEEE10hipError_tPvRmT1_T2_T3_mmT4_T5_P12ihipStream_tbEUlRKxE_EEST_SX_SY_mSZ_S12_bEUlT_E_NS1_11comp_targetILNS1_3genE5ELNS1_11target_archE942ELNS1_3gpuE9ELNS1_3repE0EEENS1_30default_config_static_selectorELNS0_4arch9wavefront6targetE1EEEvSW_
	.p2align	8
	.type	_ZN7rocprim17ROCPRIM_400000_NS6detail17trampoline_kernelINS0_14default_configENS1_27upper_bound_config_selectorIxlEEZNS1_14transform_implILb0ES3_S5_N6thrust23THRUST_200600_302600_NS6detail15normal_iteratorINS8_7pointerIxNS8_11hip_rocprim5par_tENS8_11use_defaultESE_EEEENSA_INSB_IlSD_SE_SE_EEEEZNS1_13binary_searchIS3_S5_PxSG_SI_NS1_21upper_bound_search_opENS9_16wrapped_functionINS8_6system6detail7generic6detail18binary_search_lessEbEEEE10hipError_tPvRmT1_T2_T3_mmT4_T5_P12ihipStream_tbEUlRKxE_EEST_SX_SY_mSZ_S12_bEUlT_E_NS1_11comp_targetILNS1_3genE5ELNS1_11target_archE942ELNS1_3gpuE9ELNS1_3repE0EEENS1_30default_config_static_selectorELNS0_4arch9wavefront6targetE1EEEvSW_,@function
_ZN7rocprim17ROCPRIM_400000_NS6detail17trampoline_kernelINS0_14default_configENS1_27upper_bound_config_selectorIxlEEZNS1_14transform_implILb0ES3_S5_N6thrust23THRUST_200600_302600_NS6detail15normal_iteratorINS8_7pointerIxNS8_11hip_rocprim5par_tENS8_11use_defaultESE_EEEENSA_INSB_IlSD_SE_SE_EEEEZNS1_13binary_searchIS3_S5_PxSG_SI_NS1_21upper_bound_search_opENS9_16wrapped_functionINS8_6system6detail7generic6detail18binary_search_lessEbEEEE10hipError_tPvRmT1_T2_T3_mmT4_T5_P12ihipStream_tbEUlRKxE_EEST_SX_SY_mSZ_S12_bEUlT_E_NS1_11comp_targetILNS1_3genE5ELNS1_11target_archE942ELNS1_3gpuE9ELNS1_3repE0EEENS1_30default_config_static_selectorELNS0_4arch9wavefront6targetE1EEEvSW_: ; @_ZN7rocprim17ROCPRIM_400000_NS6detail17trampoline_kernelINS0_14default_configENS1_27upper_bound_config_selectorIxlEEZNS1_14transform_implILb0ES3_S5_N6thrust23THRUST_200600_302600_NS6detail15normal_iteratorINS8_7pointerIxNS8_11hip_rocprim5par_tENS8_11use_defaultESE_EEEENSA_INSB_IlSD_SE_SE_EEEEZNS1_13binary_searchIS3_S5_PxSG_SI_NS1_21upper_bound_search_opENS9_16wrapped_functionINS8_6system6detail7generic6detail18binary_search_lessEbEEEE10hipError_tPvRmT1_T2_T3_mmT4_T5_P12ihipStream_tbEUlRKxE_EEST_SX_SY_mSZ_S12_bEUlT_E_NS1_11comp_targetILNS1_3genE5ELNS1_11target_archE942ELNS1_3gpuE9ELNS1_3repE0EEENS1_30default_config_static_selectorELNS0_4arch9wavefront6targetE1EEEvSW_
; %bb.0:
	.section	.rodata,"a",@progbits
	.p2align	6, 0x0
	.amdhsa_kernel _ZN7rocprim17ROCPRIM_400000_NS6detail17trampoline_kernelINS0_14default_configENS1_27upper_bound_config_selectorIxlEEZNS1_14transform_implILb0ES3_S5_N6thrust23THRUST_200600_302600_NS6detail15normal_iteratorINS8_7pointerIxNS8_11hip_rocprim5par_tENS8_11use_defaultESE_EEEENSA_INSB_IlSD_SE_SE_EEEEZNS1_13binary_searchIS3_S5_PxSG_SI_NS1_21upper_bound_search_opENS9_16wrapped_functionINS8_6system6detail7generic6detail18binary_search_lessEbEEEE10hipError_tPvRmT1_T2_T3_mmT4_T5_P12ihipStream_tbEUlRKxE_EEST_SX_SY_mSZ_S12_bEUlT_E_NS1_11comp_targetILNS1_3genE5ELNS1_11target_archE942ELNS1_3gpuE9ELNS1_3repE0EEENS1_30default_config_static_selectorELNS0_4arch9wavefront6targetE1EEEvSW_
		.amdhsa_group_segment_fixed_size 0
		.amdhsa_private_segment_fixed_size 0
		.amdhsa_kernarg_size 56
		.amdhsa_user_sgpr_count 6
		.amdhsa_user_sgpr_private_segment_buffer 1
		.amdhsa_user_sgpr_dispatch_ptr 0
		.amdhsa_user_sgpr_queue_ptr 0
		.amdhsa_user_sgpr_kernarg_segment_ptr 1
		.amdhsa_user_sgpr_dispatch_id 0
		.amdhsa_user_sgpr_flat_scratch_init 0
		.amdhsa_user_sgpr_private_segment_size 0
		.amdhsa_uses_dynamic_stack 0
		.amdhsa_system_sgpr_private_segment_wavefront_offset 0
		.amdhsa_system_sgpr_workgroup_id_x 1
		.amdhsa_system_sgpr_workgroup_id_y 0
		.amdhsa_system_sgpr_workgroup_id_z 0
		.amdhsa_system_sgpr_workgroup_info 0
		.amdhsa_system_vgpr_workitem_id 0
		.amdhsa_next_free_vgpr 1
		.amdhsa_next_free_sgpr 0
		.amdhsa_reserve_vcc 0
		.amdhsa_reserve_flat_scratch 0
		.amdhsa_float_round_mode_32 0
		.amdhsa_float_round_mode_16_64 0
		.amdhsa_float_denorm_mode_32 3
		.amdhsa_float_denorm_mode_16_64 3
		.amdhsa_dx10_clamp 1
		.amdhsa_ieee_mode 1
		.amdhsa_fp16_overflow 0
		.amdhsa_exception_fp_ieee_invalid_op 0
		.amdhsa_exception_fp_denorm_src 0
		.amdhsa_exception_fp_ieee_div_zero 0
		.amdhsa_exception_fp_ieee_overflow 0
		.amdhsa_exception_fp_ieee_underflow 0
		.amdhsa_exception_fp_ieee_inexact 0
		.amdhsa_exception_int_div_zero 0
	.end_amdhsa_kernel
	.section	.text._ZN7rocprim17ROCPRIM_400000_NS6detail17trampoline_kernelINS0_14default_configENS1_27upper_bound_config_selectorIxlEEZNS1_14transform_implILb0ES3_S5_N6thrust23THRUST_200600_302600_NS6detail15normal_iteratorINS8_7pointerIxNS8_11hip_rocprim5par_tENS8_11use_defaultESE_EEEENSA_INSB_IlSD_SE_SE_EEEEZNS1_13binary_searchIS3_S5_PxSG_SI_NS1_21upper_bound_search_opENS9_16wrapped_functionINS8_6system6detail7generic6detail18binary_search_lessEbEEEE10hipError_tPvRmT1_T2_T3_mmT4_T5_P12ihipStream_tbEUlRKxE_EEST_SX_SY_mSZ_S12_bEUlT_E_NS1_11comp_targetILNS1_3genE5ELNS1_11target_archE942ELNS1_3gpuE9ELNS1_3repE0EEENS1_30default_config_static_selectorELNS0_4arch9wavefront6targetE1EEEvSW_,"axG",@progbits,_ZN7rocprim17ROCPRIM_400000_NS6detail17trampoline_kernelINS0_14default_configENS1_27upper_bound_config_selectorIxlEEZNS1_14transform_implILb0ES3_S5_N6thrust23THRUST_200600_302600_NS6detail15normal_iteratorINS8_7pointerIxNS8_11hip_rocprim5par_tENS8_11use_defaultESE_EEEENSA_INSB_IlSD_SE_SE_EEEEZNS1_13binary_searchIS3_S5_PxSG_SI_NS1_21upper_bound_search_opENS9_16wrapped_functionINS8_6system6detail7generic6detail18binary_search_lessEbEEEE10hipError_tPvRmT1_T2_T3_mmT4_T5_P12ihipStream_tbEUlRKxE_EEST_SX_SY_mSZ_S12_bEUlT_E_NS1_11comp_targetILNS1_3genE5ELNS1_11target_archE942ELNS1_3gpuE9ELNS1_3repE0EEENS1_30default_config_static_selectorELNS0_4arch9wavefront6targetE1EEEvSW_,comdat
.Lfunc_end213:
	.size	_ZN7rocprim17ROCPRIM_400000_NS6detail17trampoline_kernelINS0_14default_configENS1_27upper_bound_config_selectorIxlEEZNS1_14transform_implILb0ES3_S5_N6thrust23THRUST_200600_302600_NS6detail15normal_iteratorINS8_7pointerIxNS8_11hip_rocprim5par_tENS8_11use_defaultESE_EEEENSA_INSB_IlSD_SE_SE_EEEEZNS1_13binary_searchIS3_S5_PxSG_SI_NS1_21upper_bound_search_opENS9_16wrapped_functionINS8_6system6detail7generic6detail18binary_search_lessEbEEEE10hipError_tPvRmT1_T2_T3_mmT4_T5_P12ihipStream_tbEUlRKxE_EEST_SX_SY_mSZ_S12_bEUlT_E_NS1_11comp_targetILNS1_3genE5ELNS1_11target_archE942ELNS1_3gpuE9ELNS1_3repE0EEENS1_30default_config_static_selectorELNS0_4arch9wavefront6targetE1EEEvSW_, .Lfunc_end213-_ZN7rocprim17ROCPRIM_400000_NS6detail17trampoline_kernelINS0_14default_configENS1_27upper_bound_config_selectorIxlEEZNS1_14transform_implILb0ES3_S5_N6thrust23THRUST_200600_302600_NS6detail15normal_iteratorINS8_7pointerIxNS8_11hip_rocprim5par_tENS8_11use_defaultESE_EEEENSA_INSB_IlSD_SE_SE_EEEEZNS1_13binary_searchIS3_S5_PxSG_SI_NS1_21upper_bound_search_opENS9_16wrapped_functionINS8_6system6detail7generic6detail18binary_search_lessEbEEEE10hipError_tPvRmT1_T2_T3_mmT4_T5_P12ihipStream_tbEUlRKxE_EEST_SX_SY_mSZ_S12_bEUlT_E_NS1_11comp_targetILNS1_3genE5ELNS1_11target_archE942ELNS1_3gpuE9ELNS1_3repE0EEENS1_30default_config_static_selectorELNS0_4arch9wavefront6targetE1EEEvSW_
                                        ; -- End function
	.set _ZN7rocprim17ROCPRIM_400000_NS6detail17trampoline_kernelINS0_14default_configENS1_27upper_bound_config_selectorIxlEEZNS1_14transform_implILb0ES3_S5_N6thrust23THRUST_200600_302600_NS6detail15normal_iteratorINS8_7pointerIxNS8_11hip_rocprim5par_tENS8_11use_defaultESE_EEEENSA_INSB_IlSD_SE_SE_EEEEZNS1_13binary_searchIS3_S5_PxSG_SI_NS1_21upper_bound_search_opENS9_16wrapped_functionINS8_6system6detail7generic6detail18binary_search_lessEbEEEE10hipError_tPvRmT1_T2_T3_mmT4_T5_P12ihipStream_tbEUlRKxE_EEST_SX_SY_mSZ_S12_bEUlT_E_NS1_11comp_targetILNS1_3genE5ELNS1_11target_archE942ELNS1_3gpuE9ELNS1_3repE0EEENS1_30default_config_static_selectorELNS0_4arch9wavefront6targetE1EEEvSW_.num_vgpr, 0
	.set _ZN7rocprim17ROCPRIM_400000_NS6detail17trampoline_kernelINS0_14default_configENS1_27upper_bound_config_selectorIxlEEZNS1_14transform_implILb0ES3_S5_N6thrust23THRUST_200600_302600_NS6detail15normal_iteratorINS8_7pointerIxNS8_11hip_rocprim5par_tENS8_11use_defaultESE_EEEENSA_INSB_IlSD_SE_SE_EEEEZNS1_13binary_searchIS3_S5_PxSG_SI_NS1_21upper_bound_search_opENS9_16wrapped_functionINS8_6system6detail7generic6detail18binary_search_lessEbEEEE10hipError_tPvRmT1_T2_T3_mmT4_T5_P12ihipStream_tbEUlRKxE_EEST_SX_SY_mSZ_S12_bEUlT_E_NS1_11comp_targetILNS1_3genE5ELNS1_11target_archE942ELNS1_3gpuE9ELNS1_3repE0EEENS1_30default_config_static_selectorELNS0_4arch9wavefront6targetE1EEEvSW_.num_agpr, 0
	.set _ZN7rocprim17ROCPRIM_400000_NS6detail17trampoline_kernelINS0_14default_configENS1_27upper_bound_config_selectorIxlEEZNS1_14transform_implILb0ES3_S5_N6thrust23THRUST_200600_302600_NS6detail15normal_iteratorINS8_7pointerIxNS8_11hip_rocprim5par_tENS8_11use_defaultESE_EEEENSA_INSB_IlSD_SE_SE_EEEEZNS1_13binary_searchIS3_S5_PxSG_SI_NS1_21upper_bound_search_opENS9_16wrapped_functionINS8_6system6detail7generic6detail18binary_search_lessEbEEEE10hipError_tPvRmT1_T2_T3_mmT4_T5_P12ihipStream_tbEUlRKxE_EEST_SX_SY_mSZ_S12_bEUlT_E_NS1_11comp_targetILNS1_3genE5ELNS1_11target_archE942ELNS1_3gpuE9ELNS1_3repE0EEENS1_30default_config_static_selectorELNS0_4arch9wavefront6targetE1EEEvSW_.numbered_sgpr, 0
	.set _ZN7rocprim17ROCPRIM_400000_NS6detail17trampoline_kernelINS0_14default_configENS1_27upper_bound_config_selectorIxlEEZNS1_14transform_implILb0ES3_S5_N6thrust23THRUST_200600_302600_NS6detail15normal_iteratorINS8_7pointerIxNS8_11hip_rocprim5par_tENS8_11use_defaultESE_EEEENSA_INSB_IlSD_SE_SE_EEEEZNS1_13binary_searchIS3_S5_PxSG_SI_NS1_21upper_bound_search_opENS9_16wrapped_functionINS8_6system6detail7generic6detail18binary_search_lessEbEEEE10hipError_tPvRmT1_T2_T3_mmT4_T5_P12ihipStream_tbEUlRKxE_EEST_SX_SY_mSZ_S12_bEUlT_E_NS1_11comp_targetILNS1_3genE5ELNS1_11target_archE942ELNS1_3gpuE9ELNS1_3repE0EEENS1_30default_config_static_selectorELNS0_4arch9wavefront6targetE1EEEvSW_.num_named_barrier, 0
	.set _ZN7rocprim17ROCPRIM_400000_NS6detail17trampoline_kernelINS0_14default_configENS1_27upper_bound_config_selectorIxlEEZNS1_14transform_implILb0ES3_S5_N6thrust23THRUST_200600_302600_NS6detail15normal_iteratorINS8_7pointerIxNS8_11hip_rocprim5par_tENS8_11use_defaultESE_EEEENSA_INSB_IlSD_SE_SE_EEEEZNS1_13binary_searchIS3_S5_PxSG_SI_NS1_21upper_bound_search_opENS9_16wrapped_functionINS8_6system6detail7generic6detail18binary_search_lessEbEEEE10hipError_tPvRmT1_T2_T3_mmT4_T5_P12ihipStream_tbEUlRKxE_EEST_SX_SY_mSZ_S12_bEUlT_E_NS1_11comp_targetILNS1_3genE5ELNS1_11target_archE942ELNS1_3gpuE9ELNS1_3repE0EEENS1_30default_config_static_selectorELNS0_4arch9wavefront6targetE1EEEvSW_.private_seg_size, 0
	.set _ZN7rocprim17ROCPRIM_400000_NS6detail17trampoline_kernelINS0_14default_configENS1_27upper_bound_config_selectorIxlEEZNS1_14transform_implILb0ES3_S5_N6thrust23THRUST_200600_302600_NS6detail15normal_iteratorINS8_7pointerIxNS8_11hip_rocprim5par_tENS8_11use_defaultESE_EEEENSA_INSB_IlSD_SE_SE_EEEEZNS1_13binary_searchIS3_S5_PxSG_SI_NS1_21upper_bound_search_opENS9_16wrapped_functionINS8_6system6detail7generic6detail18binary_search_lessEbEEEE10hipError_tPvRmT1_T2_T3_mmT4_T5_P12ihipStream_tbEUlRKxE_EEST_SX_SY_mSZ_S12_bEUlT_E_NS1_11comp_targetILNS1_3genE5ELNS1_11target_archE942ELNS1_3gpuE9ELNS1_3repE0EEENS1_30default_config_static_selectorELNS0_4arch9wavefront6targetE1EEEvSW_.uses_vcc, 0
	.set _ZN7rocprim17ROCPRIM_400000_NS6detail17trampoline_kernelINS0_14default_configENS1_27upper_bound_config_selectorIxlEEZNS1_14transform_implILb0ES3_S5_N6thrust23THRUST_200600_302600_NS6detail15normal_iteratorINS8_7pointerIxNS8_11hip_rocprim5par_tENS8_11use_defaultESE_EEEENSA_INSB_IlSD_SE_SE_EEEEZNS1_13binary_searchIS3_S5_PxSG_SI_NS1_21upper_bound_search_opENS9_16wrapped_functionINS8_6system6detail7generic6detail18binary_search_lessEbEEEE10hipError_tPvRmT1_T2_T3_mmT4_T5_P12ihipStream_tbEUlRKxE_EEST_SX_SY_mSZ_S12_bEUlT_E_NS1_11comp_targetILNS1_3genE5ELNS1_11target_archE942ELNS1_3gpuE9ELNS1_3repE0EEENS1_30default_config_static_selectorELNS0_4arch9wavefront6targetE1EEEvSW_.uses_flat_scratch, 0
	.set _ZN7rocprim17ROCPRIM_400000_NS6detail17trampoline_kernelINS0_14default_configENS1_27upper_bound_config_selectorIxlEEZNS1_14transform_implILb0ES3_S5_N6thrust23THRUST_200600_302600_NS6detail15normal_iteratorINS8_7pointerIxNS8_11hip_rocprim5par_tENS8_11use_defaultESE_EEEENSA_INSB_IlSD_SE_SE_EEEEZNS1_13binary_searchIS3_S5_PxSG_SI_NS1_21upper_bound_search_opENS9_16wrapped_functionINS8_6system6detail7generic6detail18binary_search_lessEbEEEE10hipError_tPvRmT1_T2_T3_mmT4_T5_P12ihipStream_tbEUlRKxE_EEST_SX_SY_mSZ_S12_bEUlT_E_NS1_11comp_targetILNS1_3genE5ELNS1_11target_archE942ELNS1_3gpuE9ELNS1_3repE0EEENS1_30default_config_static_selectorELNS0_4arch9wavefront6targetE1EEEvSW_.has_dyn_sized_stack, 0
	.set _ZN7rocprim17ROCPRIM_400000_NS6detail17trampoline_kernelINS0_14default_configENS1_27upper_bound_config_selectorIxlEEZNS1_14transform_implILb0ES3_S5_N6thrust23THRUST_200600_302600_NS6detail15normal_iteratorINS8_7pointerIxNS8_11hip_rocprim5par_tENS8_11use_defaultESE_EEEENSA_INSB_IlSD_SE_SE_EEEEZNS1_13binary_searchIS3_S5_PxSG_SI_NS1_21upper_bound_search_opENS9_16wrapped_functionINS8_6system6detail7generic6detail18binary_search_lessEbEEEE10hipError_tPvRmT1_T2_T3_mmT4_T5_P12ihipStream_tbEUlRKxE_EEST_SX_SY_mSZ_S12_bEUlT_E_NS1_11comp_targetILNS1_3genE5ELNS1_11target_archE942ELNS1_3gpuE9ELNS1_3repE0EEENS1_30default_config_static_selectorELNS0_4arch9wavefront6targetE1EEEvSW_.has_recursion, 0
	.set _ZN7rocprim17ROCPRIM_400000_NS6detail17trampoline_kernelINS0_14default_configENS1_27upper_bound_config_selectorIxlEEZNS1_14transform_implILb0ES3_S5_N6thrust23THRUST_200600_302600_NS6detail15normal_iteratorINS8_7pointerIxNS8_11hip_rocprim5par_tENS8_11use_defaultESE_EEEENSA_INSB_IlSD_SE_SE_EEEEZNS1_13binary_searchIS3_S5_PxSG_SI_NS1_21upper_bound_search_opENS9_16wrapped_functionINS8_6system6detail7generic6detail18binary_search_lessEbEEEE10hipError_tPvRmT1_T2_T3_mmT4_T5_P12ihipStream_tbEUlRKxE_EEST_SX_SY_mSZ_S12_bEUlT_E_NS1_11comp_targetILNS1_3genE5ELNS1_11target_archE942ELNS1_3gpuE9ELNS1_3repE0EEENS1_30default_config_static_selectorELNS0_4arch9wavefront6targetE1EEEvSW_.has_indirect_call, 0
	.section	.AMDGPU.csdata,"",@progbits
; Kernel info:
; codeLenInByte = 0
; TotalNumSgprs: 4
; NumVgprs: 0
; ScratchSize: 0
; MemoryBound: 0
; FloatMode: 240
; IeeeMode: 1
; LDSByteSize: 0 bytes/workgroup (compile time only)
; SGPRBlocks: 0
; VGPRBlocks: 0
; NumSGPRsForWavesPerEU: 4
; NumVGPRsForWavesPerEU: 1
; Occupancy: 10
; WaveLimiterHint : 0
; COMPUTE_PGM_RSRC2:SCRATCH_EN: 0
; COMPUTE_PGM_RSRC2:USER_SGPR: 6
; COMPUTE_PGM_RSRC2:TRAP_HANDLER: 0
; COMPUTE_PGM_RSRC2:TGID_X_EN: 1
; COMPUTE_PGM_RSRC2:TGID_Y_EN: 0
; COMPUTE_PGM_RSRC2:TGID_Z_EN: 0
; COMPUTE_PGM_RSRC2:TIDIG_COMP_CNT: 0
	.section	.text._ZN7rocprim17ROCPRIM_400000_NS6detail17trampoline_kernelINS0_14default_configENS1_27upper_bound_config_selectorIxlEEZNS1_14transform_implILb0ES3_S5_N6thrust23THRUST_200600_302600_NS6detail15normal_iteratorINS8_7pointerIxNS8_11hip_rocprim5par_tENS8_11use_defaultESE_EEEENSA_INSB_IlSD_SE_SE_EEEEZNS1_13binary_searchIS3_S5_PxSG_SI_NS1_21upper_bound_search_opENS9_16wrapped_functionINS8_6system6detail7generic6detail18binary_search_lessEbEEEE10hipError_tPvRmT1_T2_T3_mmT4_T5_P12ihipStream_tbEUlRKxE_EEST_SX_SY_mSZ_S12_bEUlT_E_NS1_11comp_targetILNS1_3genE4ELNS1_11target_archE910ELNS1_3gpuE8ELNS1_3repE0EEENS1_30default_config_static_selectorELNS0_4arch9wavefront6targetE1EEEvSW_,"axG",@progbits,_ZN7rocprim17ROCPRIM_400000_NS6detail17trampoline_kernelINS0_14default_configENS1_27upper_bound_config_selectorIxlEEZNS1_14transform_implILb0ES3_S5_N6thrust23THRUST_200600_302600_NS6detail15normal_iteratorINS8_7pointerIxNS8_11hip_rocprim5par_tENS8_11use_defaultESE_EEEENSA_INSB_IlSD_SE_SE_EEEEZNS1_13binary_searchIS3_S5_PxSG_SI_NS1_21upper_bound_search_opENS9_16wrapped_functionINS8_6system6detail7generic6detail18binary_search_lessEbEEEE10hipError_tPvRmT1_T2_T3_mmT4_T5_P12ihipStream_tbEUlRKxE_EEST_SX_SY_mSZ_S12_bEUlT_E_NS1_11comp_targetILNS1_3genE4ELNS1_11target_archE910ELNS1_3gpuE8ELNS1_3repE0EEENS1_30default_config_static_selectorELNS0_4arch9wavefront6targetE1EEEvSW_,comdat
	.protected	_ZN7rocprim17ROCPRIM_400000_NS6detail17trampoline_kernelINS0_14default_configENS1_27upper_bound_config_selectorIxlEEZNS1_14transform_implILb0ES3_S5_N6thrust23THRUST_200600_302600_NS6detail15normal_iteratorINS8_7pointerIxNS8_11hip_rocprim5par_tENS8_11use_defaultESE_EEEENSA_INSB_IlSD_SE_SE_EEEEZNS1_13binary_searchIS3_S5_PxSG_SI_NS1_21upper_bound_search_opENS9_16wrapped_functionINS8_6system6detail7generic6detail18binary_search_lessEbEEEE10hipError_tPvRmT1_T2_T3_mmT4_T5_P12ihipStream_tbEUlRKxE_EEST_SX_SY_mSZ_S12_bEUlT_E_NS1_11comp_targetILNS1_3genE4ELNS1_11target_archE910ELNS1_3gpuE8ELNS1_3repE0EEENS1_30default_config_static_selectorELNS0_4arch9wavefront6targetE1EEEvSW_ ; -- Begin function _ZN7rocprim17ROCPRIM_400000_NS6detail17trampoline_kernelINS0_14default_configENS1_27upper_bound_config_selectorIxlEEZNS1_14transform_implILb0ES3_S5_N6thrust23THRUST_200600_302600_NS6detail15normal_iteratorINS8_7pointerIxNS8_11hip_rocprim5par_tENS8_11use_defaultESE_EEEENSA_INSB_IlSD_SE_SE_EEEEZNS1_13binary_searchIS3_S5_PxSG_SI_NS1_21upper_bound_search_opENS9_16wrapped_functionINS8_6system6detail7generic6detail18binary_search_lessEbEEEE10hipError_tPvRmT1_T2_T3_mmT4_T5_P12ihipStream_tbEUlRKxE_EEST_SX_SY_mSZ_S12_bEUlT_E_NS1_11comp_targetILNS1_3genE4ELNS1_11target_archE910ELNS1_3gpuE8ELNS1_3repE0EEENS1_30default_config_static_selectorELNS0_4arch9wavefront6targetE1EEEvSW_
	.globl	_ZN7rocprim17ROCPRIM_400000_NS6detail17trampoline_kernelINS0_14default_configENS1_27upper_bound_config_selectorIxlEEZNS1_14transform_implILb0ES3_S5_N6thrust23THRUST_200600_302600_NS6detail15normal_iteratorINS8_7pointerIxNS8_11hip_rocprim5par_tENS8_11use_defaultESE_EEEENSA_INSB_IlSD_SE_SE_EEEEZNS1_13binary_searchIS3_S5_PxSG_SI_NS1_21upper_bound_search_opENS9_16wrapped_functionINS8_6system6detail7generic6detail18binary_search_lessEbEEEE10hipError_tPvRmT1_T2_T3_mmT4_T5_P12ihipStream_tbEUlRKxE_EEST_SX_SY_mSZ_S12_bEUlT_E_NS1_11comp_targetILNS1_3genE4ELNS1_11target_archE910ELNS1_3gpuE8ELNS1_3repE0EEENS1_30default_config_static_selectorELNS0_4arch9wavefront6targetE1EEEvSW_
	.p2align	8
	.type	_ZN7rocprim17ROCPRIM_400000_NS6detail17trampoline_kernelINS0_14default_configENS1_27upper_bound_config_selectorIxlEEZNS1_14transform_implILb0ES3_S5_N6thrust23THRUST_200600_302600_NS6detail15normal_iteratorINS8_7pointerIxNS8_11hip_rocprim5par_tENS8_11use_defaultESE_EEEENSA_INSB_IlSD_SE_SE_EEEEZNS1_13binary_searchIS3_S5_PxSG_SI_NS1_21upper_bound_search_opENS9_16wrapped_functionINS8_6system6detail7generic6detail18binary_search_lessEbEEEE10hipError_tPvRmT1_T2_T3_mmT4_T5_P12ihipStream_tbEUlRKxE_EEST_SX_SY_mSZ_S12_bEUlT_E_NS1_11comp_targetILNS1_3genE4ELNS1_11target_archE910ELNS1_3gpuE8ELNS1_3repE0EEENS1_30default_config_static_selectorELNS0_4arch9wavefront6targetE1EEEvSW_,@function
_ZN7rocprim17ROCPRIM_400000_NS6detail17trampoline_kernelINS0_14default_configENS1_27upper_bound_config_selectorIxlEEZNS1_14transform_implILb0ES3_S5_N6thrust23THRUST_200600_302600_NS6detail15normal_iteratorINS8_7pointerIxNS8_11hip_rocprim5par_tENS8_11use_defaultESE_EEEENSA_INSB_IlSD_SE_SE_EEEEZNS1_13binary_searchIS3_S5_PxSG_SI_NS1_21upper_bound_search_opENS9_16wrapped_functionINS8_6system6detail7generic6detail18binary_search_lessEbEEEE10hipError_tPvRmT1_T2_T3_mmT4_T5_P12ihipStream_tbEUlRKxE_EEST_SX_SY_mSZ_S12_bEUlT_E_NS1_11comp_targetILNS1_3genE4ELNS1_11target_archE910ELNS1_3gpuE8ELNS1_3repE0EEENS1_30default_config_static_selectorELNS0_4arch9wavefront6targetE1EEEvSW_: ; @_ZN7rocprim17ROCPRIM_400000_NS6detail17trampoline_kernelINS0_14default_configENS1_27upper_bound_config_selectorIxlEEZNS1_14transform_implILb0ES3_S5_N6thrust23THRUST_200600_302600_NS6detail15normal_iteratorINS8_7pointerIxNS8_11hip_rocprim5par_tENS8_11use_defaultESE_EEEENSA_INSB_IlSD_SE_SE_EEEEZNS1_13binary_searchIS3_S5_PxSG_SI_NS1_21upper_bound_search_opENS9_16wrapped_functionINS8_6system6detail7generic6detail18binary_search_lessEbEEEE10hipError_tPvRmT1_T2_T3_mmT4_T5_P12ihipStream_tbEUlRKxE_EEST_SX_SY_mSZ_S12_bEUlT_E_NS1_11comp_targetILNS1_3genE4ELNS1_11target_archE910ELNS1_3gpuE8ELNS1_3repE0EEENS1_30default_config_static_selectorELNS0_4arch9wavefront6targetE1EEEvSW_
; %bb.0:
	.section	.rodata,"a",@progbits
	.p2align	6, 0x0
	.amdhsa_kernel _ZN7rocprim17ROCPRIM_400000_NS6detail17trampoline_kernelINS0_14default_configENS1_27upper_bound_config_selectorIxlEEZNS1_14transform_implILb0ES3_S5_N6thrust23THRUST_200600_302600_NS6detail15normal_iteratorINS8_7pointerIxNS8_11hip_rocprim5par_tENS8_11use_defaultESE_EEEENSA_INSB_IlSD_SE_SE_EEEEZNS1_13binary_searchIS3_S5_PxSG_SI_NS1_21upper_bound_search_opENS9_16wrapped_functionINS8_6system6detail7generic6detail18binary_search_lessEbEEEE10hipError_tPvRmT1_T2_T3_mmT4_T5_P12ihipStream_tbEUlRKxE_EEST_SX_SY_mSZ_S12_bEUlT_E_NS1_11comp_targetILNS1_3genE4ELNS1_11target_archE910ELNS1_3gpuE8ELNS1_3repE0EEENS1_30default_config_static_selectorELNS0_4arch9wavefront6targetE1EEEvSW_
		.amdhsa_group_segment_fixed_size 0
		.amdhsa_private_segment_fixed_size 0
		.amdhsa_kernarg_size 56
		.amdhsa_user_sgpr_count 6
		.amdhsa_user_sgpr_private_segment_buffer 1
		.amdhsa_user_sgpr_dispatch_ptr 0
		.amdhsa_user_sgpr_queue_ptr 0
		.amdhsa_user_sgpr_kernarg_segment_ptr 1
		.amdhsa_user_sgpr_dispatch_id 0
		.amdhsa_user_sgpr_flat_scratch_init 0
		.amdhsa_user_sgpr_private_segment_size 0
		.amdhsa_uses_dynamic_stack 0
		.amdhsa_system_sgpr_private_segment_wavefront_offset 0
		.amdhsa_system_sgpr_workgroup_id_x 1
		.amdhsa_system_sgpr_workgroup_id_y 0
		.amdhsa_system_sgpr_workgroup_id_z 0
		.amdhsa_system_sgpr_workgroup_info 0
		.amdhsa_system_vgpr_workitem_id 0
		.amdhsa_next_free_vgpr 1
		.amdhsa_next_free_sgpr 0
		.amdhsa_reserve_vcc 0
		.amdhsa_reserve_flat_scratch 0
		.amdhsa_float_round_mode_32 0
		.amdhsa_float_round_mode_16_64 0
		.amdhsa_float_denorm_mode_32 3
		.amdhsa_float_denorm_mode_16_64 3
		.amdhsa_dx10_clamp 1
		.amdhsa_ieee_mode 1
		.amdhsa_fp16_overflow 0
		.amdhsa_exception_fp_ieee_invalid_op 0
		.amdhsa_exception_fp_denorm_src 0
		.amdhsa_exception_fp_ieee_div_zero 0
		.amdhsa_exception_fp_ieee_overflow 0
		.amdhsa_exception_fp_ieee_underflow 0
		.amdhsa_exception_fp_ieee_inexact 0
		.amdhsa_exception_int_div_zero 0
	.end_amdhsa_kernel
	.section	.text._ZN7rocprim17ROCPRIM_400000_NS6detail17trampoline_kernelINS0_14default_configENS1_27upper_bound_config_selectorIxlEEZNS1_14transform_implILb0ES3_S5_N6thrust23THRUST_200600_302600_NS6detail15normal_iteratorINS8_7pointerIxNS8_11hip_rocprim5par_tENS8_11use_defaultESE_EEEENSA_INSB_IlSD_SE_SE_EEEEZNS1_13binary_searchIS3_S5_PxSG_SI_NS1_21upper_bound_search_opENS9_16wrapped_functionINS8_6system6detail7generic6detail18binary_search_lessEbEEEE10hipError_tPvRmT1_T2_T3_mmT4_T5_P12ihipStream_tbEUlRKxE_EEST_SX_SY_mSZ_S12_bEUlT_E_NS1_11comp_targetILNS1_3genE4ELNS1_11target_archE910ELNS1_3gpuE8ELNS1_3repE0EEENS1_30default_config_static_selectorELNS0_4arch9wavefront6targetE1EEEvSW_,"axG",@progbits,_ZN7rocprim17ROCPRIM_400000_NS6detail17trampoline_kernelINS0_14default_configENS1_27upper_bound_config_selectorIxlEEZNS1_14transform_implILb0ES3_S5_N6thrust23THRUST_200600_302600_NS6detail15normal_iteratorINS8_7pointerIxNS8_11hip_rocprim5par_tENS8_11use_defaultESE_EEEENSA_INSB_IlSD_SE_SE_EEEEZNS1_13binary_searchIS3_S5_PxSG_SI_NS1_21upper_bound_search_opENS9_16wrapped_functionINS8_6system6detail7generic6detail18binary_search_lessEbEEEE10hipError_tPvRmT1_T2_T3_mmT4_T5_P12ihipStream_tbEUlRKxE_EEST_SX_SY_mSZ_S12_bEUlT_E_NS1_11comp_targetILNS1_3genE4ELNS1_11target_archE910ELNS1_3gpuE8ELNS1_3repE0EEENS1_30default_config_static_selectorELNS0_4arch9wavefront6targetE1EEEvSW_,comdat
.Lfunc_end214:
	.size	_ZN7rocprim17ROCPRIM_400000_NS6detail17trampoline_kernelINS0_14default_configENS1_27upper_bound_config_selectorIxlEEZNS1_14transform_implILb0ES3_S5_N6thrust23THRUST_200600_302600_NS6detail15normal_iteratorINS8_7pointerIxNS8_11hip_rocprim5par_tENS8_11use_defaultESE_EEEENSA_INSB_IlSD_SE_SE_EEEEZNS1_13binary_searchIS3_S5_PxSG_SI_NS1_21upper_bound_search_opENS9_16wrapped_functionINS8_6system6detail7generic6detail18binary_search_lessEbEEEE10hipError_tPvRmT1_T2_T3_mmT4_T5_P12ihipStream_tbEUlRKxE_EEST_SX_SY_mSZ_S12_bEUlT_E_NS1_11comp_targetILNS1_3genE4ELNS1_11target_archE910ELNS1_3gpuE8ELNS1_3repE0EEENS1_30default_config_static_selectorELNS0_4arch9wavefront6targetE1EEEvSW_, .Lfunc_end214-_ZN7rocprim17ROCPRIM_400000_NS6detail17trampoline_kernelINS0_14default_configENS1_27upper_bound_config_selectorIxlEEZNS1_14transform_implILb0ES3_S5_N6thrust23THRUST_200600_302600_NS6detail15normal_iteratorINS8_7pointerIxNS8_11hip_rocprim5par_tENS8_11use_defaultESE_EEEENSA_INSB_IlSD_SE_SE_EEEEZNS1_13binary_searchIS3_S5_PxSG_SI_NS1_21upper_bound_search_opENS9_16wrapped_functionINS8_6system6detail7generic6detail18binary_search_lessEbEEEE10hipError_tPvRmT1_T2_T3_mmT4_T5_P12ihipStream_tbEUlRKxE_EEST_SX_SY_mSZ_S12_bEUlT_E_NS1_11comp_targetILNS1_3genE4ELNS1_11target_archE910ELNS1_3gpuE8ELNS1_3repE0EEENS1_30default_config_static_selectorELNS0_4arch9wavefront6targetE1EEEvSW_
                                        ; -- End function
	.set _ZN7rocprim17ROCPRIM_400000_NS6detail17trampoline_kernelINS0_14default_configENS1_27upper_bound_config_selectorIxlEEZNS1_14transform_implILb0ES3_S5_N6thrust23THRUST_200600_302600_NS6detail15normal_iteratorINS8_7pointerIxNS8_11hip_rocprim5par_tENS8_11use_defaultESE_EEEENSA_INSB_IlSD_SE_SE_EEEEZNS1_13binary_searchIS3_S5_PxSG_SI_NS1_21upper_bound_search_opENS9_16wrapped_functionINS8_6system6detail7generic6detail18binary_search_lessEbEEEE10hipError_tPvRmT1_T2_T3_mmT4_T5_P12ihipStream_tbEUlRKxE_EEST_SX_SY_mSZ_S12_bEUlT_E_NS1_11comp_targetILNS1_3genE4ELNS1_11target_archE910ELNS1_3gpuE8ELNS1_3repE0EEENS1_30default_config_static_selectorELNS0_4arch9wavefront6targetE1EEEvSW_.num_vgpr, 0
	.set _ZN7rocprim17ROCPRIM_400000_NS6detail17trampoline_kernelINS0_14default_configENS1_27upper_bound_config_selectorIxlEEZNS1_14transform_implILb0ES3_S5_N6thrust23THRUST_200600_302600_NS6detail15normal_iteratorINS8_7pointerIxNS8_11hip_rocprim5par_tENS8_11use_defaultESE_EEEENSA_INSB_IlSD_SE_SE_EEEEZNS1_13binary_searchIS3_S5_PxSG_SI_NS1_21upper_bound_search_opENS9_16wrapped_functionINS8_6system6detail7generic6detail18binary_search_lessEbEEEE10hipError_tPvRmT1_T2_T3_mmT4_T5_P12ihipStream_tbEUlRKxE_EEST_SX_SY_mSZ_S12_bEUlT_E_NS1_11comp_targetILNS1_3genE4ELNS1_11target_archE910ELNS1_3gpuE8ELNS1_3repE0EEENS1_30default_config_static_selectorELNS0_4arch9wavefront6targetE1EEEvSW_.num_agpr, 0
	.set _ZN7rocprim17ROCPRIM_400000_NS6detail17trampoline_kernelINS0_14default_configENS1_27upper_bound_config_selectorIxlEEZNS1_14transform_implILb0ES3_S5_N6thrust23THRUST_200600_302600_NS6detail15normal_iteratorINS8_7pointerIxNS8_11hip_rocprim5par_tENS8_11use_defaultESE_EEEENSA_INSB_IlSD_SE_SE_EEEEZNS1_13binary_searchIS3_S5_PxSG_SI_NS1_21upper_bound_search_opENS9_16wrapped_functionINS8_6system6detail7generic6detail18binary_search_lessEbEEEE10hipError_tPvRmT1_T2_T3_mmT4_T5_P12ihipStream_tbEUlRKxE_EEST_SX_SY_mSZ_S12_bEUlT_E_NS1_11comp_targetILNS1_3genE4ELNS1_11target_archE910ELNS1_3gpuE8ELNS1_3repE0EEENS1_30default_config_static_selectorELNS0_4arch9wavefront6targetE1EEEvSW_.numbered_sgpr, 0
	.set _ZN7rocprim17ROCPRIM_400000_NS6detail17trampoline_kernelINS0_14default_configENS1_27upper_bound_config_selectorIxlEEZNS1_14transform_implILb0ES3_S5_N6thrust23THRUST_200600_302600_NS6detail15normal_iteratorINS8_7pointerIxNS8_11hip_rocprim5par_tENS8_11use_defaultESE_EEEENSA_INSB_IlSD_SE_SE_EEEEZNS1_13binary_searchIS3_S5_PxSG_SI_NS1_21upper_bound_search_opENS9_16wrapped_functionINS8_6system6detail7generic6detail18binary_search_lessEbEEEE10hipError_tPvRmT1_T2_T3_mmT4_T5_P12ihipStream_tbEUlRKxE_EEST_SX_SY_mSZ_S12_bEUlT_E_NS1_11comp_targetILNS1_3genE4ELNS1_11target_archE910ELNS1_3gpuE8ELNS1_3repE0EEENS1_30default_config_static_selectorELNS0_4arch9wavefront6targetE1EEEvSW_.num_named_barrier, 0
	.set _ZN7rocprim17ROCPRIM_400000_NS6detail17trampoline_kernelINS0_14default_configENS1_27upper_bound_config_selectorIxlEEZNS1_14transform_implILb0ES3_S5_N6thrust23THRUST_200600_302600_NS6detail15normal_iteratorINS8_7pointerIxNS8_11hip_rocprim5par_tENS8_11use_defaultESE_EEEENSA_INSB_IlSD_SE_SE_EEEEZNS1_13binary_searchIS3_S5_PxSG_SI_NS1_21upper_bound_search_opENS9_16wrapped_functionINS8_6system6detail7generic6detail18binary_search_lessEbEEEE10hipError_tPvRmT1_T2_T3_mmT4_T5_P12ihipStream_tbEUlRKxE_EEST_SX_SY_mSZ_S12_bEUlT_E_NS1_11comp_targetILNS1_3genE4ELNS1_11target_archE910ELNS1_3gpuE8ELNS1_3repE0EEENS1_30default_config_static_selectorELNS0_4arch9wavefront6targetE1EEEvSW_.private_seg_size, 0
	.set _ZN7rocprim17ROCPRIM_400000_NS6detail17trampoline_kernelINS0_14default_configENS1_27upper_bound_config_selectorIxlEEZNS1_14transform_implILb0ES3_S5_N6thrust23THRUST_200600_302600_NS6detail15normal_iteratorINS8_7pointerIxNS8_11hip_rocprim5par_tENS8_11use_defaultESE_EEEENSA_INSB_IlSD_SE_SE_EEEEZNS1_13binary_searchIS3_S5_PxSG_SI_NS1_21upper_bound_search_opENS9_16wrapped_functionINS8_6system6detail7generic6detail18binary_search_lessEbEEEE10hipError_tPvRmT1_T2_T3_mmT4_T5_P12ihipStream_tbEUlRKxE_EEST_SX_SY_mSZ_S12_bEUlT_E_NS1_11comp_targetILNS1_3genE4ELNS1_11target_archE910ELNS1_3gpuE8ELNS1_3repE0EEENS1_30default_config_static_selectorELNS0_4arch9wavefront6targetE1EEEvSW_.uses_vcc, 0
	.set _ZN7rocprim17ROCPRIM_400000_NS6detail17trampoline_kernelINS0_14default_configENS1_27upper_bound_config_selectorIxlEEZNS1_14transform_implILb0ES3_S5_N6thrust23THRUST_200600_302600_NS6detail15normal_iteratorINS8_7pointerIxNS8_11hip_rocprim5par_tENS8_11use_defaultESE_EEEENSA_INSB_IlSD_SE_SE_EEEEZNS1_13binary_searchIS3_S5_PxSG_SI_NS1_21upper_bound_search_opENS9_16wrapped_functionINS8_6system6detail7generic6detail18binary_search_lessEbEEEE10hipError_tPvRmT1_T2_T3_mmT4_T5_P12ihipStream_tbEUlRKxE_EEST_SX_SY_mSZ_S12_bEUlT_E_NS1_11comp_targetILNS1_3genE4ELNS1_11target_archE910ELNS1_3gpuE8ELNS1_3repE0EEENS1_30default_config_static_selectorELNS0_4arch9wavefront6targetE1EEEvSW_.uses_flat_scratch, 0
	.set _ZN7rocprim17ROCPRIM_400000_NS6detail17trampoline_kernelINS0_14default_configENS1_27upper_bound_config_selectorIxlEEZNS1_14transform_implILb0ES3_S5_N6thrust23THRUST_200600_302600_NS6detail15normal_iteratorINS8_7pointerIxNS8_11hip_rocprim5par_tENS8_11use_defaultESE_EEEENSA_INSB_IlSD_SE_SE_EEEEZNS1_13binary_searchIS3_S5_PxSG_SI_NS1_21upper_bound_search_opENS9_16wrapped_functionINS8_6system6detail7generic6detail18binary_search_lessEbEEEE10hipError_tPvRmT1_T2_T3_mmT4_T5_P12ihipStream_tbEUlRKxE_EEST_SX_SY_mSZ_S12_bEUlT_E_NS1_11comp_targetILNS1_3genE4ELNS1_11target_archE910ELNS1_3gpuE8ELNS1_3repE0EEENS1_30default_config_static_selectorELNS0_4arch9wavefront6targetE1EEEvSW_.has_dyn_sized_stack, 0
	.set _ZN7rocprim17ROCPRIM_400000_NS6detail17trampoline_kernelINS0_14default_configENS1_27upper_bound_config_selectorIxlEEZNS1_14transform_implILb0ES3_S5_N6thrust23THRUST_200600_302600_NS6detail15normal_iteratorINS8_7pointerIxNS8_11hip_rocprim5par_tENS8_11use_defaultESE_EEEENSA_INSB_IlSD_SE_SE_EEEEZNS1_13binary_searchIS3_S5_PxSG_SI_NS1_21upper_bound_search_opENS9_16wrapped_functionINS8_6system6detail7generic6detail18binary_search_lessEbEEEE10hipError_tPvRmT1_T2_T3_mmT4_T5_P12ihipStream_tbEUlRKxE_EEST_SX_SY_mSZ_S12_bEUlT_E_NS1_11comp_targetILNS1_3genE4ELNS1_11target_archE910ELNS1_3gpuE8ELNS1_3repE0EEENS1_30default_config_static_selectorELNS0_4arch9wavefront6targetE1EEEvSW_.has_recursion, 0
	.set _ZN7rocprim17ROCPRIM_400000_NS6detail17trampoline_kernelINS0_14default_configENS1_27upper_bound_config_selectorIxlEEZNS1_14transform_implILb0ES3_S5_N6thrust23THRUST_200600_302600_NS6detail15normal_iteratorINS8_7pointerIxNS8_11hip_rocprim5par_tENS8_11use_defaultESE_EEEENSA_INSB_IlSD_SE_SE_EEEEZNS1_13binary_searchIS3_S5_PxSG_SI_NS1_21upper_bound_search_opENS9_16wrapped_functionINS8_6system6detail7generic6detail18binary_search_lessEbEEEE10hipError_tPvRmT1_T2_T3_mmT4_T5_P12ihipStream_tbEUlRKxE_EEST_SX_SY_mSZ_S12_bEUlT_E_NS1_11comp_targetILNS1_3genE4ELNS1_11target_archE910ELNS1_3gpuE8ELNS1_3repE0EEENS1_30default_config_static_selectorELNS0_4arch9wavefront6targetE1EEEvSW_.has_indirect_call, 0
	.section	.AMDGPU.csdata,"",@progbits
; Kernel info:
; codeLenInByte = 0
; TotalNumSgprs: 4
; NumVgprs: 0
; ScratchSize: 0
; MemoryBound: 0
; FloatMode: 240
; IeeeMode: 1
; LDSByteSize: 0 bytes/workgroup (compile time only)
; SGPRBlocks: 0
; VGPRBlocks: 0
; NumSGPRsForWavesPerEU: 4
; NumVGPRsForWavesPerEU: 1
; Occupancy: 10
; WaveLimiterHint : 0
; COMPUTE_PGM_RSRC2:SCRATCH_EN: 0
; COMPUTE_PGM_RSRC2:USER_SGPR: 6
; COMPUTE_PGM_RSRC2:TRAP_HANDLER: 0
; COMPUTE_PGM_RSRC2:TGID_X_EN: 1
; COMPUTE_PGM_RSRC2:TGID_Y_EN: 0
; COMPUTE_PGM_RSRC2:TGID_Z_EN: 0
; COMPUTE_PGM_RSRC2:TIDIG_COMP_CNT: 0
	.section	.text._ZN7rocprim17ROCPRIM_400000_NS6detail17trampoline_kernelINS0_14default_configENS1_27upper_bound_config_selectorIxlEEZNS1_14transform_implILb0ES3_S5_N6thrust23THRUST_200600_302600_NS6detail15normal_iteratorINS8_7pointerIxNS8_11hip_rocprim5par_tENS8_11use_defaultESE_EEEENSA_INSB_IlSD_SE_SE_EEEEZNS1_13binary_searchIS3_S5_PxSG_SI_NS1_21upper_bound_search_opENS9_16wrapped_functionINS8_6system6detail7generic6detail18binary_search_lessEbEEEE10hipError_tPvRmT1_T2_T3_mmT4_T5_P12ihipStream_tbEUlRKxE_EEST_SX_SY_mSZ_S12_bEUlT_E_NS1_11comp_targetILNS1_3genE3ELNS1_11target_archE908ELNS1_3gpuE7ELNS1_3repE0EEENS1_30default_config_static_selectorELNS0_4arch9wavefront6targetE1EEEvSW_,"axG",@progbits,_ZN7rocprim17ROCPRIM_400000_NS6detail17trampoline_kernelINS0_14default_configENS1_27upper_bound_config_selectorIxlEEZNS1_14transform_implILb0ES3_S5_N6thrust23THRUST_200600_302600_NS6detail15normal_iteratorINS8_7pointerIxNS8_11hip_rocprim5par_tENS8_11use_defaultESE_EEEENSA_INSB_IlSD_SE_SE_EEEEZNS1_13binary_searchIS3_S5_PxSG_SI_NS1_21upper_bound_search_opENS9_16wrapped_functionINS8_6system6detail7generic6detail18binary_search_lessEbEEEE10hipError_tPvRmT1_T2_T3_mmT4_T5_P12ihipStream_tbEUlRKxE_EEST_SX_SY_mSZ_S12_bEUlT_E_NS1_11comp_targetILNS1_3genE3ELNS1_11target_archE908ELNS1_3gpuE7ELNS1_3repE0EEENS1_30default_config_static_selectorELNS0_4arch9wavefront6targetE1EEEvSW_,comdat
	.protected	_ZN7rocprim17ROCPRIM_400000_NS6detail17trampoline_kernelINS0_14default_configENS1_27upper_bound_config_selectorIxlEEZNS1_14transform_implILb0ES3_S5_N6thrust23THRUST_200600_302600_NS6detail15normal_iteratorINS8_7pointerIxNS8_11hip_rocprim5par_tENS8_11use_defaultESE_EEEENSA_INSB_IlSD_SE_SE_EEEEZNS1_13binary_searchIS3_S5_PxSG_SI_NS1_21upper_bound_search_opENS9_16wrapped_functionINS8_6system6detail7generic6detail18binary_search_lessEbEEEE10hipError_tPvRmT1_T2_T3_mmT4_T5_P12ihipStream_tbEUlRKxE_EEST_SX_SY_mSZ_S12_bEUlT_E_NS1_11comp_targetILNS1_3genE3ELNS1_11target_archE908ELNS1_3gpuE7ELNS1_3repE0EEENS1_30default_config_static_selectorELNS0_4arch9wavefront6targetE1EEEvSW_ ; -- Begin function _ZN7rocprim17ROCPRIM_400000_NS6detail17trampoline_kernelINS0_14default_configENS1_27upper_bound_config_selectorIxlEEZNS1_14transform_implILb0ES3_S5_N6thrust23THRUST_200600_302600_NS6detail15normal_iteratorINS8_7pointerIxNS8_11hip_rocprim5par_tENS8_11use_defaultESE_EEEENSA_INSB_IlSD_SE_SE_EEEEZNS1_13binary_searchIS3_S5_PxSG_SI_NS1_21upper_bound_search_opENS9_16wrapped_functionINS8_6system6detail7generic6detail18binary_search_lessEbEEEE10hipError_tPvRmT1_T2_T3_mmT4_T5_P12ihipStream_tbEUlRKxE_EEST_SX_SY_mSZ_S12_bEUlT_E_NS1_11comp_targetILNS1_3genE3ELNS1_11target_archE908ELNS1_3gpuE7ELNS1_3repE0EEENS1_30default_config_static_selectorELNS0_4arch9wavefront6targetE1EEEvSW_
	.globl	_ZN7rocprim17ROCPRIM_400000_NS6detail17trampoline_kernelINS0_14default_configENS1_27upper_bound_config_selectorIxlEEZNS1_14transform_implILb0ES3_S5_N6thrust23THRUST_200600_302600_NS6detail15normal_iteratorINS8_7pointerIxNS8_11hip_rocprim5par_tENS8_11use_defaultESE_EEEENSA_INSB_IlSD_SE_SE_EEEEZNS1_13binary_searchIS3_S5_PxSG_SI_NS1_21upper_bound_search_opENS9_16wrapped_functionINS8_6system6detail7generic6detail18binary_search_lessEbEEEE10hipError_tPvRmT1_T2_T3_mmT4_T5_P12ihipStream_tbEUlRKxE_EEST_SX_SY_mSZ_S12_bEUlT_E_NS1_11comp_targetILNS1_3genE3ELNS1_11target_archE908ELNS1_3gpuE7ELNS1_3repE0EEENS1_30default_config_static_selectorELNS0_4arch9wavefront6targetE1EEEvSW_
	.p2align	8
	.type	_ZN7rocprim17ROCPRIM_400000_NS6detail17trampoline_kernelINS0_14default_configENS1_27upper_bound_config_selectorIxlEEZNS1_14transform_implILb0ES3_S5_N6thrust23THRUST_200600_302600_NS6detail15normal_iteratorINS8_7pointerIxNS8_11hip_rocprim5par_tENS8_11use_defaultESE_EEEENSA_INSB_IlSD_SE_SE_EEEEZNS1_13binary_searchIS3_S5_PxSG_SI_NS1_21upper_bound_search_opENS9_16wrapped_functionINS8_6system6detail7generic6detail18binary_search_lessEbEEEE10hipError_tPvRmT1_T2_T3_mmT4_T5_P12ihipStream_tbEUlRKxE_EEST_SX_SY_mSZ_S12_bEUlT_E_NS1_11comp_targetILNS1_3genE3ELNS1_11target_archE908ELNS1_3gpuE7ELNS1_3repE0EEENS1_30default_config_static_selectorELNS0_4arch9wavefront6targetE1EEEvSW_,@function
_ZN7rocprim17ROCPRIM_400000_NS6detail17trampoline_kernelINS0_14default_configENS1_27upper_bound_config_selectorIxlEEZNS1_14transform_implILb0ES3_S5_N6thrust23THRUST_200600_302600_NS6detail15normal_iteratorINS8_7pointerIxNS8_11hip_rocprim5par_tENS8_11use_defaultESE_EEEENSA_INSB_IlSD_SE_SE_EEEEZNS1_13binary_searchIS3_S5_PxSG_SI_NS1_21upper_bound_search_opENS9_16wrapped_functionINS8_6system6detail7generic6detail18binary_search_lessEbEEEE10hipError_tPvRmT1_T2_T3_mmT4_T5_P12ihipStream_tbEUlRKxE_EEST_SX_SY_mSZ_S12_bEUlT_E_NS1_11comp_targetILNS1_3genE3ELNS1_11target_archE908ELNS1_3gpuE7ELNS1_3repE0EEENS1_30default_config_static_selectorELNS0_4arch9wavefront6targetE1EEEvSW_: ; @_ZN7rocprim17ROCPRIM_400000_NS6detail17trampoline_kernelINS0_14default_configENS1_27upper_bound_config_selectorIxlEEZNS1_14transform_implILb0ES3_S5_N6thrust23THRUST_200600_302600_NS6detail15normal_iteratorINS8_7pointerIxNS8_11hip_rocprim5par_tENS8_11use_defaultESE_EEEENSA_INSB_IlSD_SE_SE_EEEEZNS1_13binary_searchIS3_S5_PxSG_SI_NS1_21upper_bound_search_opENS9_16wrapped_functionINS8_6system6detail7generic6detail18binary_search_lessEbEEEE10hipError_tPvRmT1_T2_T3_mmT4_T5_P12ihipStream_tbEUlRKxE_EEST_SX_SY_mSZ_S12_bEUlT_E_NS1_11comp_targetILNS1_3genE3ELNS1_11target_archE908ELNS1_3gpuE7ELNS1_3repE0EEENS1_30default_config_static_selectorELNS0_4arch9wavefront6targetE1EEEvSW_
; %bb.0:
	.section	.rodata,"a",@progbits
	.p2align	6, 0x0
	.amdhsa_kernel _ZN7rocprim17ROCPRIM_400000_NS6detail17trampoline_kernelINS0_14default_configENS1_27upper_bound_config_selectorIxlEEZNS1_14transform_implILb0ES3_S5_N6thrust23THRUST_200600_302600_NS6detail15normal_iteratorINS8_7pointerIxNS8_11hip_rocprim5par_tENS8_11use_defaultESE_EEEENSA_INSB_IlSD_SE_SE_EEEEZNS1_13binary_searchIS3_S5_PxSG_SI_NS1_21upper_bound_search_opENS9_16wrapped_functionINS8_6system6detail7generic6detail18binary_search_lessEbEEEE10hipError_tPvRmT1_T2_T3_mmT4_T5_P12ihipStream_tbEUlRKxE_EEST_SX_SY_mSZ_S12_bEUlT_E_NS1_11comp_targetILNS1_3genE3ELNS1_11target_archE908ELNS1_3gpuE7ELNS1_3repE0EEENS1_30default_config_static_selectorELNS0_4arch9wavefront6targetE1EEEvSW_
		.amdhsa_group_segment_fixed_size 0
		.amdhsa_private_segment_fixed_size 0
		.amdhsa_kernarg_size 56
		.amdhsa_user_sgpr_count 6
		.amdhsa_user_sgpr_private_segment_buffer 1
		.amdhsa_user_sgpr_dispatch_ptr 0
		.amdhsa_user_sgpr_queue_ptr 0
		.amdhsa_user_sgpr_kernarg_segment_ptr 1
		.amdhsa_user_sgpr_dispatch_id 0
		.amdhsa_user_sgpr_flat_scratch_init 0
		.amdhsa_user_sgpr_private_segment_size 0
		.amdhsa_uses_dynamic_stack 0
		.amdhsa_system_sgpr_private_segment_wavefront_offset 0
		.amdhsa_system_sgpr_workgroup_id_x 1
		.amdhsa_system_sgpr_workgroup_id_y 0
		.amdhsa_system_sgpr_workgroup_id_z 0
		.amdhsa_system_sgpr_workgroup_info 0
		.amdhsa_system_vgpr_workitem_id 0
		.amdhsa_next_free_vgpr 1
		.amdhsa_next_free_sgpr 0
		.amdhsa_reserve_vcc 0
		.amdhsa_reserve_flat_scratch 0
		.amdhsa_float_round_mode_32 0
		.amdhsa_float_round_mode_16_64 0
		.amdhsa_float_denorm_mode_32 3
		.amdhsa_float_denorm_mode_16_64 3
		.amdhsa_dx10_clamp 1
		.amdhsa_ieee_mode 1
		.amdhsa_fp16_overflow 0
		.amdhsa_exception_fp_ieee_invalid_op 0
		.amdhsa_exception_fp_denorm_src 0
		.amdhsa_exception_fp_ieee_div_zero 0
		.amdhsa_exception_fp_ieee_overflow 0
		.amdhsa_exception_fp_ieee_underflow 0
		.amdhsa_exception_fp_ieee_inexact 0
		.amdhsa_exception_int_div_zero 0
	.end_amdhsa_kernel
	.section	.text._ZN7rocprim17ROCPRIM_400000_NS6detail17trampoline_kernelINS0_14default_configENS1_27upper_bound_config_selectorIxlEEZNS1_14transform_implILb0ES3_S5_N6thrust23THRUST_200600_302600_NS6detail15normal_iteratorINS8_7pointerIxNS8_11hip_rocprim5par_tENS8_11use_defaultESE_EEEENSA_INSB_IlSD_SE_SE_EEEEZNS1_13binary_searchIS3_S5_PxSG_SI_NS1_21upper_bound_search_opENS9_16wrapped_functionINS8_6system6detail7generic6detail18binary_search_lessEbEEEE10hipError_tPvRmT1_T2_T3_mmT4_T5_P12ihipStream_tbEUlRKxE_EEST_SX_SY_mSZ_S12_bEUlT_E_NS1_11comp_targetILNS1_3genE3ELNS1_11target_archE908ELNS1_3gpuE7ELNS1_3repE0EEENS1_30default_config_static_selectorELNS0_4arch9wavefront6targetE1EEEvSW_,"axG",@progbits,_ZN7rocprim17ROCPRIM_400000_NS6detail17trampoline_kernelINS0_14default_configENS1_27upper_bound_config_selectorIxlEEZNS1_14transform_implILb0ES3_S5_N6thrust23THRUST_200600_302600_NS6detail15normal_iteratorINS8_7pointerIxNS8_11hip_rocprim5par_tENS8_11use_defaultESE_EEEENSA_INSB_IlSD_SE_SE_EEEEZNS1_13binary_searchIS3_S5_PxSG_SI_NS1_21upper_bound_search_opENS9_16wrapped_functionINS8_6system6detail7generic6detail18binary_search_lessEbEEEE10hipError_tPvRmT1_T2_T3_mmT4_T5_P12ihipStream_tbEUlRKxE_EEST_SX_SY_mSZ_S12_bEUlT_E_NS1_11comp_targetILNS1_3genE3ELNS1_11target_archE908ELNS1_3gpuE7ELNS1_3repE0EEENS1_30default_config_static_selectorELNS0_4arch9wavefront6targetE1EEEvSW_,comdat
.Lfunc_end215:
	.size	_ZN7rocprim17ROCPRIM_400000_NS6detail17trampoline_kernelINS0_14default_configENS1_27upper_bound_config_selectorIxlEEZNS1_14transform_implILb0ES3_S5_N6thrust23THRUST_200600_302600_NS6detail15normal_iteratorINS8_7pointerIxNS8_11hip_rocprim5par_tENS8_11use_defaultESE_EEEENSA_INSB_IlSD_SE_SE_EEEEZNS1_13binary_searchIS3_S5_PxSG_SI_NS1_21upper_bound_search_opENS9_16wrapped_functionINS8_6system6detail7generic6detail18binary_search_lessEbEEEE10hipError_tPvRmT1_T2_T3_mmT4_T5_P12ihipStream_tbEUlRKxE_EEST_SX_SY_mSZ_S12_bEUlT_E_NS1_11comp_targetILNS1_3genE3ELNS1_11target_archE908ELNS1_3gpuE7ELNS1_3repE0EEENS1_30default_config_static_selectorELNS0_4arch9wavefront6targetE1EEEvSW_, .Lfunc_end215-_ZN7rocprim17ROCPRIM_400000_NS6detail17trampoline_kernelINS0_14default_configENS1_27upper_bound_config_selectorIxlEEZNS1_14transform_implILb0ES3_S5_N6thrust23THRUST_200600_302600_NS6detail15normal_iteratorINS8_7pointerIxNS8_11hip_rocprim5par_tENS8_11use_defaultESE_EEEENSA_INSB_IlSD_SE_SE_EEEEZNS1_13binary_searchIS3_S5_PxSG_SI_NS1_21upper_bound_search_opENS9_16wrapped_functionINS8_6system6detail7generic6detail18binary_search_lessEbEEEE10hipError_tPvRmT1_T2_T3_mmT4_T5_P12ihipStream_tbEUlRKxE_EEST_SX_SY_mSZ_S12_bEUlT_E_NS1_11comp_targetILNS1_3genE3ELNS1_11target_archE908ELNS1_3gpuE7ELNS1_3repE0EEENS1_30default_config_static_selectorELNS0_4arch9wavefront6targetE1EEEvSW_
                                        ; -- End function
	.set _ZN7rocprim17ROCPRIM_400000_NS6detail17trampoline_kernelINS0_14default_configENS1_27upper_bound_config_selectorIxlEEZNS1_14transform_implILb0ES3_S5_N6thrust23THRUST_200600_302600_NS6detail15normal_iteratorINS8_7pointerIxNS8_11hip_rocprim5par_tENS8_11use_defaultESE_EEEENSA_INSB_IlSD_SE_SE_EEEEZNS1_13binary_searchIS3_S5_PxSG_SI_NS1_21upper_bound_search_opENS9_16wrapped_functionINS8_6system6detail7generic6detail18binary_search_lessEbEEEE10hipError_tPvRmT1_T2_T3_mmT4_T5_P12ihipStream_tbEUlRKxE_EEST_SX_SY_mSZ_S12_bEUlT_E_NS1_11comp_targetILNS1_3genE3ELNS1_11target_archE908ELNS1_3gpuE7ELNS1_3repE0EEENS1_30default_config_static_selectorELNS0_4arch9wavefront6targetE1EEEvSW_.num_vgpr, 0
	.set _ZN7rocprim17ROCPRIM_400000_NS6detail17trampoline_kernelINS0_14default_configENS1_27upper_bound_config_selectorIxlEEZNS1_14transform_implILb0ES3_S5_N6thrust23THRUST_200600_302600_NS6detail15normal_iteratorINS8_7pointerIxNS8_11hip_rocprim5par_tENS8_11use_defaultESE_EEEENSA_INSB_IlSD_SE_SE_EEEEZNS1_13binary_searchIS3_S5_PxSG_SI_NS1_21upper_bound_search_opENS9_16wrapped_functionINS8_6system6detail7generic6detail18binary_search_lessEbEEEE10hipError_tPvRmT1_T2_T3_mmT4_T5_P12ihipStream_tbEUlRKxE_EEST_SX_SY_mSZ_S12_bEUlT_E_NS1_11comp_targetILNS1_3genE3ELNS1_11target_archE908ELNS1_3gpuE7ELNS1_3repE0EEENS1_30default_config_static_selectorELNS0_4arch9wavefront6targetE1EEEvSW_.num_agpr, 0
	.set _ZN7rocprim17ROCPRIM_400000_NS6detail17trampoline_kernelINS0_14default_configENS1_27upper_bound_config_selectorIxlEEZNS1_14transform_implILb0ES3_S5_N6thrust23THRUST_200600_302600_NS6detail15normal_iteratorINS8_7pointerIxNS8_11hip_rocprim5par_tENS8_11use_defaultESE_EEEENSA_INSB_IlSD_SE_SE_EEEEZNS1_13binary_searchIS3_S5_PxSG_SI_NS1_21upper_bound_search_opENS9_16wrapped_functionINS8_6system6detail7generic6detail18binary_search_lessEbEEEE10hipError_tPvRmT1_T2_T3_mmT4_T5_P12ihipStream_tbEUlRKxE_EEST_SX_SY_mSZ_S12_bEUlT_E_NS1_11comp_targetILNS1_3genE3ELNS1_11target_archE908ELNS1_3gpuE7ELNS1_3repE0EEENS1_30default_config_static_selectorELNS0_4arch9wavefront6targetE1EEEvSW_.numbered_sgpr, 0
	.set _ZN7rocprim17ROCPRIM_400000_NS6detail17trampoline_kernelINS0_14default_configENS1_27upper_bound_config_selectorIxlEEZNS1_14transform_implILb0ES3_S5_N6thrust23THRUST_200600_302600_NS6detail15normal_iteratorINS8_7pointerIxNS8_11hip_rocprim5par_tENS8_11use_defaultESE_EEEENSA_INSB_IlSD_SE_SE_EEEEZNS1_13binary_searchIS3_S5_PxSG_SI_NS1_21upper_bound_search_opENS9_16wrapped_functionINS8_6system6detail7generic6detail18binary_search_lessEbEEEE10hipError_tPvRmT1_T2_T3_mmT4_T5_P12ihipStream_tbEUlRKxE_EEST_SX_SY_mSZ_S12_bEUlT_E_NS1_11comp_targetILNS1_3genE3ELNS1_11target_archE908ELNS1_3gpuE7ELNS1_3repE0EEENS1_30default_config_static_selectorELNS0_4arch9wavefront6targetE1EEEvSW_.num_named_barrier, 0
	.set _ZN7rocprim17ROCPRIM_400000_NS6detail17trampoline_kernelINS0_14default_configENS1_27upper_bound_config_selectorIxlEEZNS1_14transform_implILb0ES3_S5_N6thrust23THRUST_200600_302600_NS6detail15normal_iteratorINS8_7pointerIxNS8_11hip_rocprim5par_tENS8_11use_defaultESE_EEEENSA_INSB_IlSD_SE_SE_EEEEZNS1_13binary_searchIS3_S5_PxSG_SI_NS1_21upper_bound_search_opENS9_16wrapped_functionINS8_6system6detail7generic6detail18binary_search_lessEbEEEE10hipError_tPvRmT1_T2_T3_mmT4_T5_P12ihipStream_tbEUlRKxE_EEST_SX_SY_mSZ_S12_bEUlT_E_NS1_11comp_targetILNS1_3genE3ELNS1_11target_archE908ELNS1_3gpuE7ELNS1_3repE0EEENS1_30default_config_static_selectorELNS0_4arch9wavefront6targetE1EEEvSW_.private_seg_size, 0
	.set _ZN7rocprim17ROCPRIM_400000_NS6detail17trampoline_kernelINS0_14default_configENS1_27upper_bound_config_selectorIxlEEZNS1_14transform_implILb0ES3_S5_N6thrust23THRUST_200600_302600_NS6detail15normal_iteratorINS8_7pointerIxNS8_11hip_rocprim5par_tENS8_11use_defaultESE_EEEENSA_INSB_IlSD_SE_SE_EEEEZNS1_13binary_searchIS3_S5_PxSG_SI_NS1_21upper_bound_search_opENS9_16wrapped_functionINS8_6system6detail7generic6detail18binary_search_lessEbEEEE10hipError_tPvRmT1_T2_T3_mmT4_T5_P12ihipStream_tbEUlRKxE_EEST_SX_SY_mSZ_S12_bEUlT_E_NS1_11comp_targetILNS1_3genE3ELNS1_11target_archE908ELNS1_3gpuE7ELNS1_3repE0EEENS1_30default_config_static_selectorELNS0_4arch9wavefront6targetE1EEEvSW_.uses_vcc, 0
	.set _ZN7rocprim17ROCPRIM_400000_NS6detail17trampoline_kernelINS0_14default_configENS1_27upper_bound_config_selectorIxlEEZNS1_14transform_implILb0ES3_S5_N6thrust23THRUST_200600_302600_NS6detail15normal_iteratorINS8_7pointerIxNS8_11hip_rocprim5par_tENS8_11use_defaultESE_EEEENSA_INSB_IlSD_SE_SE_EEEEZNS1_13binary_searchIS3_S5_PxSG_SI_NS1_21upper_bound_search_opENS9_16wrapped_functionINS8_6system6detail7generic6detail18binary_search_lessEbEEEE10hipError_tPvRmT1_T2_T3_mmT4_T5_P12ihipStream_tbEUlRKxE_EEST_SX_SY_mSZ_S12_bEUlT_E_NS1_11comp_targetILNS1_3genE3ELNS1_11target_archE908ELNS1_3gpuE7ELNS1_3repE0EEENS1_30default_config_static_selectorELNS0_4arch9wavefront6targetE1EEEvSW_.uses_flat_scratch, 0
	.set _ZN7rocprim17ROCPRIM_400000_NS6detail17trampoline_kernelINS0_14default_configENS1_27upper_bound_config_selectorIxlEEZNS1_14transform_implILb0ES3_S5_N6thrust23THRUST_200600_302600_NS6detail15normal_iteratorINS8_7pointerIxNS8_11hip_rocprim5par_tENS8_11use_defaultESE_EEEENSA_INSB_IlSD_SE_SE_EEEEZNS1_13binary_searchIS3_S5_PxSG_SI_NS1_21upper_bound_search_opENS9_16wrapped_functionINS8_6system6detail7generic6detail18binary_search_lessEbEEEE10hipError_tPvRmT1_T2_T3_mmT4_T5_P12ihipStream_tbEUlRKxE_EEST_SX_SY_mSZ_S12_bEUlT_E_NS1_11comp_targetILNS1_3genE3ELNS1_11target_archE908ELNS1_3gpuE7ELNS1_3repE0EEENS1_30default_config_static_selectorELNS0_4arch9wavefront6targetE1EEEvSW_.has_dyn_sized_stack, 0
	.set _ZN7rocprim17ROCPRIM_400000_NS6detail17trampoline_kernelINS0_14default_configENS1_27upper_bound_config_selectorIxlEEZNS1_14transform_implILb0ES3_S5_N6thrust23THRUST_200600_302600_NS6detail15normal_iteratorINS8_7pointerIxNS8_11hip_rocprim5par_tENS8_11use_defaultESE_EEEENSA_INSB_IlSD_SE_SE_EEEEZNS1_13binary_searchIS3_S5_PxSG_SI_NS1_21upper_bound_search_opENS9_16wrapped_functionINS8_6system6detail7generic6detail18binary_search_lessEbEEEE10hipError_tPvRmT1_T2_T3_mmT4_T5_P12ihipStream_tbEUlRKxE_EEST_SX_SY_mSZ_S12_bEUlT_E_NS1_11comp_targetILNS1_3genE3ELNS1_11target_archE908ELNS1_3gpuE7ELNS1_3repE0EEENS1_30default_config_static_selectorELNS0_4arch9wavefront6targetE1EEEvSW_.has_recursion, 0
	.set _ZN7rocprim17ROCPRIM_400000_NS6detail17trampoline_kernelINS0_14default_configENS1_27upper_bound_config_selectorIxlEEZNS1_14transform_implILb0ES3_S5_N6thrust23THRUST_200600_302600_NS6detail15normal_iteratorINS8_7pointerIxNS8_11hip_rocprim5par_tENS8_11use_defaultESE_EEEENSA_INSB_IlSD_SE_SE_EEEEZNS1_13binary_searchIS3_S5_PxSG_SI_NS1_21upper_bound_search_opENS9_16wrapped_functionINS8_6system6detail7generic6detail18binary_search_lessEbEEEE10hipError_tPvRmT1_T2_T3_mmT4_T5_P12ihipStream_tbEUlRKxE_EEST_SX_SY_mSZ_S12_bEUlT_E_NS1_11comp_targetILNS1_3genE3ELNS1_11target_archE908ELNS1_3gpuE7ELNS1_3repE0EEENS1_30default_config_static_selectorELNS0_4arch9wavefront6targetE1EEEvSW_.has_indirect_call, 0
	.section	.AMDGPU.csdata,"",@progbits
; Kernel info:
; codeLenInByte = 0
; TotalNumSgprs: 4
; NumVgprs: 0
; ScratchSize: 0
; MemoryBound: 0
; FloatMode: 240
; IeeeMode: 1
; LDSByteSize: 0 bytes/workgroup (compile time only)
; SGPRBlocks: 0
; VGPRBlocks: 0
; NumSGPRsForWavesPerEU: 4
; NumVGPRsForWavesPerEU: 1
; Occupancy: 10
; WaveLimiterHint : 0
; COMPUTE_PGM_RSRC2:SCRATCH_EN: 0
; COMPUTE_PGM_RSRC2:USER_SGPR: 6
; COMPUTE_PGM_RSRC2:TRAP_HANDLER: 0
; COMPUTE_PGM_RSRC2:TGID_X_EN: 1
; COMPUTE_PGM_RSRC2:TGID_Y_EN: 0
; COMPUTE_PGM_RSRC2:TGID_Z_EN: 0
; COMPUTE_PGM_RSRC2:TIDIG_COMP_CNT: 0
	.section	.text._ZN7rocprim17ROCPRIM_400000_NS6detail17trampoline_kernelINS0_14default_configENS1_27upper_bound_config_selectorIxlEEZNS1_14transform_implILb0ES3_S5_N6thrust23THRUST_200600_302600_NS6detail15normal_iteratorINS8_7pointerIxNS8_11hip_rocprim5par_tENS8_11use_defaultESE_EEEENSA_INSB_IlSD_SE_SE_EEEEZNS1_13binary_searchIS3_S5_PxSG_SI_NS1_21upper_bound_search_opENS9_16wrapped_functionINS8_6system6detail7generic6detail18binary_search_lessEbEEEE10hipError_tPvRmT1_T2_T3_mmT4_T5_P12ihipStream_tbEUlRKxE_EEST_SX_SY_mSZ_S12_bEUlT_E_NS1_11comp_targetILNS1_3genE2ELNS1_11target_archE906ELNS1_3gpuE6ELNS1_3repE0EEENS1_30default_config_static_selectorELNS0_4arch9wavefront6targetE1EEEvSW_,"axG",@progbits,_ZN7rocprim17ROCPRIM_400000_NS6detail17trampoline_kernelINS0_14default_configENS1_27upper_bound_config_selectorIxlEEZNS1_14transform_implILb0ES3_S5_N6thrust23THRUST_200600_302600_NS6detail15normal_iteratorINS8_7pointerIxNS8_11hip_rocprim5par_tENS8_11use_defaultESE_EEEENSA_INSB_IlSD_SE_SE_EEEEZNS1_13binary_searchIS3_S5_PxSG_SI_NS1_21upper_bound_search_opENS9_16wrapped_functionINS8_6system6detail7generic6detail18binary_search_lessEbEEEE10hipError_tPvRmT1_T2_T3_mmT4_T5_P12ihipStream_tbEUlRKxE_EEST_SX_SY_mSZ_S12_bEUlT_E_NS1_11comp_targetILNS1_3genE2ELNS1_11target_archE906ELNS1_3gpuE6ELNS1_3repE0EEENS1_30default_config_static_selectorELNS0_4arch9wavefront6targetE1EEEvSW_,comdat
	.protected	_ZN7rocprim17ROCPRIM_400000_NS6detail17trampoline_kernelINS0_14default_configENS1_27upper_bound_config_selectorIxlEEZNS1_14transform_implILb0ES3_S5_N6thrust23THRUST_200600_302600_NS6detail15normal_iteratorINS8_7pointerIxNS8_11hip_rocprim5par_tENS8_11use_defaultESE_EEEENSA_INSB_IlSD_SE_SE_EEEEZNS1_13binary_searchIS3_S5_PxSG_SI_NS1_21upper_bound_search_opENS9_16wrapped_functionINS8_6system6detail7generic6detail18binary_search_lessEbEEEE10hipError_tPvRmT1_T2_T3_mmT4_T5_P12ihipStream_tbEUlRKxE_EEST_SX_SY_mSZ_S12_bEUlT_E_NS1_11comp_targetILNS1_3genE2ELNS1_11target_archE906ELNS1_3gpuE6ELNS1_3repE0EEENS1_30default_config_static_selectorELNS0_4arch9wavefront6targetE1EEEvSW_ ; -- Begin function _ZN7rocprim17ROCPRIM_400000_NS6detail17trampoline_kernelINS0_14default_configENS1_27upper_bound_config_selectorIxlEEZNS1_14transform_implILb0ES3_S5_N6thrust23THRUST_200600_302600_NS6detail15normal_iteratorINS8_7pointerIxNS8_11hip_rocprim5par_tENS8_11use_defaultESE_EEEENSA_INSB_IlSD_SE_SE_EEEEZNS1_13binary_searchIS3_S5_PxSG_SI_NS1_21upper_bound_search_opENS9_16wrapped_functionINS8_6system6detail7generic6detail18binary_search_lessEbEEEE10hipError_tPvRmT1_T2_T3_mmT4_T5_P12ihipStream_tbEUlRKxE_EEST_SX_SY_mSZ_S12_bEUlT_E_NS1_11comp_targetILNS1_3genE2ELNS1_11target_archE906ELNS1_3gpuE6ELNS1_3repE0EEENS1_30default_config_static_selectorELNS0_4arch9wavefront6targetE1EEEvSW_
	.globl	_ZN7rocprim17ROCPRIM_400000_NS6detail17trampoline_kernelINS0_14default_configENS1_27upper_bound_config_selectorIxlEEZNS1_14transform_implILb0ES3_S5_N6thrust23THRUST_200600_302600_NS6detail15normal_iteratorINS8_7pointerIxNS8_11hip_rocprim5par_tENS8_11use_defaultESE_EEEENSA_INSB_IlSD_SE_SE_EEEEZNS1_13binary_searchIS3_S5_PxSG_SI_NS1_21upper_bound_search_opENS9_16wrapped_functionINS8_6system6detail7generic6detail18binary_search_lessEbEEEE10hipError_tPvRmT1_T2_T3_mmT4_T5_P12ihipStream_tbEUlRKxE_EEST_SX_SY_mSZ_S12_bEUlT_E_NS1_11comp_targetILNS1_3genE2ELNS1_11target_archE906ELNS1_3gpuE6ELNS1_3repE0EEENS1_30default_config_static_selectorELNS0_4arch9wavefront6targetE1EEEvSW_
	.p2align	8
	.type	_ZN7rocprim17ROCPRIM_400000_NS6detail17trampoline_kernelINS0_14default_configENS1_27upper_bound_config_selectorIxlEEZNS1_14transform_implILb0ES3_S5_N6thrust23THRUST_200600_302600_NS6detail15normal_iteratorINS8_7pointerIxNS8_11hip_rocprim5par_tENS8_11use_defaultESE_EEEENSA_INSB_IlSD_SE_SE_EEEEZNS1_13binary_searchIS3_S5_PxSG_SI_NS1_21upper_bound_search_opENS9_16wrapped_functionINS8_6system6detail7generic6detail18binary_search_lessEbEEEE10hipError_tPvRmT1_T2_T3_mmT4_T5_P12ihipStream_tbEUlRKxE_EEST_SX_SY_mSZ_S12_bEUlT_E_NS1_11comp_targetILNS1_3genE2ELNS1_11target_archE906ELNS1_3gpuE6ELNS1_3repE0EEENS1_30default_config_static_selectorELNS0_4arch9wavefront6targetE1EEEvSW_,@function
_ZN7rocprim17ROCPRIM_400000_NS6detail17trampoline_kernelINS0_14default_configENS1_27upper_bound_config_selectorIxlEEZNS1_14transform_implILb0ES3_S5_N6thrust23THRUST_200600_302600_NS6detail15normal_iteratorINS8_7pointerIxNS8_11hip_rocprim5par_tENS8_11use_defaultESE_EEEENSA_INSB_IlSD_SE_SE_EEEEZNS1_13binary_searchIS3_S5_PxSG_SI_NS1_21upper_bound_search_opENS9_16wrapped_functionINS8_6system6detail7generic6detail18binary_search_lessEbEEEE10hipError_tPvRmT1_T2_T3_mmT4_T5_P12ihipStream_tbEUlRKxE_EEST_SX_SY_mSZ_S12_bEUlT_E_NS1_11comp_targetILNS1_3genE2ELNS1_11target_archE906ELNS1_3gpuE6ELNS1_3repE0EEENS1_30default_config_static_selectorELNS0_4arch9wavefront6targetE1EEEvSW_: ; @_ZN7rocprim17ROCPRIM_400000_NS6detail17trampoline_kernelINS0_14default_configENS1_27upper_bound_config_selectorIxlEEZNS1_14transform_implILb0ES3_S5_N6thrust23THRUST_200600_302600_NS6detail15normal_iteratorINS8_7pointerIxNS8_11hip_rocprim5par_tENS8_11use_defaultESE_EEEENSA_INSB_IlSD_SE_SE_EEEEZNS1_13binary_searchIS3_S5_PxSG_SI_NS1_21upper_bound_search_opENS9_16wrapped_functionINS8_6system6detail7generic6detail18binary_search_lessEbEEEE10hipError_tPvRmT1_T2_T3_mmT4_T5_P12ihipStream_tbEUlRKxE_EEST_SX_SY_mSZ_S12_bEUlT_E_NS1_11comp_targetILNS1_3genE2ELNS1_11target_archE906ELNS1_3gpuE6ELNS1_3repE0EEENS1_30default_config_static_selectorELNS0_4arch9wavefront6targetE1EEEvSW_
; %bb.0:
	s_load_dwordx4 s[0:3], s[4:5], 0x0
	s_load_dwordx4 s[8:11], s[4:5], 0x18
	s_load_dwordx2 s[12:13], s[4:5], 0x28
	s_load_dword s16, s[4:5], 0x38
	s_waitcnt lgkmcnt(0)
	s_lshl_b64 s[14:15], s[2:3], 3
	s_add_u32 s2, s0, s14
	s_addc_u32 s3, s1, s15
	s_add_u32 s7, s8, s14
	s_addc_u32 s14, s9, s15
	s_lshl_b32 s8, s6, 8
	s_add_i32 s16, s16, -1
	s_mov_b32 s9, 0
	s_cmp_lg_u32 s6, s16
	s_mov_b64 s[0:1], -1
	s_cbranch_scc0 .LBB216_7
; %bb.1:
	s_cmp_eq_u64 s[12:13], 0
	s_mov_b64 s[0:1], 0
	s_cbranch_scc1 .LBB216_5
; %bb.2:
	s_lshl_b64 s[16:17], s[8:9], 3
	s_add_u32 s6, s2, s16
	s_addc_u32 s15, s3, s17
	v_lshlrev_b32_e32 v1, 3, v0
	v_mov_b32_e32 v2, s15
	v_add_co_u32_e32 v1, vcc, s6, v1
	v_addc_co_u32_e32 v2, vcc, 0, v2, vcc
	flat_load_dwordx2 v[3:4], v[1:2]
	v_mov_b32_e32 v1, 0
	v_mov_b32_e32 v5, s12
	v_mov_b32_e32 v2, 0
	v_mov_b32_e32 v6, s13
	v_mov_b32_e32 v7, s11
.LBB216_3:                              ; =>This Inner Loop Header: Depth=1
	v_sub_co_u32_e32 v8, vcc, v5, v1
	v_subb_co_u32_e32 v9, vcc, v6, v2, vcc
	v_lshrrev_b64 v[10:11], 1, v[8:9]
	v_lshrrev_b64 v[8:9], 6, v[8:9]
	v_add_co_u32_e32 v10, vcc, v10, v1
	v_addc_co_u32_e32 v11, vcc, v11, v2, vcc
	v_add_co_u32_e32 v8, vcc, v10, v8
	v_addc_co_u32_e32 v9, vcc, v11, v9, vcc
	v_lshlrev_b64 v[10:11], 3, v[8:9]
	v_add_co_u32_e32 v10, vcc, s10, v10
	v_addc_co_u32_e32 v11, vcc, v7, v11, vcc
	global_load_dwordx2 v[10:11], v[10:11], off
	v_add_co_u32_e32 v12, vcc, 1, v8
	v_addc_co_u32_e32 v13, vcc, 0, v9, vcc
	s_waitcnt vmcnt(0) lgkmcnt(0)
	v_cmp_lt_i64_e32 vcc, v[3:4], v[10:11]
	v_cndmask_b32_e32 v6, v6, v9, vcc
	v_cndmask_b32_e32 v5, v5, v8, vcc
	;; [unrolled: 1-line block ×4, first 2 shown]
	v_cmp_ge_u64_e32 vcc, v[1:2], v[5:6]
	s_or_b64 s[0:1], vcc, s[0:1]
	s_andn2_b64 exec, exec, s[0:1]
	s_cbranch_execnz .LBB216_3
; %bb.4:
	s_or_b64 exec, exec, s[0:1]
	s_branch .LBB216_6
.LBB216_5:
	v_mov_b32_e32 v1, 0
	v_mov_b32_e32 v2, 0
.LBB216_6:
	s_lshl_b64 s[0:1], s[8:9], 3
	s_add_u32 s0, s7, s0
	s_addc_u32 s1, s14, s1
	v_lshlrev_b32_e32 v3, 3, v0
	v_mov_b32_e32 v4, s1
	v_add_co_u32_e32 v3, vcc, s0, v3
	v_addc_co_u32_e32 v4, vcc, 0, v4, vcc
	s_mov_b64 s[0:1], 0
	flat_store_dwordx2 v[3:4], v[1:2]
.LBB216_7:
	s_and_b64 vcc, exec, s[0:1]
	s_cbranch_vccz .LBB216_16
; %bb.8:
	s_load_dword s0, s[4:5], 0x10
                                        ; implicit-def: $vgpr3_vgpr4
	s_waitcnt lgkmcnt(0)
	s_sub_i32 s4, s0, s8
	v_cmp_le_u32_e64 s[0:1], s4, v0
	v_cmp_gt_u32_e32 vcc, s4, v0
	s_and_saveexec_b64 s[4:5], vcc
	s_cbranch_execz .LBB216_10
; %bb.9:
	s_lshl_b64 s[16:17], s[8:9], 3
	s_add_u32 s2, s2, s16
	s_addc_u32 s3, s3, s17
	v_lshlrev_b32_e32 v1, 3, v0
	v_mov_b32_e32 v2, s3
	v_add_co_u32_e64 v1, s[2:3], s2, v1
	v_addc_co_u32_e64 v2, s[2:3], 0, v2, s[2:3]
	flat_load_dwordx2 v[3:4], v[1:2]
.LBB216_10:
	s_or_b64 exec, exec, s[4:5]
	s_cmp_lg_u64 s[12:13], 0
	s_cselect_b64 s[4:5], -1, 0
	s_xor_b64 s[0:1], s[0:1], -1
	v_mov_b32_e32 v1, 0
	s_mov_b64 s[2:3], 0
	v_mov_b32_e32 v2, 0
	s_and_b64 s[0:1], s[0:1], s[4:5]
	s_and_saveexec_b64 s[4:5], s[0:1]
	s_cbranch_execz .LBB216_14
; %bb.11:
	v_mov_b32_e32 v1, 0
	v_mov_b32_e32 v5, s12
	v_mov_b32_e32 v2, 0
	v_mov_b32_e32 v6, s13
	v_mov_b32_e32 v7, s11
.LBB216_12:                             ; =>This Inner Loop Header: Depth=1
	v_sub_co_u32_e64 v8, s[0:1], v5, v1
	v_subb_co_u32_e64 v9, s[0:1], v6, v2, s[0:1]
	v_lshrrev_b64 v[10:11], 1, v[8:9]
	v_lshrrev_b64 v[8:9], 6, v[8:9]
	v_add_co_u32_e64 v10, s[0:1], v10, v1
	v_addc_co_u32_e64 v11, s[0:1], v11, v2, s[0:1]
	v_add_co_u32_e64 v8, s[0:1], v10, v8
	v_addc_co_u32_e64 v9, s[0:1], v11, v9, s[0:1]
	v_lshlrev_b64 v[10:11], 3, v[8:9]
	v_add_co_u32_e64 v10, s[0:1], s10, v10
	v_addc_co_u32_e64 v11, s[0:1], v7, v11, s[0:1]
	global_load_dwordx2 v[10:11], v[10:11], off
	v_add_co_u32_e64 v12, s[0:1], 1, v8
	v_addc_co_u32_e64 v13, s[0:1], 0, v9, s[0:1]
	s_waitcnt vmcnt(0) lgkmcnt(0)
	v_cmp_lt_i64_e64 s[0:1], v[3:4], v[10:11]
	v_cndmask_b32_e64 v6, v6, v9, s[0:1]
	v_cndmask_b32_e64 v5, v5, v8, s[0:1]
	;; [unrolled: 1-line block ×4, first 2 shown]
	v_cmp_ge_u64_e64 s[0:1], v[1:2], v[5:6]
	s_or_b64 s[2:3], s[0:1], s[2:3]
	s_andn2_b64 exec, exec, s[2:3]
	s_cbranch_execnz .LBB216_12
; %bb.13:
	s_or_b64 exec, exec, s[2:3]
.LBB216_14:
	s_or_b64 exec, exec, s[4:5]
	s_and_saveexec_b64 s[0:1], vcc
	s_cbranch_execz .LBB216_16
; %bb.15:
	s_lshl_b64 s[0:1], s[8:9], 3
	s_add_u32 s0, s7, s0
	s_addc_u32 s1, s14, s1
	v_lshlrev_b32_e32 v0, 3, v0
	s_waitcnt vmcnt(0) lgkmcnt(0)
	v_mov_b32_e32 v4, s1
	v_add_co_u32_e32 v3, vcc, s0, v0
	v_addc_co_u32_e32 v4, vcc, 0, v4, vcc
	flat_store_dwordx2 v[3:4], v[1:2]
.LBB216_16:
	s_endpgm
	.section	.rodata,"a",@progbits
	.p2align	6, 0x0
	.amdhsa_kernel _ZN7rocprim17ROCPRIM_400000_NS6detail17trampoline_kernelINS0_14default_configENS1_27upper_bound_config_selectorIxlEEZNS1_14transform_implILb0ES3_S5_N6thrust23THRUST_200600_302600_NS6detail15normal_iteratorINS8_7pointerIxNS8_11hip_rocprim5par_tENS8_11use_defaultESE_EEEENSA_INSB_IlSD_SE_SE_EEEEZNS1_13binary_searchIS3_S5_PxSG_SI_NS1_21upper_bound_search_opENS9_16wrapped_functionINS8_6system6detail7generic6detail18binary_search_lessEbEEEE10hipError_tPvRmT1_T2_T3_mmT4_T5_P12ihipStream_tbEUlRKxE_EEST_SX_SY_mSZ_S12_bEUlT_E_NS1_11comp_targetILNS1_3genE2ELNS1_11target_archE906ELNS1_3gpuE6ELNS1_3repE0EEENS1_30default_config_static_selectorELNS0_4arch9wavefront6targetE1EEEvSW_
		.amdhsa_group_segment_fixed_size 0
		.amdhsa_private_segment_fixed_size 0
		.amdhsa_kernarg_size 312
		.amdhsa_user_sgpr_count 6
		.amdhsa_user_sgpr_private_segment_buffer 1
		.amdhsa_user_sgpr_dispatch_ptr 0
		.amdhsa_user_sgpr_queue_ptr 0
		.amdhsa_user_sgpr_kernarg_segment_ptr 1
		.amdhsa_user_sgpr_dispatch_id 0
		.amdhsa_user_sgpr_flat_scratch_init 0
		.amdhsa_user_sgpr_private_segment_size 0
		.amdhsa_uses_dynamic_stack 0
		.amdhsa_system_sgpr_private_segment_wavefront_offset 0
		.amdhsa_system_sgpr_workgroup_id_x 1
		.amdhsa_system_sgpr_workgroup_id_y 0
		.amdhsa_system_sgpr_workgroup_id_z 0
		.amdhsa_system_sgpr_workgroup_info 0
		.amdhsa_system_vgpr_workitem_id 0
		.amdhsa_next_free_vgpr 14
		.amdhsa_next_free_sgpr 18
		.amdhsa_reserve_vcc 1
		.amdhsa_reserve_flat_scratch 0
		.amdhsa_float_round_mode_32 0
		.amdhsa_float_round_mode_16_64 0
		.amdhsa_float_denorm_mode_32 3
		.amdhsa_float_denorm_mode_16_64 3
		.amdhsa_dx10_clamp 1
		.amdhsa_ieee_mode 1
		.amdhsa_fp16_overflow 0
		.amdhsa_exception_fp_ieee_invalid_op 0
		.amdhsa_exception_fp_denorm_src 0
		.amdhsa_exception_fp_ieee_div_zero 0
		.amdhsa_exception_fp_ieee_overflow 0
		.amdhsa_exception_fp_ieee_underflow 0
		.amdhsa_exception_fp_ieee_inexact 0
		.amdhsa_exception_int_div_zero 0
	.end_amdhsa_kernel
	.section	.text._ZN7rocprim17ROCPRIM_400000_NS6detail17trampoline_kernelINS0_14default_configENS1_27upper_bound_config_selectorIxlEEZNS1_14transform_implILb0ES3_S5_N6thrust23THRUST_200600_302600_NS6detail15normal_iteratorINS8_7pointerIxNS8_11hip_rocprim5par_tENS8_11use_defaultESE_EEEENSA_INSB_IlSD_SE_SE_EEEEZNS1_13binary_searchIS3_S5_PxSG_SI_NS1_21upper_bound_search_opENS9_16wrapped_functionINS8_6system6detail7generic6detail18binary_search_lessEbEEEE10hipError_tPvRmT1_T2_T3_mmT4_T5_P12ihipStream_tbEUlRKxE_EEST_SX_SY_mSZ_S12_bEUlT_E_NS1_11comp_targetILNS1_3genE2ELNS1_11target_archE906ELNS1_3gpuE6ELNS1_3repE0EEENS1_30default_config_static_selectorELNS0_4arch9wavefront6targetE1EEEvSW_,"axG",@progbits,_ZN7rocprim17ROCPRIM_400000_NS6detail17trampoline_kernelINS0_14default_configENS1_27upper_bound_config_selectorIxlEEZNS1_14transform_implILb0ES3_S5_N6thrust23THRUST_200600_302600_NS6detail15normal_iteratorINS8_7pointerIxNS8_11hip_rocprim5par_tENS8_11use_defaultESE_EEEENSA_INSB_IlSD_SE_SE_EEEEZNS1_13binary_searchIS3_S5_PxSG_SI_NS1_21upper_bound_search_opENS9_16wrapped_functionINS8_6system6detail7generic6detail18binary_search_lessEbEEEE10hipError_tPvRmT1_T2_T3_mmT4_T5_P12ihipStream_tbEUlRKxE_EEST_SX_SY_mSZ_S12_bEUlT_E_NS1_11comp_targetILNS1_3genE2ELNS1_11target_archE906ELNS1_3gpuE6ELNS1_3repE0EEENS1_30default_config_static_selectorELNS0_4arch9wavefront6targetE1EEEvSW_,comdat
.Lfunc_end216:
	.size	_ZN7rocprim17ROCPRIM_400000_NS6detail17trampoline_kernelINS0_14default_configENS1_27upper_bound_config_selectorIxlEEZNS1_14transform_implILb0ES3_S5_N6thrust23THRUST_200600_302600_NS6detail15normal_iteratorINS8_7pointerIxNS8_11hip_rocprim5par_tENS8_11use_defaultESE_EEEENSA_INSB_IlSD_SE_SE_EEEEZNS1_13binary_searchIS3_S5_PxSG_SI_NS1_21upper_bound_search_opENS9_16wrapped_functionINS8_6system6detail7generic6detail18binary_search_lessEbEEEE10hipError_tPvRmT1_T2_T3_mmT4_T5_P12ihipStream_tbEUlRKxE_EEST_SX_SY_mSZ_S12_bEUlT_E_NS1_11comp_targetILNS1_3genE2ELNS1_11target_archE906ELNS1_3gpuE6ELNS1_3repE0EEENS1_30default_config_static_selectorELNS0_4arch9wavefront6targetE1EEEvSW_, .Lfunc_end216-_ZN7rocprim17ROCPRIM_400000_NS6detail17trampoline_kernelINS0_14default_configENS1_27upper_bound_config_selectorIxlEEZNS1_14transform_implILb0ES3_S5_N6thrust23THRUST_200600_302600_NS6detail15normal_iteratorINS8_7pointerIxNS8_11hip_rocprim5par_tENS8_11use_defaultESE_EEEENSA_INSB_IlSD_SE_SE_EEEEZNS1_13binary_searchIS3_S5_PxSG_SI_NS1_21upper_bound_search_opENS9_16wrapped_functionINS8_6system6detail7generic6detail18binary_search_lessEbEEEE10hipError_tPvRmT1_T2_T3_mmT4_T5_P12ihipStream_tbEUlRKxE_EEST_SX_SY_mSZ_S12_bEUlT_E_NS1_11comp_targetILNS1_3genE2ELNS1_11target_archE906ELNS1_3gpuE6ELNS1_3repE0EEENS1_30default_config_static_selectorELNS0_4arch9wavefront6targetE1EEEvSW_
                                        ; -- End function
	.set _ZN7rocprim17ROCPRIM_400000_NS6detail17trampoline_kernelINS0_14default_configENS1_27upper_bound_config_selectorIxlEEZNS1_14transform_implILb0ES3_S5_N6thrust23THRUST_200600_302600_NS6detail15normal_iteratorINS8_7pointerIxNS8_11hip_rocprim5par_tENS8_11use_defaultESE_EEEENSA_INSB_IlSD_SE_SE_EEEEZNS1_13binary_searchIS3_S5_PxSG_SI_NS1_21upper_bound_search_opENS9_16wrapped_functionINS8_6system6detail7generic6detail18binary_search_lessEbEEEE10hipError_tPvRmT1_T2_T3_mmT4_T5_P12ihipStream_tbEUlRKxE_EEST_SX_SY_mSZ_S12_bEUlT_E_NS1_11comp_targetILNS1_3genE2ELNS1_11target_archE906ELNS1_3gpuE6ELNS1_3repE0EEENS1_30default_config_static_selectorELNS0_4arch9wavefront6targetE1EEEvSW_.num_vgpr, 14
	.set _ZN7rocprim17ROCPRIM_400000_NS6detail17trampoline_kernelINS0_14default_configENS1_27upper_bound_config_selectorIxlEEZNS1_14transform_implILb0ES3_S5_N6thrust23THRUST_200600_302600_NS6detail15normal_iteratorINS8_7pointerIxNS8_11hip_rocprim5par_tENS8_11use_defaultESE_EEEENSA_INSB_IlSD_SE_SE_EEEEZNS1_13binary_searchIS3_S5_PxSG_SI_NS1_21upper_bound_search_opENS9_16wrapped_functionINS8_6system6detail7generic6detail18binary_search_lessEbEEEE10hipError_tPvRmT1_T2_T3_mmT4_T5_P12ihipStream_tbEUlRKxE_EEST_SX_SY_mSZ_S12_bEUlT_E_NS1_11comp_targetILNS1_3genE2ELNS1_11target_archE906ELNS1_3gpuE6ELNS1_3repE0EEENS1_30default_config_static_selectorELNS0_4arch9wavefront6targetE1EEEvSW_.num_agpr, 0
	.set _ZN7rocprim17ROCPRIM_400000_NS6detail17trampoline_kernelINS0_14default_configENS1_27upper_bound_config_selectorIxlEEZNS1_14transform_implILb0ES3_S5_N6thrust23THRUST_200600_302600_NS6detail15normal_iteratorINS8_7pointerIxNS8_11hip_rocprim5par_tENS8_11use_defaultESE_EEEENSA_INSB_IlSD_SE_SE_EEEEZNS1_13binary_searchIS3_S5_PxSG_SI_NS1_21upper_bound_search_opENS9_16wrapped_functionINS8_6system6detail7generic6detail18binary_search_lessEbEEEE10hipError_tPvRmT1_T2_T3_mmT4_T5_P12ihipStream_tbEUlRKxE_EEST_SX_SY_mSZ_S12_bEUlT_E_NS1_11comp_targetILNS1_3genE2ELNS1_11target_archE906ELNS1_3gpuE6ELNS1_3repE0EEENS1_30default_config_static_selectorELNS0_4arch9wavefront6targetE1EEEvSW_.numbered_sgpr, 18
	.set _ZN7rocprim17ROCPRIM_400000_NS6detail17trampoline_kernelINS0_14default_configENS1_27upper_bound_config_selectorIxlEEZNS1_14transform_implILb0ES3_S5_N6thrust23THRUST_200600_302600_NS6detail15normal_iteratorINS8_7pointerIxNS8_11hip_rocprim5par_tENS8_11use_defaultESE_EEEENSA_INSB_IlSD_SE_SE_EEEEZNS1_13binary_searchIS3_S5_PxSG_SI_NS1_21upper_bound_search_opENS9_16wrapped_functionINS8_6system6detail7generic6detail18binary_search_lessEbEEEE10hipError_tPvRmT1_T2_T3_mmT4_T5_P12ihipStream_tbEUlRKxE_EEST_SX_SY_mSZ_S12_bEUlT_E_NS1_11comp_targetILNS1_3genE2ELNS1_11target_archE906ELNS1_3gpuE6ELNS1_3repE0EEENS1_30default_config_static_selectorELNS0_4arch9wavefront6targetE1EEEvSW_.num_named_barrier, 0
	.set _ZN7rocprim17ROCPRIM_400000_NS6detail17trampoline_kernelINS0_14default_configENS1_27upper_bound_config_selectorIxlEEZNS1_14transform_implILb0ES3_S5_N6thrust23THRUST_200600_302600_NS6detail15normal_iteratorINS8_7pointerIxNS8_11hip_rocprim5par_tENS8_11use_defaultESE_EEEENSA_INSB_IlSD_SE_SE_EEEEZNS1_13binary_searchIS3_S5_PxSG_SI_NS1_21upper_bound_search_opENS9_16wrapped_functionINS8_6system6detail7generic6detail18binary_search_lessEbEEEE10hipError_tPvRmT1_T2_T3_mmT4_T5_P12ihipStream_tbEUlRKxE_EEST_SX_SY_mSZ_S12_bEUlT_E_NS1_11comp_targetILNS1_3genE2ELNS1_11target_archE906ELNS1_3gpuE6ELNS1_3repE0EEENS1_30default_config_static_selectorELNS0_4arch9wavefront6targetE1EEEvSW_.private_seg_size, 0
	.set _ZN7rocprim17ROCPRIM_400000_NS6detail17trampoline_kernelINS0_14default_configENS1_27upper_bound_config_selectorIxlEEZNS1_14transform_implILb0ES3_S5_N6thrust23THRUST_200600_302600_NS6detail15normal_iteratorINS8_7pointerIxNS8_11hip_rocprim5par_tENS8_11use_defaultESE_EEEENSA_INSB_IlSD_SE_SE_EEEEZNS1_13binary_searchIS3_S5_PxSG_SI_NS1_21upper_bound_search_opENS9_16wrapped_functionINS8_6system6detail7generic6detail18binary_search_lessEbEEEE10hipError_tPvRmT1_T2_T3_mmT4_T5_P12ihipStream_tbEUlRKxE_EEST_SX_SY_mSZ_S12_bEUlT_E_NS1_11comp_targetILNS1_3genE2ELNS1_11target_archE906ELNS1_3gpuE6ELNS1_3repE0EEENS1_30default_config_static_selectorELNS0_4arch9wavefront6targetE1EEEvSW_.uses_vcc, 1
	.set _ZN7rocprim17ROCPRIM_400000_NS6detail17trampoline_kernelINS0_14default_configENS1_27upper_bound_config_selectorIxlEEZNS1_14transform_implILb0ES3_S5_N6thrust23THRUST_200600_302600_NS6detail15normal_iteratorINS8_7pointerIxNS8_11hip_rocprim5par_tENS8_11use_defaultESE_EEEENSA_INSB_IlSD_SE_SE_EEEEZNS1_13binary_searchIS3_S5_PxSG_SI_NS1_21upper_bound_search_opENS9_16wrapped_functionINS8_6system6detail7generic6detail18binary_search_lessEbEEEE10hipError_tPvRmT1_T2_T3_mmT4_T5_P12ihipStream_tbEUlRKxE_EEST_SX_SY_mSZ_S12_bEUlT_E_NS1_11comp_targetILNS1_3genE2ELNS1_11target_archE906ELNS1_3gpuE6ELNS1_3repE0EEENS1_30default_config_static_selectorELNS0_4arch9wavefront6targetE1EEEvSW_.uses_flat_scratch, 0
	.set _ZN7rocprim17ROCPRIM_400000_NS6detail17trampoline_kernelINS0_14default_configENS1_27upper_bound_config_selectorIxlEEZNS1_14transform_implILb0ES3_S5_N6thrust23THRUST_200600_302600_NS6detail15normal_iteratorINS8_7pointerIxNS8_11hip_rocprim5par_tENS8_11use_defaultESE_EEEENSA_INSB_IlSD_SE_SE_EEEEZNS1_13binary_searchIS3_S5_PxSG_SI_NS1_21upper_bound_search_opENS9_16wrapped_functionINS8_6system6detail7generic6detail18binary_search_lessEbEEEE10hipError_tPvRmT1_T2_T3_mmT4_T5_P12ihipStream_tbEUlRKxE_EEST_SX_SY_mSZ_S12_bEUlT_E_NS1_11comp_targetILNS1_3genE2ELNS1_11target_archE906ELNS1_3gpuE6ELNS1_3repE0EEENS1_30default_config_static_selectorELNS0_4arch9wavefront6targetE1EEEvSW_.has_dyn_sized_stack, 0
	.set _ZN7rocprim17ROCPRIM_400000_NS6detail17trampoline_kernelINS0_14default_configENS1_27upper_bound_config_selectorIxlEEZNS1_14transform_implILb0ES3_S5_N6thrust23THRUST_200600_302600_NS6detail15normal_iteratorINS8_7pointerIxNS8_11hip_rocprim5par_tENS8_11use_defaultESE_EEEENSA_INSB_IlSD_SE_SE_EEEEZNS1_13binary_searchIS3_S5_PxSG_SI_NS1_21upper_bound_search_opENS9_16wrapped_functionINS8_6system6detail7generic6detail18binary_search_lessEbEEEE10hipError_tPvRmT1_T2_T3_mmT4_T5_P12ihipStream_tbEUlRKxE_EEST_SX_SY_mSZ_S12_bEUlT_E_NS1_11comp_targetILNS1_3genE2ELNS1_11target_archE906ELNS1_3gpuE6ELNS1_3repE0EEENS1_30default_config_static_selectorELNS0_4arch9wavefront6targetE1EEEvSW_.has_recursion, 0
	.set _ZN7rocprim17ROCPRIM_400000_NS6detail17trampoline_kernelINS0_14default_configENS1_27upper_bound_config_selectorIxlEEZNS1_14transform_implILb0ES3_S5_N6thrust23THRUST_200600_302600_NS6detail15normal_iteratorINS8_7pointerIxNS8_11hip_rocprim5par_tENS8_11use_defaultESE_EEEENSA_INSB_IlSD_SE_SE_EEEEZNS1_13binary_searchIS3_S5_PxSG_SI_NS1_21upper_bound_search_opENS9_16wrapped_functionINS8_6system6detail7generic6detail18binary_search_lessEbEEEE10hipError_tPvRmT1_T2_T3_mmT4_T5_P12ihipStream_tbEUlRKxE_EEST_SX_SY_mSZ_S12_bEUlT_E_NS1_11comp_targetILNS1_3genE2ELNS1_11target_archE906ELNS1_3gpuE6ELNS1_3repE0EEENS1_30default_config_static_selectorELNS0_4arch9wavefront6targetE1EEEvSW_.has_indirect_call, 0
	.section	.AMDGPU.csdata,"",@progbits
; Kernel info:
; codeLenInByte = 700
; TotalNumSgprs: 22
; NumVgprs: 14
; ScratchSize: 0
; MemoryBound: 0
; FloatMode: 240
; IeeeMode: 1
; LDSByteSize: 0 bytes/workgroup (compile time only)
; SGPRBlocks: 2
; VGPRBlocks: 3
; NumSGPRsForWavesPerEU: 22
; NumVGPRsForWavesPerEU: 14
; Occupancy: 10
; WaveLimiterHint : 0
; COMPUTE_PGM_RSRC2:SCRATCH_EN: 0
; COMPUTE_PGM_RSRC2:USER_SGPR: 6
; COMPUTE_PGM_RSRC2:TRAP_HANDLER: 0
; COMPUTE_PGM_RSRC2:TGID_X_EN: 1
; COMPUTE_PGM_RSRC2:TGID_Y_EN: 0
; COMPUTE_PGM_RSRC2:TGID_Z_EN: 0
; COMPUTE_PGM_RSRC2:TIDIG_COMP_CNT: 0
	.section	.text._ZN7rocprim17ROCPRIM_400000_NS6detail17trampoline_kernelINS0_14default_configENS1_27upper_bound_config_selectorIxlEEZNS1_14transform_implILb0ES3_S5_N6thrust23THRUST_200600_302600_NS6detail15normal_iteratorINS8_7pointerIxNS8_11hip_rocprim5par_tENS8_11use_defaultESE_EEEENSA_INSB_IlSD_SE_SE_EEEEZNS1_13binary_searchIS3_S5_PxSG_SI_NS1_21upper_bound_search_opENS9_16wrapped_functionINS8_6system6detail7generic6detail18binary_search_lessEbEEEE10hipError_tPvRmT1_T2_T3_mmT4_T5_P12ihipStream_tbEUlRKxE_EEST_SX_SY_mSZ_S12_bEUlT_E_NS1_11comp_targetILNS1_3genE10ELNS1_11target_archE1201ELNS1_3gpuE5ELNS1_3repE0EEENS1_30default_config_static_selectorELNS0_4arch9wavefront6targetE1EEEvSW_,"axG",@progbits,_ZN7rocprim17ROCPRIM_400000_NS6detail17trampoline_kernelINS0_14default_configENS1_27upper_bound_config_selectorIxlEEZNS1_14transform_implILb0ES3_S5_N6thrust23THRUST_200600_302600_NS6detail15normal_iteratorINS8_7pointerIxNS8_11hip_rocprim5par_tENS8_11use_defaultESE_EEEENSA_INSB_IlSD_SE_SE_EEEEZNS1_13binary_searchIS3_S5_PxSG_SI_NS1_21upper_bound_search_opENS9_16wrapped_functionINS8_6system6detail7generic6detail18binary_search_lessEbEEEE10hipError_tPvRmT1_T2_T3_mmT4_T5_P12ihipStream_tbEUlRKxE_EEST_SX_SY_mSZ_S12_bEUlT_E_NS1_11comp_targetILNS1_3genE10ELNS1_11target_archE1201ELNS1_3gpuE5ELNS1_3repE0EEENS1_30default_config_static_selectorELNS0_4arch9wavefront6targetE1EEEvSW_,comdat
	.protected	_ZN7rocprim17ROCPRIM_400000_NS6detail17trampoline_kernelINS0_14default_configENS1_27upper_bound_config_selectorIxlEEZNS1_14transform_implILb0ES3_S5_N6thrust23THRUST_200600_302600_NS6detail15normal_iteratorINS8_7pointerIxNS8_11hip_rocprim5par_tENS8_11use_defaultESE_EEEENSA_INSB_IlSD_SE_SE_EEEEZNS1_13binary_searchIS3_S5_PxSG_SI_NS1_21upper_bound_search_opENS9_16wrapped_functionINS8_6system6detail7generic6detail18binary_search_lessEbEEEE10hipError_tPvRmT1_T2_T3_mmT4_T5_P12ihipStream_tbEUlRKxE_EEST_SX_SY_mSZ_S12_bEUlT_E_NS1_11comp_targetILNS1_3genE10ELNS1_11target_archE1201ELNS1_3gpuE5ELNS1_3repE0EEENS1_30default_config_static_selectorELNS0_4arch9wavefront6targetE1EEEvSW_ ; -- Begin function _ZN7rocprim17ROCPRIM_400000_NS6detail17trampoline_kernelINS0_14default_configENS1_27upper_bound_config_selectorIxlEEZNS1_14transform_implILb0ES3_S5_N6thrust23THRUST_200600_302600_NS6detail15normal_iteratorINS8_7pointerIxNS8_11hip_rocprim5par_tENS8_11use_defaultESE_EEEENSA_INSB_IlSD_SE_SE_EEEEZNS1_13binary_searchIS3_S5_PxSG_SI_NS1_21upper_bound_search_opENS9_16wrapped_functionINS8_6system6detail7generic6detail18binary_search_lessEbEEEE10hipError_tPvRmT1_T2_T3_mmT4_T5_P12ihipStream_tbEUlRKxE_EEST_SX_SY_mSZ_S12_bEUlT_E_NS1_11comp_targetILNS1_3genE10ELNS1_11target_archE1201ELNS1_3gpuE5ELNS1_3repE0EEENS1_30default_config_static_selectorELNS0_4arch9wavefront6targetE1EEEvSW_
	.globl	_ZN7rocprim17ROCPRIM_400000_NS6detail17trampoline_kernelINS0_14default_configENS1_27upper_bound_config_selectorIxlEEZNS1_14transform_implILb0ES3_S5_N6thrust23THRUST_200600_302600_NS6detail15normal_iteratorINS8_7pointerIxNS8_11hip_rocprim5par_tENS8_11use_defaultESE_EEEENSA_INSB_IlSD_SE_SE_EEEEZNS1_13binary_searchIS3_S5_PxSG_SI_NS1_21upper_bound_search_opENS9_16wrapped_functionINS8_6system6detail7generic6detail18binary_search_lessEbEEEE10hipError_tPvRmT1_T2_T3_mmT4_T5_P12ihipStream_tbEUlRKxE_EEST_SX_SY_mSZ_S12_bEUlT_E_NS1_11comp_targetILNS1_3genE10ELNS1_11target_archE1201ELNS1_3gpuE5ELNS1_3repE0EEENS1_30default_config_static_selectorELNS0_4arch9wavefront6targetE1EEEvSW_
	.p2align	8
	.type	_ZN7rocprim17ROCPRIM_400000_NS6detail17trampoline_kernelINS0_14default_configENS1_27upper_bound_config_selectorIxlEEZNS1_14transform_implILb0ES3_S5_N6thrust23THRUST_200600_302600_NS6detail15normal_iteratorINS8_7pointerIxNS8_11hip_rocprim5par_tENS8_11use_defaultESE_EEEENSA_INSB_IlSD_SE_SE_EEEEZNS1_13binary_searchIS3_S5_PxSG_SI_NS1_21upper_bound_search_opENS9_16wrapped_functionINS8_6system6detail7generic6detail18binary_search_lessEbEEEE10hipError_tPvRmT1_T2_T3_mmT4_T5_P12ihipStream_tbEUlRKxE_EEST_SX_SY_mSZ_S12_bEUlT_E_NS1_11comp_targetILNS1_3genE10ELNS1_11target_archE1201ELNS1_3gpuE5ELNS1_3repE0EEENS1_30default_config_static_selectorELNS0_4arch9wavefront6targetE1EEEvSW_,@function
_ZN7rocprim17ROCPRIM_400000_NS6detail17trampoline_kernelINS0_14default_configENS1_27upper_bound_config_selectorIxlEEZNS1_14transform_implILb0ES3_S5_N6thrust23THRUST_200600_302600_NS6detail15normal_iteratorINS8_7pointerIxNS8_11hip_rocprim5par_tENS8_11use_defaultESE_EEEENSA_INSB_IlSD_SE_SE_EEEEZNS1_13binary_searchIS3_S5_PxSG_SI_NS1_21upper_bound_search_opENS9_16wrapped_functionINS8_6system6detail7generic6detail18binary_search_lessEbEEEE10hipError_tPvRmT1_T2_T3_mmT4_T5_P12ihipStream_tbEUlRKxE_EEST_SX_SY_mSZ_S12_bEUlT_E_NS1_11comp_targetILNS1_3genE10ELNS1_11target_archE1201ELNS1_3gpuE5ELNS1_3repE0EEENS1_30default_config_static_selectorELNS0_4arch9wavefront6targetE1EEEvSW_: ; @_ZN7rocprim17ROCPRIM_400000_NS6detail17trampoline_kernelINS0_14default_configENS1_27upper_bound_config_selectorIxlEEZNS1_14transform_implILb0ES3_S5_N6thrust23THRUST_200600_302600_NS6detail15normal_iteratorINS8_7pointerIxNS8_11hip_rocprim5par_tENS8_11use_defaultESE_EEEENSA_INSB_IlSD_SE_SE_EEEEZNS1_13binary_searchIS3_S5_PxSG_SI_NS1_21upper_bound_search_opENS9_16wrapped_functionINS8_6system6detail7generic6detail18binary_search_lessEbEEEE10hipError_tPvRmT1_T2_T3_mmT4_T5_P12ihipStream_tbEUlRKxE_EEST_SX_SY_mSZ_S12_bEUlT_E_NS1_11comp_targetILNS1_3genE10ELNS1_11target_archE1201ELNS1_3gpuE5ELNS1_3repE0EEENS1_30default_config_static_selectorELNS0_4arch9wavefront6targetE1EEEvSW_
; %bb.0:
	.section	.rodata,"a",@progbits
	.p2align	6, 0x0
	.amdhsa_kernel _ZN7rocprim17ROCPRIM_400000_NS6detail17trampoline_kernelINS0_14default_configENS1_27upper_bound_config_selectorIxlEEZNS1_14transform_implILb0ES3_S5_N6thrust23THRUST_200600_302600_NS6detail15normal_iteratorINS8_7pointerIxNS8_11hip_rocprim5par_tENS8_11use_defaultESE_EEEENSA_INSB_IlSD_SE_SE_EEEEZNS1_13binary_searchIS3_S5_PxSG_SI_NS1_21upper_bound_search_opENS9_16wrapped_functionINS8_6system6detail7generic6detail18binary_search_lessEbEEEE10hipError_tPvRmT1_T2_T3_mmT4_T5_P12ihipStream_tbEUlRKxE_EEST_SX_SY_mSZ_S12_bEUlT_E_NS1_11comp_targetILNS1_3genE10ELNS1_11target_archE1201ELNS1_3gpuE5ELNS1_3repE0EEENS1_30default_config_static_selectorELNS0_4arch9wavefront6targetE1EEEvSW_
		.amdhsa_group_segment_fixed_size 0
		.amdhsa_private_segment_fixed_size 0
		.amdhsa_kernarg_size 56
		.amdhsa_user_sgpr_count 6
		.amdhsa_user_sgpr_private_segment_buffer 1
		.amdhsa_user_sgpr_dispatch_ptr 0
		.amdhsa_user_sgpr_queue_ptr 0
		.amdhsa_user_sgpr_kernarg_segment_ptr 1
		.amdhsa_user_sgpr_dispatch_id 0
		.amdhsa_user_sgpr_flat_scratch_init 0
		.amdhsa_user_sgpr_private_segment_size 0
		.amdhsa_uses_dynamic_stack 0
		.amdhsa_system_sgpr_private_segment_wavefront_offset 0
		.amdhsa_system_sgpr_workgroup_id_x 1
		.amdhsa_system_sgpr_workgroup_id_y 0
		.amdhsa_system_sgpr_workgroup_id_z 0
		.amdhsa_system_sgpr_workgroup_info 0
		.amdhsa_system_vgpr_workitem_id 0
		.amdhsa_next_free_vgpr 1
		.amdhsa_next_free_sgpr 0
		.amdhsa_reserve_vcc 0
		.amdhsa_reserve_flat_scratch 0
		.amdhsa_float_round_mode_32 0
		.amdhsa_float_round_mode_16_64 0
		.amdhsa_float_denorm_mode_32 3
		.amdhsa_float_denorm_mode_16_64 3
		.amdhsa_dx10_clamp 1
		.amdhsa_ieee_mode 1
		.amdhsa_fp16_overflow 0
		.amdhsa_exception_fp_ieee_invalid_op 0
		.amdhsa_exception_fp_denorm_src 0
		.amdhsa_exception_fp_ieee_div_zero 0
		.amdhsa_exception_fp_ieee_overflow 0
		.amdhsa_exception_fp_ieee_underflow 0
		.amdhsa_exception_fp_ieee_inexact 0
		.amdhsa_exception_int_div_zero 0
	.end_amdhsa_kernel
	.section	.text._ZN7rocprim17ROCPRIM_400000_NS6detail17trampoline_kernelINS0_14default_configENS1_27upper_bound_config_selectorIxlEEZNS1_14transform_implILb0ES3_S5_N6thrust23THRUST_200600_302600_NS6detail15normal_iteratorINS8_7pointerIxNS8_11hip_rocprim5par_tENS8_11use_defaultESE_EEEENSA_INSB_IlSD_SE_SE_EEEEZNS1_13binary_searchIS3_S5_PxSG_SI_NS1_21upper_bound_search_opENS9_16wrapped_functionINS8_6system6detail7generic6detail18binary_search_lessEbEEEE10hipError_tPvRmT1_T2_T3_mmT4_T5_P12ihipStream_tbEUlRKxE_EEST_SX_SY_mSZ_S12_bEUlT_E_NS1_11comp_targetILNS1_3genE10ELNS1_11target_archE1201ELNS1_3gpuE5ELNS1_3repE0EEENS1_30default_config_static_selectorELNS0_4arch9wavefront6targetE1EEEvSW_,"axG",@progbits,_ZN7rocprim17ROCPRIM_400000_NS6detail17trampoline_kernelINS0_14default_configENS1_27upper_bound_config_selectorIxlEEZNS1_14transform_implILb0ES3_S5_N6thrust23THRUST_200600_302600_NS6detail15normal_iteratorINS8_7pointerIxNS8_11hip_rocprim5par_tENS8_11use_defaultESE_EEEENSA_INSB_IlSD_SE_SE_EEEEZNS1_13binary_searchIS3_S5_PxSG_SI_NS1_21upper_bound_search_opENS9_16wrapped_functionINS8_6system6detail7generic6detail18binary_search_lessEbEEEE10hipError_tPvRmT1_T2_T3_mmT4_T5_P12ihipStream_tbEUlRKxE_EEST_SX_SY_mSZ_S12_bEUlT_E_NS1_11comp_targetILNS1_3genE10ELNS1_11target_archE1201ELNS1_3gpuE5ELNS1_3repE0EEENS1_30default_config_static_selectorELNS0_4arch9wavefront6targetE1EEEvSW_,comdat
.Lfunc_end217:
	.size	_ZN7rocprim17ROCPRIM_400000_NS6detail17trampoline_kernelINS0_14default_configENS1_27upper_bound_config_selectorIxlEEZNS1_14transform_implILb0ES3_S5_N6thrust23THRUST_200600_302600_NS6detail15normal_iteratorINS8_7pointerIxNS8_11hip_rocprim5par_tENS8_11use_defaultESE_EEEENSA_INSB_IlSD_SE_SE_EEEEZNS1_13binary_searchIS3_S5_PxSG_SI_NS1_21upper_bound_search_opENS9_16wrapped_functionINS8_6system6detail7generic6detail18binary_search_lessEbEEEE10hipError_tPvRmT1_T2_T3_mmT4_T5_P12ihipStream_tbEUlRKxE_EEST_SX_SY_mSZ_S12_bEUlT_E_NS1_11comp_targetILNS1_3genE10ELNS1_11target_archE1201ELNS1_3gpuE5ELNS1_3repE0EEENS1_30default_config_static_selectorELNS0_4arch9wavefront6targetE1EEEvSW_, .Lfunc_end217-_ZN7rocprim17ROCPRIM_400000_NS6detail17trampoline_kernelINS0_14default_configENS1_27upper_bound_config_selectorIxlEEZNS1_14transform_implILb0ES3_S5_N6thrust23THRUST_200600_302600_NS6detail15normal_iteratorINS8_7pointerIxNS8_11hip_rocprim5par_tENS8_11use_defaultESE_EEEENSA_INSB_IlSD_SE_SE_EEEEZNS1_13binary_searchIS3_S5_PxSG_SI_NS1_21upper_bound_search_opENS9_16wrapped_functionINS8_6system6detail7generic6detail18binary_search_lessEbEEEE10hipError_tPvRmT1_T2_T3_mmT4_T5_P12ihipStream_tbEUlRKxE_EEST_SX_SY_mSZ_S12_bEUlT_E_NS1_11comp_targetILNS1_3genE10ELNS1_11target_archE1201ELNS1_3gpuE5ELNS1_3repE0EEENS1_30default_config_static_selectorELNS0_4arch9wavefront6targetE1EEEvSW_
                                        ; -- End function
	.set _ZN7rocprim17ROCPRIM_400000_NS6detail17trampoline_kernelINS0_14default_configENS1_27upper_bound_config_selectorIxlEEZNS1_14transform_implILb0ES3_S5_N6thrust23THRUST_200600_302600_NS6detail15normal_iteratorINS8_7pointerIxNS8_11hip_rocprim5par_tENS8_11use_defaultESE_EEEENSA_INSB_IlSD_SE_SE_EEEEZNS1_13binary_searchIS3_S5_PxSG_SI_NS1_21upper_bound_search_opENS9_16wrapped_functionINS8_6system6detail7generic6detail18binary_search_lessEbEEEE10hipError_tPvRmT1_T2_T3_mmT4_T5_P12ihipStream_tbEUlRKxE_EEST_SX_SY_mSZ_S12_bEUlT_E_NS1_11comp_targetILNS1_3genE10ELNS1_11target_archE1201ELNS1_3gpuE5ELNS1_3repE0EEENS1_30default_config_static_selectorELNS0_4arch9wavefront6targetE1EEEvSW_.num_vgpr, 0
	.set _ZN7rocprim17ROCPRIM_400000_NS6detail17trampoline_kernelINS0_14default_configENS1_27upper_bound_config_selectorIxlEEZNS1_14transform_implILb0ES3_S5_N6thrust23THRUST_200600_302600_NS6detail15normal_iteratorINS8_7pointerIxNS8_11hip_rocprim5par_tENS8_11use_defaultESE_EEEENSA_INSB_IlSD_SE_SE_EEEEZNS1_13binary_searchIS3_S5_PxSG_SI_NS1_21upper_bound_search_opENS9_16wrapped_functionINS8_6system6detail7generic6detail18binary_search_lessEbEEEE10hipError_tPvRmT1_T2_T3_mmT4_T5_P12ihipStream_tbEUlRKxE_EEST_SX_SY_mSZ_S12_bEUlT_E_NS1_11comp_targetILNS1_3genE10ELNS1_11target_archE1201ELNS1_3gpuE5ELNS1_3repE0EEENS1_30default_config_static_selectorELNS0_4arch9wavefront6targetE1EEEvSW_.num_agpr, 0
	.set _ZN7rocprim17ROCPRIM_400000_NS6detail17trampoline_kernelINS0_14default_configENS1_27upper_bound_config_selectorIxlEEZNS1_14transform_implILb0ES3_S5_N6thrust23THRUST_200600_302600_NS6detail15normal_iteratorINS8_7pointerIxNS8_11hip_rocprim5par_tENS8_11use_defaultESE_EEEENSA_INSB_IlSD_SE_SE_EEEEZNS1_13binary_searchIS3_S5_PxSG_SI_NS1_21upper_bound_search_opENS9_16wrapped_functionINS8_6system6detail7generic6detail18binary_search_lessEbEEEE10hipError_tPvRmT1_T2_T3_mmT4_T5_P12ihipStream_tbEUlRKxE_EEST_SX_SY_mSZ_S12_bEUlT_E_NS1_11comp_targetILNS1_3genE10ELNS1_11target_archE1201ELNS1_3gpuE5ELNS1_3repE0EEENS1_30default_config_static_selectorELNS0_4arch9wavefront6targetE1EEEvSW_.numbered_sgpr, 0
	.set _ZN7rocprim17ROCPRIM_400000_NS6detail17trampoline_kernelINS0_14default_configENS1_27upper_bound_config_selectorIxlEEZNS1_14transform_implILb0ES3_S5_N6thrust23THRUST_200600_302600_NS6detail15normal_iteratorINS8_7pointerIxNS8_11hip_rocprim5par_tENS8_11use_defaultESE_EEEENSA_INSB_IlSD_SE_SE_EEEEZNS1_13binary_searchIS3_S5_PxSG_SI_NS1_21upper_bound_search_opENS9_16wrapped_functionINS8_6system6detail7generic6detail18binary_search_lessEbEEEE10hipError_tPvRmT1_T2_T3_mmT4_T5_P12ihipStream_tbEUlRKxE_EEST_SX_SY_mSZ_S12_bEUlT_E_NS1_11comp_targetILNS1_3genE10ELNS1_11target_archE1201ELNS1_3gpuE5ELNS1_3repE0EEENS1_30default_config_static_selectorELNS0_4arch9wavefront6targetE1EEEvSW_.num_named_barrier, 0
	.set _ZN7rocprim17ROCPRIM_400000_NS6detail17trampoline_kernelINS0_14default_configENS1_27upper_bound_config_selectorIxlEEZNS1_14transform_implILb0ES3_S5_N6thrust23THRUST_200600_302600_NS6detail15normal_iteratorINS8_7pointerIxNS8_11hip_rocprim5par_tENS8_11use_defaultESE_EEEENSA_INSB_IlSD_SE_SE_EEEEZNS1_13binary_searchIS3_S5_PxSG_SI_NS1_21upper_bound_search_opENS9_16wrapped_functionINS8_6system6detail7generic6detail18binary_search_lessEbEEEE10hipError_tPvRmT1_T2_T3_mmT4_T5_P12ihipStream_tbEUlRKxE_EEST_SX_SY_mSZ_S12_bEUlT_E_NS1_11comp_targetILNS1_3genE10ELNS1_11target_archE1201ELNS1_3gpuE5ELNS1_3repE0EEENS1_30default_config_static_selectorELNS0_4arch9wavefront6targetE1EEEvSW_.private_seg_size, 0
	.set _ZN7rocprim17ROCPRIM_400000_NS6detail17trampoline_kernelINS0_14default_configENS1_27upper_bound_config_selectorIxlEEZNS1_14transform_implILb0ES3_S5_N6thrust23THRUST_200600_302600_NS6detail15normal_iteratorINS8_7pointerIxNS8_11hip_rocprim5par_tENS8_11use_defaultESE_EEEENSA_INSB_IlSD_SE_SE_EEEEZNS1_13binary_searchIS3_S5_PxSG_SI_NS1_21upper_bound_search_opENS9_16wrapped_functionINS8_6system6detail7generic6detail18binary_search_lessEbEEEE10hipError_tPvRmT1_T2_T3_mmT4_T5_P12ihipStream_tbEUlRKxE_EEST_SX_SY_mSZ_S12_bEUlT_E_NS1_11comp_targetILNS1_3genE10ELNS1_11target_archE1201ELNS1_3gpuE5ELNS1_3repE0EEENS1_30default_config_static_selectorELNS0_4arch9wavefront6targetE1EEEvSW_.uses_vcc, 0
	.set _ZN7rocprim17ROCPRIM_400000_NS6detail17trampoline_kernelINS0_14default_configENS1_27upper_bound_config_selectorIxlEEZNS1_14transform_implILb0ES3_S5_N6thrust23THRUST_200600_302600_NS6detail15normal_iteratorINS8_7pointerIxNS8_11hip_rocprim5par_tENS8_11use_defaultESE_EEEENSA_INSB_IlSD_SE_SE_EEEEZNS1_13binary_searchIS3_S5_PxSG_SI_NS1_21upper_bound_search_opENS9_16wrapped_functionINS8_6system6detail7generic6detail18binary_search_lessEbEEEE10hipError_tPvRmT1_T2_T3_mmT4_T5_P12ihipStream_tbEUlRKxE_EEST_SX_SY_mSZ_S12_bEUlT_E_NS1_11comp_targetILNS1_3genE10ELNS1_11target_archE1201ELNS1_3gpuE5ELNS1_3repE0EEENS1_30default_config_static_selectorELNS0_4arch9wavefront6targetE1EEEvSW_.uses_flat_scratch, 0
	.set _ZN7rocprim17ROCPRIM_400000_NS6detail17trampoline_kernelINS0_14default_configENS1_27upper_bound_config_selectorIxlEEZNS1_14transform_implILb0ES3_S5_N6thrust23THRUST_200600_302600_NS6detail15normal_iteratorINS8_7pointerIxNS8_11hip_rocprim5par_tENS8_11use_defaultESE_EEEENSA_INSB_IlSD_SE_SE_EEEEZNS1_13binary_searchIS3_S5_PxSG_SI_NS1_21upper_bound_search_opENS9_16wrapped_functionINS8_6system6detail7generic6detail18binary_search_lessEbEEEE10hipError_tPvRmT1_T2_T3_mmT4_T5_P12ihipStream_tbEUlRKxE_EEST_SX_SY_mSZ_S12_bEUlT_E_NS1_11comp_targetILNS1_3genE10ELNS1_11target_archE1201ELNS1_3gpuE5ELNS1_3repE0EEENS1_30default_config_static_selectorELNS0_4arch9wavefront6targetE1EEEvSW_.has_dyn_sized_stack, 0
	.set _ZN7rocprim17ROCPRIM_400000_NS6detail17trampoline_kernelINS0_14default_configENS1_27upper_bound_config_selectorIxlEEZNS1_14transform_implILb0ES3_S5_N6thrust23THRUST_200600_302600_NS6detail15normal_iteratorINS8_7pointerIxNS8_11hip_rocprim5par_tENS8_11use_defaultESE_EEEENSA_INSB_IlSD_SE_SE_EEEEZNS1_13binary_searchIS3_S5_PxSG_SI_NS1_21upper_bound_search_opENS9_16wrapped_functionINS8_6system6detail7generic6detail18binary_search_lessEbEEEE10hipError_tPvRmT1_T2_T3_mmT4_T5_P12ihipStream_tbEUlRKxE_EEST_SX_SY_mSZ_S12_bEUlT_E_NS1_11comp_targetILNS1_3genE10ELNS1_11target_archE1201ELNS1_3gpuE5ELNS1_3repE0EEENS1_30default_config_static_selectorELNS0_4arch9wavefront6targetE1EEEvSW_.has_recursion, 0
	.set _ZN7rocprim17ROCPRIM_400000_NS6detail17trampoline_kernelINS0_14default_configENS1_27upper_bound_config_selectorIxlEEZNS1_14transform_implILb0ES3_S5_N6thrust23THRUST_200600_302600_NS6detail15normal_iteratorINS8_7pointerIxNS8_11hip_rocprim5par_tENS8_11use_defaultESE_EEEENSA_INSB_IlSD_SE_SE_EEEEZNS1_13binary_searchIS3_S5_PxSG_SI_NS1_21upper_bound_search_opENS9_16wrapped_functionINS8_6system6detail7generic6detail18binary_search_lessEbEEEE10hipError_tPvRmT1_T2_T3_mmT4_T5_P12ihipStream_tbEUlRKxE_EEST_SX_SY_mSZ_S12_bEUlT_E_NS1_11comp_targetILNS1_3genE10ELNS1_11target_archE1201ELNS1_3gpuE5ELNS1_3repE0EEENS1_30default_config_static_selectorELNS0_4arch9wavefront6targetE1EEEvSW_.has_indirect_call, 0
	.section	.AMDGPU.csdata,"",@progbits
; Kernel info:
; codeLenInByte = 0
; TotalNumSgprs: 4
; NumVgprs: 0
; ScratchSize: 0
; MemoryBound: 0
; FloatMode: 240
; IeeeMode: 1
; LDSByteSize: 0 bytes/workgroup (compile time only)
; SGPRBlocks: 0
; VGPRBlocks: 0
; NumSGPRsForWavesPerEU: 4
; NumVGPRsForWavesPerEU: 1
; Occupancy: 10
; WaveLimiterHint : 0
; COMPUTE_PGM_RSRC2:SCRATCH_EN: 0
; COMPUTE_PGM_RSRC2:USER_SGPR: 6
; COMPUTE_PGM_RSRC2:TRAP_HANDLER: 0
; COMPUTE_PGM_RSRC2:TGID_X_EN: 1
; COMPUTE_PGM_RSRC2:TGID_Y_EN: 0
; COMPUTE_PGM_RSRC2:TGID_Z_EN: 0
; COMPUTE_PGM_RSRC2:TIDIG_COMP_CNT: 0
	.section	.text._ZN7rocprim17ROCPRIM_400000_NS6detail17trampoline_kernelINS0_14default_configENS1_27upper_bound_config_selectorIxlEEZNS1_14transform_implILb0ES3_S5_N6thrust23THRUST_200600_302600_NS6detail15normal_iteratorINS8_7pointerIxNS8_11hip_rocprim5par_tENS8_11use_defaultESE_EEEENSA_INSB_IlSD_SE_SE_EEEEZNS1_13binary_searchIS3_S5_PxSG_SI_NS1_21upper_bound_search_opENS9_16wrapped_functionINS8_6system6detail7generic6detail18binary_search_lessEbEEEE10hipError_tPvRmT1_T2_T3_mmT4_T5_P12ihipStream_tbEUlRKxE_EEST_SX_SY_mSZ_S12_bEUlT_E_NS1_11comp_targetILNS1_3genE10ELNS1_11target_archE1200ELNS1_3gpuE4ELNS1_3repE0EEENS1_30default_config_static_selectorELNS0_4arch9wavefront6targetE1EEEvSW_,"axG",@progbits,_ZN7rocprim17ROCPRIM_400000_NS6detail17trampoline_kernelINS0_14default_configENS1_27upper_bound_config_selectorIxlEEZNS1_14transform_implILb0ES3_S5_N6thrust23THRUST_200600_302600_NS6detail15normal_iteratorINS8_7pointerIxNS8_11hip_rocprim5par_tENS8_11use_defaultESE_EEEENSA_INSB_IlSD_SE_SE_EEEEZNS1_13binary_searchIS3_S5_PxSG_SI_NS1_21upper_bound_search_opENS9_16wrapped_functionINS8_6system6detail7generic6detail18binary_search_lessEbEEEE10hipError_tPvRmT1_T2_T3_mmT4_T5_P12ihipStream_tbEUlRKxE_EEST_SX_SY_mSZ_S12_bEUlT_E_NS1_11comp_targetILNS1_3genE10ELNS1_11target_archE1200ELNS1_3gpuE4ELNS1_3repE0EEENS1_30default_config_static_selectorELNS0_4arch9wavefront6targetE1EEEvSW_,comdat
	.protected	_ZN7rocprim17ROCPRIM_400000_NS6detail17trampoline_kernelINS0_14default_configENS1_27upper_bound_config_selectorIxlEEZNS1_14transform_implILb0ES3_S5_N6thrust23THRUST_200600_302600_NS6detail15normal_iteratorINS8_7pointerIxNS8_11hip_rocprim5par_tENS8_11use_defaultESE_EEEENSA_INSB_IlSD_SE_SE_EEEEZNS1_13binary_searchIS3_S5_PxSG_SI_NS1_21upper_bound_search_opENS9_16wrapped_functionINS8_6system6detail7generic6detail18binary_search_lessEbEEEE10hipError_tPvRmT1_T2_T3_mmT4_T5_P12ihipStream_tbEUlRKxE_EEST_SX_SY_mSZ_S12_bEUlT_E_NS1_11comp_targetILNS1_3genE10ELNS1_11target_archE1200ELNS1_3gpuE4ELNS1_3repE0EEENS1_30default_config_static_selectorELNS0_4arch9wavefront6targetE1EEEvSW_ ; -- Begin function _ZN7rocprim17ROCPRIM_400000_NS6detail17trampoline_kernelINS0_14default_configENS1_27upper_bound_config_selectorIxlEEZNS1_14transform_implILb0ES3_S5_N6thrust23THRUST_200600_302600_NS6detail15normal_iteratorINS8_7pointerIxNS8_11hip_rocprim5par_tENS8_11use_defaultESE_EEEENSA_INSB_IlSD_SE_SE_EEEEZNS1_13binary_searchIS3_S5_PxSG_SI_NS1_21upper_bound_search_opENS9_16wrapped_functionINS8_6system6detail7generic6detail18binary_search_lessEbEEEE10hipError_tPvRmT1_T2_T3_mmT4_T5_P12ihipStream_tbEUlRKxE_EEST_SX_SY_mSZ_S12_bEUlT_E_NS1_11comp_targetILNS1_3genE10ELNS1_11target_archE1200ELNS1_3gpuE4ELNS1_3repE0EEENS1_30default_config_static_selectorELNS0_4arch9wavefront6targetE1EEEvSW_
	.globl	_ZN7rocprim17ROCPRIM_400000_NS6detail17trampoline_kernelINS0_14default_configENS1_27upper_bound_config_selectorIxlEEZNS1_14transform_implILb0ES3_S5_N6thrust23THRUST_200600_302600_NS6detail15normal_iteratorINS8_7pointerIxNS8_11hip_rocprim5par_tENS8_11use_defaultESE_EEEENSA_INSB_IlSD_SE_SE_EEEEZNS1_13binary_searchIS3_S5_PxSG_SI_NS1_21upper_bound_search_opENS9_16wrapped_functionINS8_6system6detail7generic6detail18binary_search_lessEbEEEE10hipError_tPvRmT1_T2_T3_mmT4_T5_P12ihipStream_tbEUlRKxE_EEST_SX_SY_mSZ_S12_bEUlT_E_NS1_11comp_targetILNS1_3genE10ELNS1_11target_archE1200ELNS1_3gpuE4ELNS1_3repE0EEENS1_30default_config_static_selectorELNS0_4arch9wavefront6targetE1EEEvSW_
	.p2align	8
	.type	_ZN7rocprim17ROCPRIM_400000_NS6detail17trampoline_kernelINS0_14default_configENS1_27upper_bound_config_selectorIxlEEZNS1_14transform_implILb0ES3_S5_N6thrust23THRUST_200600_302600_NS6detail15normal_iteratorINS8_7pointerIxNS8_11hip_rocprim5par_tENS8_11use_defaultESE_EEEENSA_INSB_IlSD_SE_SE_EEEEZNS1_13binary_searchIS3_S5_PxSG_SI_NS1_21upper_bound_search_opENS9_16wrapped_functionINS8_6system6detail7generic6detail18binary_search_lessEbEEEE10hipError_tPvRmT1_T2_T3_mmT4_T5_P12ihipStream_tbEUlRKxE_EEST_SX_SY_mSZ_S12_bEUlT_E_NS1_11comp_targetILNS1_3genE10ELNS1_11target_archE1200ELNS1_3gpuE4ELNS1_3repE0EEENS1_30default_config_static_selectorELNS0_4arch9wavefront6targetE1EEEvSW_,@function
_ZN7rocprim17ROCPRIM_400000_NS6detail17trampoline_kernelINS0_14default_configENS1_27upper_bound_config_selectorIxlEEZNS1_14transform_implILb0ES3_S5_N6thrust23THRUST_200600_302600_NS6detail15normal_iteratorINS8_7pointerIxNS8_11hip_rocprim5par_tENS8_11use_defaultESE_EEEENSA_INSB_IlSD_SE_SE_EEEEZNS1_13binary_searchIS3_S5_PxSG_SI_NS1_21upper_bound_search_opENS9_16wrapped_functionINS8_6system6detail7generic6detail18binary_search_lessEbEEEE10hipError_tPvRmT1_T2_T3_mmT4_T5_P12ihipStream_tbEUlRKxE_EEST_SX_SY_mSZ_S12_bEUlT_E_NS1_11comp_targetILNS1_3genE10ELNS1_11target_archE1200ELNS1_3gpuE4ELNS1_3repE0EEENS1_30default_config_static_selectorELNS0_4arch9wavefront6targetE1EEEvSW_: ; @_ZN7rocprim17ROCPRIM_400000_NS6detail17trampoline_kernelINS0_14default_configENS1_27upper_bound_config_selectorIxlEEZNS1_14transform_implILb0ES3_S5_N6thrust23THRUST_200600_302600_NS6detail15normal_iteratorINS8_7pointerIxNS8_11hip_rocprim5par_tENS8_11use_defaultESE_EEEENSA_INSB_IlSD_SE_SE_EEEEZNS1_13binary_searchIS3_S5_PxSG_SI_NS1_21upper_bound_search_opENS9_16wrapped_functionINS8_6system6detail7generic6detail18binary_search_lessEbEEEE10hipError_tPvRmT1_T2_T3_mmT4_T5_P12ihipStream_tbEUlRKxE_EEST_SX_SY_mSZ_S12_bEUlT_E_NS1_11comp_targetILNS1_3genE10ELNS1_11target_archE1200ELNS1_3gpuE4ELNS1_3repE0EEENS1_30default_config_static_selectorELNS0_4arch9wavefront6targetE1EEEvSW_
; %bb.0:
	.section	.rodata,"a",@progbits
	.p2align	6, 0x0
	.amdhsa_kernel _ZN7rocprim17ROCPRIM_400000_NS6detail17trampoline_kernelINS0_14default_configENS1_27upper_bound_config_selectorIxlEEZNS1_14transform_implILb0ES3_S5_N6thrust23THRUST_200600_302600_NS6detail15normal_iteratorINS8_7pointerIxNS8_11hip_rocprim5par_tENS8_11use_defaultESE_EEEENSA_INSB_IlSD_SE_SE_EEEEZNS1_13binary_searchIS3_S5_PxSG_SI_NS1_21upper_bound_search_opENS9_16wrapped_functionINS8_6system6detail7generic6detail18binary_search_lessEbEEEE10hipError_tPvRmT1_T2_T3_mmT4_T5_P12ihipStream_tbEUlRKxE_EEST_SX_SY_mSZ_S12_bEUlT_E_NS1_11comp_targetILNS1_3genE10ELNS1_11target_archE1200ELNS1_3gpuE4ELNS1_3repE0EEENS1_30default_config_static_selectorELNS0_4arch9wavefront6targetE1EEEvSW_
		.amdhsa_group_segment_fixed_size 0
		.amdhsa_private_segment_fixed_size 0
		.amdhsa_kernarg_size 56
		.amdhsa_user_sgpr_count 6
		.amdhsa_user_sgpr_private_segment_buffer 1
		.amdhsa_user_sgpr_dispatch_ptr 0
		.amdhsa_user_sgpr_queue_ptr 0
		.amdhsa_user_sgpr_kernarg_segment_ptr 1
		.amdhsa_user_sgpr_dispatch_id 0
		.amdhsa_user_sgpr_flat_scratch_init 0
		.amdhsa_user_sgpr_private_segment_size 0
		.amdhsa_uses_dynamic_stack 0
		.amdhsa_system_sgpr_private_segment_wavefront_offset 0
		.amdhsa_system_sgpr_workgroup_id_x 1
		.amdhsa_system_sgpr_workgroup_id_y 0
		.amdhsa_system_sgpr_workgroup_id_z 0
		.amdhsa_system_sgpr_workgroup_info 0
		.amdhsa_system_vgpr_workitem_id 0
		.amdhsa_next_free_vgpr 1
		.amdhsa_next_free_sgpr 0
		.amdhsa_reserve_vcc 0
		.amdhsa_reserve_flat_scratch 0
		.amdhsa_float_round_mode_32 0
		.amdhsa_float_round_mode_16_64 0
		.amdhsa_float_denorm_mode_32 3
		.amdhsa_float_denorm_mode_16_64 3
		.amdhsa_dx10_clamp 1
		.amdhsa_ieee_mode 1
		.amdhsa_fp16_overflow 0
		.amdhsa_exception_fp_ieee_invalid_op 0
		.amdhsa_exception_fp_denorm_src 0
		.amdhsa_exception_fp_ieee_div_zero 0
		.amdhsa_exception_fp_ieee_overflow 0
		.amdhsa_exception_fp_ieee_underflow 0
		.amdhsa_exception_fp_ieee_inexact 0
		.amdhsa_exception_int_div_zero 0
	.end_amdhsa_kernel
	.section	.text._ZN7rocprim17ROCPRIM_400000_NS6detail17trampoline_kernelINS0_14default_configENS1_27upper_bound_config_selectorIxlEEZNS1_14transform_implILb0ES3_S5_N6thrust23THRUST_200600_302600_NS6detail15normal_iteratorINS8_7pointerIxNS8_11hip_rocprim5par_tENS8_11use_defaultESE_EEEENSA_INSB_IlSD_SE_SE_EEEEZNS1_13binary_searchIS3_S5_PxSG_SI_NS1_21upper_bound_search_opENS9_16wrapped_functionINS8_6system6detail7generic6detail18binary_search_lessEbEEEE10hipError_tPvRmT1_T2_T3_mmT4_T5_P12ihipStream_tbEUlRKxE_EEST_SX_SY_mSZ_S12_bEUlT_E_NS1_11comp_targetILNS1_3genE10ELNS1_11target_archE1200ELNS1_3gpuE4ELNS1_3repE0EEENS1_30default_config_static_selectorELNS0_4arch9wavefront6targetE1EEEvSW_,"axG",@progbits,_ZN7rocprim17ROCPRIM_400000_NS6detail17trampoline_kernelINS0_14default_configENS1_27upper_bound_config_selectorIxlEEZNS1_14transform_implILb0ES3_S5_N6thrust23THRUST_200600_302600_NS6detail15normal_iteratorINS8_7pointerIxNS8_11hip_rocprim5par_tENS8_11use_defaultESE_EEEENSA_INSB_IlSD_SE_SE_EEEEZNS1_13binary_searchIS3_S5_PxSG_SI_NS1_21upper_bound_search_opENS9_16wrapped_functionINS8_6system6detail7generic6detail18binary_search_lessEbEEEE10hipError_tPvRmT1_T2_T3_mmT4_T5_P12ihipStream_tbEUlRKxE_EEST_SX_SY_mSZ_S12_bEUlT_E_NS1_11comp_targetILNS1_3genE10ELNS1_11target_archE1200ELNS1_3gpuE4ELNS1_3repE0EEENS1_30default_config_static_selectorELNS0_4arch9wavefront6targetE1EEEvSW_,comdat
.Lfunc_end218:
	.size	_ZN7rocprim17ROCPRIM_400000_NS6detail17trampoline_kernelINS0_14default_configENS1_27upper_bound_config_selectorIxlEEZNS1_14transform_implILb0ES3_S5_N6thrust23THRUST_200600_302600_NS6detail15normal_iteratorINS8_7pointerIxNS8_11hip_rocprim5par_tENS8_11use_defaultESE_EEEENSA_INSB_IlSD_SE_SE_EEEEZNS1_13binary_searchIS3_S5_PxSG_SI_NS1_21upper_bound_search_opENS9_16wrapped_functionINS8_6system6detail7generic6detail18binary_search_lessEbEEEE10hipError_tPvRmT1_T2_T3_mmT4_T5_P12ihipStream_tbEUlRKxE_EEST_SX_SY_mSZ_S12_bEUlT_E_NS1_11comp_targetILNS1_3genE10ELNS1_11target_archE1200ELNS1_3gpuE4ELNS1_3repE0EEENS1_30default_config_static_selectorELNS0_4arch9wavefront6targetE1EEEvSW_, .Lfunc_end218-_ZN7rocprim17ROCPRIM_400000_NS6detail17trampoline_kernelINS0_14default_configENS1_27upper_bound_config_selectorIxlEEZNS1_14transform_implILb0ES3_S5_N6thrust23THRUST_200600_302600_NS6detail15normal_iteratorINS8_7pointerIxNS8_11hip_rocprim5par_tENS8_11use_defaultESE_EEEENSA_INSB_IlSD_SE_SE_EEEEZNS1_13binary_searchIS3_S5_PxSG_SI_NS1_21upper_bound_search_opENS9_16wrapped_functionINS8_6system6detail7generic6detail18binary_search_lessEbEEEE10hipError_tPvRmT1_T2_T3_mmT4_T5_P12ihipStream_tbEUlRKxE_EEST_SX_SY_mSZ_S12_bEUlT_E_NS1_11comp_targetILNS1_3genE10ELNS1_11target_archE1200ELNS1_3gpuE4ELNS1_3repE0EEENS1_30default_config_static_selectorELNS0_4arch9wavefront6targetE1EEEvSW_
                                        ; -- End function
	.set _ZN7rocprim17ROCPRIM_400000_NS6detail17trampoline_kernelINS0_14default_configENS1_27upper_bound_config_selectorIxlEEZNS1_14transform_implILb0ES3_S5_N6thrust23THRUST_200600_302600_NS6detail15normal_iteratorINS8_7pointerIxNS8_11hip_rocprim5par_tENS8_11use_defaultESE_EEEENSA_INSB_IlSD_SE_SE_EEEEZNS1_13binary_searchIS3_S5_PxSG_SI_NS1_21upper_bound_search_opENS9_16wrapped_functionINS8_6system6detail7generic6detail18binary_search_lessEbEEEE10hipError_tPvRmT1_T2_T3_mmT4_T5_P12ihipStream_tbEUlRKxE_EEST_SX_SY_mSZ_S12_bEUlT_E_NS1_11comp_targetILNS1_3genE10ELNS1_11target_archE1200ELNS1_3gpuE4ELNS1_3repE0EEENS1_30default_config_static_selectorELNS0_4arch9wavefront6targetE1EEEvSW_.num_vgpr, 0
	.set _ZN7rocprim17ROCPRIM_400000_NS6detail17trampoline_kernelINS0_14default_configENS1_27upper_bound_config_selectorIxlEEZNS1_14transform_implILb0ES3_S5_N6thrust23THRUST_200600_302600_NS6detail15normal_iteratorINS8_7pointerIxNS8_11hip_rocprim5par_tENS8_11use_defaultESE_EEEENSA_INSB_IlSD_SE_SE_EEEEZNS1_13binary_searchIS3_S5_PxSG_SI_NS1_21upper_bound_search_opENS9_16wrapped_functionINS8_6system6detail7generic6detail18binary_search_lessEbEEEE10hipError_tPvRmT1_T2_T3_mmT4_T5_P12ihipStream_tbEUlRKxE_EEST_SX_SY_mSZ_S12_bEUlT_E_NS1_11comp_targetILNS1_3genE10ELNS1_11target_archE1200ELNS1_3gpuE4ELNS1_3repE0EEENS1_30default_config_static_selectorELNS0_4arch9wavefront6targetE1EEEvSW_.num_agpr, 0
	.set _ZN7rocprim17ROCPRIM_400000_NS6detail17trampoline_kernelINS0_14default_configENS1_27upper_bound_config_selectorIxlEEZNS1_14transform_implILb0ES3_S5_N6thrust23THRUST_200600_302600_NS6detail15normal_iteratorINS8_7pointerIxNS8_11hip_rocprim5par_tENS8_11use_defaultESE_EEEENSA_INSB_IlSD_SE_SE_EEEEZNS1_13binary_searchIS3_S5_PxSG_SI_NS1_21upper_bound_search_opENS9_16wrapped_functionINS8_6system6detail7generic6detail18binary_search_lessEbEEEE10hipError_tPvRmT1_T2_T3_mmT4_T5_P12ihipStream_tbEUlRKxE_EEST_SX_SY_mSZ_S12_bEUlT_E_NS1_11comp_targetILNS1_3genE10ELNS1_11target_archE1200ELNS1_3gpuE4ELNS1_3repE0EEENS1_30default_config_static_selectorELNS0_4arch9wavefront6targetE1EEEvSW_.numbered_sgpr, 0
	.set _ZN7rocprim17ROCPRIM_400000_NS6detail17trampoline_kernelINS0_14default_configENS1_27upper_bound_config_selectorIxlEEZNS1_14transform_implILb0ES3_S5_N6thrust23THRUST_200600_302600_NS6detail15normal_iteratorINS8_7pointerIxNS8_11hip_rocprim5par_tENS8_11use_defaultESE_EEEENSA_INSB_IlSD_SE_SE_EEEEZNS1_13binary_searchIS3_S5_PxSG_SI_NS1_21upper_bound_search_opENS9_16wrapped_functionINS8_6system6detail7generic6detail18binary_search_lessEbEEEE10hipError_tPvRmT1_T2_T3_mmT4_T5_P12ihipStream_tbEUlRKxE_EEST_SX_SY_mSZ_S12_bEUlT_E_NS1_11comp_targetILNS1_3genE10ELNS1_11target_archE1200ELNS1_3gpuE4ELNS1_3repE0EEENS1_30default_config_static_selectorELNS0_4arch9wavefront6targetE1EEEvSW_.num_named_barrier, 0
	.set _ZN7rocprim17ROCPRIM_400000_NS6detail17trampoline_kernelINS0_14default_configENS1_27upper_bound_config_selectorIxlEEZNS1_14transform_implILb0ES3_S5_N6thrust23THRUST_200600_302600_NS6detail15normal_iteratorINS8_7pointerIxNS8_11hip_rocprim5par_tENS8_11use_defaultESE_EEEENSA_INSB_IlSD_SE_SE_EEEEZNS1_13binary_searchIS3_S5_PxSG_SI_NS1_21upper_bound_search_opENS9_16wrapped_functionINS8_6system6detail7generic6detail18binary_search_lessEbEEEE10hipError_tPvRmT1_T2_T3_mmT4_T5_P12ihipStream_tbEUlRKxE_EEST_SX_SY_mSZ_S12_bEUlT_E_NS1_11comp_targetILNS1_3genE10ELNS1_11target_archE1200ELNS1_3gpuE4ELNS1_3repE0EEENS1_30default_config_static_selectorELNS0_4arch9wavefront6targetE1EEEvSW_.private_seg_size, 0
	.set _ZN7rocprim17ROCPRIM_400000_NS6detail17trampoline_kernelINS0_14default_configENS1_27upper_bound_config_selectorIxlEEZNS1_14transform_implILb0ES3_S5_N6thrust23THRUST_200600_302600_NS6detail15normal_iteratorINS8_7pointerIxNS8_11hip_rocprim5par_tENS8_11use_defaultESE_EEEENSA_INSB_IlSD_SE_SE_EEEEZNS1_13binary_searchIS3_S5_PxSG_SI_NS1_21upper_bound_search_opENS9_16wrapped_functionINS8_6system6detail7generic6detail18binary_search_lessEbEEEE10hipError_tPvRmT1_T2_T3_mmT4_T5_P12ihipStream_tbEUlRKxE_EEST_SX_SY_mSZ_S12_bEUlT_E_NS1_11comp_targetILNS1_3genE10ELNS1_11target_archE1200ELNS1_3gpuE4ELNS1_3repE0EEENS1_30default_config_static_selectorELNS0_4arch9wavefront6targetE1EEEvSW_.uses_vcc, 0
	.set _ZN7rocprim17ROCPRIM_400000_NS6detail17trampoline_kernelINS0_14default_configENS1_27upper_bound_config_selectorIxlEEZNS1_14transform_implILb0ES3_S5_N6thrust23THRUST_200600_302600_NS6detail15normal_iteratorINS8_7pointerIxNS8_11hip_rocprim5par_tENS8_11use_defaultESE_EEEENSA_INSB_IlSD_SE_SE_EEEEZNS1_13binary_searchIS3_S5_PxSG_SI_NS1_21upper_bound_search_opENS9_16wrapped_functionINS8_6system6detail7generic6detail18binary_search_lessEbEEEE10hipError_tPvRmT1_T2_T3_mmT4_T5_P12ihipStream_tbEUlRKxE_EEST_SX_SY_mSZ_S12_bEUlT_E_NS1_11comp_targetILNS1_3genE10ELNS1_11target_archE1200ELNS1_3gpuE4ELNS1_3repE0EEENS1_30default_config_static_selectorELNS0_4arch9wavefront6targetE1EEEvSW_.uses_flat_scratch, 0
	.set _ZN7rocprim17ROCPRIM_400000_NS6detail17trampoline_kernelINS0_14default_configENS1_27upper_bound_config_selectorIxlEEZNS1_14transform_implILb0ES3_S5_N6thrust23THRUST_200600_302600_NS6detail15normal_iteratorINS8_7pointerIxNS8_11hip_rocprim5par_tENS8_11use_defaultESE_EEEENSA_INSB_IlSD_SE_SE_EEEEZNS1_13binary_searchIS3_S5_PxSG_SI_NS1_21upper_bound_search_opENS9_16wrapped_functionINS8_6system6detail7generic6detail18binary_search_lessEbEEEE10hipError_tPvRmT1_T2_T3_mmT4_T5_P12ihipStream_tbEUlRKxE_EEST_SX_SY_mSZ_S12_bEUlT_E_NS1_11comp_targetILNS1_3genE10ELNS1_11target_archE1200ELNS1_3gpuE4ELNS1_3repE0EEENS1_30default_config_static_selectorELNS0_4arch9wavefront6targetE1EEEvSW_.has_dyn_sized_stack, 0
	.set _ZN7rocprim17ROCPRIM_400000_NS6detail17trampoline_kernelINS0_14default_configENS1_27upper_bound_config_selectorIxlEEZNS1_14transform_implILb0ES3_S5_N6thrust23THRUST_200600_302600_NS6detail15normal_iteratorINS8_7pointerIxNS8_11hip_rocprim5par_tENS8_11use_defaultESE_EEEENSA_INSB_IlSD_SE_SE_EEEEZNS1_13binary_searchIS3_S5_PxSG_SI_NS1_21upper_bound_search_opENS9_16wrapped_functionINS8_6system6detail7generic6detail18binary_search_lessEbEEEE10hipError_tPvRmT1_T2_T3_mmT4_T5_P12ihipStream_tbEUlRKxE_EEST_SX_SY_mSZ_S12_bEUlT_E_NS1_11comp_targetILNS1_3genE10ELNS1_11target_archE1200ELNS1_3gpuE4ELNS1_3repE0EEENS1_30default_config_static_selectorELNS0_4arch9wavefront6targetE1EEEvSW_.has_recursion, 0
	.set _ZN7rocprim17ROCPRIM_400000_NS6detail17trampoline_kernelINS0_14default_configENS1_27upper_bound_config_selectorIxlEEZNS1_14transform_implILb0ES3_S5_N6thrust23THRUST_200600_302600_NS6detail15normal_iteratorINS8_7pointerIxNS8_11hip_rocprim5par_tENS8_11use_defaultESE_EEEENSA_INSB_IlSD_SE_SE_EEEEZNS1_13binary_searchIS3_S5_PxSG_SI_NS1_21upper_bound_search_opENS9_16wrapped_functionINS8_6system6detail7generic6detail18binary_search_lessEbEEEE10hipError_tPvRmT1_T2_T3_mmT4_T5_P12ihipStream_tbEUlRKxE_EEST_SX_SY_mSZ_S12_bEUlT_E_NS1_11comp_targetILNS1_3genE10ELNS1_11target_archE1200ELNS1_3gpuE4ELNS1_3repE0EEENS1_30default_config_static_selectorELNS0_4arch9wavefront6targetE1EEEvSW_.has_indirect_call, 0
	.section	.AMDGPU.csdata,"",@progbits
; Kernel info:
; codeLenInByte = 0
; TotalNumSgprs: 4
; NumVgprs: 0
; ScratchSize: 0
; MemoryBound: 0
; FloatMode: 240
; IeeeMode: 1
; LDSByteSize: 0 bytes/workgroup (compile time only)
; SGPRBlocks: 0
; VGPRBlocks: 0
; NumSGPRsForWavesPerEU: 4
; NumVGPRsForWavesPerEU: 1
; Occupancy: 10
; WaveLimiterHint : 0
; COMPUTE_PGM_RSRC2:SCRATCH_EN: 0
; COMPUTE_PGM_RSRC2:USER_SGPR: 6
; COMPUTE_PGM_RSRC2:TRAP_HANDLER: 0
; COMPUTE_PGM_RSRC2:TGID_X_EN: 1
; COMPUTE_PGM_RSRC2:TGID_Y_EN: 0
; COMPUTE_PGM_RSRC2:TGID_Z_EN: 0
; COMPUTE_PGM_RSRC2:TIDIG_COMP_CNT: 0
	.section	.text._ZN7rocprim17ROCPRIM_400000_NS6detail17trampoline_kernelINS0_14default_configENS1_27upper_bound_config_selectorIxlEEZNS1_14transform_implILb0ES3_S5_N6thrust23THRUST_200600_302600_NS6detail15normal_iteratorINS8_7pointerIxNS8_11hip_rocprim5par_tENS8_11use_defaultESE_EEEENSA_INSB_IlSD_SE_SE_EEEEZNS1_13binary_searchIS3_S5_PxSG_SI_NS1_21upper_bound_search_opENS9_16wrapped_functionINS8_6system6detail7generic6detail18binary_search_lessEbEEEE10hipError_tPvRmT1_T2_T3_mmT4_T5_P12ihipStream_tbEUlRKxE_EEST_SX_SY_mSZ_S12_bEUlT_E_NS1_11comp_targetILNS1_3genE9ELNS1_11target_archE1100ELNS1_3gpuE3ELNS1_3repE0EEENS1_30default_config_static_selectorELNS0_4arch9wavefront6targetE1EEEvSW_,"axG",@progbits,_ZN7rocprim17ROCPRIM_400000_NS6detail17trampoline_kernelINS0_14default_configENS1_27upper_bound_config_selectorIxlEEZNS1_14transform_implILb0ES3_S5_N6thrust23THRUST_200600_302600_NS6detail15normal_iteratorINS8_7pointerIxNS8_11hip_rocprim5par_tENS8_11use_defaultESE_EEEENSA_INSB_IlSD_SE_SE_EEEEZNS1_13binary_searchIS3_S5_PxSG_SI_NS1_21upper_bound_search_opENS9_16wrapped_functionINS8_6system6detail7generic6detail18binary_search_lessEbEEEE10hipError_tPvRmT1_T2_T3_mmT4_T5_P12ihipStream_tbEUlRKxE_EEST_SX_SY_mSZ_S12_bEUlT_E_NS1_11comp_targetILNS1_3genE9ELNS1_11target_archE1100ELNS1_3gpuE3ELNS1_3repE0EEENS1_30default_config_static_selectorELNS0_4arch9wavefront6targetE1EEEvSW_,comdat
	.protected	_ZN7rocprim17ROCPRIM_400000_NS6detail17trampoline_kernelINS0_14default_configENS1_27upper_bound_config_selectorIxlEEZNS1_14transform_implILb0ES3_S5_N6thrust23THRUST_200600_302600_NS6detail15normal_iteratorINS8_7pointerIxNS8_11hip_rocprim5par_tENS8_11use_defaultESE_EEEENSA_INSB_IlSD_SE_SE_EEEEZNS1_13binary_searchIS3_S5_PxSG_SI_NS1_21upper_bound_search_opENS9_16wrapped_functionINS8_6system6detail7generic6detail18binary_search_lessEbEEEE10hipError_tPvRmT1_T2_T3_mmT4_T5_P12ihipStream_tbEUlRKxE_EEST_SX_SY_mSZ_S12_bEUlT_E_NS1_11comp_targetILNS1_3genE9ELNS1_11target_archE1100ELNS1_3gpuE3ELNS1_3repE0EEENS1_30default_config_static_selectorELNS0_4arch9wavefront6targetE1EEEvSW_ ; -- Begin function _ZN7rocprim17ROCPRIM_400000_NS6detail17trampoline_kernelINS0_14default_configENS1_27upper_bound_config_selectorIxlEEZNS1_14transform_implILb0ES3_S5_N6thrust23THRUST_200600_302600_NS6detail15normal_iteratorINS8_7pointerIxNS8_11hip_rocprim5par_tENS8_11use_defaultESE_EEEENSA_INSB_IlSD_SE_SE_EEEEZNS1_13binary_searchIS3_S5_PxSG_SI_NS1_21upper_bound_search_opENS9_16wrapped_functionINS8_6system6detail7generic6detail18binary_search_lessEbEEEE10hipError_tPvRmT1_T2_T3_mmT4_T5_P12ihipStream_tbEUlRKxE_EEST_SX_SY_mSZ_S12_bEUlT_E_NS1_11comp_targetILNS1_3genE9ELNS1_11target_archE1100ELNS1_3gpuE3ELNS1_3repE0EEENS1_30default_config_static_selectorELNS0_4arch9wavefront6targetE1EEEvSW_
	.globl	_ZN7rocprim17ROCPRIM_400000_NS6detail17trampoline_kernelINS0_14default_configENS1_27upper_bound_config_selectorIxlEEZNS1_14transform_implILb0ES3_S5_N6thrust23THRUST_200600_302600_NS6detail15normal_iteratorINS8_7pointerIxNS8_11hip_rocprim5par_tENS8_11use_defaultESE_EEEENSA_INSB_IlSD_SE_SE_EEEEZNS1_13binary_searchIS3_S5_PxSG_SI_NS1_21upper_bound_search_opENS9_16wrapped_functionINS8_6system6detail7generic6detail18binary_search_lessEbEEEE10hipError_tPvRmT1_T2_T3_mmT4_T5_P12ihipStream_tbEUlRKxE_EEST_SX_SY_mSZ_S12_bEUlT_E_NS1_11comp_targetILNS1_3genE9ELNS1_11target_archE1100ELNS1_3gpuE3ELNS1_3repE0EEENS1_30default_config_static_selectorELNS0_4arch9wavefront6targetE1EEEvSW_
	.p2align	8
	.type	_ZN7rocprim17ROCPRIM_400000_NS6detail17trampoline_kernelINS0_14default_configENS1_27upper_bound_config_selectorIxlEEZNS1_14transform_implILb0ES3_S5_N6thrust23THRUST_200600_302600_NS6detail15normal_iteratorINS8_7pointerIxNS8_11hip_rocprim5par_tENS8_11use_defaultESE_EEEENSA_INSB_IlSD_SE_SE_EEEEZNS1_13binary_searchIS3_S5_PxSG_SI_NS1_21upper_bound_search_opENS9_16wrapped_functionINS8_6system6detail7generic6detail18binary_search_lessEbEEEE10hipError_tPvRmT1_T2_T3_mmT4_T5_P12ihipStream_tbEUlRKxE_EEST_SX_SY_mSZ_S12_bEUlT_E_NS1_11comp_targetILNS1_3genE9ELNS1_11target_archE1100ELNS1_3gpuE3ELNS1_3repE0EEENS1_30default_config_static_selectorELNS0_4arch9wavefront6targetE1EEEvSW_,@function
_ZN7rocprim17ROCPRIM_400000_NS6detail17trampoline_kernelINS0_14default_configENS1_27upper_bound_config_selectorIxlEEZNS1_14transform_implILb0ES3_S5_N6thrust23THRUST_200600_302600_NS6detail15normal_iteratorINS8_7pointerIxNS8_11hip_rocprim5par_tENS8_11use_defaultESE_EEEENSA_INSB_IlSD_SE_SE_EEEEZNS1_13binary_searchIS3_S5_PxSG_SI_NS1_21upper_bound_search_opENS9_16wrapped_functionINS8_6system6detail7generic6detail18binary_search_lessEbEEEE10hipError_tPvRmT1_T2_T3_mmT4_T5_P12ihipStream_tbEUlRKxE_EEST_SX_SY_mSZ_S12_bEUlT_E_NS1_11comp_targetILNS1_3genE9ELNS1_11target_archE1100ELNS1_3gpuE3ELNS1_3repE0EEENS1_30default_config_static_selectorELNS0_4arch9wavefront6targetE1EEEvSW_: ; @_ZN7rocprim17ROCPRIM_400000_NS6detail17trampoline_kernelINS0_14default_configENS1_27upper_bound_config_selectorIxlEEZNS1_14transform_implILb0ES3_S5_N6thrust23THRUST_200600_302600_NS6detail15normal_iteratorINS8_7pointerIxNS8_11hip_rocprim5par_tENS8_11use_defaultESE_EEEENSA_INSB_IlSD_SE_SE_EEEEZNS1_13binary_searchIS3_S5_PxSG_SI_NS1_21upper_bound_search_opENS9_16wrapped_functionINS8_6system6detail7generic6detail18binary_search_lessEbEEEE10hipError_tPvRmT1_T2_T3_mmT4_T5_P12ihipStream_tbEUlRKxE_EEST_SX_SY_mSZ_S12_bEUlT_E_NS1_11comp_targetILNS1_3genE9ELNS1_11target_archE1100ELNS1_3gpuE3ELNS1_3repE0EEENS1_30default_config_static_selectorELNS0_4arch9wavefront6targetE1EEEvSW_
; %bb.0:
	.section	.rodata,"a",@progbits
	.p2align	6, 0x0
	.amdhsa_kernel _ZN7rocprim17ROCPRIM_400000_NS6detail17trampoline_kernelINS0_14default_configENS1_27upper_bound_config_selectorIxlEEZNS1_14transform_implILb0ES3_S5_N6thrust23THRUST_200600_302600_NS6detail15normal_iteratorINS8_7pointerIxNS8_11hip_rocprim5par_tENS8_11use_defaultESE_EEEENSA_INSB_IlSD_SE_SE_EEEEZNS1_13binary_searchIS3_S5_PxSG_SI_NS1_21upper_bound_search_opENS9_16wrapped_functionINS8_6system6detail7generic6detail18binary_search_lessEbEEEE10hipError_tPvRmT1_T2_T3_mmT4_T5_P12ihipStream_tbEUlRKxE_EEST_SX_SY_mSZ_S12_bEUlT_E_NS1_11comp_targetILNS1_3genE9ELNS1_11target_archE1100ELNS1_3gpuE3ELNS1_3repE0EEENS1_30default_config_static_selectorELNS0_4arch9wavefront6targetE1EEEvSW_
		.amdhsa_group_segment_fixed_size 0
		.amdhsa_private_segment_fixed_size 0
		.amdhsa_kernarg_size 56
		.amdhsa_user_sgpr_count 6
		.amdhsa_user_sgpr_private_segment_buffer 1
		.amdhsa_user_sgpr_dispatch_ptr 0
		.amdhsa_user_sgpr_queue_ptr 0
		.amdhsa_user_sgpr_kernarg_segment_ptr 1
		.amdhsa_user_sgpr_dispatch_id 0
		.amdhsa_user_sgpr_flat_scratch_init 0
		.amdhsa_user_sgpr_private_segment_size 0
		.amdhsa_uses_dynamic_stack 0
		.amdhsa_system_sgpr_private_segment_wavefront_offset 0
		.amdhsa_system_sgpr_workgroup_id_x 1
		.amdhsa_system_sgpr_workgroup_id_y 0
		.amdhsa_system_sgpr_workgroup_id_z 0
		.amdhsa_system_sgpr_workgroup_info 0
		.amdhsa_system_vgpr_workitem_id 0
		.amdhsa_next_free_vgpr 1
		.amdhsa_next_free_sgpr 0
		.amdhsa_reserve_vcc 0
		.amdhsa_reserve_flat_scratch 0
		.amdhsa_float_round_mode_32 0
		.amdhsa_float_round_mode_16_64 0
		.amdhsa_float_denorm_mode_32 3
		.amdhsa_float_denorm_mode_16_64 3
		.amdhsa_dx10_clamp 1
		.amdhsa_ieee_mode 1
		.amdhsa_fp16_overflow 0
		.amdhsa_exception_fp_ieee_invalid_op 0
		.amdhsa_exception_fp_denorm_src 0
		.amdhsa_exception_fp_ieee_div_zero 0
		.amdhsa_exception_fp_ieee_overflow 0
		.amdhsa_exception_fp_ieee_underflow 0
		.amdhsa_exception_fp_ieee_inexact 0
		.amdhsa_exception_int_div_zero 0
	.end_amdhsa_kernel
	.section	.text._ZN7rocprim17ROCPRIM_400000_NS6detail17trampoline_kernelINS0_14default_configENS1_27upper_bound_config_selectorIxlEEZNS1_14transform_implILb0ES3_S5_N6thrust23THRUST_200600_302600_NS6detail15normal_iteratorINS8_7pointerIxNS8_11hip_rocprim5par_tENS8_11use_defaultESE_EEEENSA_INSB_IlSD_SE_SE_EEEEZNS1_13binary_searchIS3_S5_PxSG_SI_NS1_21upper_bound_search_opENS9_16wrapped_functionINS8_6system6detail7generic6detail18binary_search_lessEbEEEE10hipError_tPvRmT1_T2_T3_mmT4_T5_P12ihipStream_tbEUlRKxE_EEST_SX_SY_mSZ_S12_bEUlT_E_NS1_11comp_targetILNS1_3genE9ELNS1_11target_archE1100ELNS1_3gpuE3ELNS1_3repE0EEENS1_30default_config_static_selectorELNS0_4arch9wavefront6targetE1EEEvSW_,"axG",@progbits,_ZN7rocprim17ROCPRIM_400000_NS6detail17trampoline_kernelINS0_14default_configENS1_27upper_bound_config_selectorIxlEEZNS1_14transform_implILb0ES3_S5_N6thrust23THRUST_200600_302600_NS6detail15normal_iteratorINS8_7pointerIxNS8_11hip_rocprim5par_tENS8_11use_defaultESE_EEEENSA_INSB_IlSD_SE_SE_EEEEZNS1_13binary_searchIS3_S5_PxSG_SI_NS1_21upper_bound_search_opENS9_16wrapped_functionINS8_6system6detail7generic6detail18binary_search_lessEbEEEE10hipError_tPvRmT1_T2_T3_mmT4_T5_P12ihipStream_tbEUlRKxE_EEST_SX_SY_mSZ_S12_bEUlT_E_NS1_11comp_targetILNS1_3genE9ELNS1_11target_archE1100ELNS1_3gpuE3ELNS1_3repE0EEENS1_30default_config_static_selectorELNS0_4arch9wavefront6targetE1EEEvSW_,comdat
.Lfunc_end219:
	.size	_ZN7rocprim17ROCPRIM_400000_NS6detail17trampoline_kernelINS0_14default_configENS1_27upper_bound_config_selectorIxlEEZNS1_14transform_implILb0ES3_S5_N6thrust23THRUST_200600_302600_NS6detail15normal_iteratorINS8_7pointerIxNS8_11hip_rocprim5par_tENS8_11use_defaultESE_EEEENSA_INSB_IlSD_SE_SE_EEEEZNS1_13binary_searchIS3_S5_PxSG_SI_NS1_21upper_bound_search_opENS9_16wrapped_functionINS8_6system6detail7generic6detail18binary_search_lessEbEEEE10hipError_tPvRmT1_T2_T3_mmT4_T5_P12ihipStream_tbEUlRKxE_EEST_SX_SY_mSZ_S12_bEUlT_E_NS1_11comp_targetILNS1_3genE9ELNS1_11target_archE1100ELNS1_3gpuE3ELNS1_3repE0EEENS1_30default_config_static_selectorELNS0_4arch9wavefront6targetE1EEEvSW_, .Lfunc_end219-_ZN7rocprim17ROCPRIM_400000_NS6detail17trampoline_kernelINS0_14default_configENS1_27upper_bound_config_selectorIxlEEZNS1_14transform_implILb0ES3_S5_N6thrust23THRUST_200600_302600_NS6detail15normal_iteratorINS8_7pointerIxNS8_11hip_rocprim5par_tENS8_11use_defaultESE_EEEENSA_INSB_IlSD_SE_SE_EEEEZNS1_13binary_searchIS3_S5_PxSG_SI_NS1_21upper_bound_search_opENS9_16wrapped_functionINS8_6system6detail7generic6detail18binary_search_lessEbEEEE10hipError_tPvRmT1_T2_T3_mmT4_T5_P12ihipStream_tbEUlRKxE_EEST_SX_SY_mSZ_S12_bEUlT_E_NS1_11comp_targetILNS1_3genE9ELNS1_11target_archE1100ELNS1_3gpuE3ELNS1_3repE0EEENS1_30default_config_static_selectorELNS0_4arch9wavefront6targetE1EEEvSW_
                                        ; -- End function
	.set _ZN7rocprim17ROCPRIM_400000_NS6detail17trampoline_kernelINS0_14default_configENS1_27upper_bound_config_selectorIxlEEZNS1_14transform_implILb0ES3_S5_N6thrust23THRUST_200600_302600_NS6detail15normal_iteratorINS8_7pointerIxNS8_11hip_rocprim5par_tENS8_11use_defaultESE_EEEENSA_INSB_IlSD_SE_SE_EEEEZNS1_13binary_searchIS3_S5_PxSG_SI_NS1_21upper_bound_search_opENS9_16wrapped_functionINS8_6system6detail7generic6detail18binary_search_lessEbEEEE10hipError_tPvRmT1_T2_T3_mmT4_T5_P12ihipStream_tbEUlRKxE_EEST_SX_SY_mSZ_S12_bEUlT_E_NS1_11comp_targetILNS1_3genE9ELNS1_11target_archE1100ELNS1_3gpuE3ELNS1_3repE0EEENS1_30default_config_static_selectorELNS0_4arch9wavefront6targetE1EEEvSW_.num_vgpr, 0
	.set _ZN7rocprim17ROCPRIM_400000_NS6detail17trampoline_kernelINS0_14default_configENS1_27upper_bound_config_selectorIxlEEZNS1_14transform_implILb0ES3_S5_N6thrust23THRUST_200600_302600_NS6detail15normal_iteratorINS8_7pointerIxNS8_11hip_rocprim5par_tENS8_11use_defaultESE_EEEENSA_INSB_IlSD_SE_SE_EEEEZNS1_13binary_searchIS3_S5_PxSG_SI_NS1_21upper_bound_search_opENS9_16wrapped_functionINS8_6system6detail7generic6detail18binary_search_lessEbEEEE10hipError_tPvRmT1_T2_T3_mmT4_T5_P12ihipStream_tbEUlRKxE_EEST_SX_SY_mSZ_S12_bEUlT_E_NS1_11comp_targetILNS1_3genE9ELNS1_11target_archE1100ELNS1_3gpuE3ELNS1_3repE0EEENS1_30default_config_static_selectorELNS0_4arch9wavefront6targetE1EEEvSW_.num_agpr, 0
	.set _ZN7rocprim17ROCPRIM_400000_NS6detail17trampoline_kernelINS0_14default_configENS1_27upper_bound_config_selectorIxlEEZNS1_14transform_implILb0ES3_S5_N6thrust23THRUST_200600_302600_NS6detail15normal_iteratorINS8_7pointerIxNS8_11hip_rocprim5par_tENS8_11use_defaultESE_EEEENSA_INSB_IlSD_SE_SE_EEEEZNS1_13binary_searchIS3_S5_PxSG_SI_NS1_21upper_bound_search_opENS9_16wrapped_functionINS8_6system6detail7generic6detail18binary_search_lessEbEEEE10hipError_tPvRmT1_T2_T3_mmT4_T5_P12ihipStream_tbEUlRKxE_EEST_SX_SY_mSZ_S12_bEUlT_E_NS1_11comp_targetILNS1_3genE9ELNS1_11target_archE1100ELNS1_3gpuE3ELNS1_3repE0EEENS1_30default_config_static_selectorELNS0_4arch9wavefront6targetE1EEEvSW_.numbered_sgpr, 0
	.set _ZN7rocprim17ROCPRIM_400000_NS6detail17trampoline_kernelINS0_14default_configENS1_27upper_bound_config_selectorIxlEEZNS1_14transform_implILb0ES3_S5_N6thrust23THRUST_200600_302600_NS6detail15normal_iteratorINS8_7pointerIxNS8_11hip_rocprim5par_tENS8_11use_defaultESE_EEEENSA_INSB_IlSD_SE_SE_EEEEZNS1_13binary_searchIS3_S5_PxSG_SI_NS1_21upper_bound_search_opENS9_16wrapped_functionINS8_6system6detail7generic6detail18binary_search_lessEbEEEE10hipError_tPvRmT1_T2_T3_mmT4_T5_P12ihipStream_tbEUlRKxE_EEST_SX_SY_mSZ_S12_bEUlT_E_NS1_11comp_targetILNS1_3genE9ELNS1_11target_archE1100ELNS1_3gpuE3ELNS1_3repE0EEENS1_30default_config_static_selectorELNS0_4arch9wavefront6targetE1EEEvSW_.num_named_barrier, 0
	.set _ZN7rocprim17ROCPRIM_400000_NS6detail17trampoline_kernelINS0_14default_configENS1_27upper_bound_config_selectorIxlEEZNS1_14transform_implILb0ES3_S5_N6thrust23THRUST_200600_302600_NS6detail15normal_iteratorINS8_7pointerIxNS8_11hip_rocprim5par_tENS8_11use_defaultESE_EEEENSA_INSB_IlSD_SE_SE_EEEEZNS1_13binary_searchIS3_S5_PxSG_SI_NS1_21upper_bound_search_opENS9_16wrapped_functionINS8_6system6detail7generic6detail18binary_search_lessEbEEEE10hipError_tPvRmT1_T2_T3_mmT4_T5_P12ihipStream_tbEUlRKxE_EEST_SX_SY_mSZ_S12_bEUlT_E_NS1_11comp_targetILNS1_3genE9ELNS1_11target_archE1100ELNS1_3gpuE3ELNS1_3repE0EEENS1_30default_config_static_selectorELNS0_4arch9wavefront6targetE1EEEvSW_.private_seg_size, 0
	.set _ZN7rocprim17ROCPRIM_400000_NS6detail17trampoline_kernelINS0_14default_configENS1_27upper_bound_config_selectorIxlEEZNS1_14transform_implILb0ES3_S5_N6thrust23THRUST_200600_302600_NS6detail15normal_iteratorINS8_7pointerIxNS8_11hip_rocprim5par_tENS8_11use_defaultESE_EEEENSA_INSB_IlSD_SE_SE_EEEEZNS1_13binary_searchIS3_S5_PxSG_SI_NS1_21upper_bound_search_opENS9_16wrapped_functionINS8_6system6detail7generic6detail18binary_search_lessEbEEEE10hipError_tPvRmT1_T2_T3_mmT4_T5_P12ihipStream_tbEUlRKxE_EEST_SX_SY_mSZ_S12_bEUlT_E_NS1_11comp_targetILNS1_3genE9ELNS1_11target_archE1100ELNS1_3gpuE3ELNS1_3repE0EEENS1_30default_config_static_selectorELNS0_4arch9wavefront6targetE1EEEvSW_.uses_vcc, 0
	.set _ZN7rocprim17ROCPRIM_400000_NS6detail17trampoline_kernelINS0_14default_configENS1_27upper_bound_config_selectorIxlEEZNS1_14transform_implILb0ES3_S5_N6thrust23THRUST_200600_302600_NS6detail15normal_iteratorINS8_7pointerIxNS8_11hip_rocprim5par_tENS8_11use_defaultESE_EEEENSA_INSB_IlSD_SE_SE_EEEEZNS1_13binary_searchIS3_S5_PxSG_SI_NS1_21upper_bound_search_opENS9_16wrapped_functionINS8_6system6detail7generic6detail18binary_search_lessEbEEEE10hipError_tPvRmT1_T2_T3_mmT4_T5_P12ihipStream_tbEUlRKxE_EEST_SX_SY_mSZ_S12_bEUlT_E_NS1_11comp_targetILNS1_3genE9ELNS1_11target_archE1100ELNS1_3gpuE3ELNS1_3repE0EEENS1_30default_config_static_selectorELNS0_4arch9wavefront6targetE1EEEvSW_.uses_flat_scratch, 0
	.set _ZN7rocprim17ROCPRIM_400000_NS6detail17trampoline_kernelINS0_14default_configENS1_27upper_bound_config_selectorIxlEEZNS1_14transform_implILb0ES3_S5_N6thrust23THRUST_200600_302600_NS6detail15normal_iteratorINS8_7pointerIxNS8_11hip_rocprim5par_tENS8_11use_defaultESE_EEEENSA_INSB_IlSD_SE_SE_EEEEZNS1_13binary_searchIS3_S5_PxSG_SI_NS1_21upper_bound_search_opENS9_16wrapped_functionINS8_6system6detail7generic6detail18binary_search_lessEbEEEE10hipError_tPvRmT1_T2_T3_mmT4_T5_P12ihipStream_tbEUlRKxE_EEST_SX_SY_mSZ_S12_bEUlT_E_NS1_11comp_targetILNS1_3genE9ELNS1_11target_archE1100ELNS1_3gpuE3ELNS1_3repE0EEENS1_30default_config_static_selectorELNS0_4arch9wavefront6targetE1EEEvSW_.has_dyn_sized_stack, 0
	.set _ZN7rocprim17ROCPRIM_400000_NS6detail17trampoline_kernelINS0_14default_configENS1_27upper_bound_config_selectorIxlEEZNS1_14transform_implILb0ES3_S5_N6thrust23THRUST_200600_302600_NS6detail15normal_iteratorINS8_7pointerIxNS8_11hip_rocprim5par_tENS8_11use_defaultESE_EEEENSA_INSB_IlSD_SE_SE_EEEEZNS1_13binary_searchIS3_S5_PxSG_SI_NS1_21upper_bound_search_opENS9_16wrapped_functionINS8_6system6detail7generic6detail18binary_search_lessEbEEEE10hipError_tPvRmT1_T2_T3_mmT4_T5_P12ihipStream_tbEUlRKxE_EEST_SX_SY_mSZ_S12_bEUlT_E_NS1_11comp_targetILNS1_3genE9ELNS1_11target_archE1100ELNS1_3gpuE3ELNS1_3repE0EEENS1_30default_config_static_selectorELNS0_4arch9wavefront6targetE1EEEvSW_.has_recursion, 0
	.set _ZN7rocprim17ROCPRIM_400000_NS6detail17trampoline_kernelINS0_14default_configENS1_27upper_bound_config_selectorIxlEEZNS1_14transform_implILb0ES3_S5_N6thrust23THRUST_200600_302600_NS6detail15normal_iteratorINS8_7pointerIxNS8_11hip_rocprim5par_tENS8_11use_defaultESE_EEEENSA_INSB_IlSD_SE_SE_EEEEZNS1_13binary_searchIS3_S5_PxSG_SI_NS1_21upper_bound_search_opENS9_16wrapped_functionINS8_6system6detail7generic6detail18binary_search_lessEbEEEE10hipError_tPvRmT1_T2_T3_mmT4_T5_P12ihipStream_tbEUlRKxE_EEST_SX_SY_mSZ_S12_bEUlT_E_NS1_11comp_targetILNS1_3genE9ELNS1_11target_archE1100ELNS1_3gpuE3ELNS1_3repE0EEENS1_30default_config_static_selectorELNS0_4arch9wavefront6targetE1EEEvSW_.has_indirect_call, 0
	.section	.AMDGPU.csdata,"",@progbits
; Kernel info:
; codeLenInByte = 0
; TotalNumSgprs: 4
; NumVgprs: 0
; ScratchSize: 0
; MemoryBound: 0
; FloatMode: 240
; IeeeMode: 1
; LDSByteSize: 0 bytes/workgroup (compile time only)
; SGPRBlocks: 0
; VGPRBlocks: 0
; NumSGPRsForWavesPerEU: 4
; NumVGPRsForWavesPerEU: 1
; Occupancy: 10
; WaveLimiterHint : 0
; COMPUTE_PGM_RSRC2:SCRATCH_EN: 0
; COMPUTE_PGM_RSRC2:USER_SGPR: 6
; COMPUTE_PGM_RSRC2:TRAP_HANDLER: 0
; COMPUTE_PGM_RSRC2:TGID_X_EN: 1
; COMPUTE_PGM_RSRC2:TGID_Y_EN: 0
; COMPUTE_PGM_RSRC2:TGID_Z_EN: 0
; COMPUTE_PGM_RSRC2:TIDIG_COMP_CNT: 0
	.section	.text._ZN7rocprim17ROCPRIM_400000_NS6detail17trampoline_kernelINS0_14default_configENS1_27upper_bound_config_selectorIxlEEZNS1_14transform_implILb0ES3_S5_N6thrust23THRUST_200600_302600_NS6detail15normal_iteratorINS8_7pointerIxNS8_11hip_rocprim5par_tENS8_11use_defaultESE_EEEENSA_INSB_IlSD_SE_SE_EEEEZNS1_13binary_searchIS3_S5_PxSG_SI_NS1_21upper_bound_search_opENS9_16wrapped_functionINS8_6system6detail7generic6detail18binary_search_lessEbEEEE10hipError_tPvRmT1_T2_T3_mmT4_T5_P12ihipStream_tbEUlRKxE_EEST_SX_SY_mSZ_S12_bEUlT_E_NS1_11comp_targetILNS1_3genE8ELNS1_11target_archE1030ELNS1_3gpuE2ELNS1_3repE0EEENS1_30default_config_static_selectorELNS0_4arch9wavefront6targetE1EEEvSW_,"axG",@progbits,_ZN7rocprim17ROCPRIM_400000_NS6detail17trampoline_kernelINS0_14default_configENS1_27upper_bound_config_selectorIxlEEZNS1_14transform_implILb0ES3_S5_N6thrust23THRUST_200600_302600_NS6detail15normal_iteratorINS8_7pointerIxNS8_11hip_rocprim5par_tENS8_11use_defaultESE_EEEENSA_INSB_IlSD_SE_SE_EEEEZNS1_13binary_searchIS3_S5_PxSG_SI_NS1_21upper_bound_search_opENS9_16wrapped_functionINS8_6system6detail7generic6detail18binary_search_lessEbEEEE10hipError_tPvRmT1_T2_T3_mmT4_T5_P12ihipStream_tbEUlRKxE_EEST_SX_SY_mSZ_S12_bEUlT_E_NS1_11comp_targetILNS1_3genE8ELNS1_11target_archE1030ELNS1_3gpuE2ELNS1_3repE0EEENS1_30default_config_static_selectorELNS0_4arch9wavefront6targetE1EEEvSW_,comdat
	.protected	_ZN7rocprim17ROCPRIM_400000_NS6detail17trampoline_kernelINS0_14default_configENS1_27upper_bound_config_selectorIxlEEZNS1_14transform_implILb0ES3_S5_N6thrust23THRUST_200600_302600_NS6detail15normal_iteratorINS8_7pointerIxNS8_11hip_rocprim5par_tENS8_11use_defaultESE_EEEENSA_INSB_IlSD_SE_SE_EEEEZNS1_13binary_searchIS3_S5_PxSG_SI_NS1_21upper_bound_search_opENS9_16wrapped_functionINS8_6system6detail7generic6detail18binary_search_lessEbEEEE10hipError_tPvRmT1_T2_T3_mmT4_T5_P12ihipStream_tbEUlRKxE_EEST_SX_SY_mSZ_S12_bEUlT_E_NS1_11comp_targetILNS1_3genE8ELNS1_11target_archE1030ELNS1_3gpuE2ELNS1_3repE0EEENS1_30default_config_static_selectorELNS0_4arch9wavefront6targetE1EEEvSW_ ; -- Begin function _ZN7rocprim17ROCPRIM_400000_NS6detail17trampoline_kernelINS0_14default_configENS1_27upper_bound_config_selectorIxlEEZNS1_14transform_implILb0ES3_S5_N6thrust23THRUST_200600_302600_NS6detail15normal_iteratorINS8_7pointerIxNS8_11hip_rocprim5par_tENS8_11use_defaultESE_EEEENSA_INSB_IlSD_SE_SE_EEEEZNS1_13binary_searchIS3_S5_PxSG_SI_NS1_21upper_bound_search_opENS9_16wrapped_functionINS8_6system6detail7generic6detail18binary_search_lessEbEEEE10hipError_tPvRmT1_T2_T3_mmT4_T5_P12ihipStream_tbEUlRKxE_EEST_SX_SY_mSZ_S12_bEUlT_E_NS1_11comp_targetILNS1_3genE8ELNS1_11target_archE1030ELNS1_3gpuE2ELNS1_3repE0EEENS1_30default_config_static_selectorELNS0_4arch9wavefront6targetE1EEEvSW_
	.globl	_ZN7rocprim17ROCPRIM_400000_NS6detail17trampoline_kernelINS0_14default_configENS1_27upper_bound_config_selectorIxlEEZNS1_14transform_implILb0ES3_S5_N6thrust23THRUST_200600_302600_NS6detail15normal_iteratorINS8_7pointerIxNS8_11hip_rocprim5par_tENS8_11use_defaultESE_EEEENSA_INSB_IlSD_SE_SE_EEEEZNS1_13binary_searchIS3_S5_PxSG_SI_NS1_21upper_bound_search_opENS9_16wrapped_functionINS8_6system6detail7generic6detail18binary_search_lessEbEEEE10hipError_tPvRmT1_T2_T3_mmT4_T5_P12ihipStream_tbEUlRKxE_EEST_SX_SY_mSZ_S12_bEUlT_E_NS1_11comp_targetILNS1_3genE8ELNS1_11target_archE1030ELNS1_3gpuE2ELNS1_3repE0EEENS1_30default_config_static_selectorELNS0_4arch9wavefront6targetE1EEEvSW_
	.p2align	8
	.type	_ZN7rocprim17ROCPRIM_400000_NS6detail17trampoline_kernelINS0_14default_configENS1_27upper_bound_config_selectorIxlEEZNS1_14transform_implILb0ES3_S5_N6thrust23THRUST_200600_302600_NS6detail15normal_iteratorINS8_7pointerIxNS8_11hip_rocprim5par_tENS8_11use_defaultESE_EEEENSA_INSB_IlSD_SE_SE_EEEEZNS1_13binary_searchIS3_S5_PxSG_SI_NS1_21upper_bound_search_opENS9_16wrapped_functionINS8_6system6detail7generic6detail18binary_search_lessEbEEEE10hipError_tPvRmT1_T2_T3_mmT4_T5_P12ihipStream_tbEUlRKxE_EEST_SX_SY_mSZ_S12_bEUlT_E_NS1_11comp_targetILNS1_3genE8ELNS1_11target_archE1030ELNS1_3gpuE2ELNS1_3repE0EEENS1_30default_config_static_selectorELNS0_4arch9wavefront6targetE1EEEvSW_,@function
_ZN7rocprim17ROCPRIM_400000_NS6detail17trampoline_kernelINS0_14default_configENS1_27upper_bound_config_selectorIxlEEZNS1_14transform_implILb0ES3_S5_N6thrust23THRUST_200600_302600_NS6detail15normal_iteratorINS8_7pointerIxNS8_11hip_rocprim5par_tENS8_11use_defaultESE_EEEENSA_INSB_IlSD_SE_SE_EEEEZNS1_13binary_searchIS3_S5_PxSG_SI_NS1_21upper_bound_search_opENS9_16wrapped_functionINS8_6system6detail7generic6detail18binary_search_lessEbEEEE10hipError_tPvRmT1_T2_T3_mmT4_T5_P12ihipStream_tbEUlRKxE_EEST_SX_SY_mSZ_S12_bEUlT_E_NS1_11comp_targetILNS1_3genE8ELNS1_11target_archE1030ELNS1_3gpuE2ELNS1_3repE0EEENS1_30default_config_static_selectorELNS0_4arch9wavefront6targetE1EEEvSW_: ; @_ZN7rocprim17ROCPRIM_400000_NS6detail17trampoline_kernelINS0_14default_configENS1_27upper_bound_config_selectorIxlEEZNS1_14transform_implILb0ES3_S5_N6thrust23THRUST_200600_302600_NS6detail15normal_iteratorINS8_7pointerIxNS8_11hip_rocprim5par_tENS8_11use_defaultESE_EEEENSA_INSB_IlSD_SE_SE_EEEEZNS1_13binary_searchIS3_S5_PxSG_SI_NS1_21upper_bound_search_opENS9_16wrapped_functionINS8_6system6detail7generic6detail18binary_search_lessEbEEEE10hipError_tPvRmT1_T2_T3_mmT4_T5_P12ihipStream_tbEUlRKxE_EEST_SX_SY_mSZ_S12_bEUlT_E_NS1_11comp_targetILNS1_3genE8ELNS1_11target_archE1030ELNS1_3gpuE2ELNS1_3repE0EEENS1_30default_config_static_selectorELNS0_4arch9wavefront6targetE1EEEvSW_
; %bb.0:
	.section	.rodata,"a",@progbits
	.p2align	6, 0x0
	.amdhsa_kernel _ZN7rocprim17ROCPRIM_400000_NS6detail17trampoline_kernelINS0_14default_configENS1_27upper_bound_config_selectorIxlEEZNS1_14transform_implILb0ES3_S5_N6thrust23THRUST_200600_302600_NS6detail15normal_iteratorINS8_7pointerIxNS8_11hip_rocprim5par_tENS8_11use_defaultESE_EEEENSA_INSB_IlSD_SE_SE_EEEEZNS1_13binary_searchIS3_S5_PxSG_SI_NS1_21upper_bound_search_opENS9_16wrapped_functionINS8_6system6detail7generic6detail18binary_search_lessEbEEEE10hipError_tPvRmT1_T2_T3_mmT4_T5_P12ihipStream_tbEUlRKxE_EEST_SX_SY_mSZ_S12_bEUlT_E_NS1_11comp_targetILNS1_3genE8ELNS1_11target_archE1030ELNS1_3gpuE2ELNS1_3repE0EEENS1_30default_config_static_selectorELNS0_4arch9wavefront6targetE1EEEvSW_
		.amdhsa_group_segment_fixed_size 0
		.amdhsa_private_segment_fixed_size 0
		.amdhsa_kernarg_size 56
		.amdhsa_user_sgpr_count 6
		.amdhsa_user_sgpr_private_segment_buffer 1
		.amdhsa_user_sgpr_dispatch_ptr 0
		.amdhsa_user_sgpr_queue_ptr 0
		.amdhsa_user_sgpr_kernarg_segment_ptr 1
		.amdhsa_user_sgpr_dispatch_id 0
		.amdhsa_user_sgpr_flat_scratch_init 0
		.amdhsa_user_sgpr_private_segment_size 0
		.amdhsa_uses_dynamic_stack 0
		.amdhsa_system_sgpr_private_segment_wavefront_offset 0
		.amdhsa_system_sgpr_workgroup_id_x 1
		.amdhsa_system_sgpr_workgroup_id_y 0
		.amdhsa_system_sgpr_workgroup_id_z 0
		.amdhsa_system_sgpr_workgroup_info 0
		.amdhsa_system_vgpr_workitem_id 0
		.amdhsa_next_free_vgpr 1
		.amdhsa_next_free_sgpr 0
		.amdhsa_reserve_vcc 0
		.amdhsa_reserve_flat_scratch 0
		.amdhsa_float_round_mode_32 0
		.amdhsa_float_round_mode_16_64 0
		.amdhsa_float_denorm_mode_32 3
		.amdhsa_float_denorm_mode_16_64 3
		.amdhsa_dx10_clamp 1
		.amdhsa_ieee_mode 1
		.amdhsa_fp16_overflow 0
		.amdhsa_exception_fp_ieee_invalid_op 0
		.amdhsa_exception_fp_denorm_src 0
		.amdhsa_exception_fp_ieee_div_zero 0
		.amdhsa_exception_fp_ieee_overflow 0
		.amdhsa_exception_fp_ieee_underflow 0
		.amdhsa_exception_fp_ieee_inexact 0
		.amdhsa_exception_int_div_zero 0
	.end_amdhsa_kernel
	.section	.text._ZN7rocprim17ROCPRIM_400000_NS6detail17trampoline_kernelINS0_14default_configENS1_27upper_bound_config_selectorIxlEEZNS1_14transform_implILb0ES3_S5_N6thrust23THRUST_200600_302600_NS6detail15normal_iteratorINS8_7pointerIxNS8_11hip_rocprim5par_tENS8_11use_defaultESE_EEEENSA_INSB_IlSD_SE_SE_EEEEZNS1_13binary_searchIS3_S5_PxSG_SI_NS1_21upper_bound_search_opENS9_16wrapped_functionINS8_6system6detail7generic6detail18binary_search_lessEbEEEE10hipError_tPvRmT1_T2_T3_mmT4_T5_P12ihipStream_tbEUlRKxE_EEST_SX_SY_mSZ_S12_bEUlT_E_NS1_11comp_targetILNS1_3genE8ELNS1_11target_archE1030ELNS1_3gpuE2ELNS1_3repE0EEENS1_30default_config_static_selectorELNS0_4arch9wavefront6targetE1EEEvSW_,"axG",@progbits,_ZN7rocprim17ROCPRIM_400000_NS6detail17trampoline_kernelINS0_14default_configENS1_27upper_bound_config_selectorIxlEEZNS1_14transform_implILb0ES3_S5_N6thrust23THRUST_200600_302600_NS6detail15normal_iteratorINS8_7pointerIxNS8_11hip_rocprim5par_tENS8_11use_defaultESE_EEEENSA_INSB_IlSD_SE_SE_EEEEZNS1_13binary_searchIS3_S5_PxSG_SI_NS1_21upper_bound_search_opENS9_16wrapped_functionINS8_6system6detail7generic6detail18binary_search_lessEbEEEE10hipError_tPvRmT1_T2_T3_mmT4_T5_P12ihipStream_tbEUlRKxE_EEST_SX_SY_mSZ_S12_bEUlT_E_NS1_11comp_targetILNS1_3genE8ELNS1_11target_archE1030ELNS1_3gpuE2ELNS1_3repE0EEENS1_30default_config_static_selectorELNS0_4arch9wavefront6targetE1EEEvSW_,comdat
.Lfunc_end220:
	.size	_ZN7rocprim17ROCPRIM_400000_NS6detail17trampoline_kernelINS0_14default_configENS1_27upper_bound_config_selectorIxlEEZNS1_14transform_implILb0ES3_S5_N6thrust23THRUST_200600_302600_NS6detail15normal_iteratorINS8_7pointerIxNS8_11hip_rocprim5par_tENS8_11use_defaultESE_EEEENSA_INSB_IlSD_SE_SE_EEEEZNS1_13binary_searchIS3_S5_PxSG_SI_NS1_21upper_bound_search_opENS9_16wrapped_functionINS8_6system6detail7generic6detail18binary_search_lessEbEEEE10hipError_tPvRmT1_T2_T3_mmT4_T5_P12ihipStream_tbEUlRKxE_EEST_SX_SY_mSZ_S12_bEUlT_E_NS1_11comp_targetILNS1_3genE8ELNS1_11target_archE1030ELNS1_3gpuE2ELNS1_3repE0EEENS1_30default_config_static_selectorELNS0_4arch9wavefront6targetE1EEEvSW_, .Lfunc_end220-_ZN7rocprim17ROCPRIM_400000_NS6detail17trampoline_kernelINS0_14default_configENS1_27upper_bound_config_selectorIxlEEZNS1_14transform_implILb0ES3_S5_N6thrust23THRUST_200600_302600_NS6detail15normal_iteratorINS8_7pointerIxNS8_11hip_rocprim5par_tENS8_11use_defaultESE_EEEENSA_INSB_IlSD_SE_SE_EEEEZNS1_13binary_searchIS3_S5_PxSG_SI_NS1_21upper_bound_search_opENS9_16wrapped_functionINS8_6system6detail7generic6detail18binary_search_lessEbEEEE10hipError_tPvRmT1_T2_T3_mmT4_T5_P12ihipStream_tbEUlRKxE_EEST_SX_SY_mSZ_S12_bEUlT_E_NS1_11comp_targetILNS1_3genE8ELNS1_11target_archE1030ELNS1_3gpuE2ELNS1_3repE0EEENS1_30default_config_static_selectorELNS0_4arch9wavefront6targetE1EEEvSW_
                                        ; -- End function
	.set _ZN7rocprim17ROCPRIM_400000_NS6detail17trampoline_kernelINS0_14default_configENS1_27upper_bound_config_selectorIxlEEZNS1_14transform_implILb0ES3_S5_N6thrust23THRUST_200600_302600_NS6detail15normal_iteratorINS8_7pointerIxNS8_11hip_rocprim5par_tENS8_11use_defaultESE_EEEENSA_INSB_IlSD_SE_SE_EEEEZNS1_13binary_searchIS3_S5_PxSG_SI_NS1_21upper_bound_search_opENS9_16wrapped_functionINS8_6system6detail7generic6detail18binary_search_lessEbEEEE10hipError_tPvRmT1_T2_T3_mmT4_T5_P12ihipStream_tbEUlRKxE_EEST_SX_SY_mSZ_S12_bEUlT_E_NS1_11comp_targetILNS1_3genE8ELNS1_11target_archE1030ELNS1_3gpuE2ELNS1_3repE0EEENS1_30default_config_static_selectorELNS0_4arch9wavefront6targetE1EEEvSW_.num_vgpr, 0
	.set _ZN7rocprim17ROCPRIM_400000_NS6detail17trampoline_kernelINS0_14default_configENS1_27upper_bound_config_selectorIxlEEZNS1_14transform_implILb0ES3_S5_N6thrust23THRUST_200600_302600_NS6detail15normal_iteratorINS8_7pointerIxNS8_11hip_rocprim5par_tENS8_11use_defaultESE_EEEENSA_INSB_IlSD_SE_SE_EEEEZNS1_13binary_searchIS3_S5_PxSG_SI_NS1_21upper_bound_search_opENS9_16wrapped_functionINS8_6system6detail7generic6detail18binary_search_lessEbEEEE10hipError_tPvRmT1_T2_T3_mmT4_T5_P12ihipStream_tbEUlRKxE_EEST_SX_SY_mSZ_S12_bEUlT_E_NS1_11comp_targetILNS1_3genE8ELNS1_11target_archE1030ELNS1_3gpuE2ELNS1_3repE0EEENS1_30default_config_static_selectorELNS0_4arch9wavefront6targetE1EEEvSW_.num_agpr, 0
	.set _ZN7rocprim17ROCPRIM_400000_NS6detail17trampoline_kernelINS0_14default_configENS1_27upper_bound_config_selectorIxlEEZNS1_14transform_implILb0ES3_S5_N6thrust23THRUST_200600_302600_NS6detail15normal_iteratorINS8_7pointerIxNS8_11hip_rocprim5par_tENS8_11use_defaultESE_EEEENSA_INSB_IlSD_SE_SE_EEEEZNS1_13binary_searchIS3_S5_PxSG_SI_NS1_21upper_bound_search_opENS9_16wrapped_functionINS8_6system6detail7generic6detail18binary_search_lessEbEEEE10hipError_tPvRmT1_T2_T3_mmT4_T5_P12ihipStream_tbEUlRKxE_EEST_SX_SY_mSZ_S12_bEUlT_E_NS1_11comp_targetILNS1_3genE8ELNS1_11target_archE1030ELNS1_3gpuE2ELNS1_3repE0EEENS1_30default_config_static_selectorELNS0_4arch9wavefront6targetE1EEEvSW_.numbered_sgpr, 0
	.set _ZN7rocprim17ROCPRIM_400000_NS6detail17trampoline_kernelINS0_14default_configENS1_27upper_bound_config_selectorIxlEEZNS1_14transform_implILb0ES3_S5_N6thrust23THRUST_200600_302600_NS6detail15normal_iteratorINS8_7pointerIxNS8_11hip_rocprim5par_tENS8_11use_defaultESE_EEEENSA_INSB_IlSD_SE_SE_EEEEZNS1_13binary_searchIS3_S5_PxSG_SI_NS1_21upper_bound_search_opENS9_16wrapped_functionINS8_6system6detail7generic6detail18binary_search_lessEbEEEE10hipError_tPvRmT1_T2_T3_mmT4_T5_P12ihipStream_tbEUlRKxE_EEST_SX_SY_mSZ_S12_bEUlT_E_NS1_11comp_targetILNS1_3genE8ELNS1_11target_archE1030ELNS1_3gpuE2ELNS1_3repE0EEENS1_30default_config_static_selectorELNS0_4arch9wavefront6targetE1EEEvSW_.num_named_barrier, 0
	.set _ZN7rocprim17ROCPRIM_400000_NS6detail17trampoline_kernelINS0_14default_configENS1_27upper_bound_config_selectorIxlEEZNS1_14transform_implILb0ES3_S5_N6thrust23THRUST_200600_302600_NS6detail15normal_iteratorINS8_7pointerIxNS8_11hip_rocprim5par_tENS8_11use_defaultESE_EEEENSA_INSB_IlSD_SE_SE_EEEEZNS1_13binary_searchIS3_S5_PxSG_SI_NS1_21upper_bound_search_opENS9_16wrapped_functionINS8_6system6detail7generic6detail18binary_search_lessEbEEEE10hipError_tPvRmT1_T2_T3_mmT4_T5_P12ihipStream_tbEUlRKxE_EEST_SX_SY_mSZ_S12_bEUlT_E_NS1_11comp_targetILNS1_3genE8ELNS1_11target_archE1030ELNS1_3gpuE2ELNS1_3repE0EEENS1_30default_config_static_selectorELNS0_4arch9wavefront6targetE1EEEvSW_.private_seg_size, 0
	.set _ZN7rocprim17ROCPRIM_400000_NS6detail17trampoline_kernelINS0_14default_configENS1_27upper_bound_config_selectorIxlEEZNS1_14transform_implILb0ES3_S5_N6thrust23THRUST_200600_302600_NS6detail15normal_iteratorINS8_7pointerIxNS8_11hip_rocprim5par_tENS8_11use_defaultESE_EEEENSA_INSB_IlSD_SE_SE_EEEEZNS1_13binary_searchIS3_S5_PxSG_SI_NS1_21upper_bound_search_opENS9_16wrapped_functionINS8_6system6detail7generic6detail18binary_search_lessEbEEEE10hipError_tPvRmT1_T2_T3_mmT4_T5_P12ihipStream_tbEUlRKxE_EEST_SX_SY_mSZ_S12_bEUlT_E_NS1_11comp_targetILNS1_3genE8ELNS1_11target_archE1030ELNS1_3gpuE2ELNS1_3repE0EEENS1_30default_config_static_selectorELNS0_4arch9wavefront6targetE1EEEvSW_.uses_vcc, 0
	.set _ZN7rocprim17ROCPRIM_400000_NS6detail17trampoline_kernelINS0_14default_configENS1_27upper_bound_config_selectorIxlEEZNS1_14transform_implILb0ES3_S5_N6thrust23THRUST_200600_302600_NS6detail15normal_iteratorINS8_7pointerIxNS8_11hip_rocprim5par_tENS8_11use_defaultESE_EEEENSA_INSB_IlSD_SE_SE_EEEEZNS1_13binary_searchIS3_S5_PxSG_SI_NS1_21upper_bound_search_opENS9_16wrapped_functionINS8_6system6detail7generic6detail18binary_search_lessEbEEEE10hipError_tPvRmT1_T2_T3_mmT4_T5_P12ihipStream_tbEUlRKxE_EEST_SX_SY_mSZ_S12_bEUlT_E_NS1_11comp_targetILNS1_3genE8ELNS1_11target_archE1030ELNS1_3gpuE2ELNS1_3repE0EEENS1_30default_config_static_selectorELNS0_4arch9wavefront6targetE1EEEvSW_.uses_flat_scratch, 0
	.set _ZN7rocprim17ROCPRIM_400000_NS6detail17trampoline_kernelINS0_14default_configENS1_27upper_bound_config_selectorIxlEEZNS1_14transform_implILb0ES3_S5_N6thrust23THRUST_200600_302600_NS6detail15normal_iteratorINS8_7pointerIxNS8_11hip_rocprim5par_tENS8_11use_defaultESE_EEEENSA_INSB_IlSD_SE_SE_EEEEZNS1_13binary_searchIS3_S5_PxSG_SI_NS1_21upper_bound_search_opENS9_16wrapped_functionINS8_6system6detail7generic6detail18binary_search_lessEbEEEE10hipError_tPvRmT1_T2_T3_mmT4_T5_P12ihipStream_tbEUlRKxE_EEST_SX_SY_mSZ_S12_bEUlT_E_NS1_11comp_targetILNS1_3genE8ELNS1_11target_archE1030ELNS1_3gpuE2ELNS1_3repE0EEENS1_30default_config_static_selectorELNS0_4arch9wavefront6targetE1EEEvSW_.has_dyn_sized_stack, 0
	.set _ZN7rocprim17ROCPRIM_400000_NS6detail17trampoline_kernelINS0_14default_configENS1_27upper_bound_config_selectorIxlEEZNS1_14transform_implILb0ES3_S5_N6thrust23THRUST_200600_302600_NS6detail15normal_iteratorINS8_7pointerIxNS8_11hip_rocprim5par_tENS8_11use_defaultESE_EEEENSA_INSB_IlSD_SE_SE_EEEEZNS1_13binary_searchIS3_S5_PxSG_SI_NS1_21upper_bound_search_opENS9_16wrapped_functionINS8_6system6detail7generic6detail18binary_search_lessEbEEEE10hipError_tPvRmT1_T2_T3_mmT4_T5_P12ihipStream_tbEUlRKxE_EEST_SX_SY_mSZ_S12_bEUlT_E_NS1_11comp_targetILNS1_3genE8ELNS1_11target_archE1030ELNS1_3gpuE2ELNS1_3repE0EEENS1_30default_config_static_selectorELNS0_4arch9wavefront6targetE1EEEvSW_.has_recursion, 0
	.set _ZN7rocprim17ROCPRIM_400000_NS6detail17trampoline_kernelINS0_14default_configENS1_27upper_bound_config_selectorIxlEEZNS1_14transform_implILb0ES3_S5_N6thrust23THRUST_200600_302600_NS6detail15normal_iteratorINS8_7pointerIxNS8_11hip_rocprim5par_tENS8_11use_defaultESE_EEEENSA_INSB_IlSD_SE_SE_EEEEZNS1_13binary_searchIS3_S5_PxSG_SI_NS1_21upper_bound_search_opENS9_16wrapped_functionINS8_6system6detail7generic6detail18binary_search_lessEbEEEE10hipError_tPvRmT1_T2_T3_mmT4_T5_P12ihipStream_tbEUlRKxE_EEST_SX_SY_mSZ_S12_bEUlT_E_NS1_11comp_targetILNS1_3genE8ELNS1_11target_archE1030ELNS1_3gpuE2ELNS1_3repE0EEENS1_30default_config_static_selectorELNS0_4arch9wavefront6targetE1EEEvSW_.has_indirect_call, 0
	.section	.AMDGPU.csdata,"",@progbits
; Kernel info:
; codeLenInByte = 0
; TotalNumSgprs: 4
; NumVgprs: 0
; ScratchSize: 0
; MemoryBound: 0
; FloatMode: 240
; IeeeMode: 1
; LDSByteSize: 0 bytes/workgroup (compile time only)
; SGPRBlocks: 0
; VGPRBlocks: 0
; NumSGPRsForWavesPerEU: 4
; NumVGPRsForWavesPerEU: 1
; Occupancy: 10
; WaveLimiterHint : 0
; COMPUTE_PGM_RSRC2:SCRATCH_EN: 0
; COMPUTE_PGM_RSRC2:USER_SGPR: 6
; COMPUTE_PGM_RSRC2:TRAP_HANDLER: 0
; COMPUTE_PGM_RSRC2:TGID_X_EN: 1
; COMPUTE_PGM_RSRC2:TGID_Y_EN: 0
; COMPUTE_PGM_RSRC2:TGID_Z_EN: 0
; COMPUTE_PGM_RSRC2:TIDIG_COMP_CNT: 0
	.section	.text._Z18upper_bound_kernelIiEvmPT_Pl,"axG",@progbits,_Z18upper_bound_kernelIiEvmPT_Pl,comdat
	.protected	_Z18upper_bound_kernelIiEvmPT_Pl ; -- Begin function _Z18upper_bound_kernelIiEvmPT_Pl
	.globl	_Z18upper_bound_kernelIiEvmPT_Pl
	.p2align	8
	.type	_Z18upper_bound_kernelIiEvmPT_Pl,@function
_Z18upper_bound_kernelIiEvmPT_Pl:       ; @_Z18upper_bound_kernelIiEvmPT_Pl
; %bb.0:
	s_load_dwordx4 s[0:3], s[4:5], 0x0
	s_load_dwordx2 s[6:7], s[4:5], 0x10
	s_mov_b64 s[8:9], -1
	s_waitcnt lgkmcnt(0)
	s_lshl_b64 s[0:1], s[0:1], 2
	s_add_u32 s0, s2, s0
	s_addc_u32 s1, s3, s1
	s_sub_u32 s0, s0, s2
	s_subb_u32 s1, s1, s3
	s_ashr_i64 s[4:5], s[0:1], 2
	v_cmp_lt_i64_e64 s[0:1], s[4:5], 1
	s_and_b64 s[0:1], exec, s[0:1]
	s_mov_b64 vcc, s[0:1]
	s_cbranch_vccz .LBB221_2
; %bb.1:
	v_mov_b32_e32 v0, 0
	v_mov_b32_e32 v1, v0
	global_store_dwordx2 v0, v[0:1], s[6:7]
	s_mov_b64 s[8:9], 0
.LBB221_2:
	s_andn2_b64 vcc, exec, s[8:9]
	s_mov_b64 s[8:9], 0
	s_cbranch_vccnz .LBB221_7
; %bb.3:
	s_mov_b64 s[10:11], s[4:5]
.LBB221_4:                              ; =>This Inner Loop Header: Depth=1
	s_sub_u32 s12, s10, s8
	s_subb_u32 s13, s11, s9
	s_lshr_b64 s[12:13], s[12:13], 1
	s_add_u32 s12, s12, s8
	s_addc_u32 s13, s13, s9
	s_lshl_b64 s[14:15], s[12:13], 2
	s_add_u32 s14, s2, s14
	s_addc_u32 s15, s3, s15
	s_load_dword s14, s[14:15], 0x0
	s_add_u32 s15, s12, 1
	s_addc_u32 s16, s13, 0
	s_waitcnt lgkmcnt(0)
	s_cmp_gt_i32 s14, 0
	s_cselect_b32 s10, s12, s10
	s_cselect_b32 s11, s13, s11
	v_mov_b32_e32 v0, s10
	s_cselect_b32 s9, s9, s16
	s_cselect_b32 s8, s8, s15
	v_mov_b32_e32 v1, s11
	v_cmp_lt_i64_e32 vcc, s[8:9], v[0:1]
	s_cbranch_vccnz .LBB221_4
; %bb.5:
	s_lshl_b64 s[8:9], s[8:9], 2
	s_add_u32 s8, s2, s8
	s_addc_u32 s9, s3, s9
	s_sub_u32 s8, s8, s2
	s_subb_u32 s9, s9, s3
	s_ashr_i64 s[8:9], s[8:9], 2
	v_mov_b32_e32 v0, s8
	v_mov_b32_e32 v2, 0
	v_mov_b32_e32 v1, s9
	s_mov_b64 s[8:9], 0
	s_mov_b64 s[10:11], s[4:5]
	global_store_dwordx2 v2, v[0:1], s[6:7]
.LBB221_6:                              ; =>This Inner Loop Header: Depth=1
	s_sub_u32 s12, s10, s8
	s_subb_u32 s13, s11, s9
	s_lshr_b64 s[12:13], s[12:13], 1
	s_add_u32 s12, s12, s8
	s_addc_u32 s13, s13, s9
	s_lshl_b64 s[14:15], s[12:13], 2
	s_add_u32 s14, s2, s14
	s_addc_u32 s15, s3, s15
	s_load_dword s14, s[14:15], 0x0
	s_add_u32 s15, s12, 1
	s_addc_u32 s16, s13, 0
	s_waitcnt lgkmcnt(0)
	s_cmp_gt_i32 s14, 1
	s_cselect_b32 s10, s12, s10
	s_cselect_b32 s11, s13, s11
	v_mov_b32_e32 v0, s10
	s_cselect_b32 s9, s9, s16
	s_cselect_b32 s8, s8, s15
	v_mov_b32_e32 v1, s11
	v_cmp_ge_i64_e32 vcc, s[8:9], v[0:1]
	s_cbranch_vccz .LBB221_6
.LBB221_7:
	s_lshl_b64 s[8:9], s[8:9], 2
	s_add_u32 s8, s2, s8
	s_addc_u32 s9, s3, s9
	s_sub_u32 s8, s8, s2
	s_subb_u32 s9, s9, s3
	s_ashr_i64 s[8:9], s[8:9], 2
	v_mov_b32_e32 v1, s8
	v_mov_b32_e32 v0, 0
	v_mov_b32_e32 v2, s9
	s_mov_b64 s[8:9], -1
	s_mov_b64 vcc, s[0:1]
	global_store_dwordx2 v0, v[1:2], s[6:7] offset:8
	s_cbranch_vccz .LBB221_9
; %bb.8:
	v_mov_b32_e32 v1, v0
	global_store_dwordx2 v0, v[0:1], s[6:7] offset:16
	s_mov_b64 s[8:9], 0
.LBB221_9:
	s_andn2_b64 vcc, exec, s[8:9]
	s_mov_b64 s[8:9], 0
	s_cbranch_vccnz .LBB221_14
; %bb.10:
	s_mov_b64 s[10:11], s[4:5]
.LBB221_11:                             ; =>This Inner Loop Header: Depth=1
	s_sub_u32 s12, s10, s8
	s_subb_u32 s13, s11, s9
	s_lshr_b64 s[12:13], s[12:13], 1
	s_add_u32 s12, s12, s8
	s_addc_u32 s13, s13, s9
	s_lshl_b64 s[14:15], s[12:13], 2
	s_add_u32 s14, s2, s14
	s_addc_u32 s15, s3, s15
	s_load_dword s14, s[14:15], 0x0
	s_add_u32 s15, s12, 1
	s_addc_u32 s16, s13, 0
	s_waitcnt lgkmcnt(0)
	s_cmp_gt_i32 s14, 2
	s_cselect_b32 s10, s12, s10
	s_cselect_b32 s11, s13, s11
	v_mov_b32_e32 v0, s10
	s_cselect_b32 s9, s9, s16
	s_cselect_b32 s8, s8, s15
	v_mov_b32_e32 v1, s11
	v_cmp_lt_i64_e32 vcc, s[8:9], v[0:1]
	s_cbranch_vccnz .LBB221_11
; %bb.12:
	s_lshl_b64 s[8:9], s[8:9], 2
	s_add_u32 s8, s2, s8
	s_addc_u32 s9, s3, s9
	s_sub_u32 s8, s8, s2
	s_subb_u32 s9, s9, s3
	s_ashr_i64 s[8:9], s[8:9], 2
	v_mov_b32_e32 v0, s8
	v_mov_b32_e32 v2, 0
	;; [unrolled: 1-line block ×3, first 2 shown]
	s_mov_b64 s[8:9], 0
	s_mov_b64 s[10:11], s[4:5]
	global_store_dwordx2 v2, v[0:1], s[6:7] offset:16
.LBB221_13:                             ; =>This Inner Loop Header: Depth=1
	s_sub_u32 s12, s10, s8
	s_subb_u32 s13, s11, s9
	s_lshr_b64 s[12:13], s[12:13], 1
	s_add_u32 s12, s12, s8
	s_addc_u32 s13, s13, s9
	s_lshl_b64 s[14:15], s[12:13], 2
	s_add_u32 s14, s2, s14
	s_addc_u32 s15, s3, s15
	s_load_dword s14, s[14:15], 0x0
	s_add_u32 s15, s12, 1
	s_addc_u32 s16, s13, 0
	s_waitcnt lgkmcnt(0)
	s_cmp_gt_i32 s14, 3
	s_cselect_b32 s10, s12, s10
	s_cselect_b32 s11, s13, s11
	v_mov_b32_e32 v0, s10
	s_cselect_b32 s9, s9, s16
	s_cselect_b32 s8, s8, s15
	v_mov_b32_e32 v1, s11
	v_cmp_ge_i64_e32 vcc, s[8:9], v[0:1]
	s_cbranch_vccz .LBB221_13
.LBB221_14:
	s_lshl_b64 s[8:9], s[8:9], 2
	s_add_u32 s8, s2, s8
	s_addc_u32 s9, s3, s9
	s_sub_u32 s8, s8, s2
	s_subb_u32 s9, s9, s3
	s_ashr_i64 s[8:9], s[8:9], 2
	v_mov_b32_e32 v1, s8
	v_mov_b32_e32 v0, 0
	;; [unrolled: 1-line block ×3, first 2 shown]
	s_mov_b64 s[8:9], -1
	s_mov_b64 vcc, s[0:1]
	global_store_dwordx2 v0, v[1:2], s[6:7] offset:24
	s_cbranch_vccz .LBB221_16
; %bb.15:
	v_mov_b32_e32 v1, v0
	global_store_dwordx2 v0, v[0:1], s[6:7] offset:32
	s_mov_b64 s[8:9], 0
.LBB221_16:
	s_andn2_b64 vcc, exec, s[8:9]
	s_mov_b64 s[8:9], 0
	s_cbranch_vccnz .LBB221_21
; %bb.17:
	s_mov_b64 s[10:11], s[4:5]
.LBB221_18:                             ; =>This Inner Loop Header: Depth=1
	s_sub_u32 s12, s10, s8
	s_subb_u32 s13, s11, s9
	s_lshr_b64 s[12:13], s[12:13], 1
	s_add_u32 s12, s12, s8
	s_addc_u32 s13, s13, s9
	s_lshl_b64 s[14:15], s[12:13], 2
	s_add_u32 s14, s2, s14
	s_addc_u32 s15, s3, s15
	s_load_dword s14, s[14:15], 0x0
	s_add_u32 s15, s12, 1
	s_addc_u32 s16, s13, 0
	s_waitcnt lgkmcnt(0)
	s_cmp_gt_i32 s14, 4
	s_cselect_b32 s10, s12, s10
	s_cselect_b32 s11, s13, s11
	v_mov_b32_e32 v0, s10
	s_cselect_b32 s9, s9, s16
	s_cselect_b32 s8, s8, s15
	v_mov_b32_e32 v1, s11
	v_cmp_lt_i64_e32 vcc, s[8:9], v[0:1]
	s_cbranch_vccnz .LBB221_18
; %bb.19:
	s_lshl_b64 s[8:9], s[8:9], 2
	s_add_u32 s8, s2, s8
	s_addc_u32 s9, s3, s9
	s_sub_u32 s8, s8, s2
	s_subb_u32 s9, s9, s3
	s_ashr_i64 s[8:9], s[8:9], 2
	v_mov_b32_e32 v0, s8
	v_mov_b32_e32 v2, 0
	;; [unrolled: 1-line block ×3, first 2 shown]
	s_mov_b64 s[8:9], 0
	s_mov_b64 s[10:11], s[4:5]
	global_store_dwordx2 v2, v[0:1], s[6:7] offset:32
.LBB221_20:                             ; =>This Inner Loop Header: Depth=1
	s_sub_u32 s12, s10, s8
	s_subb_u32 s13, s11, s9
	s_lshr_b64 s[12:13], s[12:13], 1
	s_add_u32 s12, s12, s8
	s_addc_u32 s13, s13, s9
	s_lshl_b64 s[14:15], s[12:13], 2
	s_add_u32 s14, s2, s14
	s_addc_u32 s15, s3, s15
	s_load_dword s14, s[14:15], 0x0
	s_add_u32 s15, s12, 1
	s_addc_u32 s16, s13, 0
	s_waitcnt lgkmcnt(0)
	s_cmp_gt_i32 s14, 5
	s_cselect_b32 s10, s12, s10
	s_cselect_b32 s11, s13, s11
	v_mov_b32_e32 v0, s10
	s_cselect_b32 s9, s9, s16
	s_cselect_b32 s8, s8, s15
	v_mov_b32_e32 v1, s11
	v_cmp_ge_i64_e32 vcc, s[8:9], v[0:1]
	s_cbranch_vccz .LBB221_20
.LBB221_21:
	s_lshl_b64 s[8:9], s[8:9], 2
	s_add_u32 s8, s2, s8
	s_addc_u32 s9, s3, s9
	s_sub_u32 s8, s8, s2
	s_subb_u32 s9, s9, s3
	s_ashr_i64 s[8:9], s[8:9], 2
	v_mov_b32_e32 v1, s8
	v_mov_b32_e32 v0, 0
	;; [unrolled: 1-line block ×3, first 2 shown]
	s_mov_b64 s[8:9], -1
	s_mov_b64 vcc, s[0:1]
	global_store_dwordx2 v0, v[1:2], s[6:7] offset:40
	s_cbranch_vccz .LBB221_23
; %bb.22:
	v_mov_b32_e32 v1, v0
	global_store_dwordx2 v0, v[0:1], s[6:7] offset:48
	s_mov_b64 s[8:9], 0
.LBB221_23:
	s_andn2_b64 vcc, exec, s[8:9]
	s_mov_b64 s[8:9], 0
	s_cbranch_vccnz .LBB221_28
; %bb.24:
	s_mov_b64 s[10:11], s[4:5]
.LBB221_25:                             ; =>This Inner Loop Header: Depth=1
	s_sub_u32 s12, s10, s8
	s_subb_u32 s13, s11, s9
	s_lshr_b64 s[12:13], s[12:13], 1
	s_add_u32 s12, s12, s8
	s_addc_u32 s13, s13, s9
	s_lshl_b64 s[14:15], s[12:13], 2
	s_add_u32 s14, s2, s14
	s_addc_u32 s15, s3, s15
	s_load_dword s14, s[14:15], 0x0
	s_add_u32 s15, s12, 1
	s_addc_u32 s16, s13, 0
	s_waitcnt lgkmcnt(0)
	s_cmp_gt_i32 s14, 6
	s_cselect_b32 s10, s12, s10
	s_cselect_b32 s11, s13, s11
	v_mov_b32_e32 v0, s10
	s_cselect_b32 s9, s9, s16
	s_cselect_b32 s8, s8, s15
	v_mov_b32_e32 v1, s11
	v_cmp_lt_i64_e32 vcc, s[8:9], v[0:1]
	s_cbranch_vccnz .LBB221_25
; %bb.26:
	s_lshl_b64 s[8:9], s[8:9], 2
	s_add_u32 s8, s2, s8
	s_addc_u32 s9, s3, s9
	s_sub_u32 s8, s8, s2
	s_subb_u32 s9, s9, s3
	s_ashr_i64 s[8:9], s[8:9], 2
	v_mov_b32_e32 v0, s8
	v_mov_b32_e32 v2, 0
	;; [unrolled: 1-line block ×3, first 2 shown]
	s_mov_b64 s[8:9], 0
	s_mov_b64 s[10:11], s[4:5]
	global_store_dwordx2 v2, v[0:1], s[6:7] offset:48
.LBB221_27:                             ; =>This Inner Loop Header: Depth=1
	s_sub_u32 s12, s10, s8
	s_subb_u32 s13, s11, s9
	s_lshr_b64 s[12:13], s[12:13], 1
	s_add_u32 s12, s12, s8
	s_addc_u32 s13, s13, s9
	s_lshl_b64 s[14:15], s[12:13], 2
	s_add_u32 s14, s2, s14
	s_addc_u32 s15, s3, s15
	s_load_dword s14, s[14:15], 0x0
	s_add_u32 s15, s12, 1
	s_addc_u32 s16, s13, 0
	s_waitcnt lgkmcnt(0)
	s_cmp_gt_i32 s14, 7
	s_cselect_b32 s10, s12, s10
	s_cselect_b32 s11, s13, s11
	v_mov_b32_e32 v0, s10
	s_cselect_b32 s9, s9, s16
	s_cselect_b32 s8, s8, s15
	v_mov_b32_e32 v1, s11
	v_cmp_ge_i64_e32 vcc, s[8:9], v[0:1]
	s_cbranch_vccz .LBB221_27
.LBB221_28:
	s_lshl_b64 s[8:9], s[8:9], 2
	s_add_u32 s8, s2, s8
	s_addc_u32 s9, s3, s9
	s_sub_u32 s8, s8, s2
	s_subb_u32 s9, s9, s3
	s_ashr_i64 s[8:9], s[8:9], 2
	v_mov_b32_e32 v1, s8
	v_mov_b32_e32 v0, 0
	;; [unrolled: 1-line block ×3, first 2 shown]
	s_mov_b64 s[8:9], -1
	s_mov_b64 vcc, s[0:1]
	global_store_dwordx2 v0, v[1:2], s[6:7] offset:56
	s_cbranch_vccz .LBB221_30
; %bb.29:
	v_mov_b32_e32 v1, v0
	global_store_dwordx2 v0, v[0:1], s[6:7] offset:64
	s_mov_b64 s[8:9], 0
.LBB221_30:
	s_andn2_b64 vcc, exec, s[8:9]
	s_mov_b64 s[0:1], 0
	s_cbranch_vccnz .LBB221_35
; %bb.31:
	s_mov_b64 s[8:9], s[4:5]
.LBB221_32:                             ; =>This Inner Loop Header: Depth=1
	s_sub_u32 s10, s8, s0
	s_subb_u32 s11, s9, s1
	s_lshr_b64 s[10:11], s[10:11], 1
	s_add_u32 s10, s10, s0
	s_addc_u32 s11, s11, s1
	s_lshl_b64 s[12:13], s[10:11], 2
	s_add_u32 s12, s2, s12
	s_addc_u32 s13, s3, s13
	s_load_dword s12, s[12:13], 0x0
	s_add_u32 s13, s10, 1
	s_addc_u32 s14, s11, 0
	s_waitcnt lgkmcnt(0)
	s_cmp_gt_i32 s12, 8
	s_cselect_b32 s8, s10, s8
	s_cselect_b32 s9, s11, s9
	v_mov_b32_e32 v0, s8
	s_cselect_b32 s1, s1, s14
	s_cselect_b32 s0, s0, s13
	v_mov_b32_e32 v1, s9
	v_cmp_lt_i64_e32 vcc, s[0:1], v[0:1]
	s_cbranch_vccnz .LBB221_32
; %bb.33:
	s_lshl_b64 s[0:1], s[0:1], 2
	s_add_u32 s0, s2, s0
	s_addc_u32 s1, s3, s1
	s_sub_u32 s0, s0, s2
	s_subb_u32 s1, s1, s3
	s_ashr_i64 s[0:1], s[0:1], 2
	v_mov_b32_e32 v0, s0
	v_mov_b32_e32 v2, 0
	;; [unrolled: 1-line block ×3, first 2 shown]
	s_mov_b64 s[0:1], 0
	global_store_dwordx2 v2, v[0:1], s[6:7] offset:64
.LBB221_34:                             ; =>This Inner Loop Header: Depth=1
	s_sub_u32 s8, s4, s0
	s_subb_u32 s9, s5, s1
	s_lshr_b64 s[8:9], s[8:9], 1
	s_add_u32 s8, s8, s0
	s_addc_u32 s9, s9, s1
	s_lshl_b64 s[10:11], s[8:9], 2
	s_add_u32 s10, s2, s10
	s_addc_u32 s11, s3, s11
	s_load_dword s10, s[10:11], 0x0
	s_add_u32 s11, s8, 1
	s_addc_u32 s12, s9, 0
	s_waitcnt lgkmcnt(0)
	s_cmp_gt_i32 s10, 9
	s_cselect_b32 s4, s8, s4
	s_cselect_b32 s5, s9, s5
	v_mov_b32_e32 v0, s4
	s_cselect_b32 s1, s1, s12
	s_cselect_b32 s0, s0, s11
	v_mov_b32_e32 v1, s5
	v_cmp_ge_i64_e32 vcc, s[0:1], v[0:1]
	s_cbranch_vccz .LBB221_34
.LBB221_35:
	s_lshl_b64 s[0:1], s[0:1], 2
	s_add_u32 s0, s2, s0
	s_addc_u32 s1, s3, s1
	s_sub_u32 s0, s0, s2
	s_subb_u32 s1, s1, s3
	s_ashr_i64 s[0:1], s[0:1], 2
	v_mov_b32_e32 v0, s0
	v_mov_b32_e32 v2, 0
	;; [unrolled: 1-line block ×3, first 2 shown]
	global_store_dwordx2 v2, v[0:1], s[6:7] offset:72
	s_endpgm
	.section	.rodata,"a",@progbits
	.p2align	6, 0x0
	.amdhsa_kernel _Z18upper_bound_kernelIiEvmPT_Pl
		.amdhsa_group_segment_fixed_size 0
		.amdhsa_private_segment_fixed_size 0
		.amdhsa_kernarg_size 24
		.amdhsa_user_sgpr_count 6
		.amdhsa_user_sgpr_private_segment_buffer 1
		.amdhsa_user_sgpr_dispatch_ptr 0
		.amdhsa_user_sgpr_queue_ptr 0
		.amdhsa_user_sgpr_kernarg_segment_ptr 1
		.amdhsa_user_sgpr_dispatch_id 0
		.amdhsa_user_sgpr_flat_scratch_init 0
		.amdhsa_user_sgpr_private_segment_size 0
		.amdhsa_uses_dynamic_stack 0
		.amdhsa_system_sgpr_private_segment_wavefront_offset 0
		.amdhsa_system_sgpr_workgroup_id_x 1
		.amdhsa_system_sgpr_workgroup_id_y 0
		.amdhsa_system_sgpr_workgroup_id_z 0
		.amdhsa_system_sgpr_workgroup_info 0
		.amdhsa_system_vgpr_workitem_id 0
		.amdhsa_next_free_vgpr 3
		.amdhsa_next_free_sgpr 17
		.amdhsa_reserve_vcc 1
		.amdhsa_reserve_flat_scratch 0
		.amdhsa_float_round_mode_32 0
		.amdhsa_float_round_mode_16_64 0
		.amdhsa_float_denorm_mode_32 3
		.amdhsa_float_denorm_mode_16_64 3
		.amdhsa_dx10_clamp 1
		.amdhsa_ieee_mode 1
		.amdhsa_fp16_overflow 0
		.amdhsa_exception_fp_ieee_invalid_op 0
		.amdhsa_exception_fp_denorm_src 0
		.amdhsa_exception_fp_ieee_div_zero 0
		.amdhsa_exception_fp_ieee_overflow 0
		.amdhsa_exception_fp_ieee_underflow 0
		.amdhsa_exception_fp_ieee_inexact 0
		.amdhsa_exception_int_div_zero 0
	.end_amdhsa_kernel
	.section	.text._Z18upper_bound_kernelIiEvmPT_Pl,"axG",@progbits,_Z18upper_bound_kernelIiEvmPT_Pl,comdat
.Lfunc_end221:
	.size	_Z18upper_bound_kernelIiEvmPT_Pl, .Lfunc_end221-_Z18upper_bound_kernelIiEvmPT_Pl
                                        ; -- End function
	.set _Z18upper_bound_kernelIiEvmPT_Pl.num_vgpr, 3
	.set _Z18upper_bound_kernelIiEvmPT_Pl.num_agpr, 0
	.set _Z18upper_bound_kernelIiEvmPT_Pl.numbered_sgpr, 17
	.set _Z18upper_bound_kernelIiEvmPT_Pl.num_named_barrier, 0
	.set _Z18upper_bound_kernelIiEvmPT_Pl.private_seg_size, 0
	.set _Z18upper_bound_kernelIiEvmPT_Pl.uses_vcc, 1
	.set _Z18upper_bound_kernelIiEvmPT_Pl.uses_flat_scratch, 0
	.set _Z18upper_bound_kernelIiEvmPT_Pl.has_dyn_sized_stack, 0
	.set _Z18upper_bound_kernelIiEvmPT_Pl.has_recursion, 0
	.set _Z18upper_bound_kernelIiEvmPT_Pl.has_indirect_call, 0
	.section	.AMDGPU.csdata,"",@progbits
; Kernel info:
; codeLenInByte = 1640
; TotalNumSgprs: 21
; NumVgprs: 3
; ScratchSize: 0
; MemoryBound: 0
; FloatMode: 240
; IeeeMode: 1
; LDSByteSize: 0 bytes/workgroup (compile time only)
; SGPRBlocks: 2
; VGPRBlocks: 0
; NumSGPRsForWavesPerEU: 21
; NumVGPRsForWavesPerEU: 3
; Occupancy: 10
; WaveLimiterHint : 0
; COMPUTE_PGM_RSRC2:SCRATCH_EN: 0
; COMPUTE_PGM_RSRC2:USER_SGPR: 6
; COMPUTE_PGM_RSRC2:TRAP_HANDLER: 0
; COMPUTE_PGM_RSRC2:TGID_X_EN: 1
; COMPUTE_PGM_RSRC2:TGID_Y_EN: 0
; COMPUTE_PGM_RSRC2:TGID_Z_EN: 0
; COMPUTE_PGM_RSRC2:TIDIG_COMP_CNT: 0
	.section	.text._ZN7rocprim17ROCPRIM_400000_NS6detail17trampoline_kernelINS0_14default_configENS1_27upper_bound_config_selectorIilEEZNS1_14transform_implILb0ES3_S5_N6thrust23THRUST_200600_302600_NS6detail15normal_iteratorINS8_7pointerIiNS8_11hip_rocprim5par_tENS8_11use_defaultESE_EEEENSA_INSB_IlSD_SE_SE_EEEEZNS1_13binary_searchIS3_S5_PiSG_SI_NS1_21upper_bound_search_opENS9_16wrapped_functionINS8_6system6detail7generic6detail18binary_search_lessEbEEEE10hipError_tPvRmT1_T2_T3_mmT4_T5_P12ihipStream_tbEUlRKiE_EEST_SX_SY_mSZ_S12_bEUlT_E_NS1_11comp_targetILNS1_3genE0ELNS1_11target_archE4294967295ELNS1_3gpuE0ELNS1_3repE0EEENS1_30default_config_static_selectorELNS0_4arch9wavefront6targetE1EEEvSW_,"axG",@progbits,_ZN7rocprim17ROCPRIM_400000_NS6detail17trampoline_kernelINS0_14default_configENS1_27upper_bound_config_selectorIilEEZNS1_14transform_implILb0ES3_S5_N6thrust23THRUST_200600_302600_NS6detail15normal_iteratorINS8_7pointerIiNS8_11hip_rocprim5par_tENS8_11use_defaultESE_EEEENSA_INSB_IlSD_SE_SE_EEEEZNS1_13binary_searchIS3_S5_PiSG_SI_NS1_21upper_bound_search_opENS9_16wrapped_functionINS8_6system6detail7generic6detail18binary_search_lessEbEEEE10hipError_tPvRmT1_T2_T3_mmT4_T5_P12ihipStream_tbEUlRKiE_EEST_SX_SY_mSZ_S12_bEUlT_E_NS1_11comp_targetILNS1_3genE0ELNS1_11target_archE4294967295ELNS1_3gpuE0ELNS1_3repE0EEENS1_30default_config_static_selectorELNS0_4arch9wavefront6targetE1EEEvSW_,comdat
	.protected	_ZN7rocprim17ROCPRIM_400000_NS6detail17trampoline_kernelINS0_14default_configENS1_27upper_bound_config_selectorIilEEZNS1_14transform_implILb0ES3_S5_N6thrust23THRUST_200600_302600_NS6detail15normal_iteratorINS8_7pointerIiNS8_11hip_rocprim5par_tENS8_11use_defaultESE_EEEENSA_INSB_IlSD_SE_SE_EEEEZNS1_13binary_searchIS3_S5_PiSG_SI_NS1_21upper_bound_search_opENS9_16wrapped_functionINS8_6system6detail7generic6detail18binary_search_lessEbEEEE10hipError_tPvRmT1_T2_T3_mmT4_T5_P12ihipStream_tbEUlRKiE_EEST_SX_SY_mSZ_S12_bEUlT_E_NS1_11comp_targetILNS1_3genE0ELNS1_11target_archE4294967295ELNS1_3gpuE0ELNS1_3repE0EEENS1_30default_config_static_selectorELNS0_4arch9wavefront6targetE1EEEvSW_ ; -- Begin function _ZN7rocprim17ROCPRIM_400000_NS6detail17trampoline_kernelINS0_14default_configENS1_27upper_bound_config_selectorIilEEZNS1_14transform_implILb0ES3_S5_N6thrust23THRUST_200600_302600_NS6detail15normal_iteratorINS8_7pointerIiNS8_11hip_rocprim5par_tENS8_11use_defaultESE_EEEENSA_INSB_IlSD_SE_SE_EEEEZNS1_13binary_searchIS3_S5_PiSG_SI_NS1_21upper_bound_search_opENS9_16wrapped_functionINS8_6system6detail7generic6detail18binary_search_lessEbEEEE10hipError_tPvRmT1_T2_T3_mmT4_T5_P12ihipStream_tbEUlRKiE_EEST_SX_SY_mSZ_S12_bEUlT_E_NS1_11comp_targetILNS1_3genE0ELNS1_11target_archE4294967295ELNS1_3gpuE0ELNS1_3repE0EEENS1_30default_config_static_selectorELNS0_4arch9wavefront6targetE1EEEvSW_
	.globl	_ZN7rocprim17ROCPRIM_400000_NS6detail17trampoline_kernelINS0_14default_configENS1_27upper_bound_config_selectorIilEEZNS1_14transform_implILb0ES3_S5_N6thrust23THRUST_200600_302600_NS6detail15normal_iteratorINS8_7pointerIiNS8_11hip_rocprim5par_tENS8_11use_defaultESE_EEEENSA_INSB_IlSD_SE_SE_EEEEZNS1_13binary_searchIS3_S5_PiSG_SI_NS1_21upper_bound_search_opENS9_16wrapped_functionINS8_6system6detail7generic6detail18binary_search_lessEbEEEE10hipError_tPvRmT1_T2_T3_mmT4_T5_P12ihipStream_tbEUlRKiE_EEST_SX_SY_mSZ_S12_bEUlT_E_NS1_11comp_targetILNS1_3genE0ELNS1_11target_archE4294967295ELNS1_3gpuE0ELNS1_3repE0EEENS1_30default_config_static_selectorELNS0_4arch9wavefront6targetE1EEEvSW_
	.p2align	8
	.type	_ZN7rocprim17ROCPRIM_400000_NS6detail17trampoline_kernelINS0_14default_configENS1_27upper_bound_config_selectorIilEEZNS1_14transform_implILb0ES3_S5_N6thrust23THRUST_200600_302600_NS6detail15normal_iteratorINS8_7pointerIiNS8_11hip_rocprim5par_tENS8_11use_defaultESE_EEEENSA_INSB_IlSD_SE_SE_EEEEZNS1_13binary_searchIS3_S5_PiSG_SI_NS1_21upper_bound_search_opENS9_16wrapped_functionINS8_6system6detail7generic6detail18binary_search_lessEbEEEE10hipError_tPvRmT1_T2_T3_mmT4_T5_P12ihipStream_tbEUlRKiE_EEST_SX_SY_mSZ_S12_bEUlT_E_NS1_11comp_targetILNS1_3genE0ELNS1_11target_archE4294967295ELNS1_3gpuE0ELNS1_3repE0EEENS1_30default_config_static_selectorELNS0_4arch9wavefront6targetE1EEEvSW_,@function
_ZN7rocprim17ROCPRIM_400000_NS6detail17trampoline_kernelINS0_14default_configENS1_27upper_bound_config_selectorIilEEZNS1_14transform_implILb0ES3_S5_N6thrust23THRUST_200600_302600_NS6detail15normal_iteratorINS8_7pointerIiNS8_11hip_rocprim5par_tENS8_11use_defaultESE_EEEENSA_INSB_IlSD_SE_SE_EEEEZNS1_13binary_searchIS3_S5_PiSG_SI_NS1_21upper_bound_search_opENS9_16wrapped_functionINS8_6system6detail7generic6detail18binary_search_lessEbEEEE10hipError_tPvRmT1_T2_T3_mmT4_T5_P12ihipStream_tbEUlRKiE_EEST_SX_SY_mSZ_S12_bEUlT_E_NS1_11comp_targetILNS1_3genE0ELNS1_11target_archE4294967295ELNS1_3gpuE0ELNS1_3repE0EEENS1_30default_config_static_selectorELNS0_4arch9wavefront6targetE1EEEvSW_: ; @_ZN7rocprim17ROCPRIM_400000_NS6detail17trampoline_kernelINS0_14default_configENS1_27upper_bound_config_selectorIilEEZNS1_14transform_implILb0ES3_S5_N6thrust23THRUST_200600_302600_NS6detail15normal_iteratorINS8_7pointerIiNS8_11hip_rocprim5par_tENS8_11use_defaultESE_EEEENSA_INSB_IlSD_SE_SE_EEEEZNS1_13binary_searchIS3_S5_PiSG_SI_NS1_21upper_bound_search_opENS9_16wrapped_functionINS8_6system6detail7generic6detail18binary_search_lessEbEEEE10hipError_tPvRmT1_T2_T3_mmT4_T5_P12ihipStream_tbEUlRKiE_EEST_SX_SY_mSZ_S12_bEUlT_E_NS1_11comp_targetILNS1_3genE0ELNS1_11target_archE4294967295ELNS1_3gpuE0ELNS1_3repE0EEENS1_30default_config_static_selectorELNS0_4arch9wavefront6targetE1EEEvSW_
; %bb.0:
	.section	.rodata,"a",@progbits
	.p2align	6, 0x0
	.amdhsa_kernel _ZN7rocprim17ROCPRIM_400000_NS6detail17trampoline_kernelINS0_14default_configENS1_27upper_bound_config_selectorIilEEZNS1_14transform_implILb0ES3_S5_N6thrust23THRUST_200600_302600_NS6detail15normal_iteratorINS8_7pointerIiNS8_11hip_rocprim5par_tENS8_11use_defaultESE_EEEENSA_INSB_IlSD_SE_SE_EEEEZNS1_13binary_searchIS3_S5_PiSG_SI_NS1_21upper_bound_search_opENS9_16wrapped_functionINS8_6system6detail7generic6detail18binary_search_lessEbEEEE10hipError_tPvRmT1_T2_T3_mmT4_T5_P12ihipStream_tbEUlRKiE_EEST_SX_SY_mSZ_S12_bEUlT_E_NS1_11comp_targetILNS1_3genE0ELNS1_11target_archE4294967295ELNS1_3gpuE0ELNS1_3repE0EEENS1_30default_config_static_selectorELNS0_4arch9wavefront6targetE1EEEvSW_
		.amdhsa_group_segment_fixed_size 0
		.amdhsa_private_segment_fixed_size 0
		.amdhsa_kernarg_size 56
		.amdhsa_user_sgpr_count 6
		.amdhsa_user_sgpr_private_segment_buffer 1
		.amdhsa_user_sgpr_dispatch_ptr 0
		.amdhsa_user_sgpr_queue_ptr 0
		.amdhsa_user_sgpr_kernarg_segment_ptr 1
		.amdhsa_user_sgpr_dispatch_id 0
		.amdhsa_user_sgpr_flat_scratch_init 0
		.amdhsa_user_sgpr_private_segment_size 0
		.amdhsa_uses_dynamic_stack 0
		.amdhsa_system_sgpr_private_segment_wavefront_offset 0
		.amdhsa_system_sgpr_workgroup_id_x 1
		.amdhsa_system_sgpr_workgroup_id_y 0
		.amdhsa_system_sgpr_workgroup_id_z 0
		.amdhsa_system_sgpr_workgroup_info 0
		.amdhsa_system_vgpr_workitem_id 0
		.amdhsa_next_free_vgpr 1
		.amdhsa_next_free_sgpr 0
		.amdhsa_reserve_vcc 0
		.amdhsa_reserve_flat_scratch 0
		.amdhsa_float_round_mode_32 0
		.amdhsa_float_round_mode_16_64 0
		.amdhsa_float_denorm_mode_32 3
		.amdhsa_float_denorm_mode_16_64 3
		.amdhsa_dx10_clamp 1
		.amdhsa_ieee_mode 1
		.amdhsa_fp16_overflow 0
		.amdhsa_exception_fp_ieee_invalid_op 0
		.amdhsa_exception_fp_denorm_src 0
		.amdhsa_exception_fp_ieee_div_zero 0
		.amdhsa_exception_fp_ieee_overflow 0
		.amdhsa_exception_fp_ieee_underflow 0
		.amdhsa_exception_fp_ieee_inexact 0
		.amdhsa_exception_int_div_zero 0
	.end_amdhsa_kernel
	.section	.text._ZN7rocprim17ROCPRIM_400000_NS6detail17trampoline_kernelINS0_14default_configENS1_27upper_bound_config_selectorIilEEZNS1_14transform_implILb0ES3_S5_N6thrust23THRUST_200600_302600_NS6detail15normal_iteratorINS8_7pointerIiNS8_11hip_rocprim5par_tENS8_11use_defaultESE_EEEENSA_INSB_IlSD_SE_SE_EEEEZNS1_13binary_searchIS3_S5_PiSG_SI_NS1_21upper_bound_search_opENS9_16wrapped_functionINS8_6system6detail7generic6detail18binary_search_lessEbEEEE10hipError_tPvRmT1_T2_T3_mmT4_T5_P12ihipStream_tbEUlRKiE_EEST_SX_SY_mSZ_S12_bEUlT_E_NS1_11comp_targetILNS1_3genE0ELNS1_11target_archE4294967295ELNS1_3gpuE0ELNS1_3repE0EEENS1_30default_config_static_selectorELNS0_4arch9wavefront6targetE1EEEvSW_,"axG",@progbits,_ZN7rocprim17ROCPRIM_400000_NS6detail17trampoline_kernelINS0_14default_configENS1_27upper_bound_config_selectorIilEEZNS1_14transform_implILb0ES3_S5_N6thrust23THRUST_200600_302600_NS6detail15normal_iteratorINS8_7pointerIiNS8_11hip_rocprim5par_tENS8_11use_defaultESE_EEEENSA_INSB_IlSD_SE_SE_EEEEZNS1_13binary_searchIS3_S5_PiSG_SI_NS1_21upper_bound_search_opENS9_16wrapped_functionINS8_6system6detail7generic6detail18binary_search_lessEbEEEE10hipError_tPvRmT1_T2_T3_mmT4_T5_P12ihipStream_tbEUlRKiE_EEST_SX_SY_mSZ_S12_bEUlT_E_NS1_11comp_targetILNS1_3genE0ELNS1_11target_archE4294967295ELNS1_3gpuE0ELNS1_3repE0EEENS1_30default_config_static_selectorELNS0_4arch9wavefront6targetE1EEEvSW_,comdat
.Lfunc_end222:
	.size	_ZN7rocprim17ROCPRIM_400000_NS6detail17trampoline_kernelINS0_14default_configENS1_27upper_bound_config_selectorIilEEZNS1_14transform_implILb0ES3_S5_N6thrust23THRUST_200600_302600_NS6detail15normal_iteratorINS8_7pointerIiNS8_11hip_rocprim5par_tENS8_11use_defaultESE_EEEENSA_INSB_IlSD_SE_SE_EEEEZNS1_13binary_searchIS3_S5_PiSG_SI_NS1_21upper_bound_search_opENS9_16wrapped_functionINS8_6system6detail7generic6detail18binary_search_lessEbEEEE10hipError_tPvRmT1_T2_T3_mmT4_T5_P12ihipStream_tbEUlRKiE_EEST_SX_SY_mSZ_S12_bEUlT_E_NS1_11comp_targetILNS1_3genE0ELNS1_11target_archE4294967295ELNS1_3gpuE0ELNS1_3repE0EEENS1_30default_config_static_selectorELNS0_4arch9wavefront6targetE1EEEvSW_, .Lfunc_end222-_ZN7rocprim17ROCPRIM_400000_NS6detail17trampoline_kernelINS0_14default_configENS1_27upper_bound_config_selectorIilEEZNS1_14transform_implILb0ES3_S5_N6thrust23THRUST_200600_302600_NS6detail15normal_iteratorINS8_7pointerIiNS8_11hip_rocprim5par_tENS8_11use_defaultESE_EEEENSA_INSB_IlSD_SE_SE_EEEEZNS1_13binary_searchIS3_S5_PiSG_SI_NS1_21upper_bound_search_opENS9_16wrapped_functionINS8_6system6detail7generic6detail18binary_search_lessEbEEEE10hipError_tPvRmT1_T2_T3_mmT4_T5_P12ihipStream_tbEUlRKiE_EEST_SX_SY_mSZ_S12_bEUlT_E_NS1_11comp_targetILNS1_3genE0ELNS1_11target_archE4294967295ELNS1_3gpuE0ELNS1_3repE0EEENS1_30default_config_static_selectorELNS0_4arch9wavefront6targetE1EEEvSW_
                                        ; -- End function
	.set _ZN7rocprim17ROCPRIM_400000_NS6detail17trampoline_kernelINS0_14default_configENS1_27upper_bound_config_selectorIilEEZNS1_14transform_implILb0ES3_S5_N6thrust23THRUST_200600_302600_NS6detail15normal_iteratorINS8_7pointerIiNS8_11hip_rocprim5par_tENS8_11use_defaultESE_EEEENSA_INSB_IlSD_SE_SE_EEEEZNS1_13binary_searchIS3_S5_PiSG_SI_NS1_21upper_bound_search_opENS9_16wrapped_functionINS8_6system6detail7generic6detail18binary_search_lessEbEEEE10hipError_tPvRmT1_T2_T3_mmT4_T5_P12ihipStream_tbEUlRKiE_EEST_SX_SY_mSZ_S12_bEUlT_E_NS1_11comp_targetILNS1_3genE0ELNS1_11target_archE4294967295ELNS1_3gpuE0ELNS1_3repE0EEENS1_30default_config_static_selectorELNS0_4arch9wavefront6targetE1EEEvSW_.num_vgpr, 0
	.set _ZN7rocprim17ROCPRIM_400000_NS6detail17trampoline_kernelINS0_14default_configENS1_27upper_bound_config_selectorIilEEZNS1_14transform_implILb0ES3_S5_N6thrust23THRUST_200600_302600_NS6detail15normal_iteratorINS8_7pointerIiNS8_11hip_rocprim5par_tENS8_11use_defaultESE_EEEENSA_INSB_IlSD_SE_SE_EEEEZNS1_13binary_searchIS3_S5_PiSG_SI_NS1_21upper_bound_search_opENS9_16wrapped_functionINS8_6system6detail7generic6detail18binary_search_lessEbEEEE10hipError_tPvRmT1_T2_T3_mmT4_T5_P12ihipStream_tbEUlRKiE_EEST_SX_SY_mSZ_S12_bEUlT_E_NS1_11comp_targetILNS1_3genE0ELNS1_11target_archE4294967295ELNS1_3gpuE0ELNS1_3repE0EEENS1_30default_config_static_selectorELNS0_4arch9wavefront6targetE1EEEvSW_.num_agpr, 0
	.set _ZN7rocprim17ROCPRIM_400000_NS6detail17trampoline_kernelINS0_14default_configENS1_27upper_bound_config_selectorIilEEZNS1_14transform_implILb0ES3_S5_N6thrust23THRUST_200600_302600_NS6detail15normal_iteratorINS8_7pointerIiNS8_11hip_rocprim5par_tENS8_11use_defaultESE_EEEENSA_INSB_IlSD_SE_SE_EEEEZNS1_13binary_searchIS3_S5_PiSG_SI_NS1_21upper_bound_search_opENS9_16wrapped_functionINS8_6system6detail7generic6detail18binary_search_lessEbEEEE10hipError_tPvRmT1_T2_T3_mmT4_T5_P12ihipStream_tbEUlRKiE_EEST_SX_SY_mSZ_S12_bEUlT_E_NS1_11comp_targetILNS1_3genE0ELNS1_11target_archE4294967295ELNS1_3gpuE0ELNS1_3repE0EEENS1_30default_config_static_selectorELNS0_4arch9wavefront6targetE1EEEvSW_.numbered_sgpr, 0
	.set _ZN7rocprim17ROCPRIM_400000_NS6detail17trampoline_kernelINS0_14default_configENS1_27upper_bound_config_selectorIilEEZNS1_14transform_implILb0ES3_S5_N6thrust23THRUST_200600_302600_NS6detail15normal_iteratorINS8_7pointerIiNS8_11hip_rocprim5par_tENS8_11use_defaultESE_EEEENSA_INSB_IlSD_SE_SE_EEEEZNS1_13binary_searchIS3_S5_PiSG_SI_NS1_21upper_bound_search_opENS9_16wrapped_functionINS8_6system6detail7generic6detail18binary_search_lessEbEEEE10hipError_tPvRmT1_T2_T3_mmT4_T5_P12ihipStream_tbEUlRKiE_EEST_SX_SY_mSZ_S12_bEUlT_E_NS1_11comp_targetILNS1_3genE0ELNS1_11target_archE4294967295ELNS1_3gpuE0ELNS1_3repE0EEENS1_30default_config_static_selectorELNS0_4arch9wavefront6targetE1EEEvSW_.num_named_barrier, 0
	.set _ZN7rocprim17ROCPRIM_400000_NS6detail17trampoline_kernelINS0_14default_configENS1_27upper_bound_config_selectorIilEEZNS1_14transform_implILb0ES3_S5_N6thrust23THRUST_200600_302600_NS6detail15normal_iteratorINS8_7pointerIiNS8_11hip_rocprim5par_tENS8_11use_defaultESE_EEEENSA_INSB_IlSD_SE_SE_EEEEZNS1_13binary_searchIS3_S5_PiSG_SI_NS1_21upper_bound_search_opENS9_16wrapped_functionINS8_6system6detail7generic6detail18binary_search_lessEbEEEE10hipError_tPvRmT1_T2_T3_mmT4_T5_P12ihipStream_tbEUlRKiE_EEST_SX_SY_mSZ_S12_bEUlT_E_NS1_11comp_targetILNS1_3genE0ELNS1_11target_archE4294967295ELNS1_3gpuE0ELNS1_3repE0EEENS1_30default_config_static_selectorELNS0_4arch9wavefront6targetE1EEEvSW_.private_seg_size, 0
	.set _ZN7rocprim17ROCPRIM_400000_NS6detail17trampoline_kernelINS0_14default_configENS1_27upper_bound_config_selectorIilEEZNS1_14transform_implILb0ES3_S5_N6thrust23THRUST_200600_302600_NS6detail15normal_iteratorINS8_7pointerIiNS8_11hip_rocprim5par_tENS8_11use_defaultESE_EEEENSA_INSB_IlSD_SE_SE_EEEEZNS1_13binary_searchIS3_S5_PiSG_SI_NS1_21upper_bound_search_opENS9_16wrapped_functionINS8_6system6detail7generic6detail18binary_search_lessEbEEEE10hipError_tPvRmT1_T2_T3_mmT4_T5_P12ihipStream_tbEUlRKiE_EEST_SX_SY_mSZ_S12_bEUlT_E_NS1_11comp_targetILNS1_3genE0ELNS1_11target_archE4294967295ELNS1_3gpuE0ELNS1_3repE0EEENS1_30default_config_static_selectorELNS0_4arch9wavefront6targetE1EEEvSW_.uses_vcc, 0
	.set _ZN7rocprim17ROCPRIM_400000_NS6detail17trampoline_kernelINS0_14default_configENS1_27upper_bound_config_selectorIilEEZNS1_14transform_implILb0ES3_S5_N6thrust23THRUST_200600_302600_NS6detail15normal_iteratorINS8_7pointerIiNS8_11hip_rocprim5par_tENS8_11use_defaultESE_EEEENSA_INSB_IlSD_SE_SE_EEEEZNS1_13binary_searchIS3_S5_PiSG_SI_NS1_21upper_bound_search_opENS9_16wrapped_functionINS8_6system6detail7generic6detail18binary_search_lessEbEEEE10hipError_tPvRmT1_T2_T3_mmT4_T5_P12ihipStream_tbEUlRKiE_EEST_SX_SY_mSZ_S12_bEUlT_E_NS1_11comp_targetILNS1_3genE0ELNS1_11target_archE4294967295ELNS1_3gpuE0ELNS1_3repE0EEENS1_30default_config_static_selectorELNS0_4arch9wavefront6targetE1EEEvSW_.uses_flat_scratch, 0
	.set _ZN7rocprim17ROCPRIM_400000_NS6detail17trampoline_kernelINS0_14default_configENS1_27upper_bound_config_selectorIilEEZNS1_14transform_implILb0ES3_S5_N6thrust23THRUST_200600_302600_NS6detail15normal_iteratorINS8_7pointerIiNS8_11hip_rocprim5par_tENS8_11use_defaultESE_EEEENSA_INSB_IlSD_SE_SE_EEEEZNS1_13binary_searchIS3_S5_PiSG_SI_NS1_21upper_bound_search_opENS9_16wrapped_functionINS8_6system6detail7generic6detail18binary_search_lessEbEEEE10hipError_tPvRmT1_T2_T3_mmT4_T5_P12ihipStream_tbEUlRKiE_EEST_SX_SY_mSZ_S12_bEUlT_E_NS1_11comp_targetILNS1_3genE0ELNS1_11target_archE4294967295ELNS1_3gpuE0ELNS1_3repE0EEENS1_30default_config_static_selectorELNS0_4arch9wavefront6targetE1EEEvSW_.has_dyn_sized_stack, 0
	.set _ZN7rocprim17ROCPRIM_400000_NS6detail17trampoline_kernelINS0_14default_configENS1_27upper_bound_config_selectorIilEEZNS1_14transform_implILb0ES3_S5_N6thrust23THRUST_200600_302600_NS6detail15normal_iteratorINS8_7pointerIiNS8_11hip_rocprim5par_tENS8_11use_defaultESE_EEEENSA_INSB_IlSD_SE_SE_EEEEZNS1_13binary_searchIS3_S5_PiSG_SI_NS1_21upper_bound_search_opENS9_16wrapped_functionINS8_6system6detail7generic6detail18binary_search_lessEbEEEE10hipError_tPvRmT1_T2_T3_mmT4_T5_P12ihipStream_tbEUlRKiE_EEST_SX_SY_mSZ_S12_bEUlT_E_NS1_11comp_targetILNS1_3genE0ELNS1_11target_archE4294967295ELNS1_3gpuE0ELNS1_3repE0EEENS1_30default_config_static_selectorELNS0_4arch9wavefront6targetE1EEEvSW_.has_recursion, 0
	.set _ZN7rocprim17ROCPRIM_400000_NS6detail17trampoline_kernelINS0_14default_configENS1_27upper_bound_config_selectorIilEEZNS1_14transform_implILb0ES3_S5_N6thrust23THRUST_200600_302600_NS6detail15normal_iteratorINS8_7pointerIiNS8_11hip_rocprim5par_tENS8_11use_defaultESE_EEEENSA_INSB_IlSD_SE_SE_EEEEZNS1_13binary_searchIS3_S5_PiSG_SI_NS1_21upper_bound_search_opENS9_16wrapped_functionINS8_6system6detail7generic6detail18binary_search_lessEbEEEE10hipError_tPvRmT1_T2_T3_mmT4_T5_P12ihipStream_tbEUlRKiE_EEST_SX_SY_mSZ_S12_bEUlT_E_NS1_11comp_targetILNS1_3genE0ELNS1_11target_archE4294967295ELNS1_3gpuE0ELNS1_3repE0EEENS1_30default_config_static_selectorELNS0_4arch9wavefront6targetE1EEEvSW_.has_indirect_call, 0
	.section	.AMDGPU.csdata,"",@progbits
; Kernel info:
; codeLenInByte = 0
; TotalNumSgprs: 4
; NumVgprs: 0
; ScratchSize: 0
; MemoryBound: 0
; FloatMode: 240
; IeeeMode: 1
; LDSByteSize: 0 bytes/workgroup (compile time only)
; SGPRBlocks: 0
; VGPRBlocks: 0
; NumSGPRsForWavesPerEU: 4
; NumVGPRsForWavesPerEU: 1
; Occupancy: 10
; WaveLimiterHint : 0
; COMPUTE_PGM_RSRC2:SCRATCH_EN: 0
; COMPUTE_PGM_RSRC2:USER_SGPR: 6
; COMPUTE_PGM_RSRC2:TRAP_HANDLER: 0
; COMPUTE_PGM_RSRC2:TGID_X_EN: 1
; COMPUTE_PGM_RSRC2:TGID_Y_EN: 0
; COMPUTE_PGM_RSRC2:TGID_Z_EN: 0
; COMPUTE_PGM_RSRC2:TIDIG_COMP_CNT: 0
	.section	.text._ZN7rocprim17ROCPRIM_400000_NS6detail17trampoline_kernelINS0_14default_configENS1_27upper_bound_config_selectorIilEEZNS1_14transform_implILb0ES3_S5_N6thrust23THRUST_200600_302600_NS6detail15normal_iteratorINS8_7pointerIiNS8_11hip_rocprim5par_tENS8_11use_defaultESE_EEEENSA_INSB_IlSD_SE_SE_EEEEZNS1_13binary_searchIS3_S5_PiSG_SI_NS1_21upper_bound_search_opENS9_16wrapped_functionINS8_6system6detail7generic6detail18binary_search_lessEbEEEE10hipError_tPvRmT1_T2_T3_mmT4_T5_P12ihipStream_tbEUlRKiE_EEST_SX_SY_mSZ_S12_bEUlT_E_NS1_11comp_targetILNS1_3genE5ELNS1_11target_archE942ELNS1_3gpuE9ELNS1_3repE0EEENS1_30default_config_static_selectorELNS0_4arch9wavefront6targetE1EEEvSW_,"axG",@progbits,_ZN7rocprim17ROCPRIM_400000_NS6detail17trampoline_kernelINS0_14default_configENS1_27upper_bound_config_selectorIilEEZNS1_14transform_implILb0ES3_S5_N6thrust23THRUST_200600_302600_NS6detail15normal_iteratorINS8_7pointerIiNS8_11hip_rocprim5par_tENS8_11use_defaultESE_EEEENSA_INSB_IlSD_SE_SE_EEEEZNS1_13binary_searchIS3_S5_PiSG_SI_NS1_21upper_bound_search_opENS9_16wrapped_functionINS8_6system6detail7generic6detail18binary_search_lessEbEEEE10hipError_tPvRmT1_T2_T3_mmT4_T5_P12ihipStream_tbEUlRKiE_EEST_SX_SY_mSZ_S12_bEUlT_E_NS1_11comp_targetILNS1_3genE5ELNS1_11target_archE942ELNS1_3gpuE9ELNS1_3repE0EEENS1_30default_config_static_selectorELNS0_4arch9wavefront6targetE1EEEvSW_,comdat
	.protected	_ZN7rocprim17ROCPRIM_400000_NS6detail17trampoline_kernelINS0_14default_configENS1_27upper_bound_config_selectorIilEEZNS1_14transform_implILb0ES3_S5_N6thrust23THRUST_200600_302600_NS6detail15normal_iteratorINS8_7pointerIiNS8_11hip_rocprim5par_tENS8_11use_defaultESE_EEEENSA_INSB_IlSD_SE_SE_EEEEZNS1_13binary_searchIS3_S5_PiSG_SI_NS1_21upper_bound_search_opENS9_16wrapped_functionINS8_6system6detail7generic6detail18binary_search_lessEbEEEE10hipError_tPvRmT1_T2_T3_mmT4_T5_P12ihipStream_tbEUlRKiE_EEST_SX_SY_mSZ_S12_bEUlT_E_NS1_11comp_targetILNS1_3genE5ELNS1_11target_archE942ELNS1_3gpuE9ELNS1_3repE0EEENS1_30default_config_static_selectorELNS0_4arch9wavefront6targetE1EEEvSW_ ; -- Begin function _ZN7rocprim17ROCPRIM_400000_NS6detail17trampoline_kernelINS0_14default_configENS1_27upper_bound_config_selectorIilEEZNS1_14transform_implILb0ES3_S5_N6thrust23THRUST_200600_302600_NS6detail15normal_iteratorINS8_7pointerIiNS8_11hip_rocprim5par_tENS8_11use_defaultESE_EEEENSA_INSB_IlSD_SE_SE_EEEEZNS1_13binary_searchIS3_S5_PiSG_SI_NS1_21upper_bound_search_opENS9_16wrapped_functionINS8_6system6detail7generic6detail18binary_search_lessEbEEEE10hipError_tPvRmT1_T2_T3_mmT4_T5_P12ihipStream_tbEUlRKiE_EEST_SX_SY_mSZ_S12_bEUlT_E_NS1_11comp_targetILNS1_3genE5ELNS1_11target_archE942ELNS1_3gpuE9ELNS1_3repE0EEENS1_30default_config_static_selectorELNS0_4arch9wavefront6targetE1EEEvSW_
	.globl	_ZN7rocprim17ROCPRIM_400000_NS6detail17trampoline_kernelINS0_14default_configENS1_27upper_bound_config_selectorIilEEZNS1_14transform_implILb0ES3_S5_N6thrust23THRUST_200600_302600_NS6detail15normal_iteratorINS8_7pointerIiNS8_11hip_rocprim5par_tENS8_11use_defaultESE_EEEENSA_INSB_IlSD_SE_SE_EEEEZNS1_13binary_searchIS3_S5_PiSG_SI_NS1_21upper_bound_search_opENS9_16wrapped_functionINS8_6system6detail7generic6detail18binary_search_lessEbEEEE10hipError_tPvRmT1_T2_T3_mmT4_T5_P12ihipStream_tbEUlRKiE_EEST_SX_SY_mSZ_S12_bEUlT_E_NS1_11comp_targetILNS1_3genE5ELNS1_11target_archE942ELNS1_3gpuE9ELNS1_3repE0EEENS1_30default_config_static_selectorELNS0_4arch9wavefront6targetE1EEEvSW_
	.p2align	8
	.type	_ZN7rocprim17ROCPRIM_400000_NS6detail17trampoline_kernelINS0_14default_configENS1_27upper_bound_config_selectorIilEEZNS1_14transform_implILb0ES3_S5_N6thrust23THRUST_200600_302600_NS6detail15normal_iteratorINS8_7pointerIiNS8_11hip_rocprim5par_tENS8_11use_defaultESE_EEEENSA_INSB_IlSD_SE_SE_EEEEZNS1_13binary_searchIS3_S5_PiSG_SI_NS1_21upper_bound_search_opENS9_16wrapped_functionINS8_6system6detail7generic6detail18binary_search_lessEbEEEE10hipError_tPvRmT1_T2_T3_mmT4_T5_P12ihipStream_tbEUlRKiE_EEST_SX_SY_mSZ_S12_bEUlT_E_NS1_11comp_targetILNS1_3genE5ELNS1_11target_archE942ELNS1_3gpuE9ELNS1_3repE0EEENS1_30default_config_static_selectorELNS0_4arch9wavefront6targetE1EEEvSW_,@function
_ZN7rocprim17ROCPRIM_400000_NS6detail17trampoline_kernelINS0_14default_configENS1_27upper_bound_config_selectorIilEEZNS1_14transform_implILb0ES3_S5_N6thrust23THRUST_200600_302600_NS6detail15normal_iteratorINS8_7pointerIiNS8_11hip_rocprim5par_tENS8_11use_defaultESE_EEEENSA_INSB_IlSD_SE_SE_EEEEZNS1_13binary_searchIS3_S5_PiSG_SI_NS1_21upper_bound_search_opENS9_16wrapped_functionINS8_6system6detail7generic6detail18binary_search_lessEbEEEE10hipError_tPvRmT1_T2_T3_mmT4_T5_P12ihipStream_tbEUlRKiE_EEST_SX_SY_mSZ_S12_bEUlT_E_NS1_11comp_targetILNS1_3genE5ELNS1_11target_archE942ELNS1_3gpuE9ELNS1_3repE0EEENS1_30default_config_static_selectorELNS0_4arch9wavefront6targetE1EEEvSW_: ; @_ZN7rocprim17ROCPRIM_400000_NS6detail17trampoline_kernelINS0_14default_configENS1_27upper_bound_config_selectorIilEEZNS1_14transform_implILb0ES3_S5_N6thrust23THRUST_200600_302600_NS6detail15normal_iteratorINS8_7pointerIiNS8_11hip_rocprim5par_tENS8_11use_defaultESE_EEEENSA_INSB_IlSD_SE_SE_EEEEZNS1_13binary_searchIS3_S5_PiSG_SI_NS1_21upper_bound_search_opENS9_16wrapped_functionINS8_6system6detail7generic6detail18binary_search_lessEbEEEE10hipError_tPvRmT1_T2_T3_mmT4_T5_P12ihipStream_tbEUlRKiE_EEST_SX_SY_mSZ_S12_bEUlT_E_NS1_11comp_targetILNS1_3genE5ELNS1_11target_archE942ELNS1_3gpuE9ELNS1_3repE0EEENS1_30default_config_static_selectorELNS0_4arch9wavefront6targetE1EEEvSW_
; %bb.0:
	.section	.rodata,"a",@progbits
	.p2align	6, 0x0
	.amdhsa_kernel _ZN7rocprim17ROCPRIM_400000_NS6detail17trampoline_kernelINS0_14default_configENS1_27upper_bound_config_selectorIilEEZNS1_14transform_implILb0ES3_S5_N6thrust23THRUST_200600_302600_NS6detail15normal_iteratorINS8_7pointerIiNS8_11hip_rocprim5par_tENS8_11use_defaultESE_EEEENSA_INSB_IlSD_SE_SE_EEEEZNS1_13binary_searchIS3_S5_PiSG_SI_NS1_21upper_bound_search_opENS9_16wrapped_functionINS8_6system6detail7generic6detail18binary_search_lessEbEEEE10hipError_tPvRmT1_T2_T3_mmT4_T5_P12ihipStream_tbEUlRKiE_EEST_SX_SY_mSZ_S12_bEUlT_E_NS1_11comp_targetILNS1_3genE5ELNS1_11target_archE942ELNS1_3gpuE9ELNS1_3repE0EEENS1_30default_config_static_selectorELNS0_4arch9wavefront6targetE1EEEvSW_
		.amdhsa_group_segment_fixed_size 0
		.amdhsa_private_segment_fixed_size 0
		.amdhsa_kernarg_size 56
		.amdhsa_user_sgpr_count 6
		.amdhsa_user_sgpr_private_segment_buffer 1
		.amdhsa_user_sgpr_dispatch_ptr 0
		.amdhsa_user_sgpr_queue_ptr 0
		.amdhsa_user_sgpr_kernarg_segment_ptr 1
		.amdhsa_user_sgpr_dispatch_id 0
		.amdhsa_user_sgpr_flat_scratch_init 0
		.amdhsa_user_sgpr_private_segment_size 0
		.amdhsa_uses_dynamic_stack 0
		.amdhsa_system_sgpr_private_segment_wavefront_offset 0
		.amdhsa_system_sgpr_workgroup_id_x 1
		.amdhsa_system_sgpr_workgroup_id_y 0
		.amdhsa_system_sgpr_workgroup_id_z 0
		.amdhsa_system_sgpr_workgroup_info 0
		.amdhsa_system_vgpr_workitem_id 0
		.amdhsa_next_free_vgpr 1
		.amdhsa_next_free_sgpr 0
		.amdhsa_reserve_vcc 0
		.amdhsa_reserve_flat_scratch 0
		.amdhsa_float_round_mode_32 0
		.amdhsa_float_round_mode_16_64 0
		.amdhsa_float_denorm_mode_32 3
		.amdhsa_float_denorm_mode_16_64 3
		.amdhsa_dx10_clamp 1
		.amdhsa_ieee_mode 1
		.amdhsa_fp16_overflow 0
		.amdhsa_exception_fp_ieee_invalid_op 0
		.amdhsa_exception_fp_denorm_src 0
		.amdhsa_exception_fp_ieee_div_zero 0
		.amdhsa_exception_fp_ieee_overflow 0
		.amdhsa_exception_fp_ieee_underflow 0
		.amdhsa_exception_fp_ieee_inexact 0
		.amdhsa_exception_int_div_zero 0
	.end_amdhsa_kernel
	.section	.text._ZN7rocprim17ROCPRIM_400000_NS6detail17trampoline_kernelINS0_14default_configENS1_27upper_bound_config_selectorIilEEZNS1_14transform_implILb0ES3_S5_N6thrust23THRUST_200600_302600_NS6detail15normal_iteratorINS8_7pointerIiNS8_11hip_rocprim5par_tENS8_11use_defaultESE_EEEENSA_INSB_IlSD_SE_SE_EEEEZNS1_13binary_searchIS3_S5_PiSG_SI_NS1_21upper_bound_search_opENS9_16wrapped_functionINS8_6system6detail7generic6detail18binary_search_lessEbEEEE10hipError_tPvRmT1_T2_T3_mmT4_T5_P12ihipStream_tbEUlRKiE_EEST_SX_SY_mSZ_S12_bEUlT_E_NS1_11comp_targetILNS1_3genE5ELNS1_11target_archE942ELNS1_3gpuE9ELNS1_3repE0EEENS1_30default_config_static_selectorELNS0_4arch9wavefront6targetE1EEEvSW_,"axG",@progbits,_ZN7rocprim17ROCPRIM_400000_NS6detail17trampoline_kernelINS0_14default_configENS1_27upper_bound_config_selectorIilEEZNS1_14transform_implILb0ES3_S5_N6thrust23THRUST_200600_302600_NS6detail15normal_iteratorINS8_7pointerIiNS8_11hip_rocprim5par_tENS8_11use_defaultESE_EEEENSA_INSB_IlSD_SE_SE_EEEEZNS1_13binary_searchIS3_S5_PiSG_SI_NS1_21upper_bound_search_opENS9_16wrapped_functionINS8_6system6detail7generic6detail18binary_search_lessEbEEEE10hipError_tPvRmT1_T2_T3_mmT4_T5_P12ihipStream_tbEUlRKiE_EEST_SX_SY_mSZ_S12_bEUlT_E_NS1_11comp_targetILNS1_3genE5ELNS1_11target_archE942ELNS1_3gpuE9ELNS1_3repE0EEENS1_30default_config_static_selectorELNS0_4arch9wavefront6targetE1EEEvSW_,comdat
.Lfunc_end223:
	.size	_ZN7rocprim17ROCPRIM_400000_NS6detail17trampoline_kernelINS0_14default_configENS1_27upper_bound_config_selectorIilEEZNS1_14transform_implILb0ES3_S5_N6thrust23THRUST_200600_302600_NS6detail15normal_iteratorINS8_7pointerIiNS8_11hip_rocprim5par_tENS8_11use_defaultESE_EEEENSA_INSB_IlSD_SE_SE_EEEEZNS1_13binary_searchIS3_S5_PiSG_SI_NS1_21upper_bound_search_opENS9_16wrapped_functionINS8_6system6detail7generic6detail18binary_search_lessEbEEEE10hipError_tPvRmT1_T2_T3_mmT4_T5_P12ihipStream_tbEUlRKiE_EEST_SX_SY_mSZ_S12_bEUlT_E_NS1_11comp_targetILNS1_3genE5ELNS1_11target_archE942ELNS1_3gpuE9ELNS1_3repE0EEENS1_30default_config_static_selectorELNS0_4arch9wavefront6targetE1EEEvSW_, .Lfunc_end223-_ZN7rocprim17ROCPRIM_400000_NS6detail17trampoline_kernelINS0_14default_configENS1_27upper_bound_config_selectorIilEEZNS1_14transform_implILb0ES3_S5_N6thrust23THRUST_200600_302600_NS6detail15normal_iteratorINS8_7pointerIiNS8_11hip_rocprim5par_tENS8_11use_defaultESE_EEEENSA_INSB_IlSD_SE_SE_EEEEZNS1_13binary_searchIS3_S5_PiSG_SI_NS1_21upper_bound_search_opENS9_16wrapped_functionINS8_6system6detail7generic6detail18binary_search_lessEbEEEE10hipError_tPvRmT1_T2_T3_mmT4_T5_P12ihipStream_tbEUlRKiE_EEST_SX_SY_mSZ_S12_bEUlT_E_NS1_11comp_targetILNS1_3genE5ELNS1_11target_archE942ELNS1_3gpuE9ELNS1_3repE0EEENS1_30default_config_static_selectorELNS0_4arch9wavefront6targetE1EEEvSW_
                                        ; -- End function
	.set _ZN7rocprim17ROCPRIM_400000_NS6detail17trampoline_kernelINS0_14default_configENS1_27upper_bound_config_selectorIilEEZNS1_14transform_implILb0ES3_S5_N6thrust23THRUST_200600_302600_NS6detail15normal_iteratorINS8_7pointerIiNS8_11hip_rocprim5par_tENS8_11use_defaultESE_EEEENSA_INSB_IlSD_SE_SE_EEEEZNS1_13binary_searchIS3_S5_PiSG_SI_NS1_21upper_bound_search_opENS9_16wrapped_functionINS8_6system6detail7generic6detail18binary_search_lessEbEEEE10hipError_tPvRmT1_T2_T3_mmT4_T5_P12ihipStream_tbEUlRKiE_EEST_SX_SY_mSZ_S12_bEUlT_E_NS1_11comp_targetILNS1_3genE5ELNS1_11target_archE942ELNS1_3gpuE9ELNS1_3repE0EEENS1_30default_config_static_selectorELNS0_4arch9wavefront6targetE1EEEvSW_.num_vgpr, 0
	.set _ZN7rocprim17ROCPRIM_400000_NS6detail17trampoline_kernelINS0_14default_configENS1_27upper_bound_config_selectorIilEEZNS1_14transform_implILb0ES3_S5_N6thrust23THRUST_200600_302600_NS6detail15normal_iteratorINS8_7pointerIiNS8_11hip_rocprim5par_tENS8_11use_defaultESE_EEEENSA_INSB_IlSD_SE_SE_EEEEZNS1_13binary_searchIS3_S5_PiSG_SI_NS1_21upper_bound_search_opENS9_16wrapped_functionINS8_6system6detail7generic6detail18binary_search_lessEbEEEE10hipError_tPvRmT1_T2_T3_mmT4_T5_P12ihipStream_tbEUlRKiE_EEST_SX_SY_mSZ_S12_bEUlT_E_NS1_11comp_targetILNS1_3genE5ELNS1_11target_archE942ELNS1_3gpuE9ELNS1_3repE0EEENS1_30default_config_static_selectorELNS0_4arch9wavefront6targetE1EEEvSW_.num_agpr, 0
	.set _ZN7rocprim17ROCPRIM_400000_NS6detail17trampoline_kernelINS0_14default_configENS1_27upper_bound_config_selectorIilEEZNS1_14transform_implILb0ES3_S5_N6thrust23THRUST_200600_302600_NS6detail15normal_iteratorINS8_7pointerIiNS8_11hip_rocprim5par_tENS8_11use_defaultESE_EEEENSA_INSB_IlSD_SE_SE_EEEEZNS1_13binary_searchIS3_S5_PiSG_SI_NS1_21upper_bound_search_opENS9_16wrapped_functionINS8_6system6detail7generic6detail18binary_search_lessEbEEEE10hipError_tPvRmT1_T2_T3_mmT4_T5_P12ihipStream_tbEUlRKiE_EEST_SX_SY_mSZ_S12_bEUlT_E_NS1_11comp_targetILNS1_3genE5ELNS1_11target_archE942ELNS1_3gpuE9ELNS1_3repE0EEENS1_30default_config_static_selectorELNS0_4arch9wavefront6targetE1EEEvSW_.numbered_sgpr, 0
	.set _ZN7rocprim17ROCPRIM_400000_NS6detail17trampoline_kernelINS0_14default_configENS1_27upper_bound_config_selectorIilEEZNS1_14transform_implILb0ES3_S5_N6thrust23THRUST_200600_302600_NS6detail15normal_iteratorINS8_7pointerIiNS8_11hip_rocprim5par_tENS8_11use_defaultESE_EEEENSA_INSB_IlSD_SE_SE_EEEEZNS1_13binary_searchIS3_S5_PiSG_SI_NS1_21upper_bound_search_opENS9_16wrapped_functionINS8_6system6detail7generic6detail18binary_search_lessEbEEEE10hipError_tPvRmT1_T2_T3_mmT4_T5_P12ihipStream_tbEUlRKiE_EEST_SX_SY_mSZ_S12_bEUlT_E_NS1_11comp_targetILNS1_3genE5ELNS1_11target_archE942ELNS1_3gpuE9ELNS1_3repE0EEENS1_30default_config_static_selectorELNS0_4arch9wavefront6targetE1EEEvSW_.num_named_barrier, 0
	.set _ZN7rocprim17ROCPRIM_400000_NS6detail17trampoline_kernelINS0_14default_configENS1_27upper_bound_config_selectorIilEEZNS1_14transform_implILb0ES3_S5_N6thrust23THRUST_200600_302600_NS6detail15normal_iteratorINS8_7pointerIiNS8_11hip_rocprim5par_tENS8_11use_defaultESE_EEEENSA_INSB_IlSD_SE_SE_EEEEZNS1_13binary_searchIS3_S5_PiSG_SI_NS1_21upper_bound_search_opENS9_16wrapped_functionINS8_6system6detail7generic6detail18binary_search_lessEbEEEE10hipError_tPvRmT1_T2_T3_mmT4_T5_P12ihipStream_tbEUlRKiE_EEST_SX_SY_mSZ_S12_bEUlT_E_NS1_11comp_targetILNS1_3genE5ELNS1_11target_archE942ELNS1_3gpuE9ELNS1_3repE0EEENS1_30default_config_static_selectorELNS0_4arch9wavefront6targetE1EEEvSW_.private_seg_size, 0
	.set _ZN7rocprim17ROCPRIM_400000_NS6detail17trampoline_kernelINS0_14default_configENS1_27upper_bound_config_selectorIilEEZNS1_14transform_implILb0ES3_S5_N6thrust23THRUST_200600_302600_NS6detail15normal_iteratorINS8_7pointerIiNS8_11hip_rocprim5par_tENS8_11use_defaultESE_EEEENSA_INSB_IlSD_SE_SE_EEEEZNS1_13binary_searchIS3_S5_PiSG_SI_NS1_21upper_bound_search_opENS9_16wrapped_functionINS8_6system6detail7generic6detail18binary_search_lessEbEEEE10hipError_tPvRmT1_T2_T3_mmT4_T5_P12ihipStream_tbEUlRKiE_EEST_SX_SY_mSZ_S12_bEUlT_E_NS1_11comp_targetILNS1_3genE5ELNS1_11target_archE942ELNS1_3gpuE9ELNS1_3repE0EEENS1_30default_config_static_selectorELNS0_4arch9wavefront6targetE1EEEvSW_.uses_vcc, 0
	.set _ZN7rocprim17ROCPRIM_400000_NS6detail17trampoline_kernelINS0_14default_configENS1_27upper_bound_config_selectorIilEEZNS1_14transform_implILb0ES3_S5_N6thrust23THRUST_200600_302600_NS6detail15normal_iteratorINS8_7pointerIiNS8_11hip_rocprim5par_tENS8_11use_defaultESE_EEEENSA_INSB_IlSD_SE_SE_EEEEZNS1_13binary_searchIS3_S5_PiSG_SI_NS1_21upper_bound_search_opENS9_16wrapped_functionINS8_6system6detail7generic6detail18binary_search_lessEbEEEE10hipError_tPvRmT1_T2_T3_mmT4_T5_P12ihipStream_tbEUlRKiE_EEST_SX_SY_mSZ_S12_bEUlT_E_NS1_11comp_targetILNS1_3genE5ELNS1_11target_archE942ELNS1_3gpuE9ELNS1_3repE0EEENS1_30default_config_static_selectorELNS0_4arch9wavefront6targetE1EEEvSW_.uses_flat_scratch, 0
	.set _ZN7rocprim17ROCPRIM_400000_NS6detail17trampoline_kernelINS0_14default_configENS1_27upper_bound_config_selectorIilEEZNS1_14transform_implILb0ES3_S5_N6thrust23THRUST_200600_302600_NS6detail15normal_iteratorINS8_7pointerIiNS8_11hip_rocprim5par_tENS8_11use_defaultESE_EEEENSA_INSB_IlSD_SE_SE_EEEEZNS1_13binary_searchIS3_S5_PiSG_SI_NS1_21upper_bound_search_opENS9_16wrapped_functionINS8_6system6detail7generic6detail18binary_search_lessEbEEEE10hipError_tPvRmT1_T2_T3_mmT4_T5_P12ihipStream_tbEUlRKiE_EEST_SX_SY_mSZ_S12_bEUlT_E_NS1_11comp_targetILNS1_3genE5ELNS1_11target_archE942ELNS1_3gpuE9ELNS1_3repE0EEENS1_30default_config_static_selectorELNS0_4arch9wavefront6targetE1EEEvSW_.has_dyn_sized_stack, 0
	.set _ZN7rocprim17ROCPRIM_400000_NS6detail17trampoline_kernelINS0_14default_configENS1_27upper_bound_config_selectorIilEEZNS1_14transform_implILb0ES3_S5_N6thrust23THRUST_200600_302600_NS6detail15normal_iteratorINS8_7pointerIiNS8_11hip_rocprim5par_tENS8_11use_defaultESE_EEEENSA_INSB_IlSD_SE_SE_EEEEZNS1_13binary_searchIS3_S5_PiSG_SI_NS1_21upper_bound_search_opENS9_16wrapped_functionINS8_6system6detail7generic6detail18binary_search_lessEbEEEE10hipError_tPvRmT1_T2_T3_mmT4_T5_P12ihipStream_tbEUlRKiE_EEST_SX_SY_mSZ_S12_bEUlT_E_NS1_11comp_targetILNS1_3genE5ELNS1_11target_archE942ELNS1_3gpuE9ELNS1_3repE0EEENS1_30default_config_static_selectorELNS0_4arch9wavefront6targetE1EEEvSW_.has_recursion, 0
	.set _ZN7rocprim17ROCPRIM_400000_NS6detail17trampoline_kernelINS0_14default_configENS1_27upper_bound_config_selectorIilEEZNS1_14transform_implILb0ES3_S5_N6thrust23THRUST_200600_302600_NS6detail15normal_iteratorINS8_7pointerIiNS8_11hip_rocprim5par_tENS8_11use_defaultESE_EEEENSA_INSB_IlSD_SE_SE_EEEEZNS1_13binary_searchIS3_S5_PiSG_SI_NS1_21upper_bound_search_opENS9_16wrapped_functionINS8_6system6detail7generic6detail18binary_search_lessEbEEEE10hipError_tPvRmT1_T2_T3_mmT4_T5_P12ihipStream_tbEUlRKiE_EEST_SX_SY_mSZ_S12_bEUlT_E_NS1_11comp_targetILNS1_3genE5ELNS1_11target_archE942ELNS1_3gpuE9ELNS1_3repE0EEENS1_30default_config_static_selectorELNS0_4arch9wavefront6targetE1EEEvSW_.has_indirect_call, 0
	.section	.AMDGPU.csdata,"",@progbits
; Kernel info:
; codeLenInByte = 0
; TotalNumSgprs: 4
; NumVgprs: 0
; ScratchSize: 0
; MemoryBound: 0
; FloatMode: 240
; IeeeMode: 1
; LDSByteSize: 0 bytes/workgroup (compile time only)
; SGPRBlocks: 0
; VGPRBlocks: 0
; NumSGPRsForWavesPerEU: 4
; NumVGPRsForWavesPerEU: 1
; Occupancy: 10
; WaveLimiterHint : 0
; COMPUTE_PGM_RSRC2:SCRATCH_EN: 0
; COMPUTE_PGM_RSRC2:USER_SGPR: 6
; COMPUTE_PGM_RSRC2:TRAP_HANDLER: 0
; COMPUTE_PGM_RSRC2:TGID_X_EN: 1
; COMPUTE_PGM_RSRC2:TGID_Y_EN: 0
; COMPUTE_PGM_RSRC2:TGID_Z_EN: 0
; COMPUTE_PGM_RSRC2:TIDIG_COMP_CNT: 0
	.section	.text._ZN7rocprim17ROCPRIM_400000_NS6detail17trampoline_kernelINS0_14default_configENS1_27upper_bound_config_selectorIilEEZNS1_14transform_implILb0ES3_S5_N6thrust23THRUST_200600_302600_NS6detail15normal_iteratorINS8_7pointerIiNS8_11hip_rocprim5par_tENS8_11use_defaultESE_EEEENSA_INSB_IlSD_SE_SE_EEEEZNS1_13binary_searchIS3_S5_PiSG_SI_NS1_21upper_bound_search_opENS9_16wrapped_functionINS8_6system6detail7generic6detail18binary_search_lessEbEEEE10hipError_tPvRmT1_T2_T3_mmT4_T5_P12ihipStream_tbEUlRKiE_EEST_SX_SY_mSZ_S12_bEUlT_E_NS1_11comp_targetILNS1_3genE4ELNS1_11target_archE910ELNS1_3gpuE8ELNS1_3repE0EEENS1_30default_config_static_selectorELNS0_4arch9wavefront6targetE1EEEvSW_,"axG",@progbits,_ZN7rocprim17ROCPRIM_400000_NS6detail17trampoline_kernelINS0_14default_configENS1_27upper_bound_config_selectorIilEEZNS1_14transform_implILb0ES3_S5_N6thrust23THRUST_200600_302600_NS6detail15normal_iteratorINS8_7pointerIiNS8_11hip_rocprim5par_tENS8_11use_defaultESE_EEEENSA_INSB_IlSD_SE_SE_EEEEZNS1_13binary_searchIS3_S5_PiSG_SI_NS1_21upper_bound_search_opENS9_16wrapped_functionINS8_6system6detail7generic6detail18binary_search_lessEbEEEE10hipError_tPvRmT1_T2_T3_mmT4_T5_P12ihipStream_tbEUlRKiE_EEST_SX_SY_mSZ_S12_bEUlT_E_NS1_11comp_targetILNS1_3genE4ELNS1_11target_archE910ELNS1_3gpuE8ELNS1_3repE0EEENS1_30default_config_static_selectorELNS0_4arch9wavefront6targetE1EEEvSW_,comdat
	.protected	_ZN7rocprim17ROCPRIM_400000_NS6detail17trampoline_kernelINS0_14default_configENS1_27upper_bound_config_selectorIilEEZNS1_14transform_implILb0ES3_S5_N6thrust23THRUST_200600_302600_NS6detail15normal_iteratorINS8_7pointerIiNS8_11hip_rocprim5par_tENS8_11use_defaultESE_EEEENSA_INSB_IlSD_SE_SE_EEEEZNS1_13binary_searchIS3_S5_PiSG_SI_NS1_21upper_bound_search_opENS9_16wrapped_functionINS8_6system6detail7generic6detail18binary_search_lessEbEEEE10hipError_tPvRmT1_T2_T3_mmT4_T5_P12ihipStream_tbEUlRKiE_EEST_SX_SY_mSZ_S12_bEUlT_E_NS1_11comp_targetILNS1_3genE4ELNS1_11target_archE910ELNS1_3gpuE8ELNS1_3repE0EEENS1_30default_config_static_selectorELNS0_4arch9wavefront6targetE1EEEvSW_ ; -- Begin function _ZN7rocprim17ROCPRIM_400000_NS6detail17trampoline_kernelINS0_14default_configENS1_27upper_bound_config_selectorIilEEZNS1_14transform_implILb0ES3_S5_N6thrust23THRUST_200600_302600_NS6detail15normal_iteratorINS8_7pointerIiNS8_11hip_rocprim5par_tENS8_11use_defaultESE_EEEENSA_INSB_IlSD_SE_SE_EEEEZNS1_13binary_searchIS3_S5_PiSG_SI_NS1_21upper_bound_search_opENS9_16wrapped_functionINS8_6system6detail7generic6detail18binary_search_lessEbEEEE10hipError_tPvRmT1_T2_T3_mmT4_T5_P12ihipStream_tbEUlRKiE_EEST_SX_SY_mSZ_S12_bEUlT_E_NS1_11comp_targetILNS1_3genE4ELNS1_11target_archE910ELNS1_3gpuE8ELNS1_3repE0EEENS1_30default_config_static_selectorELNS0_4arch9wavefront6targetE1EEEvSW_
	.globl	_ZN7rocprim17ROCPRIM_400000_NS6detail17trampoline_kernelINS0_14default_configENS1_27upper_bound_config_selectorIilEEZNS1_14transform_implILb0ES3_S5_N6thrust23THRUST_200600_302600_NS6detail15normal_iteratorINS8_7pointerIiNS8_11hip_rocprim5par_tENS8_11use_defaultESE_EEEENSA_INSB_IlSD_SE_SE_EEEEZNS1_13binary_searchIS3_S5_PiSG_SI_NS1_21upper_bound_search_opENS9_16wrapped_functionINS8_6system6detail7generic6detail18binary_search_lessEbEEEE10hipError_tPvRmT1_T2_T3_mmT4_T5_P12ihipStream_tbEUlRKiE_EEST_SX_SY_mSZ_S12_bEUlT_E_NS1_11comp_targetILNS1_3genE4ELNS1_11target_archE910ELNS1_3gpuE8ELNS1_3repE0EEENS1_30default_config_static_selectorELNS0_4arch9wavefront6targetE1EEEvSW_
	.p2align	8
	.type	_ZN7rocprim17ROCPRIM_400000_NS6detail17trampoline_kernelINS0_14default_configENS1_27upper_bound_config_selectorIilEEZNS1_14transform_implILb0ES3_S5_N6thrust23THRUST_200600_302600_NS6detail15normal_iteratorINS8_7pointerIiNS8_11hip_rocprim5par_tENS8_11use_defaultESE_EEEENSA_INSB_IlSD_SE_SE_EEEEZNS1_13binary_searchIS3_S5_PiSG_SI_NS1_21upper_bound_search_opENS9_16wrapped_functionINS8_6system6detail7generic6detail18binary_search_lessEbEEEE10hipError_tPvRmT1_T2_T3_mmT4_T5_P12ihipStream_tbEUlRKiE_EEST_SX_SY_mSZ_S12_bEUlT_E_NS1_11comp_targetILNS1_3genE4ELNS1_11target_archE910ELNS1_3gpuE8ELNS1_3repE0EEENS1_30default_config_static_selectorELNS0_4arch9wavefront6targetE1EEEvSW_,@function
_ZN7rocprim17ROCPRIM_400000_NS6detail17trampoline_kernelINS0_14default_configENS1_27upper_bound_config_selectorIilEEZNS1_14transform_implILb0ES3_S5_N6thrust23THRUST_200600_302600_NS6detail15normal_iteratorINS8_7pointerIiNS8_11hip_rocprim5par_tENS8_11use_defaultESE_EEEENSA_INSB_IlSD_SE_SE_EEEEZNS1_13binary_searchIS3_S5_PiSG_SI_NS1_21upper_bound_search_opENS9_16wrapped_functionINS8_6system6detail7generic6detail18binary_search_lessEbEEEE10hipError_tPvRmT1_T2_T3_mmT4_T5_P12ihipStream_tbEUlRKiE_EEST_SX_SY_mSZ_S12_bEUlT_E_NS1_11comp_targetILNS1_3genE4ELNS1_11target_archE910ELNS1_3gpuE8ELNS1_3repE0EEENS1_30default_config_static_selectorELNS0_4arch9wavefront6targetE1EEEvSW_: ; @_ZN7rocprim17ROCPRIM_400000_NS6detail17trampoline_kernelINS0_14default_configENS1_27upper_bound_config_selectorIilEEZNS1_14transform_implILb0ES3_S5_N6thrust23THRUST_200600_302600_NS6detail15normal_iteratorINS8_7pointerIiNS8_11hip_rocprim5par_tENS8_11use_defaultESE_EEEENSA_INSB_IlSD_SE_SE_EEEEZNS1_13binary_searchIS3_S5_PiSG_SI_NS1_21upper_bound_search_opENS9_16wrapped_functionINS8_6system6detail7generic6detail18binary_search_lessEbEEEE10hipError_tPvRmT1_T2_T3_mmT4_T5_P12ihipStream_tbEUlRKiE_EEST_SX_SY_mSZ_S12_bEUlT_E_NS1_11comp_targetILNS1_3genE4ELNS1_11target_archE910ELNS1_3gpuE8ELNS1_3repE0EEENS1_30default_config_static_selectorELNS0_4arch9wavefront6targetE1EEEvSW_
; %bb.0:
	.section	.rodata,"a",@progbits
	.p2align	6, 0x0
	.amdhsa_kernel _ZN7rocprim17ROCPRIM_400000_NS6detail17trampoline_kernelINS0_14default_configENS1_27upper_bound_config_selectorIilEEZNS1_14transform_implILb0ES3_S5_N6thrust23THRUST_200600_302600_NS6detail15normal_iteratorINS8_7pointerIiNS8_11hip_rocprim5par_tENS8_11use_defaultESE_EEEENSA_INSB_IlSD_SE_SE_EEEEZNS1_13binary_searchIS3_S5_PiSG_SI_NS1_21upper_bound_search_opENS9_16wrapped_functionINS8_6system6detail7generic6detail18binary_search_lessEbEEEE10hipError_tPvRmT1_T2_T3_mmT4_T5_P12ihipStream_tbEUlRKiE_EEST_SX_SY_mSZ_S12_bEUlT_E_NS1_11comp_targetILNS1_3genE4ELNS1_11target_archE910ELNS1_3gpuE8ELNS1_3repE0EEENS1_30default_config_static_selectorELNS0_4arch9wavefront6targetE1EEEvSW_
		.amdhsa_group_segment_fixed_size 0
		.amdhsa_private_segment_fixed_size 0
		.amdhsa_kernarg_size 56
		.amdhsa_user_sgpr_count 6
		.amdhsa_user_sgpr_private_segment_buffer 1
		.amdhsa_user_sgpr_dispatch_ptr 0
		.amdhsa_user_sgpr_queue_ptr 0
		.amdhsa_user_sgpr_kernarg_segment_ptr 1
		.amdhsa_user_sgpr_dispatch_id 0
		.amdhsa_user_sgpr_flat_scratch_init 0
		.amdhsa_user_sgpr_private_segment_size 0
		.amdhsa_uses_dynamic_stack 0
		.amdhsa_system_sgpr_private_segment_wavefront_offset 0
		.amdhsa_system_sgpr_workgroup_id_x 1
		.amdhsa_system_sgpr_workgroup_id_y 0
		.amdhsa_system_sgpr_workgroup_id_z 0
		.amdhsa_system_sgpr_workgroup_info 0
		.amdhsa_system_vgpr_workitem_id 0
		.amdhsa_next_free_vgpr 1
		.amdhsa_next_free_sgpr 0
		.amdhsa_reserve_vcc 0
		.amdhsa_reserve_flat_scratch 0
		.amdhsa_float_round_mode_32 0
		.amdhsa_float_round_mode_16_64 0
		.amdhsa_float_denorm_mode_32 3
		.amdhsa_float_denorm_mode_16_64 3
		.amdhsa_dx10_clamp 1
		.amdhsa_ieee_mode 1
		.amdhsa_fp16_overflow 0
		.amdhsa_exception_fp_ieee_invalid_op 0
		.amdhsa_exception_fp_denorm_src 0
		.amdhsa_exception_fp_ieee_div_zero 0
		.amdhsa_exception_fp_ieee_overflow 0
		.amdhsa_exception_fp_ieee_underflow 0
		.amdhsa_exception_fp_ieee_inexact 0
		.amdhsa_exception_int_div_zero 0
	.end_amdhsa_kernel
	.section	.text._ZN7rocprim17ROCPRIM_400000_NS6detail17trampoline_kernelINS0_14default_configENS1_27upper_bound_config_selectorIilEEZNS1_14transform_implILb0ES3_S5_N6thrust23THRUST_200600_302600_NS6detail15normal_iteratorINS8_7pointerIiNS8_11hip_rocprim5par_tENS8_11use_defaultESE_EEEENSA_INSB_IlSD_SE_SE_EEEEZNS1_13binary_searchIS3_S5_PiSG_SI_NS1_21upper_bound_search_opENS9_16wrapped_functionINS8_6system6detail7generic6detail18binary_search_lessEbEEEE10hipError_tPvRmT1_T2_T3_mmT4_T5_P12ihipStream_tbEUlRKiE_EEST_SX_SY_mSZ_S12_bEUlT_E_NS1_11comp_targetILNS1_3genE4ELNS1_11target_archE910ELNS1_3gpuE8ELNS1_3repE0EEENS1_30default_config_static_selectorELNS0_4arch9wavefront6targetE1EEEvSW_,"axG",@progbits,_ZN7rocprim17ROCPRIM_400000_NS6detail17trampoline_kernelINS0_14default_configENS1_27upper_bound_config_selectorIilEEZNS1_14transform_implILb0ES3_S5_N6thrust23THRUST_200600_302600_NS6detail15normal_iteratorINS8_7pointerIiNS8_11hip_rocprim5par_tENS8_11use_defaultESE_EEEENSA_INSB_IlSD_SE_SE_EEEEZNS1_13binary_searchIS3_S5_PiSG_SI_NS1_21upper_bound_search_opENS9_16wrapped_functionINS8_6system6detail7generic6detail18binary_search_lessEbEEEE10hipError_tPvRmT1_T2_T3_mmT4_T5_P12ihipStream_tbEUlRKiE_EEST_SX_SY_mSZ_S12_bEUlT_E_NS1_11comp_targetILNS1_3genE4ELNS1_11target_archE910ELNS1_3gpuE8ELNS1_3repE0EEENS1_30default_config_static_selectorELNS0_4arch9wavefront6targetE1EEEvSW_,comdat
.Lfunc_end224:
	.size	_ZN7rocprim17ROCPRIM_400000_NS6detail17trampoline_kernelINS0_14default_configENS1_27upper_bound_config_selectorIilEEZNS1_14transform_implILb0ES3_S5_N6thrust23THRUST_200600_302600_NS6detail15normal_iteratorINS8_7pointerIiNS8_11hip_rocprim5par_tENS8_11use_defaultESE_EEEENSA_INSB_IlSD_SE_SE_EEEEZNS1_13binary_searchIS3_S5_PiSG_SI_NS1_21upper_bound_search_opENS9_16wrapped_functionINS8_6system6detail7generic6detail18binary_search_lessEbEEEE10hipError_tPvRmT1_T2_T3_mmT4_T5_P12ihipStream_tbEUlRKiE_EEST_SX_SY_mSZ_S12_bEUlT_E_NS1_11comp_targetILNS1_3genE4ELNS1_11target_archE910ELNS1_3gpuE8ELNS1_3repE0EEENS1_30default_config_static_selectorELNS0_4arch9wavefront6targetE1EEEvSW_, .Lfunc_end224-_ZN7rocprim17ROCPRIM_400000_NS6detail17trampoline_kernelINS0_14default_configENS1_27upper_bound_config_selectorIilEEZNS1_14transform_implILb0ES3_S5_N6thrust23THRUST_200600_302600_NS6detail15normal_iteratorINS8_7pointerIiNS8_11hip_rocprim5par_tENS8_11use_defaultESE_EEEENSA_INSB_IlSD_SE_SE_EEEEZNS1_13binary_searchIS3_S5_PiSG_SI_NS1_21upper_bound_search_opENS9_16wrapped_functionINS8_6system6detail7generic6detail18binary_search_lessEbEEEE10hipError_tPvRmT1_T2_T3_mmT4_T5_P12ihipStream_tbEUlRKiE_EEST_SX_SY_mSZ_S12_bEUlT_E_NS1_11comp_targetILNS1_3genE4ELNS1_11target_archE910ELNS1_3gpuE8ELNS1_3repE0EEENS1_30default_config_static_selectorELNS0_4arch9wavefront6targetE1EEEvSW_
                                        ; -- End function
	.set _ZN7rocprim17ROCPRIM_400000_NS6detail17trampoline_kernelINS0_14default_configENS1_27upper_bound_config_selectorIilEEZNS1_14transform_implILb0ES3_S5_N6thrust23THRUST_200600_302600_NS6detail15normal_iteratorINS8_7pointerIiNS8_11hip_rocprim5par_tENS8_11use_defaultESE_EEEENSA_INSB_IlSD_SE_SE_EEEEZNS1_13binary_searchIS3_S5_PiSG_SI_NS1_21upper_bound_search_opENS9_16wrapped_functionINS8_6system6detail7generic6detail18binary_search_lessEbEEEE10hipError_tPvRmT1_T2_T3_mmT4_T5_P12ihipStream_tbEUlRKiE_EEST_SX_SY_mSZ_S12_bEUlT_E_NS1_11comp_targetILNS1_3genE4ELNS1_11target_archE910ELNS1_3gpuE8ELNS1_3repE0EEENS1_30default_config_static_selectorELNS0_4arch9wavefront6targetE1EEEvSW_.num_vgpr, 0
	.set _ZN7rocprim17ROCPRIM_400000_NS6detail17trampoline_kernelINS0_14default_configENS1_27upper_bound_config_selectorIilEEZNS1_14transform_implILb0ES3_S5_N6thrust23THRUST_200600_302600_NS6detail15normal_iteratorINS8_7pointerIiNS8_11hip_rocprim5par_tENS8_11use_defaultESE_EEEENSA_INSB_IlSD_SE_SE_EEEEZNS1_13binary_searchIS3_S5_PiSG_SI_NS1_21upper_bound_search_opENS9_16wrapped_functionINS8_6system6detail7generic6detail18binary_search_lessEbEEEE10hipError_tPvRmT1_T2_T3_mmT4_T5_P12ihipStream_tbEUlRKiE_EEST_SX_SY_mSZ_S12_bEUlT_E_NS1_11comp_targetILNS1_3genE4ELNS1_11target_archE910ELNS1_3gpuE8ELNS1_3repE0EEENS1_30default_config_static_selectorELNS0_4arch9wavefront6targetE1EEEvSW_.num_agpr, 0
	.set _ZN7rocprim17ROCPRIM_400000_NS6detail17trampoline_kernelINS0_14default_configENS1_27upper_bound_config_selectorIilEEZNS1_14transform_implILb0ES3_S5_N6thrust23THRUST_200600_302600_NS6detail15normal_iteratorINS8_7pointerIiNS8_11hip_rocprim5par_tENS8_11use_defaultESE_EEEENSA_INSB_IlSD_SE_SE_EEEEZNS1_13binary_searchIS3_S5_PiSG_SI_NS1_21upper_bound_search_opENS9_16wrapped_functionINS8_6system6detail7generic6detail18binary_search_lessEbEEEE10hipError_tPvRmT1_T2_T3_mmT4_T5_P12ihipStream_tbEUlRKiE_EEST_SX_SY_mSZ_S12_bEUlT_E_NS1_11comp_targetILNS1_3genE4ELNS1_11target_archE910ELNS1_3gpuE8ELNS1_3repE0EEENS1_30default_config_static_selectorELNS0_4arch9wavefront6targetE1EEEvSW_.numbered_sgpr, 0
	.set _ZN7rocprim17ROCPRIM_400000_NS6detail17trampoline_kernelINS0_14default_configENS1_27upper_bound_config_selectorIilEEZNS1_14transform_implILb0ES3_S5_N6thrust23THRUST_200600_302600_NS6detail15normal_iteratorINS8_7pointerIiNS8_11hip_rocprim5par_tENS8_11use_defaultESE_EEEENSA_INSB_IlSD_SE_SE_EEEEZNS1_13binary_searchIS3_S5_PiSG_SI_NS1_21upper_bound_search_opENS9_16wrapped_functionINS8_6system6detail7generic6detail18binary_search_lessEbEEEE10hipError_tPvRmT1_T2_T3_mmT4_T5_P12ihipStream_tbEUlRKiE_EEST_SX_SY_mSZ_S12_bEUlT_E_NS1_11comp_targetILNS1_3genE4ELNS1_11target_archE910ELNS1_3gpuE8ELNS1_3repE0EEENS1_30default_config_static_selectorELNS0_4arch9wavefront6targetE1EEEvSW_.num_named_barrier, 0
	.set _ZN7rocprim17ROCPRIM_400000_NS6detail17trampoline_kernelINS0_14default_configENS1_27upper_bound_config_selectorIilEEZNS1_14transform_implILb0ES3_S5_N6thrust23THRUST_200600_302600_NS6detail15normal_iteratorINS8_7pointerIiNS8_11hip_rocprim5par_tENS8_11use_defaultESE_EEEENSA_INSB_IlSD_SE_SE_EEEEZNS1_13binary_searchIS3_S5_PiSG_SI_NS1_21upper_bound_search_opENS9_16wrapped_functionINS8_6system6detail7generic6detail18binary_search_lessEbEEEE10hipError_tPvRmT1_T2_T3_mmT4_T5_P12ihipStream_tbEUlRKiE_EEST_SX_SY_mSZ_S12_bEUlT_E_NS1_11comp_targetILNS1_3genE4ELNS1_11target_archE910ELNS1_3gpuE8ELNS1_3repE0EEENS1_30default_config_static_selectorELNS0_4arch9wavefront6targetE1EEEvSW_.private_seg_size, 0
	.set _ZN7rocprim17ROCPRIM_400000_NS6detail17trampoline_kernelINS0_14default_configENS1_27upper_bound_config_selectorIilEEZNS1_14transform_implILb0ES3_S5_N6thrust23THRUST_200600_302600_NS6detail15normal_iteratorINS8_7pointerIiNS8_11hip_rocprim5par_tENS8_11use_defaultESE_EEEENSA_INSB_IlSD_SE_SE_EEEEZNS1_13binary_searchIS3_S5_PiSG_SI_NS1_21upper_bound_search_opENS9_16wrapped_functionINS8_6system6detail7generic6detail18binary_search_lessEbEEEE10hipError_tPvRmT1_T2_T3_mmT4_T5_P12ihipStream_tbEUlRKiE_EEST_SX_SY_mSZ_S12_bEUlT_E_NS1_11comp_targetILNS1_3genE4ELNS1_11target_archE910ELNS1_3gpuE8ELNS1_3repE0EEENS1_30default_config_static_selectorELNS0_4arch9wavefront6targetE1EEEvSW_.uses_vcc, 0
	.set _ZN7rocprim17ROCPRIM_400000_NS6detail17trampoline_kernelINS0_14default_configENS1_27upper_bound_config_selectorIilEEZNS1_14transform_implILb0ES3_S5_N6thrust23THRUST_200600_302600_NS6detail15normal_iteratorINS8_7pointerIiNS8_11hip_rocprim5par_tENS8_11use_defaultESE_EEEENSA_INSB_IlSD_SE_SE_EEEEZNS1_13binary_searchIS3_S5_PiSG_SI_NS1_21upper_bound_search_opENS9_16wrapped_functionINS8_6system6detail7generic6detail18binary_search_lessEbEEEE10hipError_tPvRmT1_T2_T3_mmT4_T5_P12ihipStream_tbEUlRKiE_EEST_SX_SY_mSZ_S12_bEUlT_E_NS1_11comp_targetILNS1_3genE4ELNS1_11target_archE910ELNS1_3gpuE8ELNS1_3repE0EEENS1_30default_config_static_selectorELNS0_4arch9wavefront6targetE1EEEvSW_.uses_flat_scratch, 0
	.set _ZN7rocprim17ROCPRIM_400000_NS6detail17trampoline_kernelINS0_14default_configENS1_27upper_bound_config_selectorIilEEZNS1_14transform_implILb0ES3_S5_N6thrust23THRUST_200600_302600_NS6detail15normal_iteratorINS8_7pointerIiNS8_11hip_rocprim5par_tENS8_11use_defaultESE_EEEENSA_INSB_IlSD_SE_SE_EEEEZNS1_13binary_searchIS3_S5_PiSG_SI_NS1_21upper_bound_search_opENS9_16wrapped_functionINS8_6system6detail7generic6detail18binary_search_lessEbEEEE10hipError_tPvRmT1_T2_T3_mmT4_T5_P12ihipStream_tbEUlRKiE_EEST_SX_SY_mSZ_S12_bEUlT_E_NS1_11comp_targetILNS1_3genE4ELNS1_11target_archE910ELNS1_3gpuE8ELNS1_3repE0EEENS1_30default_config_static_selectorELNS0_4arch9wavefront6targetE1EEEvSW_.has_dyn_sized_stack, 0
	.set _ZN7rocprim17ROCPRIM_400000_NS6detail17trampoline_kernelINS0_14default_configENS1_27upper_bound_config_selectorIilEEZNS1_14transform_implILb0ES3_S5_N6thrust23THRUST_200600_302600_NS6detail15normal_iteratorINS8_7pointerIiNS8_11hip_rocprim5par_tENS8_11use_defaultESE_EEEENSA_INSB_IlSD_SE_SE_EEEEZNS1_13binary_searchIS3_S5_PiSG_SI_NS1_21upper_bound_search_opENS9_16wrapped_functionINS8_6system6detail7generic6detail18binary_search_lessEbEEEE10hipError_tPvRmT1_T2_T3_mmT4_T5_P12ihipStream_tbEUlRKiE_EEST_SX_SY_mSZ_S12_bEUlT_E_NS1_11comp_targetILNS1_3genE4ELNS1_11target_archE910ELNS1_3gpuE8ELNS1_3repE0EEENS1_30default_config_static_selectorELNS0_4arch9wavefront6targetE1EEEvSW_.has_recursion, 0
	.set _ZN7rocprim17ROCPRIM_400000_NS6detail17trampoline_kernelINS0_14default_configENS1_27upper_bound_config_selectorIilEEZNS1_14transform_implILb0ES3_S5_N6thrust23THRUST_200600_302600_NS6detail15normal_iteratorINS8_7pointerIiNS8_11hip_rocprim5par_tENS8_11use_defaultESE_EEEENSA_INSB_IlSD_SE_SE_EEEEZNS1_13binary_searchIS3_S5_PiSG_SI_NS1_21upper_bound_search_opENS9_16wrapped_functionINS8_6system6detail7generic6detail18binary_search_lessEbEEEE10hipError_tPvRmT1_T2_T3_mmT4_T5_P12ihipStream_tbEUlRKiE_EEST_SX_SY_mSZ_S12_bEUlT_E_NS1_11comp_targetILNS1_3genE4ELNS1_11target_archE910ELNS1_3gpuE8ELNS1_3repE0EEENS1_30default_config_static_selectorELNS0_4arch9wavefront6targetE1EEEvSW_.has_indirect_call, 0
	.section	.AMDGPU.csdata,"",@progbits
; Kernel info:
; codeLenInByte = 0
; TotalNumSgprs: 4
; NumVgprs: 0
; ScratchSize: 0
; MemoryBound: 0
; FloatMode: 240
; IeeeMode: 1
; LDSByteSize: 0 bytes/workgroup (compile time only)
; SGPRBlocks: 0
; VGPRBlocks: 0
; NumSGPRsForWavesPerEU: 4
; NumVGPRsForWavesPerEU: 1
; Occupancy: 10
; WaveLimiterHint : 0
; COMPUTE_PGM_RSRC2:SCRATCH_EN: 0
; COMPUTE_PGM_RSRC2:USER_SGPR: 6
; COMPUTE_PGM_RSRC2:TRAP_HANDLER: 0
; COMPUTE_PGM_RSRC2:TGID_X_EN: 1
; COMPUTE_PGM_RSRC2:TGID_Y_EN: 0
; COMPUTE_PGM_RSRC2:TGID_Z_EN: 0
; COMPUTE_PGM_RSRC2:TIDIG_COMP_CNT: 0
	.section	.text._ZN7rocprim17ROCPRIM_400000_NS6detail17trampoline_kernelINS0_14default_configENS1_27upper_bound_config_selectorIilEEZNS1_14transform_implILb0ES3_S5_N6thrust23THRUST_200600_302600_NS6detail15normal_iteratorINS8_7pointerIiNS8_11hip_rocprim5par_tENS8_11use_defaultESE_EEEENSA_INSB_IlSD_SE_SE_EEEEZNS1_13binary_searchIS3_S5_PiSG_SI_NS1_21upper_bound_search_opENS9_16wrapped_functionINS8_6system6detail7generic6detail18binary_search_lessEbEEEE10hipError_tPvRmT1_T2_T3_mmT4_T5_P12ihipStream_tbEUlRKiE_EEST_SX_SY_mSZ_S12_bEUlT_E_NS1_11comp_targetILNS1_3genE3ELNS1_11target_archE908ELNS1_3gpuE7ELNS1_3repE0EEENS1_30default_config_static_selectorELNS0_4arch9wavefront6targetE1EEEvSW_,"axG",@progbits,_ZN7rocprim17ROCPRIM_400000_NS6detail17trampoline_kernelINS0_14default_configENS1_27upper_bound_config_selectorIilEEZNS1_14transform_implILb0ES3_S5_N6thrust23THRUST_200600_302600_NS6detail15normal_iteratorINS8_7pointerIiNS8_11hip_rocprim5par_tENS8_11use_defaultESE_EEEENSA_INSB_IlSD_SE_SE_EEEEZNS1_13binary_searchIS3_S5_PiSG_SI_NS1_21upper_bound_search_opENS9_16wrapped_functionINS8_6system6detail7generic6detail18binary_search_lessEbEEEE10hipError_tPvRmT1_T2_T3_mmT4_T5_P12ihipStream_tbEUlRKiE_EEST_SX_SY_mSZ_S12_bEUlT_E_NS1_11comp_targetILNS1_3genE3ELNS1_11target_archE908ELNS1_3gpuE7ELNS1_3repE0EEENS1_30default_config_static_selectorELNS0_4arch9wavefront6targetE1EEEvSW_,comdat
	.protected	_ZN7rocprim17ROCPRIM_400000_NS6detail17trampoline_kernelINS0_14default_configENS1_27upper_bound_config_selectorIilEEZNS1_14transform_implILb0ES3_S5_N6thrust23THRUST_200600_302600_NS6detail15normal_iteratorINS8_7pointerIiNS8_11hip_rocprim5par_tENS8_11use_defaultESE_EEEENSA_INSB_IlSD_SE_SE_EEEEZNS1_13binary_searchIS3_S5_PiSG_SI_NS1_21upper_bound_search_opENS9_16wrapped_functionINS8_6system6detail7generic6detail18binary_search_lessEbEEEE10hipError_tPvRmT1_T2_T3_mmT4_T5_P12ihipStream_tbEUlRKiE_EEST_SX_SY_mSZ_S12_bEUlT_E_NS1_11comp_targetILNS1_3genE3ELNS1_11target_archE908ELNS1_3gpuE7ELNS1_3repE0EEENS1_30default_config_static_selectorELNS0_4arch9wavefront6targetE1EEEvSW_ ; -- Begin function _ZN7rocprim17ROCPRIM_400000_NS6detail17trampoline_kernelINS0_14default_configENS1_27upper_bound_config_selectorIilEEZNS1_14transform_implILb0ES3_S5_N6thrust23THRUST_200600_302600_NS6detail15normal_iteratorINS8_7pointerIiNS8_11hip_rocprim5par_tENS8_11use_defaultESE_EEEENSA_INSB_IlSD_SE_SE_EEEEZNS1_13binary_searchIS3_S5_PiSG_SI_NS1_21upper_bound_search_opENS9_16wrapped_functionINS8_6system6detail7generic6detail18binary_search_lessEbEEEE10hipError_tPvRmT1_T2_T3_mmT4_T5_P12ihipStream_tbEUlRKiE_EEST_SX_SY_mSZ_S12_bEUlT_E_NS1_11comp_targetILNS1_3genE3ELNS1_11target_archE908ELNS1_3gpuE7ELNS1_3repE0EEENS1_30default_config_static_selectorELNS0_4arch9wavefront6targetE1EEEvSW_
	.globl	_ZN7rocprim17ROCPRIM_400000_NS6detail17trampoline_kernelINS0_14default_configENS1_27upper_bound_config_selectorIilEEZNS1_14transform_implILb0ES3_S5_N6thrust23THRUST_200600_302600_NS6detail15normal_iteratorINS8_7pointerIiNS8_11hip_rocprim5par_tENS8_11use_defaultESE_EEEENSA_INSB_IlSD_SE_SE_EEEEZNS1_13binary_searchIS3_S5_PiSG_SI_NS1_21upper_bound_search_opENS9_16wrapped_functionINS8_6system6detail7generic6detail18binary_search_lessEbEEEE10hipError_tPvRmT1_T2_T3_mmT4_T5_P12ihipStream_tbEUlRKiE_EEST_SX_SY_mSZ_S12_bEUlT_E_NS1_11comp_targetILNS1_3genE3ELNS1_11target_archE908ELNS1_3gpuE7ELNS1_3repE0EEENS1_30default_config_static_selectorELNS0_4arch9wavefront6targetE1EEEvSW_
	.p2align	8
	.type	_ZN7rocprim17ROCPRIM_400000_NS6detail17trampoline_kernelINS0_14default_configENS1_27upper_bound_config_selectorIilEEZNS1_14transform_implILb0ES3_S5_N6thrust23THRUST_200600_302600_NS6detail15normal_iteratorINS8_7pointerIiNS8_11hip_rocprim5par_tENS8_11use_defaultESE_EEEENSA_INSB_IlSD_SE_SE_EEEEZNS1_13binary_searchIS3_S5_PiSG_SI_NS1_21upper_bound_search_opENS9_16wrapped_functionINS8_6system6detail7generic6detail18binary_search_lessEbEEEE10hipError_tPvRmT1_T2_T3_mmT4_T5_P12ihipStream_tbEUlRKiE_EEST_SX_SY_mSZ_S12_bEUlT_E_NS1_11comp_targetILNS1_3genE3ELNS1_11target_archE908ELNS1_3gpuE7ELNS1_3repE0EEENS1_30default_config_static_selectorELNS0_4arch9wavefront6targetE1EEEvSW_,@function
_ZN7rocprim17ROCPRIM_400000_NS6detail17trampoline_kernelINS0_14default_configENS1_27upper_bound_config_selectorIilEEZNS1_14transform_implILb0ES3_S5_N6thrust23THRUST_200600_302600_NS6detail15normal_iteratorINS8_7pointerIiNS8_11hip_rocprim5par_tENS8_11use_defaultESE_EEEENSA_INSB_IlSD_SE_SE_EEEEZNS1_13binary_searchIS3_S5_PiSG_SI_NS1_21upper_bound_search_opENS9_16wrapped_functionINS8_6system6detail7generic6detail18binary_search_lessEbEEEE10hipError_tPvRmT1_T2_T3_mmT4_T5_P12ihipStream_tbEUlRKiE_EEST_SX_SY_mSZ_S12_bEUlT_E_NS1_11comp_targetILNS1_3genE3ELNS1_11target_archE908ELNS1_3gpuE7ELNS1_3repE0EEENS1_30default_config_static_selectorELNS0_4arch9wavefront6targetE1EEEvSW_: ; @_ZN7rocprim17ROCPRIM_400000_NS6detail17trampoline_kernelINS0_14default_configENS1_27upper_bound_config_selectorIilEEZNS1_14transform_implILb0ES3_S5_N6thrust23THRUST_200600_302600_NS6detail15normal_iteratorINS8_7pointerIiNS8_11hip_rocprim5par_tENS8_11use_defaultESE_EEEENSA_INSB_IlSD_SE_SE_EEEEZNS1_13binary_searchIS3_S5_PiSG_SI_NS1_21upper_bound_search_opENS9_16wrapped_functionINS8_6system6detail7generic6detail18binary_search_lessEbEEEE10hipError_tPvRmT1_T2_T3_mmT4_T5_P12ihipStream_tbEUlRKiE_EEST_SX_SY_mSZ_S12_bEUlT_E_NS1_11comp_targetILNS1_3genE3ELNS1_11target_archE908ELNS1_3gpuE7ELNS1_3repE0EEENS1_30default_config_static_selectorELNS0_4arch9wavefront6targetE1EEEvSW_
; %bb.0:
	.section	.rodata,"a",@progbits
	.p2align	6, 0x0
	.amdhsa_kernel _ZN7rocprim17ROCPRIM_400000_NS6detail17trampoline_kernelINS0_14default_configENS1_27upper_bound_config_selectorIilEEZNS1_14transform_implILb0ES3_S5_N6thrust23THRUST_200600_302600_NS6detail15normal_iteratorINS8_7pointerIiNS8_11hip_rocprim5par_tENS8_11use_defaultESE_EEEENSA_INSB_IlSD_SE_SE_EEEEZNS1_13binary_searchIS3_S5_PiSG_SI_NS1_21upper_bound_search_opENS9_16wrapped_functionINS8_6system6detail7generic6detail18binary_search_lessEbEEEE10hipError_tPvRmT1_T2_T3_mmT4_T5_P12ihipStream_tbEUlRKiE_EEST_SX_SY_mSZ_S12_bEUlT_E_NS1_11comp_targetILNS1_3genE3ELNS1_11target_archE908ELNS1_3gpuE7ELNS1_3repE0EEENS1_30default_config_static_selectorELNS0_4arch9wavefront6targetE1EEEvSW_
		.amdhsa_group_segment_fixed_size 0
		.amdhsa_private_segment_fixed_size 0
		.amdhsa_kernarg_size 56
		.amdhsa_user_sgpr_count 6
		.amdhsa_user_sgpr_private_segment_buffer 1
		.amdhsa_user_sgpr_dispatch_ptr 0
		.amdhsa_user_sgpr_queue_ptr 0
		.amdhsa_user_sgpr_kernarg_segment_ptr 1
		.amdhsa_user_sgpr_dispatch_id 0
		.amdhsa_user_sgpr_flat_scratch_init 0
		.amdhsa_user_sgpr_private_segment_size 0
		.amdhsa_uses_dynamic_stack 0
		.amdhsa_system_sgpr_private_segment_wavefront_offset 0
		.amdhsa_system_sgpr_workgroup_id_x 1
		.amdhsa_system_sgpr_workgroup_id_y 0
		.amdhsa_system_sgpr_workgroup_id_z 0
		.amdhsa_system_sgpr_workgroup_info 0
		.amdhsa_system_vgpr_workitem_id 0
		.amdhsa_next_free_vgpr 1
		.amdhsa_next_free_sgpr 0
		.amdhsa_reserve_vcc 0
		.amdhsa_reserve_flat_scratch 0
		.amdhsa_float_round_mode_32 0
		.amdhsa_float_round_mode_16_64 0
		.amdhsa_float_denorm_mode_32 3
		.amdhsa_float_denorm_mode_16_64 3
		.amdhsa_dx10_clamp 1
		.amdhsa_ieee_mode 1
		.amdhsa_fp16_overflow 0
		.amdhsa_exception_fp_ieee_invalid_op 0
		.amdhsa_exception_fp_denorm_src 0
		.amdhsa_exception_fp_ieee_div_zero 0
		.amdhsa_exception_fp_ieee_overflow 0
		.amdhsa_exception_fp_ieee_underflow 0
		.amdhsa_exception_fp_ieee_inexact 0
		.amdhsa_exception_int_div_zero 0
	.end_amdhsa_kernel
	.section	.text._ZN7rocprim17ROCPRIM_400000_NS6detail17trampoline_kernelINS0_14default_configENS1_27upper_bound_config_selectorIilEEZNS1_14transform_implILb0ES3_S5_N6thrust23THRUST_200600_302600_NS6detail15normal_iteratorINS8_7pointerIiNS8_11hip_rocprim5par_tENS8_11use_defaultESE_EEEENSA_INSB_IlSD_SE_SE_EEEEZNS1_13binary_searchIS3_S5_PiSG_SI_NS1_21upper_bound_search_opENS9_16wrapped_functionINS8_6system6detail7generic6detail18binary_search_lessEbEEEE10hipError_tPvRmT1_T2_T3_mmT4_T5_P12ihipStream_tbEUlRKiE_EEST_SX_SY_mSZ_S12_bEUlT_E_NS1_11comp_targetILNS1_3genE3ELNS1_11target_archE908ELNS1_3gpuE7ELNS1_3repE0EEENS1_30default_config_static_selectorELNS0_4arch9wavefront6targetE1EEEvSW_,"axG",@progbits,_ZN7rocprim17ROCPRIM_400000_NS6detail17trampoline_kernelINS0_14default_configENS1_27upper_bound_config_selectorIilEEZNS1_14transform_implILb0ES3_S5_N6thrust23THRUST_200600_302600_NS6detail15normal_iteratorINS8_7pointerIiNS8_11hip_rocprim5par_tENS8_11use_defaultESE_EEEENSA_INSB_IlSD_SE_SE_EEEEZNS1_13binary_searchIS3_S5_PiSG_SI_NS1_21upper_bound_search_opENS9_16wrapped_functionINS8_6system6detail7generic6detail18binary_search_lessEbEEEE10hipError_tPvRmT1_T2_T3_mmT4_T5_P12ihipStream_tbEUlRKiE_EEST_SX_SY_mSZ_S12_bEUlT_E_NS1_11comp_targetILNS1_3genE3ELNS1_11target_archE908ELNS1_3gpuE7ELNS1_3repE0EEENS1_30default_config_static_selectorELNS0_4arch9wavefront6targetE1EEEvSW_,comdat
.Lfunc_end225:
	.size	_ZN7rocprim17ROCPRIM_400000_NS6detail17trampoline_kernelINS0_14default_configENS1_27upper_bound_config_selectorIilEEZNS1_14transform_implILb0ES3_S5_N6thrust23THRUST_200600_302600_NS6detail15normal_iteratorINS8_7pointerIiNS8_11hip_rocprim5par_tENS8_11use_defaultESE_EEEENSA_INSB_IlSD_SE_SE_EEEEZNS1_13binary_searchIS3_S5_PiSG_SI_NS1_21upper_bound_search_opENS9_16wrapped_functionINS8_6system6detail7generic6detail18binary_search_lessEbEEEE10hipError_tPvRmT1_T2_T3_mmT4_T5_P12ihipStream_tbEUlRKiE_EEST_SX_SY_mSZ_S12_bEUlT_E_NS1_11comp_targetILNS1_3genE3ELNS1_11target_archE908ELNS1_3gpuE7ELNS1_3repE0EEENS1_30default_config_static_selectorELNS0_4arch9wavefront6targetE1EEEvSW_, .Lfunc_end225-_ZN7rocprim17ROCPRIM_400000_NS6detail17trampoline_kernelINS0_14default_configENS1_27upper_bound_config_selectorIilEEZNS1_14transform_implILb0ES3_S5_N6thrust23THRUST_200600_302600_NS6detail15normal_iteratorINS8_7pointerIiNS8_11hip_rocprim5par_tENS8_11use_defaultESE_EEEENSA_INSB_IlSD_SE_SE_EEEEZNS1_13binary_searchIS3_S5_PiSG_SI_NS1_21upper_bound_search_opENS9_16wrapped_functionINS8_6system6detail7generic6detail18binary_search_lessEbEEEE10hipError_tPvRmT1_T2_T3_mmT4_T5_P12ihipStream_tbEUlRKiE_EEST_SX_SY_mSZ_S12_bEUlT_E_NS1_11comp_targetILNS1_3genE3ELNS1_11target_archE908ELNS1_3gpuE7ELNS1_3repE0EEENS1_30default_config_static_selectorELNS0_4arch9wavefront6targetE1EEEvSW_
                                        ; -- End function
	.set _ZN7rocprim17ROCPRIM_400000_NS6detail17trampoline_kernelINS0_14default_configENS1_27upper_bound_config_selectorIilEEZNS1_14transform_implILb0ES3_S5_N6thrust23THRUST_200600_302600_NS6detail15normal_iteratorINS8_7pointerIiNS8_11hip_rocprim5par_tENS8_11use_defaultESE_EEEENSA_INSB_IlSD_SE_SE_EEEEZNS1_13binary_searchIS3_S5_PiSG_SI_NS1_21upper_bound_search_opENS9_16wrapped_functionINS8_6system6detail7generic6detail18binary_search_lessEbEEEE10hipError_tPvRmT1_T2_T3_mmT4_T5_P12ihipStream_tbEUlRKiE_EEST_SX_SY_mSZ_S12_bEUlT_E_NS1_11comp_targetILNS1_3genE3ELNS1_11target_archE908ELNS1_3gpuE7ELNS1_3repE0EEENS1_30default_config_static_selectorELNS0_4arch9wavefront6targetE1EEEvSW_.num_vgpr, 0
	.set _ZN7rocprim17ROCPRIM_400000_NS6detail17trampoline_kernelINS0_14default_configENS1_27upper_bound_config_selectorIilEEZNS1_14transform_implILb0ES3_S5_N6thrust23THRUST_200600_302600_NS6detail15normal_iteratorINS8_7pointerIiNS8_11hip_rocprim5par_tENS8_11use_defaultESE_EEEENSA_INSB_IlSD_SE_SE_EEEEZNS1_13binary_searchIS3_S5_PiSG_SI_NS1_21upper_bound_search_opENS9_16wrapped_functionINS8_6system6detail7generic6detail18binary_search_lessEbEEEE10hipError_tPvRmT1_T2_T3_mmT4_T5_P12ihipStream_tbEUlRKiE_EEST_SX_SY_mSZ_S12_bEUlT_E_NS1_11comp_targetILNS1_3genE3ELNS1_11target_archE908ELNS1_3gpuE7ELNS1_3repE0EEENS1_30default_config_static_selectorELNS0_4arch9wavefront6targetE1EEEvSW_.num_agpr, 0
	.set _ZN7rocprim17ROCPRIM_400000_NS6detail17trampoline_kernelINS0_14default_configENS1_27upper_bound_config_selectorIilEEZNS1_14transform_implILb0ES3_S5_N6thrust23THRUST_200600_302600_NS6detail15normal_iteratorINS8_7pointerIiNS8_11hip_rocprim5par_tENS8_11use_defaultESE_EEEENSA_INSB_IlSD_SE_SE_EEEEZNS1_13binary_searchIS3_S5_PiSG_SI_NS1_21upper_bound_search_opENS9_16wrapped_functionINS8_6system6detail7generic6detail18binary_search_lessEbEEEE10hipError_tPvRmT1_T2_T3_mmT4_T5_P12ihipStream_tbEUlRKiE_EEST_SX_SY_mSZ_S12_bEUlT_E_NS1_11comp_targetILNS1_3genE3ELNS1_11target_archE908ELNS1_3gpuE7ELNS1_3repE0EEENS1_30default_config_static_selectorELNS0_4arch9wavefront6targetE1EEEvSW_.numbered_sgpr, 0
	.set _ZN7rocprim17ROCPRIM_400000_NS6detail17trampoline_kernelINS0_14default_configENS1_27upper_bound_config_selectorIilEEZNS1_14transform_implILb0ES3_S5_N6thrust23THRUST_200600_302600_NS6detail15normal_iteratorINS8_7pointerIiNS8_11hip_rocprim5par_tENS8_11use_defaultESE_EEEENSA_INSB_IlSD_SE_SE_EEEEZNS1_13binary_searchIS3_S5_PiSG_SI_NS1_21upper_bound_search_opENS9_16wrapped_functionINS8_6system6detail7generic6detail18binary_search_lessEbEEEE10hipError_tPvRmT1_T2_T3_mmT4_T5_P12ihipStream_tbEUlRKiE_EEST_SX_SY_mSZ_S12_bEUlT_E_NS1_11comp_targetILNS1_3genE3ELNS1_11target_archE908ELNS1_3gpuE7ELNS1_3repE0EEENS1_30default_config_static_selectorELNS0_4arch9wavefront6targetE1EEEvSW_.num_named_barrier, 0
	.set _ZN7rocprim17ROCPRIM_400000_NS6detail17trampoline_kernelINS0_14default_configENS1_27upper_bound_config_selectorIilEEZNS1_14transform_implILb0ES3_S5_N6thrust23THRUST_200600_302600_NS6detail15normal_iteratorINS8_7pointerIiNS8_11hip_rocprim5par_tENS8_11use_defaultESE_EEEENSA_INSB_IlSD_SE_SE_EEEEZNS1_13binary_searchIS3_S5_PiSG_SI_NS1_21upper_bound_search_opENS9_16wrapped_functionINS8_6system6detail7generic6detail18binary_search_lessEbEEEE10hipError_tPvRmT1_T2_T3_mmT4_T5_P12ihipStream_tbEUlRKiE_EEST_SX_SY_mSZ_S12_bEUlT_E_NS1_11comp_targetILNS1_3genE3ELNS1_11target_archE908ELNS1_3gpuE7ELNS1_3repE0EEENS1_30default_config_static_selectorELNS0_4arch9wavefront6targetE1EEEvSW_.private_seg_size, 0
	.set _ZN7rocprim17ROCPRIM_400000_NS6detail17trampoline_kernelINS0_14default_configENS1_27upper_bound_config_selectorIilEEZNS1_14transform_implILb0ES3_S5_N6thrust23THRUST_200600_302600_NS6detail15normal_iteratorINS8_7pointerIiNS8_11hip_rocprim5par_tENS8_11use_defaultESE_EEEENSA_INSB_IlSD_SE_SE_EEEEZNS1_13binary_searchIS3_S5_PiSG_SI_NS1_21upper_bound_search_opENS9_16wrapped_functionINS8_6system6detail7generic6detail18binary_search_lessEbEEEE10hipError_tPvRmT1_T2_T3_mmT4_T5_P12ihipStream_tbEUlRKiE_EEST_SX_SY_mSZ_S12_bEUlT_E_NS1_11comp_targetILNS1_3genE3ELNS1_11target_archE908ELNS1_3gpuE7ELNS1_3repE0EEENS1_30default_config_static_selectorELNS0_4arch9wavefront6targetE1EEEvSW_.uses_vcc, 0
	.set _ZN7rocprim17ROCPRIM_400000_NS6detail17trampoline_kernelINS0_14default_configENS1_27upper_bound_config_selectorIilEEZNS1_14transform_implILb0ES3_S5_N6thrust23THRUST_200600_302600_NS6detail15normal_iteratorINS8_7pointerIiNS8_11hip_rocprim5par_tENS8_11use_defaultESE_EEEENSA_INSB_IlSD_SE_SE_EEEEZNS1_13binary_searchIS3_S5_PiSG_SI_NS1_21upper_bound_search_opENS9_16wrapped_functionINS8_6system6detail7generic6detail18binary_search_lessEbEEEE10hipError_tPvRmT1_T2_T3_mmT4_T5_P12ihipStream_tbEUlRKiE_EEST_SX_SY_mSZ_S12_bEUlT_E_NS1_11comp_targetILNS1_3genE3ELNS1_11target_archE908ELNS1_3gpuE7ELNS1_3repE0EEENS1_30default_config_static_selectorELNS0_4arch9wavefront6targetE1EEEvSW_.uses_flat_scratch, 0
	.set _ZN7rocprim17ROCPRIM_400000_NS6detail17trampoline_kernelINS0_14default_configENS1_27upper_bound_config_selectorIilEEZNS1_14transform_implILb0ES3_S5_N6thrust23THRUST_200600_302600_NS6detail15normal_iteratorINS8_7pointerIiNS8_11hip_rocprim5par_tENS8_11use_defaultESE_EEEENSA_INSB_IlSD_SE_SE_EEEEZNS1_13binary_searchIS3_S5_PiSG_SI_NS1_21upper_bound_search_opENS9_16wrapped_functionINS8_6system6detail7generic6detail18binary_search_lessEbEEEE10hipError_tPvRmT1_T2_T3_mmT4_T5_P12ihipStream_tbEUlRKiE_EEST_SX_SY_mSZ_S12_bEUlT_E_NS1_11comp_targetILNS1_3genE3ELNS1_11target_archE908ELNS1_3gpuE7ELNS1_3repE0EEENS1_30default_config_static_selectorELNS0_4arch9wavefront6targetE1EEEvSW_.has_dyn_sized_stack, 0
	.set _ZN7rocprim17ROCPRIM_400000_NS6detail17trampoline_kernelINS0_14default_configENS1_27upper_bound_config_selectorIilEEZNS1_14transform_implILb0ES3_S5_N6thrust23THRUST_200600_302600_NS6detail15normal_iteratorINS8_7pointerIiNS8_11hip_rocprim5par_tENS8_11use_defaultESE_EEEENSA_INSB_IlSD_SE_SE_EEEEZNS1_13binary_searchIS3_S5_PiSG_SI_NS1_21upper_bound_search_opENS9_16wrapped_functionINS8_6system6detail7generic6detail18binary_search_lessEbEEEE10hipError_tPvRmT1_T2_T3_mmT4_T5_P12ihipStream_tbEUlRKiE_EEST_SX_SY_mSZ_S12_bEUlT_E_NS1_11comp_targetILNS1_3genE3ELNS1_11target_archE908ELNS1_3gpuE7ELNS1_3repE0EEENS1_30default_config_static_selectorELNS0_4arch9wavefront6targetE1EEEvSW_.has_recursion, 0
	.set _ZN7rocprim17ROCPRIM_400000_NS6detail17trampoline_kernelINS0_14default_configENS1_27upper_bound_config_selectorIilEEZNS1_14transform_implILb0ES3_S5_N6thrust23THRUST_200600_302600_NS6detail15normal_iteratorINS8_7pointerIiNS8_11hip_rocprim5par_tENS8_11use_defaultESE_EEEENSA_INSB_IlSD_SE_SE_EEEEZNS1_13binary_searchIS3_S5_PiSG_SI_NS1_21upper_bound_search_opENS9_16wrapped_functionINS8_6system6detail7generic6detail18binary_search_lessEbEEEE10hipError_tPvRmT1_T2_T3_mmT4_T5_P12ihipStream_tbEUlRKiE_EEST_SX_SY_mSZ_S12_bEUlT_E_NS1_11comp_targetILNS1_3genE3ELNS1_11target_archE908ELNS1_3gpuE7ELNS1_3repE0EEENS1_30default_config_static_selectorELNS0_4arch9wavefront6targetE1EEEvSW_.has_indirect_call, 0
	.section	.AMDGPU.csdata,"",@progbits
; Kernel info:
; codeLenInByte = 0
; TotalNumSgprs: 4
; NumVgprs: 0
; ScratchSize: 0
; MemoryBound: 0
; FloatMode: 240
; IeeeMode: 1
; LDSByteSize: 0 bytes/workgroup (compile time only)
; SGPRBlocks: 0
; VGPRBlocks: 0
; NumSGPRsForWavesPerEU: 4
; NumVGPRsForWavesPerEU: 1
; Occupancy: 10
; WaveLimiterHint : 0
; COMPUTE_PGM_RSRC2:SCRATCH_EN: 0
; COMPUTE_PGM_RSRC2:USER_SGPR: 6
; COMPUTE_PGM_RSRC2:TRAP_HANDLER: 0
; COMPUTE_PGM_RSRC2:TGID_X_EN: 1
; COMPUTE_PGM_RSRC2:TGID_Y_EN: 0
; COMPUTE_PGM_RSRC2:TGID_Z_EN: 0
; COMPUTE_PGM_RSRC2:TIDIG_COMP_CNT: 0
	.section	.text._ZN7rocprim17ROCPRIM_400000_NS6detail17trampoline_kernelINS0_14default_configENS1_27upper_bound_config_selectorIilEEZNS1_14transform_implILb0ES3_S5_N6thrust23THRUST_200600_302600_NS6detail15normal_iteratorINS8_7pointerIiNS8_11hip_rocprim5par_tENS8_11use_defaultESE_EEEENSA_INSB_IlSD_SE_SE_EEEEZNS1_13binary_searchIS3_S5_PiSG_SI_NS1_21upper_bound_search_opENS9_16wrapped_functionINS8_6system6detail7generic6detail18binary_search_lessEbEEEE10hipError_tPvRmT1_T2_T3_mmT4_T5_P12ihipStream_tbEUlRKiE_EEST_SX_SY_mSZ_S12_bEUlT_E_NS1_11comp_targetILNS1_3genE2ELNS1_11target_archE906ELNS1_3gpuE6ELNS1_3repE0EEENS1_30default_config_static_selectorELNS0_4arch9wavefront6targetE1EEEvSW_,"axG",@progbits,_ZN7rocprim17ROCPRIM_400000_NS6detail17trampoline_kernelINS0_14default_configENS1_27upper_bound_config_selectorIilEEZNS1_14transform_implILb0ES3_S5_N6thrust23THRUST_200600_302600_NS6detail15normal_iteratorINS8_7pointerIiNS8_11hip_rocprim5par_tENS8_11use_defaultESE_EEEENSA_INSB_IlSD_SE_SE_EEEEZNS1_13binary_searchIS3_S5_PiSG_SI_NS1_21upper_bound_search_opENS9_16wrapped_functionINS8_6system6detail7generic6detail18binary_search_lessEbEEEE10hipError_tPvRmT1_T2_T3_mmT4_T5_P12ihipStream_tbEUlRKiE_EEST_SX_SY_mSZ_S12_bEUlT_E_NS1_11comp_targetILNS1_3genE2ELNS1_11target_archE906ELNS1_3gpuE6ELNS1_3repE0EEENS1_30default_config_static_selectorELNS0_4arch9wavefront6targetE1EEEvSW_,comdat
	.protected	_ZN7rocprim17ROCPRIM_400000_NS6detail17trampoline_kernelINS0_14default_configENS1_27upper_bound_config_selectorIilEEZNS1_14transform_implILb0ES3_S5_N6thrust23THRUST_200600_302600_NS6detail15normal_iteratorINS8_7pointerIiNS8_11hip_rocprim5par_tENS8_11use_defaultESE_EEEENSA_INSB_IlSD_SE_SE_EEEEZNS1_13binary_searchIS3_S5_PiSG_SI_NS1_21upper_bound_search_opENS9_16wrapped_functionINS8_6system6detail7generic6detail18binary_search_lessEbEEEE10hipError_tPvRmT1_T2_T3_mmT4_T5_P12ihipStream_tbEUlRKiE_EEST_SX_SY_mSZ_S12_bEUlT_E_NS1_11comp_targetILNS1_3genE2ELNS1_11target_archE906ELNS1_3gpuE6ELNS1_3repE0EEENS1_30default_config_static_selectorELNS0_4arch9wavefront6targetE1EEEvSW_ ; -- Begin function _ZN7rocprim17ROCPRIM_400000_NS6detail17trampoline_kernelINS0_14default_configENS1_27upper_bound_config_selectorIilEEZNS1_14transform_implILb0ES3_S5_N6thrust23THRUST_200600_302600_NS6detail15normal_iteratorINS8_7pointerIiNS8_11hip_rocprim5par_tENS8_11use_defaultESE_EEEENSA_INSB_IlSD_SE_SE_EEEEZNS1_13binary_searchIS3_S5_PiSG_SI_NS1_21upper_bound_search_opENS9_16wrapped_functionINS8_6system6detail7generic6detail18binary_search_lessEbEEEE10hipError_tPvRmT1_T2_T3_mmT4_T5_P12ihipStream_tbEUlRKiE_EEST_SX_SY_mSZ_S12_bEUlT_E_NS1_11comp_targetILNS1_3genE2ELNS1_11target_archE906ELNS1_3gpuE6ELNS1_3repE0EEENS1_30default_config_static_selectorELNS0_4arch9wavefront6targetE1EEEvSW_
	.globl	_ZN7rocprim17ROCPRIM_400000_NS6detail17trampoline_kernelINS0_14default_configENS1_27upper_bound_config_selectorIilEEZNS1_14transform_implILb0ES3_S5_N6thrust23THRUST_200600_302600_NS6detail15normal_iteratorINS8_7pointerIiNS8_11hip_rocprim5par_tENS8_11use_defaultESE_EEEENSA_INSB_IlSD_SE_SE_EEEEZNS1_13binary_searchIS3_S5_PiSG_SI_NS1_21upper_bound_search_opENS9_16wrapped_functionINS8_6system6detail7generic6detail18binary_search_lessEbEEEE10hipError_tPvRmT1_T2_T3_mmT4_T5_P12ihipStream_tbEUlRKiE_EEST_SX_SY_mSZ_S12_bEUlT_E_NS1_11comp_targetILNS1_3genE2ELNS1_11target_archE906ELNS1_3gpuE6ELNS1_3repE0EEENS1_30default_config_static_selectorELNS0_4arch9wavefront6targetE1EEEvSW_
	.p2align	8
	.type	_ZN7rocprim17ROCPRIM_400000_NS6detail17trampoline_kernelINS0_14default_configENS1_27upper_bound_config_selectorIilEEZNS1_14transform_implILb0ES3_S5_N6thrust23THRUST_200600_302600_NS6detail15normal_iteratorINS8_7pointerIiNS8_11hip_rocprim5par_tENS8_11use_defaultESE_EEEENSA_INSB_IlSD_SE_SE_EEEEZNS1_13binary_searchIS3_S5_PiSG_SI_NS1_21upper_bound_search_opENS9_16wrapped_functionINS8_6system6detail7generic6detail18binary_search_lessEbEEEE10hipError_tPvRmT1_T2_T3_mmT4_T5_P12ihipStream_tbEUlRKiE_EEST_SX_SY_mSZ_S12_bEUlT_E_NS1_11comp_targetILNS1_3genE2ELNS1_11target_archE906ELNS1_3gpuE6ELNS1_3repE0EEENS1_30default_config_static_selectorELNS0_4arch9wavefront6targetE1EEEvSW_,@function
_ZN7rocprim17ROCPRIM_400000_NS6detail17trampoline_kernelINS0_14default_configENS1_27upper_bound_config_selectorIilEEZNS1_14transform_implILb0ES3_S5_N6thrust23THRUST_200600_302600_NS6detail15normal_iteratorINS8_7pointerIiNS8_11hip_rocprim5par_tENS8_11use_defaultESE_EEEENSA_INSB_IlSD_SE_SE_EEEEZNS1_13binary_searchIS3_S5_PiSG_SI_NS1_21upper_bound_search_opENS9_16wrapped_functionINS8_6system6detail7generic6detail18binary_search_lessEbEEEE10hipError_tPvRmT1_T2_T3_mmT4_T5_P12ihipStream_tbEUlRKiE_EEST_SX_SY_mSZ_S12_bEUlT_E_NS1_11comp_targetILNS1_3genE2ELNS1_11target_archE906ELNS1_3gpuE6ELNS1_3repE0EEENS1_30default_config_static_selectorELNS0_4arch9wavefront6targetE1EEEvSW_: ; @_ZN7rocprim17ROCPRIM_400000_NS6detail17trampoline_kernelINS0_14default_configENS1_27upper_bound_config_selectorIilEEZNS1_14transform_implILb0ES3_S5_N6thrust23THRUST_200600_302600_NS6detail15normal_iteratorINS8_7pointerIiNS8_11hip_rocprim5par_tENS8_11use_defaultESE_EEEENSA_INSB_IlSD_SE_SE_EEEEZNS1_13binary_searchIS3_S5_PiSG_SI_NS1_21upper_bound_search_opENS9_16wrapped_functionINS8_6system6detail7generic6detail18binary_search_lessEbEEEE10hipError_tPvRmT1_T2_T3_mmT4_T5_P12ihipStream_tbEUlRKiE_EEST_SX_SY_mSZ_S12_bEUlT_E_NS1_11comp_targetILNS1_3genE2ELNS1_11target_archE906ELNS1_3gpuE6ELNS1_3repE0EEENS1_30default_config_static_selectorELNS0_4arch9wavefront6targetE1EEEvSW_
; %bb.0:
	s_load_dwordx4 s[16:19], s[4:5], 0x0
	s_load_dwordx4 s[8:11], s[4:5], 0x18
	s_load_dwordx2 s[12:13], s[4:5], 0x28
	s_load_dword s15, s[4:5], 0x38
	s_waitcnt lgkmcnt(0)
	s_lshl_b64 s[0:1], s[18:19], 2
	s_add_u32 s2, s16, s0
	s_addc_u32 s3, s17, s1
	s_lshl_b64 s[0:1], s[18:19], 3
	s_add_u32 s7, s8, s0
	s_addc_u32 s14, s9, s1
	s_lshl_b32 s8, s6, 8
	s_add_i32 s15, s15, -1
	s_mov_b32 s9, 0
	s_cmp_lg_u32 s6, s15
	s_mov_b64 s[0:1], -1
	s_cbranch_scc0 .LBB226_7
; %bb.1:
	s_cmp_eq_u64 s[12:13], 0
	s_mov_b64 s[0:1], 0
	s_cbranch_scc1 .LBB226_5
; %bb.2:
	s_lshl_b64 s[16:17], s[8:9], 2
	s_add_u32 s6, s2, s16
	s_addc_u32 s15, s3, s17
	v_lshlrev_b32_e32 v1, 2, v0
	v_mov_b32_e32 v2, s15
	v_add_co_u32_e32 v1, vcc, s6, v1
	v_addc_co_u32_e32 v2, vcc, 0, v2, vcc
	flat_load_dword v5, v[1:2]
	v_mov_b32_e32 v1, 0
	v_mov_b32_e32 v3, s12
	;; [unrolled: 1-line block ×5, first 2 shown]
.LBB226_3:                              ; =>This Inner Loop Header: Depth=1
	v_sub_co_u32_e32 v7, vcc, v3, v1
	v_subb_co_u32_e32 v8, vcc, v4, v2, vcc
	v_lshrrev_b64 v[9:10], 1, v[7:8]
	v_lshrrev_b64 v[7:8], 6, v[7:8]
	v_add_co_u32_e32 v9, vcc, v9, v1
	v_addc_co_u32_e32 v10, vcc, v10, v2, vcc
	v_add_co_u32_e32 v7, vcc, v9, v7
	v_addc_co_u32_e32 v8, vcc, v10, v8, vcc
	v_lshlrev_b64 v[9:10], 2, v[7:8]
	v_add_co_u32_e32 v9, vcc, s10, v9
	v_addc_co_u32_e32 v10, vcc, v6, v10, vcc
	global_load_dword v9, v[9:10], off
	v_add_co_u32_e32 v10, vcc, 1, v7
	v_addc_co_u32_e32 v11, vcc, 0, v8, vcc
	s_waitcnt vmcnt(0) lgkmcnt(0)
	v_cmp_lt_i32_e32 vcc, v5, v9
	v_cndmask_b32_e32 v4, v4, v8, vcc
	v_cndmask_b32_e32 v3, v3, v7, vcc
	;; [unrolled: 1-line block ×4, first 2 shown]
	v_cmp_ge_u64_e32 vcc, v[1:2], v[3:4]
	s_or_b64 s[0:1], vcc, s[0:1]
	s_andn2_b64 exec, exec, s[0:1]
	s_cbranch_execnz .LBB226_3
; %bb.4:
	s_or_b64 exec, exec, s[0:1]
	s_branch .LBB226_6
.LBB226_5:
	v_mov_b32_e32 v1, 0
	v_mov_b32_e32 v2, 0
.LBB226_6:
	s_lshl_b64 s[0:1], s[8:9], 3
	s_add_u32 s0, s7, s0
	s_addc_u32 s1, s14, s1
	v_lshlrev_b32_e32 v3, 3, v0
	v_mov_b32_e32 v4, s1
	v_add_co_u32_e32 v3, vcc, s0, v3
	v_addc_co_u32_e32 v4, vcc, 0, v4, vcc
	s_mov_b64 s[0:1], 0
	flat_store_dwordx2 v[3:4], v[1:2]
.LBB226_7:
	s_and_b64 vcc, exec, s[0:1]
	s_cbranch_vccz .LBB226_16
; %bb.8:
	s_load_dword s0, s[4:5], 0x10
                                        ; implicit-def: $vgpr5
	s_waitcnt lgkmcnt(0)
	s_sub_i32 s4, s0, s8
	v_cmp_le_u32_e64 s[0:1], s4, v0
	v_cmp_gt_u32_e32 vcc, s4, v0
	s_and_saveexec_b64 s[4:5], vcc
	s_cbranch_execz .LBB226_10
; %bb.9:
	s_lshl_b64 s[16:17], s[8:9], 2
	s_add_u32 s2, s2, s16
	s_addc_u32 s3, s3, s17
	v_lshlrev_b32_e32 v1, 2, v0
	v_mov_b32_e32 v2, s3
	v_add_co_u32_e64 v1, s[2:3], s2, v1
	v_addc_co_u32_e64 v2, s[2:3], 0, v2, s[2:3]
	flat_load_dword v5, v[1:2]
.LBB226_10:
	s_or_b64 exec, exec, s[4:5]
	s_cmp_lg_u64 s[12:13], 0
	s_cselect_b64 s[4:5], -1, 0
	s_xor_b64 s[0:1], s[0:1], -1
	v_mov_b32_e32 v1, 0
	s_mov_b64 s[2:3], 0
	v_mov_b32_e32 v2, 0
	s_and_b64 s[0:1], s[0:1], s[4:5]
	s_and_saveexec_b64 s[4:5], s[0:1]
	s_cbranch_execz .LBB226_14
; %bb.11:
	v_mov_b32_e32 v1, 0
	v_mov_b32_e32 v3, s12
	;; [unrolled: 1-line block ×5, first 2 shown]
.LBB226_12:                             ; =>This Inner Loop Header: Depth=1
	v_sub_co_u32_e64 v7, s[0:1], v3, v1
	v_subb_co_u32_e64 v8, s[0:1], v4, v2, s[0:1]
	v_lshrrev_b64 v[9:10], 1, v[7:8]
	v_lshrrev_b64 v[7:8], 6, v[7:8]
	v_add_co_u32_e64 v9, s[0:1], v9, v1
	v_addc_co_u32_e64 v10, s[0:1], v10, v2, s[0:1]
	v_add_co_u32_e64 v7, s[0:1], v9, v7
	v_addc_co_u32_e64 v8, s[0:1], v10, v8, s[0:1]
	v_lshlrev_b64 v[9:10], 2, v[7:8]
	v_add_co_u32_e64 v9, s[0:1], s10, v9
	v_addc_co_u32_e64 v10, s[0:1], v6, v10, s[0:1]
	global_load_dword v9, v[9:10], off
	v_add_co_u32_e64 v10, s[0:1], 1, v7
	v_addc_co_u32_e64 v11, s[0:1], 0, v8, s[0:1]
	s_waitcnt vmcnt(0) lgkmcnt(0)
	v_cmp_lt_i32_e64 s[0:1], v5, v9
	v_cndmask_b32_e64 v4, v4, v8, s[0:1]
	v_cndmask_b32_e64 v3, v3, v7, s[0:1]
	;; [unrolled: 1-line block ×4, first 2 shown]
	v_cmp_ge_u64_e64 s[0:1], v[1:2], v[3:4]
	s_or_b64 s[2:3], s[0:1], s[2:3]
	s_andn2_b64 exec, exec, s[2:3]
	s_cbranch_execnz .LBB226_12
; %bb.13:
	s_or_b64 exec, exec, s[2:3]
.LBB226_14:
	s_or_b64 exec, exec, s[4:5]
	s_and_saveexec_b64 s[0:1], vcc
	s_cbranch_execz .LBB226_16
; %bb.15:
	s_lshl_b64 s[0:1], s[8:9], 3
	s_add_u32 s0, s7, s0
	s_addc_u32 s1, s14, s1
	v_lshlrev_b32_e32 v0, 3, v0
	v_mov_b32_e32 v4, s1
	v_add_co_u32_e32 v3, vcc, s0, v0
	v_addc_co_u32_e32 v4, vcc, 0, v4, vcc
	flat_store_dwordx2 v[3:4], v[1:2]
.LBB226_16:
	s_endpgm
	.section	.rodata,"a",@progbits
	.p2align	6, 0x0
	.amdhsa_kernel _ZN7rocprim17ROCPRIM_400000_NS6detail17trampoline_kernelINS0_14default_configENS1_27upper_bound_config_selectorIilEEZNS1_14transform_implILb0ES3_S5_N6thrust23THRUST_200600_302600_NS6detail15normal_iteratorINS8_7pointerIiNS8_11hip_rocprim5par_tENS8_11use_defaultESE_EEEENSA_INSB_IlSD_SE_SE_EEEEZNS1_13binary_searchIS3_S5_PiSG_SI_NS1_21upper_bound_search_opENS9_16wrapped_functionINS8_6system6detail7generic6detail18binary_search_lessEbEEEE10hipError_tPvRmT1_T2_T3_mmT4_T5_P12ihipStream_tbEUlRKiE_EEST_SX_SY_mSZ_S12_bEUlT_E_NS1_11comp_targetILNS1_3genE2ELNS1_11target_archE906ELNS1_3gpuE6ELNS1_3repE0EEENS1_30default_config_static_selectorELNS0_4arch9wavefront6targetE1EEEvSW_
		.amdhsa_group_segment_fixed_size 0
		.amdhsa_private_segment_fixed_size 0
		.amdhsa_kernarg_size 312
		.amdhsa_user_sgpr_count 6
		.amdhsa_user_sgpr_private_segment_buffer 1
		.amdhsa_user_sgpr_dispatch_ptr 0
		.amdhsa_user_sgpr_queue_ptr 0
		.amdhsa_user_sgpr_kernarg_segment_ptr 1
		.amdhsa_user_sgpr_dispatch_id 0
		.amdhsa_user_sgpr_flat_scratch_init 0
		.amdhsa_user_sgpr_private_segment_size 0
		.amdhsa_uses_dynamic_stack 0
		.amdhsa_system_sgpr_private_segment_wavefront_offset 0
		.amdhsa_system_sgpr_workgroup_id_x 1
		.amdhsa_system_sgpr_workgroup_id_y 0
		.amdhsa_system_sgpr_workgroup_id_z 0
		.amdhsa_system_sgpr_workgroup_info 0
		.amdhsa_system_vgpr_workitem_id 0
		.amdhsa_next_free_vgpr 12
		.amdhsa_next_free_sgpr 20
		.amdhsa_reserve_vcc 1
		.amdhsa_reserve_flat_scratch 0
		.amdhsa_float_round_mode_32 0
		.amdhsa_float_round_mode_16_64 0
		.amdhsa_float_denorm_mode_32 3
		.amdhsa_float_denorm_mode_16_64 3
		.amdhsa_dx10_clamp 1
		.amdhsa_ieee_mode 1
		.amdhsa_fp16_overflow 0
		.amdhsa_exception_fp_ieee_invalid_op 0
		.amdhsa_exception_fp_denorm_src 0
		.amdhsa_exception_fp_ieee_div_zero 0
		.amdhsa_exception_fp_ieee_overflow 0
		.amdhsa_exception_fp_ieee_underflow 0
		.amdhsa_exception_fp_ieee_inexact 0
		.amdhsa_exception_int_div_zero 0
	.end_amdhsa_kernel
	.section	.text._ZN7rocprim17ROCPRIM_400000_NS6detail17trampoline_kernelINS0_14default_configENS1_27upper_bound_config_selectorIilEEZNS1_14transform_implILb0ES3_S5_N6thrust23THRUST_200600_302600_NS6detail15normal_iteratorINS8_7pointerIiNS8_11hip_rocprim5par_tENS8_11use_defaultESE_EEEENSA_INSB_IlSD_SE_SE_EEEEZNS1_13binary_searchIS3_S5_PiSG_SI_NS1_21upper_bound_search_opENS9_16wrapped_functionINS8_6system6detail7generic6detail18binary_search_lessEbEEEE10hipError_tPvRmT1_T2_T3_mmT4_T5_P12ihipStream_tbEUlRKiE_EEST_SX_SY_mSZ_S12_bEUlT_E_NS1_11comp_targetILNS1_3genE2ELNS1_11target_archE906ELNS1_3gpuE6ELNS1_3repE0EEENS1_30default_config_static_selectorELNS0_4arch9wavefront6targetE1EEEvSW_,"axG",@progbits,_ZN7rocprim17ROCPRIM_400000_NS6detail17trampoline_kernelINS0_14default_configENS1_27upper_bound_config_selectorIilEEZNS1_14transform_implILb0ES3_S5_N6thrust23THRUST_200600_302600_NS6detail15normal_iteratorINS8_7pointerIiNS8_11hip_rocprim5par_tENS8_11use_defaultESE_EEEENSA_INSB_IlSD_SE_SE_EEEEZNS1_13binary_searchIS3_S5_PiSG_SI_NS1_21upper_bound_search_opENS9_16wrapped_functionINS8_6system6detail7generic6detail18binary_search_lessEbEEEE10hipError_tPvRmT1_T2_T3_mmT4_T5_P12ihipStream_tbEUlRKiE_EEST_SX_SY_mSZ_S12_bEUlT_E_NS1_11comp_targetILNS1_3genE2ELNS1_11target_archE906ELNS1_3gpuE6ELNS1_3repE0EEENS1_30default_config_static_selectorELNS0_4arch9wavefront6targetE1EEEvSW_,comdat
.Lfunc_end226:
	.size	_ZN7rocprim17ROCPRIM_400000_NS6detail17trampoline_kernelINS0_14default_configENS1_27upper_bound_config_selectorIilEEZNS1_14transform_implILb0ES3_S5_N6thrust23THRUST_200600_302600_NS6detail15normal_iteratorINS8_7pointerIiNS8_11hip_rocprim5par_tENS8_11use_defaultESE_EEEENSA_INSB_IlSD_SE_SE_EEEEZNS1_13binary_searchIS3_S5_PiSG_SI_NS1_21upper_bound_search_opENS9_16wrapped_functionINS8_6system6detail7generic6detail18binary_search_lessEbEEEE10hipError_tPvRmT1_T2_T3_mmT4_T5_P12ihipStream_tbEUlRKiE_EEST_SX_SY_mSZ_S12_bEUlT_E_NS1_11comp_targetILNS1_3genE2ELNS1_11target_archE906ELNS1_3gpuE6ELNS1_3repE0EEENS1_30default_config_static_selectorELNS0_4arch9wavefront6targetE1EEEvSW_, .Lfunc_end226-_ZN7rocprim17ROCPRIM_400000_NS6detail17trampoline_kernelINS0_14default_configENS1_27upper_bound_config_selectorIilEEZNS1_14transform_implILb0ES3_S5_N6thrust23THRUST_200600_302600_NS6detail15normal_iteratorINS8_7pointerIiNS8_11hip_rocprim5par_tENS8_11use_defaultESE_EEEENSA_INSB_IlSD_SE_SE_EEEEZNS1_13binary_searchIS3_S5_PiSG_SI_NS1_21upper_bound_search_opENS9_16wrapped_functionINS8_6system6detail7generic6detail18binary_search_lessEbEEEE10hipError_tPvRmT1_T2_T3_mmT4_T5_P12ihipStream_tbEUlRKiE_EEST_SX_SY_mSZ_S12_bEUlT_E_NS1_11comp_targetILNS1_3genE2ELNS1_11target_archE906ELNS1_3gpuE6ELNS1_3repE0EEENS1_30default_config_static_selectorELNS0_4arch9wavefront6targetE1EEEvSW_
                                        ; -- End function
	.set _ZN7rocprim17ROCPRIM_400000_NS6detail17trampoline_kernelINS0_14default_configENS1_27upper_bound_config_selectorIilEEZNS1_14transform_implILb0ES3_S5_N6thrust23THRUST_200600_302600_NS6detail15normal_iteratorINS8_7pointerIiNS8_11hip_rocprim5par_tENS8_11use_defaultESE_EEEENSA_INSB_IlSD_SE_SE_EEEEZNS1_13binary_searchIS3_S5_PiSG_SI_NS1_21upper_bound_search_opENS9_16wrapped_functionINS8_6system6detail7generic6detail18binary_search_lessEbEEEE10hipError_tPvRmT1_T2_T3_mmT4_T5_P12ihipStream_tbEUlRKiE_EEST_SX_SY_mSZ_S12_bEUlT_E_NS1_11comp_targetILNS1_3genE2ELNS1_11target_archE906ELNS1_3gpuE6ELNS1_3repE0EEENS1_30default_config_static_selectorELNS0_4arch9wavefront6targetE1EEEvSW_.num_vgpr, 12
	.set _ZN7rocprim17ROCPRIM_400000_NS6detail17trampoline_kernelINS0_14default_configENS1_27upper_bound_config_selectorIilEEZNS1_14transform_implILb0ES3_S5_N6thrust23THRUST_200600_302600_NS6detail15normal_iteratorINS8_7pointerIiNS8_11hip_rocprim5par_tENS8_11use_defaultESE_EEEENSA_INSB_IlSD_SE_SE_EEEEZNS1_13binary_searchIS3_S5_PiSG_SI_NS1_21upper_bound_search_opENS9_16wrapped_functionINS8_6system6detail7generic6detail18binary_search_lessEbEEEE10hipError_tPvRmT1_T2_T3_mmT4_T5_P12ihipStream_tbEUlRKiE_EEST_SX_SY_mSZ_S12_bEUlT_E_NS1_11comp_targetILNS1_3genE2ELNS1_11target_archE906ELNS1_3gpuE6ELNS1_3repE0EEENS1_30default_config_static_selectorELNS0_4arch9wavefront6targetE1EEEvSW_.num_agpr, 0
	.set _ZN7rocprim17ROCPRIM_400000_NS6detail17trampoline_kernelINS0_14default_configENS1_27upper_bound_config_selectorIilEEZNS1_14transform_implILb0ES3_S5_N6thrust23THRUST_200600_302600_NS6detail15normal_iteratorINS8_7pointerIiNS8_11hip_rocprim5par_tENS8_11use_defaultESE_EEEENSA_INSB_IlSD_SE_SE_EEEEZNS1_13binary_searchIS3_S5_PiSG_SI_NS1_21upper_bound_search_opENS9_16wrapped_functionINS8_6system6detail7generic6detail18binary_search_lessEbEEEE10hipError_tPvRmT1_T2_T3_mmT4_T5_P12ihipStream_tbEUlRKiE_EEST_SX_SY_mSZ_S12_bEUlT_E_NS1_11comp_targetILNS1_3genE2ELNS1_11target_archE906ELNS1_3gpuE6ELNS1_3repE0EEENS1_30default_config_static_selectorELNS0_4arch9wavefront6targetE1EEEvSW_.numbered_sgpr, 20
	.set _ZN7rocprim17ROCPRIM_400000_NS6detail17trampoline_kernelINS0_14default_configENS1_27upper_bound_config_selectorIilEEZNS1_14transform_implILb0ES3_S5_N6thrust23THRUST_200600_302600_NS6detail15normal_iteratorINS8_7pointerIiNS8_11hip_rocprim5par_tENS8_11use_defaultESE_EEEENSA_INSB_IlSD_SE_SE_EEEEZNS1_13binary_searchIS3_S5_PiSG_SI_NS1_21upper_bound_search_opENS9_16wrapped_functionINS8_6system6detail7generic6detail18binary_search_lessEbEEEE10hipError_tPvRmT1_T2_T3_mmT4_T5_P12ihipStream_tbEUlRKiE_EEST_SX_SY_mSZ_S12_bEUlT_E_NS1_11comp_targetILNS1_3genE2ELNS1_11target_archE906ELNS1_3gpuE6ELNS1_3repE0EEENS1_30default_config_static_selectorELNS0_4arch9wavefront6targetE1EEEvSW_.num_named_barrier, 0
	.set _ZN7rocprim17ROCPRIM_400000_NS6detail17trampoline_kernelINS0_14default_configENS1_27upper_bound_config_selectorIilEEZNS1_14transform_implILb0ES3_S5_N6thrust23THRUST_200600_302600_NS6detail15normal_iteratorINS8_7pointerIiNS8_11hip_rocprim5par_tENS8_11use_defaultESE_EEEENSA_INSB_IlSD_SE_SE_EEEEZNS1_13binary_searchIS3_S5_PiSG_SI_NS1_21upper_bound_search_opENS9_16wrapped_functionINS8_6system6detail7generic6detail18binary_search_lessEbEEEE10hipError_tPvRmT1_T2_T3_mmT4_T5_P12ihipStream_tbEUlRKiE_EEST_SX_SY_mSZ_S12_bEUlT_E_NS1_11comp_targetILNS1_3genE2ELNS1_11target_archE906ELNS1_3gpuE6ELNS1_3repE0EEENS1_30default_config_static_selectorELNS0_4arch9wavefront6targetE1EEEvSW_.private_seg_size, 0
	.set _ZN7rocprim17ROCPRIM_400000_NS6detail17trampoline_kernelINS0_14default_configENS1_27upper_bound_config_selectorIilEEZNS1_14transform_implILb0ES3_S5_N6thrust23THRUST_200600_302600_NS6detail15normal_iteratorINS8_7pointerIiNS8_11hip_rocprim5par_tENS8_11use_defaultESE_EEEENSA_INSB_IlSD_SE_SE_EEEEZNS1_13binary_searchIS3_S5_PiSG_SI_NS1_21upper_bound_search_opENS9_16wrapped_functionINS8_6system6detail7generic6detail18binary_search_lessEbEEEE10hipError_tPvRmT1_T2_T3_mmT4_T5_P12ihipStream_tbEUlRKiE_EEST_SX_SY_mSZ_S12_bEUlT_E_NS1_11comp_targetILNS1_3genE2ELNS1_11target_archE906ELNS1_3gpuE6ELNS1_3repE0EEENS1_30default_config_static_selectorELNS0_4arch9wavefront6targetE1EEEvSW_.uses_vcc, 1
	.set _ZN7rocprim17ROCPRIM_400000_NS6detail17trampoline_kernelINS0_14default_configENS1_27upper_bound_config_selectorIilEEZNS1_14transform_implILb0ES3_S5_N6thrust23THRUST_200600_302600_NS6detail15normal_iteratorINS8_7pointerIiNS8_11hip_rocprim5par_tENS8_11use_defaultESE_EEEENSA_INSB_IlSD_SE_SE_EEEEZNS1_13binary_searchIS3_S5_PiSG_SI_NS1_21upper_bound_search_opENS9_16wrapped_functionINS8_6system6detail7generic6detail18binary_search_lessEbEEEE10hipError_tPvRmT1_T2_T3_mmT4_T5_P12ihipStream_tbEUlRKiE_EEST_SX_SY_mSZ_S12_bEUlT_E_NS1_11comp_targetILNS1_3genE2ELNS1_11target_archE906ELNS1_3gpuE6ELNS1_3repE0EEENS1_30default_config_static_selectorELNS0_4arch9wavefront6targetE1EEEvSW_.uses_flat_scratch, 0
	.set _ZN7rocprim17ROCPRIM_400000_NS6detail17trampoline_kernelINS0_14default_configENS1_27upper_bound_config_selectorIilEEZNS1_14transform_implILb0ES3_S5_N6thrust23THRUST_200600_302600_NS6detail15normal_iteratorINS8_7pointerIiNS8_11hip_rocprim5par_tENS8_11use_defaultESE_EEEENSA_INSB_IlSD_SE_SE_EEEEZNS1_13binary_searchIS3_S5_PiSG_SI_NS1_21upper_bound_search_opENS9_16wrapped_functionINS8_6system6detail7generic6detail18binary_search_lessEbEEEE10hipError_tPvRmT1_T2_T3_mmT4_T5_P12ihipStream_tbEUlRKiE_EEST_SX_SY_mSZ_S12_bEUlT_E_NS1_11comp_targetILNS1_3genE2ELNS1_11target_archE906ELNS1_3gpuE6ELNS1_3repE0EEENS1_30default_config_static_selectorELNS0_4arch9wavefront6targetE1EEEvSW_.has_dyn_sized_stack, 0
	.set _ZN7rocprim17ROCPRIM_400000_NS6detail17trampoline_kernelINS0_14default_configENS1_27upper_bound_config_selectorIilEEZNS1_14transform_implILb0ES3_S5_N6thrust23THRUST_200600_302600_NS6detail15normal_iteratorINS8_7pointerIiNS8_11hip_rocprim5par_tENS8_11use_defaultESE_EEEENSA_INSB_IlSD_SE_SE_EEEEZNS1_13binary_searchIS3_S5_PiSG_SI_NS1_21upper_bound_search_opENS9_16wrapped_functionINS8_6system6detail7generic6detail18binary_search_lessEbEEEE10hipError_tPvRmT1_T2_T3_mmT4_T5_P12ihipStream_tbEUlRKiE_EEST_SX_SY_mSZ_S12_bEUlT_E_NS1_11comp_targetILNS1_3genE2ELNS1_11target_archE906ELNS1_3gpuE6ELNS1_3repE0EEENS1_30default_config_static_selectorELNS0_4arch9wavefront6targetE1EEEvSW_.has_recursion, 0
	.set _ZN7rocprim17ROCPRIM_400000_NS6detail17trampoline_kernelINS0_14default_configENS1_27upper_bound_config_selectorIilEEZNS1_14transform_implILb0ES3_S5_N6thrust23THRUST_200600_302600_NS6detail15normal_iteratorINS8_7pointerIiNS8_11hip_rocprim5par_tENS8_11use_defaultESE_EEEENSA_INSB_IlSD_SE_SE_EEEEZNS1_13binary_searchIS3_S5_PiSG_SI_NS1_21upper_bound_search_opENS9_16wrapped_functionINS8_6system6detail7generic6detail18binary_search_lessEbEEEE10hipError_tPvRmT1_T2_T3_mmT4_T5_P12ihipStream_tbEUlRKiE_EEST_SX_SY_mSZ_S12_bEUlT_E_NS1_11comp_targetILNS1_3genE2ELNS1_11target_archE906ELNS1_3gpuE6ELNS1_3repE0EEENS1_30default_config_static_selectorELNS0_4arch9wavefront6targetE1EEEvSW_.has_indirect_call, 0
	.section	.AMDGPU.csdata,"",@progbits
; Kernel info:
; codeLenInByte = 700
; TotalNumSgprs: 24
; NumVgprs: 12
; ScratchSize: 0
; MemoryBound: 0
; FloatMode: 240
; IeeeMode: 1
; LDSByteSize: 0 bytes/workgroup (compile time only)
; SGPRBlocks: 2
; VGPRBlocks: 2
; NumSGPRsForWavesPerEU: 24
; NumVGPRsForWavesPerEU: 12
; Occupancy: 10
; WaveLimiterHint : 0
; COMPUTE_PGM_RSRC2:SCRATCH_EN: 0
; COMPUTE_PGM_RSRC2:USER_SGPR: 6
; COMPUTE_PGM_RSRC2:TRAP_HANDLER: 0
; COMPUTE_PGM_RSRC2:TGID_X_EN: 1
; COMPUTE_PGM_RSRC2:TGID_Y_EN: 0
; COMPUTE_PGM_RSRC2:TGID_Z_EN: 0
; COMPUTE_PGM_RSRC2:TIDIG_COMP_CNT: 0
	.section	.text._ZN7rocprim17ROCPRIM_400000_NS6detail17trampoline_kernelINS0_14default_configENS1_27upper_bound_config_selectorIilEEZNS1_14transform_implILb0ES3_S5_N6thrust23THRUST_200600_302600_NS6detail15normal_iteratorINS8_7pointerIiNS8_11hip_rocprim5par_tENS8_11use_defaultESE_EEEENSA_INSB_IlSD_SE_SE_EEEEZNS1_13binary_searchIS3_S5_PiSG_SI_NS1_21upper_bound_search_opENS9_16wrapped_functionINS8_6system6detail7generic6detail18binary_search_lessEbEEEE10hipError_tPvRmT1_T2_T3_mmT4_T5_P12ihipStream_tbEUlRKiE_EEST_SX_SY_mSZ_S12_bEUlT_E_NS1_11comp_targetILNS1_3genE10ELNS1_11target_archE1201ELNS1_3gpuE5ELNS1_3repE0EEENS1_30default_config_static_selectorELNS0_4arch9wavefront6targetE1EEEvSW_,"axG",@progbits,_ZN7rocprim17ROCPRIM_400000_NS6detail17trampoline_kernelINS0_14default_configENS1_27upper_bound_config_selectorIilEEZNS1_14transform_implILb0ES3_S5_N6thrust23THRUST_200600_302600_NS6detail15normal_iteratorINS8_7pointerIiNS8_11hip_rocprim5par_tENS8_11use_defaultESE_EEEENSA_INSB_IlSD_SE_SE_EEEEZNS1_13binary_searchIS3_S5_PiSG_SI_NS1_21upper_bound_search_opENS9_16wrapped_functionINS8_6system6detail7generic6detail18binary_search_lessEbEEEE10hipError_tPvRmT1_T2_T3_mmT4_T5_P12ihipStream_tbEUlRKiE_EEST_SX_SY_mSZ_S12_bEUlT_E_NS1_11comp_targetILNS1_3genE10ELNS1_11target_archE1201ELNS1_3gpuE5ELNS1_3repE0EEENS1_30default_config_static_selectorELNS0_4arch9wavefront6targetE1EEEvSW_,comdat
	.protected	_ZN7rocprim17ROCPRIM_400000_NS6detail17trampoline_kernelINS0_14default_configENS1_27upper_bound_config_selectorIilEEZNS1_14transform_implILb0ES3_S5_N6thrust23THRUST_200600_302600_NS6detail15normal_iteratorINS8_7pointerIiNS8_11hip_rocprim5par_tENS8_11use_defaultESE_EEEENSA_INSB_IlSD_SE_SE_EEEEZNS1_13binary_searchIS3_S5_PiSG_SI_NS1_21upper_bound_search_opENS9_16wrapped_functionINS8_6system6detail7generic6detail18binary_search_lessEbEEEE10hipError_tPvRmT1_T2_T3_mmT4_T5_P12ihipStream_tbEUlRKiE_EEST_SX_SY_mSZ_S12_bEUlT_E_NS1_11comp_targetILNS1_3genE10ELNS1_11target_archE1201ELNS1_3gpuE5ELNS1_3repE0EEENS1_30default_config_static_selectorELNS0_4arch9wavefront6targetE1EEEvSW_ ; -- Begin function _ZN7rocprim17ROCPRIM_400000_NS6detail17trampoline_kernelINS0_14default_configENS1_27upper_bound_config_selectorIilEEZNS1_14transform_implILb0ES3_S5_N6thrust23THRUST_200600_302600_NS6detail15normal_iteratorINS8_7pointerIiNS8_11hip_rocprim5par_tENS8_11use_defaultESE_EEEENSA_INSB_IlSD_SE_SE_EEEEZNS1_13binary_searchIS3_S5_PiSG_SI_NS1_21upper_bound_search_opENS9_16wrapped_functionINS8_6system6detail7generic6detail18binary_search_lessEbEEEE10hipError_tPvRmT1_T2_T3_mmT4_T5_P12ihipStream_tbEUlRKiE_EEST_SX_SY_mSZ_S12_bEUlT_E_NS1_11comp_targetILNS1_3genE10ELNS1_11target_archE1201ELNS1_3gpuE5ELNS1_3repE0EEENS1_30default_config_static_selectorELNS0_4arch9wavefront6targetE1EEEvSW_
	.globl	_ZN7rocprim17ROCPRIM_400000_NS6detail17trampoline_kernelINS0_14default_configENS1_27upper_bound_config_selectorIilEEZNS1_14transform_implILb0ES3_S5_N6thrust23THRUST_200600_302600_NS6detail15normal_iteratorINS8_7pointerIiNS8_11hip_rocprim5par_tENS8_11use_defaultESE_EEEENSA_INSB_IlSD_SE_SE_EEEEZNS1_13binary_searchIS3_S5_PiSG_SI_NS1_21upper_bound_search_opENS9_16wrapped_functionINS8_6system6detail7generic6detail18binary_search_lessEbEEEE10hipError_tPvRmT1_T2_T3_mmT4_T5_P12ihipStream_tbEUlRKiE_EEST_SX_SY_mSZ_S12_bEUlT_E_NS1_11comp_targetILNS1_3genE10ELNS1_11target_archE1201ELNS1_3gpuE5ELNS1_3repE0EEENS1_30default_config_static_selectorELNS0_4arch9wavefront6targetE1EEEvSW_
	.p2align	8
	.type	_ZN7rocprim17ROCPRIM_400000_NS6detail17trampoline_kernelINS0_14default_configENS1_27upper_bound_config_selectorIilEEZNS1_14transform_implILb0ES3_S5_N6thrust23THRUST_200600_302600_NS6detail15normal_iteratorINS8_7pointerIiNS8_11hip_rocprim5par_tENS8_11use_defaultESE_EEEENSA_INSB_IlSD_SE_SE_EEEEZNS1_13binary_searchIS3_S5_PiSG_SI_NS1_21upper_bound_search_opENS9_16wrapped_functionINS8_6system6detail7generic6detail18binary_search_lessEbEEEE10hipError_tPvRmT1_T2_T3_mmT4_T5_P12ihipStream_tbEUlRKiE_EEST_SX_SY_mSZ_S12_bEUlT_E_NS1_11comp_targetILNS1_3genE10ELNS1_11target_archE1201ELNS1_3gpuE5ELNS1_3repE0EEENS1_30default_config_static_selectorELNS0_4arch9wavefront6targetE1EEEvSW_,@function
_ZN7rocprim17ROCPRIM_400000_NS6detail17trampoline_kernelINS0_14default_configENS1_27upper_bound_config_selectorIilEEZNS1_14transform_implILb0ES3_S5_N6thrust23THRUST_200600_302600_NS6detail15normal_iteratorINS8_7pointerIiNS8_11hip_rocprim5par_tENS8_11use_defaultESE_EEEENSA_INSB_IlSD_SE_SE_EEEEZNS1_13binary_searchIS3_S5_PiSG_SI_NS1_21upper_bound_search_opENS9_16wrapped_functionINS8_6system6detail7generic6detail18binary_search_lessEbEEEE10hipError_tPvRmT1_T2_T3_mmT4_T5_P12ihipStream_tbEUlRKiE_EEST_SX_SY_mSZ_S12_bEUlT_E_NS1_11comp_targetILNS1_3genE10ELNS1_11target_archE1201ELNS1_3gpuE5ELNS1_3repE0EEENS1_30default_config_static_selectorELNS0_4arch9wavefront6targetE1EEEvSW_: ; @_ZN7rocprim17ROCPRIM_400000_NS6detail17trampoline_kernelINS0_14default_configENS1_27upper_bound_config_selectorIilEEZNS1_14transform_implILb0ES3_S5_N6thrust23THRUST_200600_302600_NS6detail15normal_iteratorINS8_7pointerIiNS8_11hip_rocprim5par_tENS8_11use_defaultESE_EEEENSA_INSB_IlSD_SE_SE_EEEEZNS1_13binary_searchIS3_S5_PiSG_SI_NS1_21upper_bound_search_opENS9_16wrapped_functionINS8_6system6detail7generic6detail18binary_search_lessEbEEEE10hipError_tPvRmT1_T2_T3_mmT4_T5_P12ihipStream_tbEUlRKiE_EEST_SX_SY_mSZ_S12_bEUlT_E_NS1_11comp_targetILNS1_3genE10ELNS1_11target_archE1201ELNS1_3gpuE5ELNS1_3repE0EEENS1_30default_config_static_selectorELNS0_4arch9wavefront6targetE1EEEvSW_
; %bb.0:
	.section	.rodata,"a",@progbits
	.p2align	6, 0x0
	.amdhsa_kernel _ZN7rocprim17ROCPRIM_400000_NS6detail17trampoline_kernelINS0_14default_configENS1_27upper_bound_config_selectorIilEEZNS1_14transform_implILb0ES3_S5_N6thrust23THRUST_200600_302600_NS6detail15normal_iteratorINS8_7pointerIiNS8_11hip_rocprim5par_tENS8_11use_defaultESE_EEEENSA_INSB_IlSD_SE_SE_EEEEZNS1_13binary_searchIS3_S5_PiSG_SI_NS1_21upper_bound_search_opENS9_16wrapped_functionINS8_6system6detail7generic6detail18binary_search_lessEbEEEE10hipError_tPvRmT1_T2_T3_mmT4_T5_P12ihipStream_tbEUlRKiE_EEST_SX_SY_mSZ_S12_bEUlT_E_NS1_11comp_targetILNS1_3genE10ELNS1_11target_archE1201ELNS1_3gpuE5ELNS1_3repE0EEENS1_30default_config_static_selectorELNS0_4arch9wavefront6targetE1EEEvSW_
		.amdhsa_group_segment_fixed_size 0
		.amdhsa_private_segment_fixed_size 0
		.amdhsa_kernarg_size 56
		.amdhsa_user_sgpr_count 6
		.amdhsa_user_sgpr_private_segment_buffer 1
		.amdhsa_user_sgpr_dispatch_ptr 0
		.amdhsa_user_sgpr_queue_ptr 0
		.amdhsa_user_sgpr_kernarg_segment_ptr 1
		.amdhsa_user_sgpr_dispatch_id 0
		.amdhsa_user_sgpr_flat_scratch_init 0
		.amdhsa_user_sgpr_private_segment_size 0
		.amdhsa_uses_dynamic_stack 0
		.amdhsa_system_sgpr_private_segment_wavefront_offset 0
		.amdhsa_system_sgpr_workgroup_id_x 1
		.amdhsa_system_sgpr_workgroup_id_y 0
		.amdhsa_system_sgpr_workgroup_id_z 0
		.amdhsa_system_sgpr_workgroup_info 0
		.amdhsa_system_vgpr_workitem_id 0
		.amdhsa_next_free_vgpr 1
		.amdhsa_next_free_sgpr 0
		.amdhsa_reserve_vcc 0
		.amdhsa_reserve_flat_scratch 0
		.amdhsa_float_round_mode_32 0
		.amdhsa_float_round_mode_16_64 0
		.amdhsa_float_denorm_mode_32 3
		.amdhsa_float_denorm_mode_16_64 3
		.amdhsa_dx10_clamp 1
		.amdhsa_ieee_mode 1
		.amdhsa_fp16_overflow 0
		.amdhsa_exception_fp_ieee_invalid_op 0
		.amdhsa_exception_fp_denorm_src 0
		.amdhsa_exception_fp_ieee_div_zero 0
		.amdhsa_exception_fp_ieee_overflow 0
		.amdhsa_exception_fp_ieee_underflow 0
		.amdhsa_exception_fp_ieee_inexact 0
		.amdhsa_exception_int_div_zero 0
	.end_amdhsa_kernel
	.section	.text._ZN7rocprim17ROCPRIM_400000_NS6detail17trampoline_kernelINS0_14default_configENS1_27upper_bound_config_selectorIilEEZNS1_14transform_implILb0ES3_S5_N6thrust23THRUST_200600_302600_NS6detail15normal_iteratorINS8_7pointerIiNS8_11hip_rocprim5par_tENS8_11use_defaultESE_EEEENSA_INSB_IlSD_SE_SE_EEEEZNS1_13binary_searchIS3_S5_PiSG_SI_NS1_21upper_bound_search_opENS9_16wrapped_functionINS8_6system6detail7generic6detail18binary_search_lessEbEEEE10hipError_tPvRmT1_T2_T3_mmT4_T5_P12ihipStream_tbEUlRKiE_EEST_SX_SY_mSZ_S12_bEUlT_E_NS1_11comp_targetILNS1_3genE10ELNS1_11target_archE1201ELNS1_3gpuE5ELNS1_3repE0EEENS1_30default_config_static_selectorELNS0_4arch9wavefront6targetE1EEEvSW_,"axG",@progbits,_ZN7rocprim17ROCPRIM_400000_NS6detail17trampoline_kernelINS0_14default_configENS1_27upper_bound_config_selectorIilEEZNS1_14transform_implILb0ES3_S5_N6thrust23THRUST_200600_302600_NS6detail15normal_iteratorINS8_7pointerIiNS8_11hip_rocprim5par_tENS8_11use_defaultESE_EEEENSA_INSB_IlSD_SE_SE_EEEEZNS1_13binary_searchIS3_S5_PiSG_SI_NS1_21upper_bound_search_opENS9_16wrapped_functionINS8_6system6detail7generic6detail18binary_search_lessEbEEEE10hipError_tPvRmT1_T2_T3_mmT4_T5_P12ihipStream_tbEUlRKiE_EEST_SX_SY_mSZ_S12_bEUlT_E_NS1_11comp_targetILNS1_3genE10ELNS1_11target_archE1201ELNS1_3gpuE5ELNS1_3repE0EEENS1_30default_config_static_selectorELNS0_4arch9wavefront6targetE1EEEvSW_,comdat
.Lfunc_end227:
	.size	_ZN7rocprim17ROCPRIM_400000_NS6detail17trampoline_kernelINS0_14default_configENS1_27upper_bound_config_selectorIilEEZNS1_14transform_implILb0ES3_S5_N6thrust23THRUST_200600_302600_NS6detail15normal_iteratorINS8_7pointerIiNS8_11hip_rocprim5par_tENS8_11use_defaultESE_EEEENSA_INSB_IlSD_SE_SE_EEEEZNS1_13binary_searchIS3_S5_PiSG_SI_NS1_21upper_bound_search_opENS9_16wrapped_functionINS8_6system6detail7generic6detail18binary_search_lessEbEEEE10hipError_tPvRmT1_T2_T3_mmT4_T5_P12ihipStream_tbEUlRKiE_EEST_SX_SY_mSZ_S12_bEUlT_E_NS1_11comp_targetILNS1_3genE10ELNS1_11target_archE1201ELNS1_3gpuE5ELNS1_3repE0EEENS1_30default_config_static_selectorELNS0_4arch9wavefront6targetE1EEEvSW_, .Lfunc_end227-_ZN7rocprim17ROCPRIM_400000_NS6detail17trampoline_kernelINS0_14default_configENS1_27upper_bound_config_selectorIilEEZNS1_14transform_implILb0ES3_S5_N6thrust23THRUST_200600_302600_NS6detail15normal_iteratorINS8_7pointerIiNS8_11hip_rocprim5par_tENS8_11use_defaultESE_EEEENSA_INSB_IlSD_SE_SE_EEEEZNS1_13binary_searchIS3_S5_PiSG_SI_NS1_21upper_bound_search_opENS9_16wrapped_functionINS8_6system6detail7generic6detail18binary_search_lessEbEEEE10hipError_tPvRmT1_T2_T3_mmT4_T5_P12ihipStream_tbEUlRKiE_EEST_SX_SY_mSZ_S12_bEUlT_E_NS1_11comp_targetILNS1_3genE10ELNS1_11target_archE1201ELNS1_3gpuE5ELNS1_3repE0EEENS1_30default_config_static_selectorELNS0_4arch9wavefront6targetE1EEEvSW_
                                        ; -- End function
	.set _ZN7rocprim17ROCPRIM_400000_NS6detail17trampoline_kernelINS0_14default_configENS1_27upper_bound_config_selectorIilEEZNS1_14transform_implILb0ES3_S5_N6thrust23THRUST_200600_302600_NS6detail15normal_iteratorINS8_7pointerIiNS8_11hip_rocprim5par_tENS8_11use_defaultESE_EEEENSA_INSB_IlSD_SE_SE_EEEEZNS1_13binary_searchIS3_S5_PiSG_SI_NS1_21upper_bound_search_opENS9_16wrapped_functionINS8_6system6detail7generic6detail18binary_search_lessEbEEEE10hipError_tPvRmT1_T2_T3_mmT4_T5_P12ihipStream_tbEUlRKiE_EEST_SX_SY_mSZ_S12_bEUlT_E_NS1_11comp_targetILNS1_3genE10ELNS1_11target_archE1201ELNS1_3gpuE5ELNS1_3repE0EEENS1_30default_config_static_selectorELNS0_4arch9wavefront6targetE1EEEvSW_.num_vgpr, 0
	.set _ZN7rocprim17ROCPRIM_400000_NS6detail17trampoline_kernelINS0_14default_configENS1_27upper_bound_config_selectorIilEEZNS1_14transform_implILb0ES3_S5_N6thrust23THRUST_200600_302600_NS6detail15normal_iteratorINS8_7pointerIiNS8_11hip_rocprim5par_tENS8_11use_defaultESE_EEEENSA_INSB_IlSD_SE_SE_EEEEZNS1_13binary_searchIS3_S5_PiSG_SI_NS1_21upper_bound_search_opENS9_16wrapped_functionINS8_6system6detail7generic6detail18binary_search_lessEbEEEE10hipError_tPvRmT1_T2_T3_mmT4_T5_P12ihipStream_tbEUlRKiE_EEST_SX_SY_mSZ_S12_bEUlT_E_NS1_11comp_targetILNS1_3genE10ELNS1_11target_archE1201ELNS1_3gpuE5ELNS1_3repE0EEENS1_30default_config_static_selectorELNS0_4arch9wavefront6targetE1EEEvSW_.num_agpr, 0
	.set _ZN7rocprim17ROCPRIM_400000_NS6detail17trampoline_kernelINS0_14default_configENS1_27upper_bound_config_selectorIilEEZNS1_14transform_implILb0ES3_S5_N6thrust23THRUST_200600_302600_NS6detail15normal_iteratorINS8_7pointerIiNS8_11hip_rocprim5par_tENS8_11use_defaultESE_EEEENSA_INSB_IlSD_SE_SE_EEEEZNS1_13binary_searchIS3_S5_PiSG_SI_NS1_21upper_bound_search_opENS9_16wrapped_functionINS8_6system6detail7generic6detail18binary_search_lessEbEEEE10hipError_tPvRmT1_T2_T3_mmT4_T5_P12ihipStream_tbEUlRKiE_EEST_SX_SY_mSZ_S12_bEUlT_E_NS1_11comp_targetILNS1_3genE10ELNS1_11target_archE1201ELNS1_3gpuE5ELNS1_3repE0EEENS1_30default_config_static_selectorELNS0_4arch9wavefront6targetE1EEEvSW_.numbered_sgpr, 0
	.set _ZN7rocprim17ROCPRIM_400000_NS6detail17trampoline_kernelINS0_14default_configENS1_27upper_bound_config_selectorIilEEZNS1_14transform_implILb0ES3_S5_N6thrust23THRUST_200600_302600_NS6detail15normal_iteratorINS8_7pointerIiNS8_11hip_rocprim5par_tENS8_11use_defaultESE_EEEENSA_INSB_IlSD_SE_SE_EEEEZNS1_13binary_searchIS3_S5_PiSG_SI_NS1_21upper_bound_search_opENS9_16wrapped_functionINS8_6system6detail7generic6detail18binary_search_lessEbEEEE10hipError_tPvRmT1_T2_T3_mmT4_T5_P12ihipStream_tbEUlRKiE_EEST_SX_SY_mSZ_S12_bEUlT_E_NS1_11comp_targetILNS1_3genE10ELNS1_11target_archE1201ELNS1_3gpuE5ELNS1_3repE0EEENS1_30default_config_static_selectorELNS0_4arch9wavefront6targetE1EEEvSW_.num_named_barrier, 0
	.set _ZN7rocprim17ROCPRIM_400000_NS6detail17trampoline_kernelINS0_14default_configENS1_27upper_bound_config_selectorIilEEZNS1_14transform_implILb0ES3_S5_N6thrust23THRUST_200600_302600_NS6detail15normal_iteratorINS8_7pointerIiNS8_11hip_rocprim5par_tENS8_11use_defaultESE_EEEENSA_INSB_IlSD_SE_SE_EEEEZNS1_13binary_searchIS3_S5_PiSG_SI_NS1_21upper_bound_search_opENS9_16wrapped_functionINS8_6system6detail7generic6detail18binary_search_lessEbEEEE10hipError_tPvRmT1_T2_T3_mmT4_T5_P12ihipStream_tbEUlRKiE_EEST_SX_SY_mSZ_S12_bEUlT_E_NS1_11comp_targetILNS1_3genE10ELNS1_11target_archE1201ELNS1_3gpuE5ELNS1_3repE0EEENS1_30default_config_static_selectorELNS0_4arch9wavefront6targetE1EEEvSW_.private_seg_size, 0
	.set _ZN7rocprim17ROCPRIM_400000_NS6detail17trampoline_kernelINS0_14default_configENS1_27upper_bound_config_selectorIilEEZNS1_14transform_implILb0ES3_S5_N6thrust23THRUST_200600_302600_NS6detail15normal_iteratorINS8_7pointerIiNS8_11hip_rocprim5par_tENS8_11use_defaultESE_EEEENSA_INSB_IlSD_SE_SE_EEEEZNS1_13binary_searchIS3_S5_PiSG_SI_NS1_21upper_bound_search_opENS9_16wrapped_functionINS8_6system6detail7generic6detail18binary_search_lessEbEEEE10hipError_tPvRmT1_T2_T3_mmT4_T5_P12ihipStream_tbEUlRKiE_EEST_SX_SY_mSZ_S12_bEUlT_E_NS1_11comp_targetILNS1_3genE10ELNS1_11target_archE1201ELNS1_3gpuE5ELNS1_3repE0EEENS1_30default_config_static_selectorELNS0_4arch9wavefront6targetE1EEEvSW_.uses_vcc, 0
	.set _ZN7rocprim17ROCPRIM_400000_NS6detail17trampoline_kernelINS0_14default_configENS1_27upper_bound_config_selectorIilEEZNS1_14transform_implILb0ES3_S5_N6thrust23THRUST_200600_302600_NS6detail15normal_iteratorINS8_7pointerIiNS8_11hip_rocprim5par_tENS8_11use_defaultESE_EEEENSA_INSB_IlSD_SE_SE_EEEEZNS1_13binary_searchIS3_S5_PiSG_SI_NS1_21upper_bound_search_opENS9_16wrapped_functionINS8_6system6detail7generic6detail18binary_search_lessEbEEEE10hipError_tPvRmT1_T2_T3_mmT4_T5_P12ihipStream_tbEUlRKiE_EEST_SX_SY_mSZ_S12_bEUlT_E_NS1_11comp_targetILNS1_3genE10ELNS1_11target_archE1201ELNS1_3gpuE5ELNS1_3repE0EEENS1_30default_config_static_selectorELNS0_4arch9wavefront6targetE1EEEvSW_.uses_flat_scratch, 0
	.set _ZN7rocprim17ROCPRIM_400000_NS6detail17trampoline_kernelINS0_14default_configENS1_27upper_bound_config_selectorIilEEZNS1_14transform_implILb0ES3_S5_N6thrust23THRUST_200600_302600_NS6detail15normal_iteratorINS8_7pointerIiNS8_11hip_rocprim5par_tENS8_11use_defaultESE_EEEENSA_INSB_IlSD_SE_SE_EEEEZNS1_13binary_searchIS3_S5_PiSG_SI_NS1_21upper_bound_search_opENS9_16wrapped_functionINS8_6system6detail7generic6detail18binary_search_lessEbEEEE10hipError_tPvRmT1_T2_T3_mmT4_T5_P12ihipStream_tbEUlRKiE_EEST_SX_SY_mSZ_S12_bEUlT_E_NS1_11comp_targetILNS1_3genE10ELNS1_11target_archE1201ELNS1_3gpuE5ELNS1_3repE0EEENS1_30default_config_static_selectorELNS0_4arch9wavefront6targetE1EEEvSW_.has_dyn_sized_stack, 0
	.set _ZN7rocprim17ROCPRIM_400000_NS6detail17trampoline_kernelINS0_14default_configENS1_27upper_bound_config_selectorIilEEZNS1_14transform_implILb0ES3_S5_N6thrust23THRUST_200600_302600_NS6detail15normal_iteratorINS8_7pointerIiNS8_11hip_rocprim5par_tENS8_11use_defaultESE_EEEENSA_INSB_IlSD_SE_SE_EEEEZNS1_13binary_searchIS3_S5_PiSG_SI_NS1_21upper_bound_search_opENS9_16wrapped_functionINS8_6system6detail7generic6detail18binary_search_lessEbEEEE10hipError_tPvRmT1_T2_T3_mmT4_T5_P12ihipStream_tbEUlRKiE_EEST_SX_SY_mSZ_S12_bEUlT_E_NS1_11comp_targetILNS1_3genE10ELNS1_11target_archE1201ELNS1_3gpuE5ELNS1_3repE0EEENS1_30default_config_static_selectorELNS0_4arch9wavefront6targetE1EEEvSW_.has_recursion, 0
	.set _ZN7rocprim17ROCPRIM_400000_NS6detail17trampoline_kernelINS0_14default_configENS1_27upper_bound_config_selectorIilEEZNS1_14transform_implILb0ES3_S5_N6thrust23THRUST_200600_302600_NS6detail15normal_iteratorINS8_7pointerIiNS8_11hip_rocprim5par_tENS8_11use_defaultESE_EEEENSA_INSB_IlSD_SE_SE_EEEEZNS1_13binary_searchIS3_S5_PiSG_SI_NS1_21upper_bound_search_opENS9_16wrapped_functionINS8_6system6detail7generic6detail18binary_search_lessEbEEEE10hipError_tPvRmT1_T2_T3_mmT4_T5_P12ihipStream_tbEUlRKiE_EEST_SX_SY_mSZ_S12_bEUlT_E_NS1_11comp_targetILNS1_3genE10ELNS1_11target_archE1201ELNS1_3gpuE5ELNS1_3repE0EEENS1_30default_config_static_selectorELNS0_4arch9wavefront6targetE1EEEvSW_.has_indirect_call, 0
	.section	.AMDGPU.csdata,"",@progbits
; Kernel info:
; codeLenInByte = 0
; TotalNumSgprs: 4
; NumVgprs: 0
; ScratchSize: 0
; MemoryBound: 0
; FloatMode: 240
; IeeeMode: 1
; LDSByteSize: 0 bytes/workgroup (compile time only)
; SGPRBlocks: 0
; VGPRBlocks: 0
; NumSGPRsForWavesPerEU: 4
; NumVGPRsForWavesPerEU: 1
; Occupancy: 10
; WaveLimiterHint : 0
; COMPUTE_PGM_RSRC2:SCRATCH_EN: 0
; COMPUTE_PGM_RSRC2:USER_SGPR: 6
; COMPUTE_PGM_RSRC2:TRAP_HANDLER: 0
; COMPUTE_PGM_RSRC2:TGID_X_EN: 1
; COMPUTE_PGM_RSRC2:TGID_Y_EN: 0
; COMPUTE_PGM_RSRC2:TGID_Z_EN: 0
; COMPUTE_PGM_RSRC2:TIDIG_COMP_CNT: 0
	.section	.text._ZN7rocprim17ROCPRIM_400000_NS6detail17trampoline_kernelINS0_14default_configENS1_27upper_bound_config_selectorIilEEZNS1_14transform_implILb0ES3_S5_N6thrust23THRUST_200600_302600_NS6detail15normal_iteratorINS8_7pointerIiNS8_11hip_rocprim5par_tENS8_11use_defaultESE_EEEENSA_INSB_IlSD_SE_SE_EEEEZNS1_13binary_searchIS3_S5_PiSG_SI_NS1_21upper_bound_search_opENS9_16wrapped_functionINS8_6system6detail7generic6detail18binary_search_lessEbEEEE10hipError_tPvRmT1_T2_T3_mmT4_T5_P12ihipStream_tbEUlRKiE_EEST_SX_SY_mSZ_S12_bEUlT_E_NS1_11comp_targetILNS1_3genE10ELNS1_11target_archE1200ELNS1_3gpuE4ELNS1_3repE0EEENS1_30default_config_static_selectorELNS0_4arch9wavefront6targetE1EEEvSW_,"axG",@progbits,_ZN7rocprim17ROCPRIM_400000_NS6detail17trampoline_kernelINS0_14default_configENS1_27upper_bound_config_selectorIilEEZNS1_14transform_implILb0ES3_S5_N6thrust23THRUST_200600_302600_NS6detail15normal_iteratorINS8_7pointerIiNS8_11hip_rocprim5par_tENS8_11use_defaultESE_EEEENSA_INSB_IlSD_SE_SE_EEEEZNS1_13binary_searchIS3_S5_PiSG_SI_NS1_21upper_bound_search_opENS9_16wrapped_functionINS8_6system6detail7generic6detail18binary_search_lessEbEEEE10hipError_tPvRmT1_T2_T3_mmT4_T5_P12ihipStream_tbEUlRKiE_EEST_SX_SY_mSZ_S12_bEUlT_E_NS1_11comp_targetILNS1_3genE10ELNS1_11target_archE1200ELNS1_3gpuE4ELNS1_3repE0EEENS1_30default_config_static_selectorELNS0_4arch9wavefront6targetE1EEEvSW_,comdat
	.protected	_ZN7rocprim17ROCPRIM_400000_NS6detail17trampoline_kernelINS0_14default_configENS1_27upper_bound_config_selectorIilEEZNS1_14transform_implILb0ES3_S5_N6thrust23THRUST_200600_302600_NS6detail15normal_iteratorINS8_7pointerIiNS8_11hip_rocprim5par_tENS8_11use_defaultESE_EEEENSA_INSB_IlSD_SE_SE_EEEEZNS1_13binary_searchIS3_S5_PiSG_SI_NS1_21upper_bound_search_opENS9_16wrapped_functionINS8_6system6detail7generic6detail18binary_search_lessEbEEEE10hipError_tPvRmT1_T2_T3_mmT4_T5_P12ihipStream_tbEUlRKiE_EEST_SX_SY_mSZ_S12_bEUlT_E_NS1_11comp_targetILNS1_3genE10ELNS1_11target_archE1200ELNS1_3gpuE4ELNS1_3repE0EEENS1_30default_config_static_selectorELNS0_4arch9wavefront6targetE1EEEvSW_ ; -- Begin function _ZN7rocprim17ROCPRIM_400000_NS6detail17trampoline_kernelINS0_14default_configENS1_27upper_bound_config_selectorIilEEZNS1_14transform_implILb0ES3_S5_N6thrust23THRUST_200600_302600_NS6detail15normal_iteratorINS8_7pointerIiNS8_11hip_rocprim5par_tENS8_11use_defaultESE_EEEENSA_INSB_IlSD_SE_SE_EEEEZNS1_13binary_searchIS3_S5_PiSG_SI_NS1_21upper_bound_search_opENS9_16wrapped_functionINS8_6system6detail7generic6detail18binary_search_lessEbEEEE10hipError_tPvRmT1_T2_T3_mmT4_T5_P12ihipStream_tbEUlRKiE_EEST_SX_SY_mSZ_S12_bEUlT_E_NS1_11comp_targetILNS1_3genE10ELNS1_11target_archE1200ELNS1_3gpuE4ELNS1_3repE0EEENS1_30default_config_static_selectorELNS0_4arch9wavefront6targetE1EEEvSW_
	.globl	_ZN7rocprim17ROCPRIM_400000_NS6detail17trampoline_kernelINS0_14default_configENS1_27upper_bound_config_selectorIilEEZNS1_14transform_implILb0ES3_S5_N6thrust23THRUST_200600_302600_NS6detail15normal_iteratorINS8_7pointerIiNS8_11hip_rocprim5par_tENS8_11use_defaultESE_EEEENSA_INSB_IlSD_SE_SE_EEEEZNS1_13binary_searchIS3_S5_PiSG_SI_NS1_21upper_bound_search_opENS9_16wrapped_functionINS8_6system6detail7generic6detail18binary_search_lessEbEEEE10hipError_tPvRmT1_T2_T3_mmT4_T5_P12ihipStream_tbEUlRKiE_EEST_SX_SY_mSZ_S12_bEUlT_E_NS1_11comp_targetILNS1_3genE10ELNS1_11target_archE1200ELNS1_3gpuE4ELNS1_3repE0EEENS1_30default_config_static_selectorELNS0_4arch9wavefront6targetE1EEEvSW_
	.p2align	8
	.type	_ZN7rocprim17ROCPRIM_400000_NS6detail17trampoline_kernelINS0_14default_configENS1_27upper_bound_config_selectorIilEEZNS1_14transform_implILb0ES3_S5_N6thrust23THRUST_200600_302600_NS6detail15normal_iteratorINS8_7pointerIiNS8_11hip_rocprim5par_tENS8_11use_defaultESE_EEEENSA_INSB_IlSD_SE_SE_EEEEZNS1_13binary_searchIS3_S5_PiSG_SI_NS1_21upper_bound_search_opENS9_16wrapped_functionINS8_6system6detail7generic6detail18binary_search_lessEbEEEE10hipError_tPvRmT1_T2_T3_mmT4_T5_P12ihipStream_tbEUlRKiE_EEST_SX_SY_mSZ_S12_bEUlT_E_NS1_11comp_targetILNS1_3genE10ELNS1_11target_archE1200ELNS1_3gpuE4ELNS1_3repE0EEENS1_30default_config_static_selectorELNS0_4arch9wavefront6targetE1EEEvSW_,@function
_ZN7rocprim17ROCPRIM_400000_NS6detail17trampoline_kernelINS0_14default_configENS1_27upper_bound_config_selectorIilEEZNS1_14transform_implILb0ES3_S5_N6thrust23THRUST_200600_302600_NS6detail15normal_iteratorINS8_7pointerIiNS8_11hip_rocprim5par_tENS8_11use_defaultESE_EEEENSA_INSB_IlSD_SE_SE_EEEEZNS1_13binary_searchIS3_S5_PiSG_SI_NS1_21upper_bound_search_opENS9_16wrapped_functionINS8_6system6detail7generic6detail18binary_search_lessEbEEEE10hipError_tPvRmT1_T2_T3_mmT4_T5_P12ihipStream_tbEUlRKiE_EEST_SX_SY_mSZ_S12_bEUlT_E_NS1_11comp_targetILNS1_3genE10ELNS1_11target_archE1200ELNS1_3gpuE4ELNS1_3repE0EEENS1_30default_config_static_selectorELNS0_4arch9wavefront6targetE1EEEvSW_: ; @_ZN7rocprim17ROCPRIM_400000_NS6detail17trampoline_kernelINS0_14default_configENS1_27upper_bound_config_selectorIilEEZNS1_14transform_implILb0ES3_S5_N6thrust23THRUST_200600_302600_NS6detail15normal_iteratorINS8_7pointerIiNS8_11hip_rocprim5par_tENS8_11use_defaultESE_EEEENSA_INSB_IlSD_SE_SE_EEEEZNS1_13binary_searchIS3_S5_PiSG_SI_NS1_21upper_bound_search_opENS9_16wrapped_functionINS8_6system6detail7generic6detail18binary_search_lessEbEEEE10hipError_tPvRmT1_T2_T3_mmT4_T5_P12ihipStream_tbEUlRKiE_EEST_SX_SY_mSZ_S12_bEUlT_E_NS1_11comp_targetILNS1_3genE10ELNS1_11target_archE1200ELNS1_3gpuE4ELNS1_3repE0EEENS1_30default_config_static_selectorELNS0_4arch9wavefront6targetE1EEEvSW_
; %bb.0:
	.section	.rodata,"a",@progbits
	.p2align	6, 0x0
	.amdhsa_kernel _ZN7rocprim17ROCPRIM_400000_NS6detail17trampoline_kernelINS0_14default_configENS1_27upper_bound_config_selectorIilEEZNS1_14transform_implILb0ES3_S5_N6thrust23THRUST_200600_302600_NS6detail15normal_iteratorINS8_7pointerIiNS8_11hip_rocprim5par_tENS8_11use_defaultESE_EEEENSA_INSB_IlSD_SE_SE_EEEEZNS1_13binary_searchIS3_S5_PiSG_SI_NS1_21upper_bound_search_opENS9_16wrapped_functionINS8_6system6detail7generic6detail18binary_search_lessEbEEEE10hipError_tPvRmT1_T2_T3_mmT4_T5_P12ihipStream_tbEUlRKiE_EEST_SX_SY_mSZ_S12_bEUlT_E_NS1_11comp_targetILNS1_3genE10ELNS1_11target_archE1200ELNS1_3gpuE4ELNS1_3repE0EEENS1_30default_config_static_selectorELNS0_4arch9wavefront6targetE1EEEvSW_
		.amdhsa_group_segment_fixed_size 0
		.amdhsa_private_segment_fixed_size 0
		.amdhsa_kernarg_size 56
		.amdhsa_user_sgpr_count 6
		.amdhsa_user_sgpr_private_segment_buffer 1
		.amdhsa_user_sgpr_dispatch_ptr 0
		.amdhsa_user_sgpr_queue_ptr 0
		.amdhsa_user_sgpr_kernarg_segment_ptr 1
		.amdhsa_user_sgpr_dispatch_id 0
		.amdhsa_user_sgpr_flat_scratch_init 0
		.amdhsa_user_sgpr_private_segment_size 0
		.amdhsa_uses_dynamic_stack 0
		.amdhsa_system_sgpr_private_segment_wavefront_offset 0
		.amdhsa_system_sgpr_workgroup_id_x 1
		.amdhsa_system_sgpr_workgroup_id_y 0
		.amdhsa_system_sgpr_workgroup_id_z 0
		.amdhsa_system_sgpr_workgroup_info 0
		.amdhsa_system_vgpr_workitem_id 0
		.amdhsa_next_free_vgpr 1
		.amdhsa_next_free_sgpr 0
		.amdhsa_reserve_vcc 0
		.amdhsa_reserve_flat_scratch 0
		.amdhsa_float_round_mode_32 0
		.amdhsa_float_round_mode_16_64 0
		.amdhsa_float_denorm_mode_32 3
		.amdhsa_float_denorm_mode_16_64 3
		.amdhsa_dx10_clamp 1
		.amdhsa_ieee_mode 1
		.amdhsa_fp16_overflow 0
		.amdhsa_exception_fp_ieee_invalid_op 0
		.amdhsa_exception_fp_denorm_src 0
		.amdhsa_exception_fp_ieee_div_zero 0
		.amdhsa_exception_fp_ieee_overflow 0
		.amdhsa_exception_fp_ieee_underflow 0
		.amdhsa_exception_fp_ieee_inexact 0
		.amdhsa_exception_int_div_zero 0
	.end_amdhsa_kernel
	.section	.text._ZN7rocprim17ROCPRIM_400000_NS6detail17trampoline_kernelINS0_14default_configENS1_27upper_bound_config_selectorIilEEZNS1_14transform_implILb0ES3_S5_N6thrust23THRUST_200600_302600_NS6detail15normal_iteratorINS8_7pointerIiNS8_11hip_rocprim5par_tENS8_11use_defaultESE_EEEENSA_INSB_IlSD_SE_SE_EEEEZNS1_13binary_searchIS3_S5_PiSG_SI_NS1_21upper_bound_search_opENS9_16wrapped_functionINS8_6system6detail7generic6detail18binary_search_lessEbEEEE10hipError_tPvRmT1_T2_T3_mmT4_T5_P12ihipStream_tbEUlRKiE_EEST_SX_SY_mSZ_S12_bEUlT_E_NS1_11comp_targetILNS1_3genE10ELNS1_11target_archE1200ELNS1_3gpuE4ELNS1_3repE0EEENS1_30default_config_static_selectorELNS0_4arch9wavefront6targetE1EEEvSW_,"axG",@progbits,_ZN7rocprim17ROCPRIM_400000_NS6detail17trampoline_kernelINS0_14default_configENS1_27upper_bound_config_selectorIilEEZNS1_14transform_implILb0ES3_S5_N6thrust23THRUST_200600_302600_NS6detail15normal_iteratorINS8_7pointerIiNS8_11hip_rocprim5par_tENS8_11use_defaultESE_EEEENSA_INSB_IlSD_SE_SE_EEEEZNS1_13binary_searchIS3_S5_PiSG_SI_NS1_21upper_bound_search_opENS9_16wrapped_functionINS8_6system6detail7generic6detail18binary_search_lessEbEEEE10hipError_tPvRmT1_T2_T3_mmT4_T5_P12ihipStream_tbEUlRKiE_EEST_SX_SY_mSZ_S12_bEUlT_E_NS1_11comp_targetILNS1_3genE10ELNS1_11target_archE1200ELNS1_3gpuE4ELNS1_3repE0EEENS1_30default_config_static_selectorELNS0_4arch9wavefront6targetE1EEEvSW_,comdat
.Lfunc_end228:
	.size	_ZN7rocprim17ROCPRIM_400000_NS6detail17trampoline_kernelINS0_14default_configENS1_27upper_bound_config_selectorIilEEZNS1_14transform_implILb0ES3_S5_N6thrust23THRUST_200600_302600_NS6detail15normal_iteratorINS8_7pointerIiNS8_11hip_rocprim5par_tENS8_11use_defaultESE_EEEENSA_INSB_IlSD_SE_SE_EEEEZNS1_13binary_searchIS3_S5_PiSG_SI_NS1_21upper_bound_search_opENS9_16wrapped_functionINS8_6system6detail7generic6detail18binary_search_lessEbEEEE10hipError_tPvRmT1_T2_T3_mmT4_T5_P12ihipStream_tbEUlRKiE_EEST_SX_SY_mSZ_S12_bEUlT_E_NS1_11comp_targetILNS1_3genE10ELNS1_11target_archE1200ELNS1_3gpuE4ELNS1_3repE0EEENS1_30default_config_static_selectorELNS0_4arch9wavefront6targetE1EEEvSW_, .Lfunc_end228-_ZN7rocprim17ROCPRIM_400000_NS6detail17trampoline_kernelINS0_14default_configENS1_27upper_bound_config_selectorIilEEZNS1_14transform_implILb0ES3_S5_N6thrust23THRUST_200600_302600_NS6detail15normal_iteratorINS8_7pointerIiNS8_11hip_rocprim5par_tENS8_11use_defaultESE_EEEENSA_INSB_IlSD_SE_SE_EEEEZNS1_13binary_searchIS3_S5_PiSG_SI_NS1_21upper_bound_search_opENS9_16wrapped_functionINS8_6system6detail7generic6detail18binary_search_lessEbEEEE10hipError_tPvRmT1_T2_T3_mmT4_T5_P12ihipStream_tbEUlRKiE_EEST_SX_SY_mSZ_S12_bEUlT_E_NS1_11comp_targetILNS1_3genE10ELNS1_11target_archE1200ELNS1_3gpuE4ELNS1_3repE0EEENS1_30default_config_static_selectorELNS0_4arch9wavefront6targetE1EEEvSW_
                                        ; -- End function
	.set _ZN7rocprim17ROCPRIM_400000_NS6detail17trampoline_kernelINS0_14default_configENS1_27upper_bound_config_selectorIilEEZNS1_14transform_implILb0ES3_S5_N6thrust23THRUST_200600_302600_NS6detail15normal_iteratorINS8_7pointerIiNS8_11hip_rocprim5par_tENS8_11use_defaultESE_EEEENSA_INSB_IlSD_SE_SE_EEEEZNS1_13binary_searchIS3_S5_PiSG_SI_NS1_21upper_bound_search_opENS9_16wrapped_functionINS8_6system6detail7generic6detail18binary_search_lessEbEEEE10hipError_tPvRmT1_T2_T3_mmT4_T5_P12ihipStream_tbEUlRKiE_EEST_SX_SY_mSZ_S12_bEUlT_E_NS1_11comp_targetILNS1_3genE10ELNS1_11target_archE1200ELNS1_3gpuE4ELNS1_3repE0EEENS1_30default_config_static_selectorELNS0_4arch9wavefront6targetE1EEEvSW_.num_vgpr, 0
	.set _ZN7rocprim17ROCPRIM_400000_NS6detail17trampoline_kernelINS0_14default_configENS1_27upper_bound_config_selectorIilEEZNS1_14transform_implILb0ES3_S5_N6thrust23THRUST_200600_302600_NS6detail15normal_iteratorINS8_7pointerIiNS8_11hip_rocprim5par_tENS8_11use_defaultESE_EEEENSA_INSB_IlSD_SE_SE_EEEEZNS1_13binary_searchIS3_S5_PiSG_SI_NS1_21upper_bound_search_opENS9_16wrapped_functionINS8_6system6detail7generic6detail18binary_search_lessEbEEEE10hipError_tPvRmT1_T2_T3_mmT4_T5_P12ihipStream_tbEUlRKiE_EEST_SX_SY_mSZ_S12_bEUlT_E_NS1_11comp_targetILNS1_3genE10ELNS1_11target_archE1200ELNS1_3gpuE4ELNS1_3repE0EEENS1_30default_config_static_selectorELNS0_4arch9wavefront6targetE1EEEvSW_.num_agpr, 0
	.set _ZN7rocprim17ROCPRIM_400000_NS6detail17trampoline_kernelINS0_14default_configENS1_27upper_bound_config_selectorIilEEZNS1_14transform_implILb0ES3_S5_N6thrust23THRUST_200600_302600_NS6detail15normal_iteratorINS8_7pointerIiNS8_11hip_rocprim5par_tENS8_11use_defaultESE_EEEENSA_INSB_IlSD_SE_SE_EEEEZNS1_13binary_searchIS3_S5_PiSG_SI_NS1_21upper_bound_search_opENS9_16wrapped_functionINS8_6system6detail7generic6detail18binary_search_lessEbEEEE10hipError_tPvRmT1_T2_T3_mmT4_T5_P12ihipStream_tbEUlRKiE_EEST_SX_SY_mSZ_S12_bEUlT_E_NS1_11comp_targetILNS1_3genE10ELNS1_11target_archE1200ELNS1_3gpuE4ELNS1_3repE0EEENS1_30default_config_static_selectorELNS0_4arch9wavefront6targetE1EEEvSW_.numbered_sgpr, 0
	.set _ZN7rocprim17ROCPRIM_400000_NS6detail17trampoline_kernelINS0_14default_configENS1_27upper_bound_config_selectorIilEEZNS1_14transform_implILb0ES3_S5_N6thrust23THRUST_200600_302600_NS6detail15normal_iteratorINS8_7pointerIiNS8_11hip_rocprim5par_tENS8_11use_defaultESE_EEEENSA_INSB_IlSD_SE_SE_EEEEZNS1_13binary_searchIS3_S5_PiSG_SI_NS1_21upper_bound_search_opENS9_16wrapped_functionINS8_6system6detail7generic6detail18binary_search_lessEbEEEE10hipError_tPvRmT1_T2_T3_mmT4_T5_P12ihipStream_tbEUlRKiE_EEST_SX_SY_mSZ_S12_bEUlT_E_NS1_11comp_targetILNS1_3genE10ELNS1_11target_archE1200ELNS1_3gpuE4ELNS1_3repE0EEENS1_30default_config_static_selectorELNS0_4arch9wavefront6targetE1EEEvSW_.num_named_barrier, 0
	.set _ZN7rocprim17ROCPRIM_400000_NS6detail17trampoline_kernelINS0_14default_configENS1_27upper_bound_config_selectorIilEEZNS1_14transform_implILb0ES3_S5_N6thrust23THRUST_200600_302600_NS6detail15normal_iteratorINS8_7pointerIiNS8_11hip_rocprim5par_tENS8_11use_defaultESE_EEEENSA_INSB_IlSD_SE_SE_EEEEZNS1_13binary_searchIS3_S5_PiSG_SI_NS1_21upper_bound_search_opENS9_16wrapped_functionINS8_6system6detail7generic6detail18binary_search_lessEbEEEE10hipError_tPvRmT1_T2_T3_mmT4_T5_P12ihipStream_tbEUlRKiE_EEST_SX_SY_mSZ_S12_bEUlT_E_NS1_11comp_targetILNS1_3genE10ELNS1_11target_archE1200ELNS1_3gpuE4ELNS1_3repE0EEENS1_30default_config_static_selectorELNS0_4arch9wavefront6targetE1EEEvSW_.private_seg_size, 0
	.set _ZN7rocprim17ROCPRIM_400000_NS6detail17trampoline_kernelINS0_14default_configENS1_27upper_bound_config_selectorIilEEZNS1_14transform_implILb0ES3_S5_N6thrust23THRUST_200600_302600_NS6detail15normal_iteratorINS8_7pointerIiNS8_11hip_rocprim5par_tENS8_11use_defaultESE_EEEENSA_INSB_IlSD_SE_SE_EEEEZNS1_13binary_searchIS3_S5_PiSG_SI_NS1_21upper_bound_search_opENS9_16wrapped_functionINS8_6system6detail7generic6detail18binary_search_lessEbEEEE10hipError_tPvRmT1_T2_T3_mmT4_T5_P12ihipStream_tbEUlRKiE_EEST_SX_SY_mSZ_S12_bEUlT_E_NS1_11comp_targetILNS1_3genE10ELNS1_11target_archE1200ELNS1_3gpuE4ELNS1_3repE0EEENS1_30default_config_static_selectorELNS0_4arch9wavefront6targetE1EEEvSW_.uses_vcc, 0
	.set _ZN7rocprim17ROCPRIM_400000_NS6detail17trampoline_kernelINS0_14default_configENS1_27upper_bound_config_selectorIilEEZNS1_14transform_implILb0ES3_S5_N6thrust23THRUST_200600_302600_NS6detail15normal_iteratorINS8_7pointerIiNS8_11hip_rocprim5par_tENS8_11use_defaultESE_EEEENSA_INSB_IlSD_SE_SE_EEEEZNS1_13binary_searchIS3_S5_PiSG_SI_NS1_21upper_bound_search_opENS9_16wrapped_functionINS8_6system6detail7generic6detail18binary_search_lessEbEEEE10hipError_tPvRmT1_T2_T3_mmT4_T5_P12ihipStream_tbEUlRKiE_EEST_SX_SY_mSZ_S12_bEUlT_E_NS1_11comp_targetILNS1_3genE10ELNS1_11target_archE1200ELNS1_3gpuE4ELNS1_3repE0EEENS1_30default_config_static_selectorELNS0_4arch9wavefront6targetE1EEEvSW_.uses_flat_scratch, 0
	.set _ZN7rocprim17ROCPRIM_400000_NS6detail17trampoline_kernelINS0_14default_configENS1_27upper_bound_config_selectorIilEEZNS1_14transform_implILb0ES3_S5_N6thrust23THRUST_200600_302600_NS6detail15normal_iteratorINS8_7pointerIiNS8_11hip_rocprim5par_tENS8_11use_defaultESE_EEEENSA_INSB_IlSD_SE_SE_EEEEZNS1_13binary_searchIS3_S5_PiSG_SI_NS1_21upper_bound_search_opENS9_16wrapped_functionINS8_6system6detail7generic6detail18binary_search_lessEbEEEE10hipError_tPvRmT1_T2_T3_mmT4_T5_P12ihipStream_tbEUlRKiE_EEST_SX_SY_mSZ_S12_bEUlT_E_NS1_11comp_targetILNS1_3genE10ELNS1_11target_archE1200ELNS1_3gpuE4ELNS1_3repE0EEENS1_30default_config_static_selectorELNS0_4arch9wavefront6targetE1EEEvSW_.has_dyn_sized_stack, 0
	.set _ZN7rocprim17ROCPRIM_400000_NS6detail17trampoline_kernelINS0_14default_configENS1_27upper_bound_config_selectorIilEEZNS1_14transform_implILb0ES3_S5_N6thrust23THRUST_200600_302600_NS6detail15normal_iteratorINS8_7pointerIiNS8_11hip_rocprim5par_tENS8_11use_defaultESE_EEEENSA_INSB_IlSD_SE_SE_EEEEZNS1_13binary_searchIS3_S5_PiSG_SI_NS1_21upper_bound_search_opENS9_16wrapped_functionINS8_6system6detail7generic6detail18binary_search_lessEbEEEE10hipError_tPvRmT1_T2_T3_mmT4_T5_P12ihipStream_tbEUlRKiE_EEST_SX_SY_mSZ_S12_bEUlT_E_NS1_11comp_targetILNS1_3genE10ELNS1_11target_archE1200ELNS1_3gpuE4ELNS1_3repE0EEENS1_30default_config_static_selectorELNS0_4arch9wavefront6targetE1EEEvSW_.has_recursion, 0
	.set _ZN7rocprim17ROCPRIM_400000_NS6detail17trampoline_kernelINS0_14default_configENS1_27upper_bound_config_selectorIilEEZNS1_14transform_implILb0ES3_S5_N6thrust23THRUST_200600_302600_NS6detail15normal_iteratorINS8_7pointerIiNS8_11hip_rocprim5par_tENS8_11use_defaultESE_EEEENSA_INSB_IlSD_SE_SE_EEEEZNS1_13binary_searchIS3_S5_PiSG_SI_NS1_21upper_bound_search_opENS9_16wrapped_functionINS8_6system6detail7generic6detail18binary_search_lessEbEEEE10hipError_tPvRmT1_T2_T3_mmT4_T5_P12ihipStream_tbEUlRKiE_EEST_SX_SY_mSZ_S12_bEUlT_E_NS1_11comp_targetILNS1_3genE10ELNS1_11target_archE1200ELNS1_3gpuE4ELNS1_3repE0EEENS1_30default_config_static_selectorELNS0_4arch9wavefront6targetE1EEEvSW_.has_indirect_call, 0
	.section	.AMDGPU.csdata,"",@progbits
; Kernel info:
; codeLenInByte = 0
; TotalNumSgprs: 4
; NumVgprs: 0
; ScratchSize: 0
; MemoryBound: 0
; FloatMode: 240
; IeeeMode: 1
; LDSByteSize: 0 bytes/workgroup (compile time only)
; SGPRBlocks: 0
; VGPRBlocks: 0
; NumSGPRsForWavesPerEU: 4
; NumVGPRsForWavesPerEU: 1
; Occupancy: 10
; WaveLimiterHint : 0
; COMPUTE_PGM_RSRC2:SCRATCH_EN: 0
; COMPUTE_PGM_RSRC2:USER_SGPR: 6
; COMPUTE_PGM_RSRC2:TRAP_HANDLER: 0
; COMPUTE_PGM_RSRC2:TGID_X_EN: 1
; COMPUTE_PGM_RSRC2:TGID_Y_EN: 0
; COMPUTE_PGM_RSRC2:TGID_Z_EN: 0
; COMPUTE_PGM_RSRC2:TIDIG_COMP_CNT: 0
	.section	.text._ZN7rocprim17ROCPRIM_400000_NS6detail17trampoline_kernelINS0_14default_configENS1_27upper_bound_config_selectorIilEEZNS1_14transform_implILb0ES3_S5_N6thrust23THRUST_200600_302600_NS6detail15normal_iteratorINS8_7pointerIiNS8_11hip_rocprim5par_tENS8_11use_defaultESE_EEEENSA_INSB_IlSD_SE_SE_EEEEZNS1_13binary_searchIS3_S5_PiSG_SI_NS1_21upper_bound_search_opENS9_16wrapped_functionINS8_6system6detail7generic6detail18binary_search_lessEbEEEE10hipError_tPvRmT1_T2_T3_mmT4_T5_P12ihipStream_tbEUlRKiE_EEST_SX_SY_mSZ_S12_bEUlT_E_NS1_11comp_targetILNS1_3genE9ELNS1_11target_archE1100ELNS1_3gpuE3ELNS1_3repE0EEENS1_30default_config_static_selectorELNS0_4arch9wavefront6targetE1EEEvSW_,"axG",@progbits,_ZN7rocprim17ROCPRIM_400000_NS6detail17trampoline_kernelINS0_14default_configENS1_27upper_bound_config_selectorIilEEZNS1_14transform_implILb0ES3_S5_N6thrust23THRUST_200600_302600_NS6detail15normal_iteratorINS8_7pointerIiNS8_11hip_rocprim5par_tENS8_11use_defaultESE_EEEENSA_INSB_IlSD_SE_SE_EEEEZNS1_13binary_searchIS3_S5_PiSG_SI_NS1_21upper_bound_search_opENS9_16wrapped_functionINS8_6system6detail7generic6detail18binary_search_lessEbEEEE10hipError_tPvRmT1_T2_T3_mmT4_T5_P12ihipStream_tbEUlRKiE_EEST_SX_SY_mSZ_S12_bEUlT_E_NS1_11comp_targetILNS1_3genE9ELNS1_11target_archE1100ELNS1_3gpuE3ELNS1_3repE0EEENS1_30default_config_static_selectorELNS0_4arch9wavefront6targetE1EEEvSW_,comdat
	.protected	_ZN7rocprim17ROCPRIM_400000_NS6detail17trampoline_kernelINS0_14default_configENS1_27upper_bound_config_selectorIilEEZNS1_14transform_implILb0ES3_S5_N6thrust23THRUST_200600_302600_NS6detail15normal_iteratorINS8_7pointerIiNS8_11hip_rocprim5par_tENS8_11use_defaultESE_EEEENSA_INSB_IlSD_SE_SE_EEEEZNS1_13binary_searchIS3_S5_PiSG_SI_NS1_21upper_bound_search_opENS9_16wrapped_functionINS8_6system6detail7generic6detail18binary_search_lessEbEEEE10hipError_tPvRmT1_T2_T3_mmT4_T5_P12ihipStream_tbEUlRKiE_EEST_SX_SY_mSZ_S12_bEUlT_E_NS1_11comp_targetILNS1_3genE9ELNS1_11target_archE1100ELNS1_3gpuE3ELNS1_3repE0EEENS1_30default_config_static_selectorELNS0_4arch9wavefront6targetE1EEEvSW_ ; -- Begin function _ZN7rocprim17ROCPRIM_400000_NS6detail17trampoline_kernelINS0_14default_configENS1_27upper_bound_config_selectorIilEEZNS1_14transform_implILb0ES3_S5_N6thrust23THRUST_200600_302600_NS6detail15normal_iteratorINS8_7pointerIiNS8_11hip_rocprim5par_tENS8_11use_defaultESE_EEEENSA_INSB_IlSD_SE_SE_EEEEZNS1_13binary_searchIS3_S5_PiSG_SI_NS1_21upper_bound_search_opENS9_16wrapped_functionINS8_6system6detail7generic6detail18binary_search_lessEbEEEE10hipError_tPvRmT1_T2_T3_mmT4_T5_P12ihipStream_tbEUlRKiE_EEST_SX_SY_mSZ_S12_bEUlT_E_NS1_11comp_targetILNS1_3genE9ELNS1_11target_archE1100ELNS1_3gpuE3ELNS1_3repE0EEENS1_30default_config_static_selectorELNS0_4arch9wavefront6targetE1EEEvSW_
	.globl	_ZN7rocprim17ROCPRIM_400000_NS6detail17trampoline_kernelINS0_14default_configENS1_27upper_bound_config_selectorIilEEZNS1_14transform_implILb0ES3_S5_N6thrust23THRUST_200600_302600_NS6detail15normal_iteratorINS8_7pointerIiNS8_11hip_rocprim5par_tENS8_11use_defaultESE_EEEENSA_INSB_IlSD_SE_SE_EEEEZNS1_13binary_searchIS3_S5_PiSG_SI_NS1_21upper_bound_search_opENS9_16wrapped_functionINS8_6system6detail7generic6detail18binary_search_lessEbEEEE10hipError_tPvRmT1_T2_T3_mmT4_T5_P12ihipStream_tbEUlRKiE_EEST_SX_SY_mSZ_S12_bEUlT_E_NS1_11comp_targetILNS1_3genE9ELNS1_11target_archE1100ELNS1_3gpuE3ELNS1_3repE0EEENS1_30default_config_static_selectorELNS0_4arch9wavefront6targetE1EEEvSW_
	.p2align	8
	.type	_ZN7rocprim17ROCPRIM_400000_NS6detail17trampoline_kernelINS0_14default_configENS1_27upper_bound_config_selectorIilEEZNS1_14transform_implILb0ES3_S5_N6thrust23THRUST_200600_302600_NS6detail15normal_iteratorINS8_7pointerIiNS8_11hip_rocprim5par_tENS8_11use_defaultESE_EEEENSA_INSB_IlSD_SE_SE_EEEEZNS1_13binary_searchIS3_S5_PiSG_SI_NS1_21upper_bound_search_opENS9_16wrapped_functionINS8_6system6detail7generic6detail18binary_search_lessEbEEEE10hipError_tPvRmT1_T2_T3_mmT4_T5_P12ihipStream_tbEUlRKiE_EEST_SX_SY_mSZ_S12_bEUlT_E_NS1_11comp_targetILNS1_3genE9ELNS1_11target_archE1100ELNS1_3gpuE3ELNS1_3repE0EEENS1_30default_config_static_selectorELNS0_4arch9wavefront6targetE1EEEvSW_,@function
_ZN7rocprim17ROCPRIM_400000_NS6detail17trampoline_kernelINS0_14default_configENS1_27upper_bound_config_selectorIilEEZNS1_14transform_implILb0ES3_S5_N6thrust23THRUST_200600_302600_NS6detail15normal_iteratorINS8_7pointerIiNS8_11hip_rocprim5par_tENS8_11use_defaultESE_EEEENSA_INSB_IlSD_SE_SE_EEEEZNS1_13binary_searchIS3_S5_PiSG_SI_NS1_21upper_bound_search_opENS9_16wrapped_functionINS8_6system6detail7generic6detail18binary_search_lessEbEEEE10hipError_tPvRmT1_T2_T3_mmT4_T5_P12ihipStream_tbEUlRKiE_EEST_SX_SY_mSZ_S12_bEUlT_E_NS1_11comp_targetILNS1_3genE9ELNS1_11target_archE1100ELNS1_3gpuE3ELNS1_3repE0EEENS1_30default_config_static_selectorELNS0_4arch9wavefront6targetE1EEEvSW_: ; @_ZN7rocprim17ROCPRIM_400000_NS6detail17trampoline_kernelINS0_14default_configENS1_27upper_bound_config_selectorIilEEZNS1_14transform_implILb0ES3_S5_N6thrust23THRUST_200600_302600_NS6detail15normal_iteratorINS8_7pointerIiNS8_11hip_rocprim5par_tENS8_11use_defaultESE_EEEENSA_INSB_IlSD_SE_SE_EEEEZNS1_13binary_searchIS3_S5_PiSG_SI_NS1_21upper_bound_search_opENS9_16wrapped_functionINS8_6system6detail7generic6detail18binary_search_lessEbEEEE10hipError_tPvRmT1_T2_T3_mmT4_T5_P12ihipStream_tbEUlRKiE_EEST_SX_SY_mSZ_S12_bEUlT_E_NS1_11comp_targetILNS1_3genE9ELNS1_11target_archE1100ELNS1_3gpuE3ELNS1_3repE0EEENS1_30default_config_static_selectorELNS0_4arch9wavefront6targetE1EEEvSW_
; %bb.0:
	.section	.rodata,"a",@progbits
	.p2align	6, 0x0
	.amdhsa_kernel _ZN7rocprim17ROCPRIM_400000_NS6detail17trampoline_kernelINS0_14default_configENS1_27upper_bound_config_selectorIilEEZNS1_14transform_implILb0ES3_S5_N6thrust23THRUST_200600_302600_NS6detail15normal_iteratorINS8_7pointerIiNS8_11hip_rocprim5par_tENS8_11use_defaultESE_EEEENSA_INSB_IlSD_SE_SE_EEEEZNS1_13binary_searchIS3_S5_PiSG_SI_NS1_21upper_bound_search_opENS9_16wrapped_functionINS8_6system6detail7generic6detail18binary_search_lessEbEEEE10hipError_tPvRmT1_T2_T3_mmT4_T5_P12ihipStream_tbEUlRKiE_EEST_SX_SY_mSZ_S12_bEUlT_E_NS1_11comp_targetILNS1_3genE9ELNS1_11target_archE1100ELNS1_3gpuE3ELNS1_3repE0EEENS1_30default_config_static_selectorELNS0_4arch9wavefront6targetE1EEEvSW_
		.amdhsa_group_segment_fixed_size 0
		.amdhsa_private_segment_fixed_size 0
		.amdhsa_kernarg_size 56
		.amdhsa_user_sgpr_count 6
		.amdhsa_user_sgpr_private_segment_buffer 1
		.amdhsa_user_sgpr_dispatch_ptr 0
		.amdhsa_user_sgpr_queue_ptr 0
		.amdhsa_user_sgpr_kernarg_segment_ptr 1
		.amdhsa_user_sgpr_dispatch_id 0
		.amdhsa_user_sgpr_flat_scratch_init 0
		.amdhsa_user_sgpr_private_segment_size 0
		.amdhsa_uses_dynamic_stack 0
		.amdhsa_system_sgpr_private_segment_wavefront_offset 0
		.amdhsa_system_sgpr_workgroup_id_x 1
		.amdhsa_system_sgpr_workgroup_id_y 0
		.amdhsa_system_sgpr_workgroup_id_z 0
		.amdhsa_system_sgpr_workgroup_info 0
		.amdhsa_system_vgpr_workitem_id 0
		.amdhsa_next_free_vgpr 1
		.amdhsa_next_free_sgpr 0
		.amdhsa_reserve_vcc 0
		.amdhsa_reserve_flat_scratch 0
		.amdhsa_float_round_mode_32 0
		.amdhsa_float_round_mode_16_64 0
		.amdhsa_float_denorm_mode_32 3
		.amdhsa_float_denorm_mode_16_64 3
		.amdhsa_dx10_clamp 1
		.amdhsa_ieee_mode 1
		.amdhsa_fp16_overflow 0
		.amdhsa_exception_fp_ieee_invalid_op 0
		.amdhsa_exception_fp_denorm_src 0
		.amdhsa_exception_fp_ieee_div_zero 0
		.amdhsa_exception_fp_ieee_overflow 0
		.amdhsa_exception_fp_ieee_underflow 0
		.amdhsa_exception_fp_ieee_inexact 0
		.amdhsa_exception_int_div_zero 0
	.end_amdhsa_kernel
	.section	.text._ZN7rocprim17ROCPRIM_400000_NS6detail17trampoline_kernelINS0_14default_configENS1_27upper_bound_config_selectorIilEEZNS1_14transform_implILb0ES3_S5_N6thrust23THRUST_200600_302600_NS6detail15normal_iteratorINS8_7pointerIiNS8_11hip_rocprim5par_tENS8_11use_defaultESE_EEEENSA_INSB_IlSD_SE_SE_EEEEZNS1_13binary_searchIS3_S5_PiSG_SI_NS1_21upper_bound_search_opENS9_16wrapped_functionINS8_6system6detail7generic6detail18binary_search_lessEbEEEE10hipError_tPvRmT1_T2_T3_mmT4_T5_P12ihipStream_tbEUlRKiE_EEST_SX_SY_mSZ_S12_bEUlT_E_NS1_11comp_targetILNS1_3genE9ELNS1_11target_archE1100ELNS1_3gpuE3ELNS1_3repE0EEENS1_30default_config_static_selectorELNS0_4arch9wavefront6targetE1EEEvSW_,"axG",@progbits,_ZN7rocprim17ROCPRIM_400000_NS6detail17trampoline_kernelINS0_14default_configENS1_27upper_bound_config_selectorIilEEZNS1_14transform_implILb0ES3_S5_N6thrust23THRUST_200600_302600_NS6detail15normal_iteratorINS8_7pointerIiNS8_11hip_rocprim5par_tENS8_11use_defaultESE_EEEENSA_INSB_IlSD_SE_SE_EEEEZNS1_13binary_searchIS3_S5_PiSG_SI_NS1_21upper_bound_search_opENS9_16wrapped_functionINS8_6system6detail7generic6detail18binary_search_lessEbEEEE10hipError_tPvRmT1_T2_T3_mmT4_T5_P12ihipStream_tbEUlRKiE_EEST_SX_SY_mSZ_S12_bEUlT_E_NS1_11comp_targetILNS1_3genE9ELNS1_11target_archE1100ELNS1_3gpuE3ELNS1_3repE0EEENS1_30default_config_static_selectorELNS0_4arch9wavefront6targetE1EEEvSW_,comdat
.Lfunc_end229:
	.size	_ZN7rocprim17ROCPRIM_400000_NS6detail17trampoline_kernelINS0_14default_configENS1_27upper_bound_config_selectorIilEEZNS1_14transform_implILb0ES3_S5_N6thrust23THRUST_200600_302600_NS6detail15normal_iteratorINS8_7pointerIiNS8_11hip_rocprim5par_tENS8_11use_defaultESE_EEEENSA_INSB_IlSD_SE_SE_EEEEZNS1_13binary_searchIS3_S5_PiSG_SI_NS1_21upper_bound_search_opENS9_16wrapped_functionINS8_6system6detail7generic6detail18binary_search_lessEbEEEE10hipError_tPvRmT1_T2_T3_mmT4_T5_P12ihipStream_tbEUlRKiE_EEST_SX_SY_mSZ_S12_bEUlT_E_NS1_11comp_targetILNS1_3genE9ELNS1_11target_archE1100ELNS1_3gpuE3ELNS1_3repE0EEENS1_30default_config_static_selectorELNS0_4arch9wavefront6targetE1EEEvSW_, .Lfunc_end229-_ZN7rocprim17ROCPRIM_400000_NS6detail17trampoline_kernelINS0_14default_configENS1_27upper_bound_config_selectorIilEEZNS1_14transform_implILb0ES3_S5_N6thrust23THRUST_200600_302600_NS6detail15normal_iteratorINS8_7pointerIiNS8_11hip_rocprim5par_tENS8_11use_defaultESE_EEEENSA_INSB_IlSD_SE_SE_EEEEZNS1_13binary_searchIS3_S5_PiSG_SI_NS1_21upper_bound_search_opENS9_16wrapped_functionINS8_6system6detail7generic6detail18binary_search_lessEbEEEE10hipError_tPvRmT1_T2_T3_mmT4_T5_P12ihipStream_tbEUlRKiE_EEST_SX_SY_mSZ_S12_bEUlT_E_NS1_11comp_targetILNS1_3genE9ELNS1_11target_archE1100ELNS1_3gpuE3ELNS1_3repE0EEENS1_30default_config_static_selectorELNS0_4arch9wavefront6targetE1EEEvSW_
                                        ; -- End function
	.set _ZN7rocprim17ROCPRIM_400000_NS6detail17trampoline_kernelINS0_14default_configENS1_27upper_bound_config_selectorIilEEZNS1_14transform_implILb0ES3_S5_N6thrust23THRUST_200600_302600_NS6detail15normal_iteratorINS8_7pointerIiNS8_11hip_rocprim5par_tENS8_11use_defaultESE_EEEENSA_INSB_IlSD_SE_SE_EEEEZNS1_13binary_searchIS3_S5_PiSG_SI_NS1_21upper_bound_search_opENS9_16wrapped_functionINS8_6system6detail7generic6detail18binary_search_lessEbEEEE10hipError_tPvRmT1_T2_T3_mmT4_T5_P12ihipStream_tbEUlRKiE_EEST_SX_SY_mSZ_S12_bEUlT_E_NS1_11comp_targetILNS1_3genE9ELNS1_11target_archE1100ELNS1_3gpuE3ELNS1_3repE0EEENS1_30default_config_static_selectorELNS0_4arch9wavefront6targetE1EEEvSW_.num_vgpr, 0
	.set _ZN7rocprim17ROCPRIM_400000_NS6detail17trampoline_kernelINS0_14default_configENS1_27upper_bound_config_selectorIilEEZNS1_14transform_implILb0ES3_S5_N6thrust23THRUST_200600_302600_NS6detail15normal_iteratorINS8_7pointerIiNS8_11hip_rocprim5par_tENS8_11use_defaultESE_EEEENSA_INSB_IlSD_SE_SE_EEEEZNS1_13binary_searchIS3_S5_PiSG_SI_NS1_21upper_bound_search_opENS9_16wrapped_functionINS8_6system6detail7generic6detail18binary_search_lessEbEEEE10hipError_tPvRmT1_T2_T3_mmT4_T5_P12ihipStream_tbEUlRKiE_EEST_SX_SY_mSZ_S12_bEUlT_E_NS1_11comp_targetILNS1_3genE9ELNS1_11target_archE1100ELNS1_3gpuE3ELNS1_3repE0EEENS1_30default_config_static_selectorELNS0_4arch9wavefront6targetE1EEEvSW_.num_agpr, 0
	.set _ZN7rocprim17ROCPRIM_400000_NS6detail17trampoline_kernelINS0_14default_configENS1_27upper_bound_config_selectorIilEEZNS1_14transform_implILb0ES3_S5_N6thrust23THRUST_200600_302600_NS6detail15normal_iteratorINS8_7pointerIiNS8_11hip_rocprim5par_tENS8_11use_defaultESE_EEEENSA_INSB_IlSD_SE_SE_EEEEZNS1_13binary_searchIS3_S5_PiSG_SI_NS1_21upper_bound_search_opENS9_16wrapped_functionINS8_6system6detail7generic6detail18binary_search_lessEbEEEE10hipError_tPvRmT1_T2_T3_mmT4_T5_P12ihipStream_tbEUlRKiE_EEST_SX_SY_mSZ_S12_bEUlT_E_NS1_11comp_targetILNS1_3genE9ELNS1_11target_archE1100ELNS1_3gpuE3ELNS1_3repE0EEENS1_30default_config_static_selectorELNS0_4arch9wavefront6targetE1EEEvSW_.numbered_sgpr, 0
	.set _ZN7rocprim17ROCPRIM_400000_NS6detail17trampoline_kernelINS0_14default_configENS1_27upper_bound_config_selectorIilEEZNS1_14transform_implILb0ES3_S5_N6thrust23THRUST_200600_302600_NS6detail15normal_iteratorINS8_7pointerIiNS8_11hip_rocprim5par_tENS8_11use_defaultESE_EEEENSA_INSB_IlSD_SE_SE_EEEEZNS1_13binary_searchIS3_S5_PiSG_SI_NS1_21upper_bound_search_opENS9_16wrapped_functionINS8_6system6detail7generic6detail18binary_search_lessEbEEEE10hipError_tPvRmT1_T2_T3_mmT4_T5_P12ihipStream_tbEUlRKiE_EEST_SX_SY_mSZ_S12_bEUlT_E_NS1_11comp_targetILNS1_3genE9ELNS1_11target_archE1100ELNS1_3gpuE3ELNS1_3repE0EEENS1_30default_config_static_selectorELNS0_4arch9wavefront6targetE1EEEvSW_.num_named_barrier, 0
	.set _ZN7rocprim17ROCPRIM_400000_NS6detail17trampoline_kernelINS0_14default_configENS1_27upper_bound_config_selectorIilEEZNS1_14transform_implILb0ES3_S5_N6thrust23THRUST_200600_302600_NS6detail15normal_iteratorINS8_7pointerIiNS8_11hip_rocprim5par_tENS8_11use_defaultESE_EEEENSA_INSB_IlSD_SE_SE_EEEEZNS1_13binary_searchIS3_S5_PiSG_SI_NS1_21upper_bound_search_opENS9_16wrapped_functionINS8_6system6detail7generic6detail18binary_search_lessEbEEEE10hipError_tPvRmT1_T2_T3_mmT4_T5_P12ihipStream_tbEUlRKiE_EEST_SX_SY_mSZ_S12_bEUlT_E_NS1_11comp_targetILNS1_3genE9ELNS1_11target_archE1100ELNS1_3gpuE3ELNS1_3repE0EEENS1_30default_config_static_selectorELNS0_4arch9wavefront6targetE1EEEvSW_.private_seg_size, 0
	.set _ZN7rocprim17ROCPRIM_400000_NS6detail17trampoline_kernelINS0_14default_configENS1_27upper_bound_config_selectorIilEEZNS1_14transform_implILb0ES3_S5_N6thrust23THRUST_200600_302600_NS6detail15normal_iteratorINS8_7pointerIiNS8_11hip_rocprim5par_tENS8_11use_defaultESE_EEEENSA_INSB_IlSD_SE_SE_EEEEZNS1_13binary_searchIS3_S5_PiSG_SI_NS1_21upper_bound_search_opENS9_16wrapped_functionINS8_6system6detail7generic6detail18binary_search_lessEbEEEE10hipError_tPvRmT1_T2_T3_mmT4_T5_P12ihipStream_tbEUlRKiE_EEST_SX_SY_mSZ_S12_bEUlT_E_NS1_11comp_targetILNS1_3genE9ELNS1_11target_archE1100ELNS1_3gpuE3ELNS1_3repE0EEENS1_30default_config_static_selectorELNS0_4arch9wavefront6targetE1EEEvSW_.uses_vcc, 0
	.set _ZN7rocprim17ROCPRIM_400000_NS6detail17trampoline_kernelINS0_14default_configENS1_27upper_bound_config_selectorIilEEZNS1_14transform_implILb0ES3_S5_N6thrust23THRUST_200600_302600_NS6detail15normal_iteratorINS8_7pointerIiNS8_11hip_rocprim5par_tENS8_11use_defaultESE_EEEENSA_INSB_IlSD_SE_SE_EEEEZNS1_13binary_searchIS3_S5_PiSG_SI_NS1_21upper_bound_search_opENS9_16wrapped_functionINS8_6system6detail7generic6detail18binary_search_lessEbEEEE10hipError_tPvRmT1_T2_T3_mmT4_T5_P12ihipStream_tbEUlRKiE_EEST_SX_SY_mSZ_S12_bEUlT_E_NS1_11comp_targetILNS1_3genE9ELNS1_11target_archE1100ELNS1_3gpuE3ELNS1_3repE0EEENS1_30default_config_static_selectorELNS0_4arch9wavefront6targetE1EEEvSW_.uses_flat_scratch, 0
	.set _ZN7rocprim17ROCPRIM_400000_NS6detail17trampoline_kernelINS0_14default_configENS1_27upper_bound_config_selectorIilEEZNS1_14transform_implILb0ES3_S5_N6thrust23THRUST_200600_302600_NS6detail15normal_iteratorINS8_7pointerIiNS8_11hip_rocprim5par_tENS8_11use_defaultESE_EEEENSA_INSB_IlSD_SE_SE_EEEEZNS1_13binary_searchIS3_S5_PiSG_SI_NS1_21upper_bound_search_opENS9_16wrapped_functionINS8_6system6detail7generic6detail18binary_search_lessEbEEEE10hipError_tPvRmT1_T2_T3_mmT4_T5_P12ihipStream_tbEUlRKiE_EEST_SX_SY_mSZ_S12_bEUlT_E_NS1_11comp_targetILNS1_3genE9ELNS1_11target_archE1100ELNS1_3gpuE3ELNS1_3repE0EEENS1_30default_config_static_selectorELNS0_4arch9wavefront6targetE1EEEvSW_.has_dyn_sized_stack, 0
	.set _ZN7rocprim17ROCPRIM_400000_NS6detail17trampoline_kernelINS0_14default_configENS1_27upper_bound_config_selectorIilEEZNS1_14transform_implILb0ES3_S5_N6thrust23THRUST_200600_302600_NS6detail15normal_iteratorINS8_7pointerIiNS8_11hip_rocprim5par_tENS8_11use_defaultESE_EEEENSA_INSB_IlSD_SE_SE_EEEEZNS1_13binary_searchIS3_S5_PiSG_SI_NS1_21upper_bound_search_opENS9_16wrapped_functionINS8_6system6detail7generic6detail18binary_search_lessEbEEEE10hipError_tPvRmT1_T2_T3_mmT4_T5_P12ihipStream_tbEUlRKiE_EEST_SX_SY_mSZ_S12_bEUlT_E_NS1_11comp_targetILNS1_3genE9ELNS1_11target_archE1100ELNS1_3gpuE3ELNS1_3repE0EEENS1_30default_config_static_selectorELNS0_4arch9wavefront6targetE1EEEvSW_.has_recursion, 0
	.set _ZN7rocprim17ROCPRIM_400000_NS6detail17trampoline_kernelINS0_14default_configENS1_27upper_bound_config_selectorIilEEZNS1_14transform_implILb0ES3_S5_N6thrust23THRUST_200600_302600_NS6detail15normal_iteratorINS8_7pointerIiNS8_11hip_rocprim5par_tENS8_11use_defaultESE_EEEENSA_INSB_IlSD_SE_SE_EEEEZNS1_13binary_searchIS3_S5_PiSG_SI_NS1_21upper_bound_search_opENS9_16wrapped_functionINS8_6system6detail7generic6detail18binary_search_lessEbEEEE10hipError_tPvRmT1_T2_T3_mmT4_T5_P12ihipStream_tbEUlRKiE_EEST_SX_SY_mSZ_S12_bEUlT_E_NS1_11comp_targetILNS1_3genE9ELNS1_11target_archE1100ELNS1_3gpuE3ELNS1_3repE0EEENS1_30default_config_static_selectorELNS0_4arch9wavefront6targetE1EEEvSW_.has_indirect_call, 0
	.section	.AMDGPU.csdata,"",@progbits
; Kernel info:
; codeLenInByte = 0
; TotalNumSgprs: 4
; NumVgprs: 0
; ScratchSize: 0
; MemoryBound: 0
; FloatMode: 240
; IeeeMode: 1
; LDSByteSize: 0 bytes/workgroup (compile time only)
; SGPRBlocks: 0
; VGPRBlocks: 0
; NumSGPRsForWavesPerEU: 4
; NumVGPRsForWavesPerEU: 1
; Occupancy: 10
; WaveLimiterHint : 0
; COMPUTE_PGM_RSRC2:SCRATCH_EN: 0
; COMPUTE_PGM_RSRC2:USER_SGPR: 6
; COMPUTE_PGM_RSRC2:TRAP_HANDLER: 0
; COMPUTE_PGM_RSRC2:TGID_X_EN: 1
; COMPUTE_PGM_RSRC2:TGID_Y_EN: 0
; COMPUTE_PGM_RSRC2:TGID_Z_EN: 0
; COMPUTE_PGM_RSRC2:TIDIG_COMP_CNT: 0
	.section	.text._ZN7rocprim17ROCPRIM_400000_NS6detail17trampoline_kernelINS0_14default_configENS1_27upper_bound_config_selectorIilEEZNS1_14transform_implILb0ES3_S5_N6thrust23THRUST_200600_302600_NS6detail15normal_iteratorINS8_7pointerIiNS8_11hip_rocprim5par_tENS8_11use_defaultESE_EEEENSA_INSB_IlSD_SE_SE_EEEEZNS1_13binary_searchIS3_S5_PiSG_SI_NS1_21upper_bound_search_opENS9_16wrapped_functionINS8_6system6detail7generic6detail18binary_search_lessEbEEEE10hipError_tPvRmT1_T2_T3_mmT4_T5_P12ihipStream_tbEUlRKiE_EEST_SX_SY_mSZ_S12_bEUlT_E_NS1_11comp_targetILNS1_3genE8ELNS1_11target_archE1030ELNS1_3gpuE2ELNS1_3repE0EEENS1_30default_config_static_selectorELNS0_4arch9wavefront6targetE1EEEvSW_,"axG",@progbits,_ZN7rocprim17ROCPRIM_400000_NS6detail17trampoline_kernelINS0_14default_configENS1_27upper_bound_config_selectorIilEEZNS1_14transform_implILb0ES3_S5_N6thrust23THRUST_200600_302600_NS6detail15normal_iteratorINS8_7pointerIiNS8_11hip_rocprim5par_tENS8_11use_defaultESE_EEEENSA_INSB_IlSD_SE_SE_EEEEZNS1_13binary_searchIS3_S5_PiSG_SI_NS1_21upper_bound_search_opENS9_16wrapped_functionINS8_6system6detail7generic6detail18binary_search_lessEbEEEE10hipError_tPvRmT1_T2_T3_mmT4_T5_P12ihipStream_tbEUlRKiE_EEST_SX_SY_mSZ_S12_bEUlT_E_NS1_11comp_targetILNS1_3genE8ELNS1_11target_archE1030ELNS1_3gpuE2ELNS1_3repE0EEENS1_30default_config_static_selectorELNS0_4arch9wavefront6targetE1EEEvSW_,comdat
	.protected	_ZN7rocprim17ROCPRIM_400000_NS6detail17trampoline_kernelINS0_14default_configENS1_27upper_bound_config_selectorIilEEZNS1_14transform_implILb0ES3_S5_N6thrust23THRUST_200600_302600_NS6detail15normal_iteratorINS8_7pointerIiNS8_11hip_rocprim5par_tENS8_11use_defaultESE_EEEENSA_INSB_IlSD_SE_SE_EEEEZNS1_13binary_searchIS3_S5_PiSG_SI_NS1_21upper_bound_search_opENS9_16wrapped_functionINS8_6system6detail7generic6detail18binary_search_lessEbEEEE10hipError_tPvRmT1_T2_T3_mmT4_T5_P12ihipStream_tbEUlRKiE_EEST_SX_SY_mSZ_S12_bEUlT_E_NS1_11comp_targetILNS1_3genE8ELNS1_11target_archE1030ELNS1_3gpuE2ELNS1_3repE0EEENS1_30default_config_static_selectorELNS0_4arch9wavefront6targetE1EEEvSW_ ; -- Begin function _ZN7rocprim17ROCPRIM_400000_NS6detail17trampoline_kernelINS0_14default_configENS1_27upper_bound_config_selectorIilEEZNS1_14transform_implILb0ES3_S5_N6thrust23THRUST_200600_302600_NS6detail15normal_iteratorINS8_7pointerIiNS8_11hip_rocprim5par_tENS8_11use_defaultESE_EEEENSA_INSB_IlSD_SE_SE_EEEEZNS1_13binary_searchIS3_S5_PiSG_SI_NS1_21upper_bound_search_opENS9_16wrapped_functionINS8_6system6detail7generic6detail18binary_search_lessEbEEEE10hipError_tPvRmT1_T2_T3_mmT4_T5_P12ihipStream_tbEUlRKiE_EEST_SX_SY_mSZ_S12_bEUlT_E_NS1_11comp_targetILNS1_3genE8ELNS1_11target_archE1030ELNS1_3gpuE2ELNS1_3repE0EEENS1_30default_config_static_selectorELNS0_4arch9wavefront6targetE1EEEvSW_
	.globl	_ZN7rocprim17ROCPRIM_400000_NS6detail17trampoline_kernelINS0_14default_configENS1_27upper_bound_config_selectorIilEEZNS1_14transform_implILb0ES3_S5_N6thrust23THRUST_200600_302600_NS6detail15normal_iteratorINS8_7pointerIiNS8_11hip_rocprim5par_tENS8_11use_defaultESE_EEEENSA_INSB_IlSD_SE_SE_EEEEZNS1_13binary_searchIS3_S5_PiSG_SI_NS1_21upper_bound_search_opENS9_16wrapped_functionINS8_6system6detail7generic6detail18binary_search_lessEbEEEE10hipError_tPvRmT1_T2_T3_mmT4_T5_P12ihipStream_tbEUlRKiE_EEST_SX_SY_mSZ_S12_bEUlT_E_NS1_11comp_targetILNS1_3genE8ELNS1_11target_archE1030ELNS1_3gpuE2ELNS1_3repE0EEENS1_30default_config_static_selectorELNS0_4arch9wavefront6targetE1EEEvSW_
	.p2align	8
	.type	_ZN7rocprim17ROCPRIM_400000_NS6detail17trampoline_kernelINS0_14default_configENS1_27upper_bound_config_selectorIilEEZNS1_14transform_implILb0ES3_S5_N6thrust23THRUST_200600_302600_NS6detail15normal_iteratorINS8_7pointerIiNS8_11hip_rocprim5par_tENS8_11use_defaultESE_EEEENSA_INSB_IlSD_SE_SE_EEEEZNS1_13binary_searchIS3_S5_PiSG_SI_NS1_21upper_bound_search_opENS9_16wrapped_functionINS8_6system6detail7generic6detail18binary_search_lessEbEEEE10hipError_tPvRmT1_T2_T3_mmT4_T5_P12ihipStream_tbEUlRKiE_EEST_SX_SY_mSZ_S12_bEUlT_E_NS1_11comp_targetILNS1_3genE8ELNS1_11target_archE1030ELNS1_3gpuE2ELNS1_3repE0EEENS1_30default_config_static_selectorELNS0_4arch9wavefront6targetE1EEEvSW_,@function
_ZN7rocprim17ROCPRIM_400000_NS6detail17trampoline_kernelINS0_14default_configENS1_27upper_bound_config_selectorIilEEZNS1_14transform_implILb0ES3_S5_N6thrust23THRUST_200600_302600_NS6detail15normal_iteratorINS8_7pointerIiNS8_11hip_rocprim5par_tENS8_11use_defaultESE_EEEENSA_INSB_IlSD_SE_SE_EEEEZNS1_13binary_searchIS3_S5_PiSG_SI_NS1_21upper_bound_search_opENS9_16wrapped_functionINS8_6system6detail7generic6detail18binary_search_lessEbEEEE10hipError_tPvRmT1_T2_T3_mmT4_T5_P12ihipStream_tbEUlRKiE_EEST_SX_SY_mSZ_S12_bEUlT_E_NS1_11comp_targetILNS1_3genE8ELNS1_11target_archE1030ELNS1_3gpuE2ELNS1_3repE0EEENS1_30default_config_static_selectorELNS0_4arch9wavefront6targetE1EEEvSW_: ; @_ZN7rocprim17ROCPRIM_400000_NS6detail17trampoline_kernelINS0_14default_configENS1_27upper_bound_config_selectorIilEEZNS1_14transform_implILb0ES3_S5_N6thrust23THRUST_200600_302600_NS6detail15normal_iteratorINS8_7pointerIiNS8_11hip_rocprim5par_tENS8_11use_defaultESE_EEEENSA_INSB_IlSD_SE_SE_EEEEZNS1_13binary_searchIS3_S5_PiSG_SI_NS1_21upper_bound_search_opENS9_16wrapped_functionINS8_6system6detail7generic6detail18binary_search_lessEbEEEE10hipError_tPvRmT1_T2_T3_mmT4_T5_P12ihipStream_tbEUlRKiE_EEST_SX_SY_mSZ_S12_bEUlT_E_NS1_11comp_targetILNS1_3genE8ELNS1_11target_archE1030ELNS1_3gpuE2ELNS1_3repE0EEENS1_30default_config_static_selectorELNS0_4arch9wavefront6targetE1EEEvSW_
; %bb.0:
	.section	.rodata,"a",@progbits
	.p2align	6, 0x0
	.amdhsa_kernel _ZN7rocprim17ROCPRIM_400000_NS6detail17trampoline_kernelINS0_14default_configENS1_27upper_bound_config_selectorIilEEZNS1_14transform_implILb0ES3_S5_N6thrust23THRUST_200600_302600_NS6detail15normal_iteratorINS8_7pointerIiNS8_11hip_rocprim5par_tENS8_11use_defaultESE_EEEENSA_INSB_IlSD_SE_SE_EEEEZNS1_13binary_searchIS3_S5_PiSG_SI_NS1_21upper_bound_search_opENS9_16wrapped_functionINS8_6system6detail7generic6detail18binary_search_lessEbEEEE10hipError_tPvRmT1_T2_T3_mmT4_T5_P12ihipStream_tbEUlRKiE_EEST_SX_SY_mSZ_S12_bEUlT_E_NS1_11comp_targetILNS1_3genE8ELNS1_11target_archE1030ELNS1_3gpuE2ELNS1_3repE0EEENS1_30default_config_static_selectorELNS0_4arch9wavefront6targetE1EEEvSW_
		.amdhsa_group_segment_fixed_size 0
		.amdhsa_private_segment_fixed_size 0
		.amdhsa_kernarg_size 56
		.amdhsa_user_sgpr_count 6
		.amdhsa_user_sgpr_private_segment_buffer 1
		.amdhsa_user_sgpr_dispatch_ptr 0
		.amdhsa_user_sgpr_queue_ptr 0
		.amdhsa_user_sgpr_kernarg_segment_ptr 1
		.amdhsa_user_sgpr_dispatch_id 0
		.amdhsa_user_sgpr_flat_scratch_init 0
		.amdhsa_user_sgpr_private_segment_size 0
		.amdhsa_uses_dynamic_stack 0
		.amdhsa_system_sgpr_private_segment_wavefront_offset 0
		.amdhsa_system_sgpr_workgroup_id_x 1
		.amdhsa_system_sgpr_workgroup_id_y 0
		.amdhsa_system_sgpr_workgroup_id_z 0
		.amdhsa_system_sgpr_workgroup_info 0
		.amdhsa_system_vgpr_workitem_id 0
		.amdhsa_next_free_vgpr 1
		.amdhsa_next_free_sgpr 0
		.amdhsa_reserve_vcc 0
		.amdhsa_reserve_flat_scratch 0
		.amdhsa_float_round_mode_32 0
		.amdhsa_float_round_mode_16_64 0
		.amdhsa_float_denorm_mode_32 3
		.amdhsa_float_denorm_mode_16_64 3
		.amdhsa_dx10_clamp 1
		.amdhsa_ieee_mode 1
		.amdhsa_fp16_overflow 0
		.amdhsa_exception_fp_ieee_invalid_op 0
		.amdhsa_exception_fp_denorm_src 0
		.amdhsa_exception_fp_ieee_div_zero 0
		.amdhsa_exception_fp_ieee_overflow 0
		.amdhsa_exception_fp_ieee_underflow 0
		.amdhsa_exception_fp_ieee_inexact 0
		.amdhsa_exception_int_div_zero 0
	.end_amdhsa_kernel
	.section	.text._ZN7rocprim17ROCPRIM_400000_NS6detail17trampoline_kernelINS0_14default_configENS1_27upper_bound_config_selectorIilEEZNS1_14transform_implILb0ES3_S5_N6thrust23THRUST_200600_302600_NS6detail15normal_iteratorINS8_7pointerIiNS8_11hip_rocprim5par_tENS8_11use_defaultESE_EEEENSA_INSB_IlSD_SE_SE_EEEEZNS1_13binary_searchIS3_S5_PiSG_SI_NS1_21upper_bound_search_opENS9_16wrapped_functionINS8_6system6detail7generic6detail18binary_search_lessEbEEEE10hipError_tPvRmT1_T2_T3_mmT4_T5_P12ihipStream_tbEUlRKiE_EEST_SX_SY_mSZ_S12_bEUlT_E_NS1_11comp_targetILNS1_3genE8ELNS1_11target_archE1030ELNS1_3gpuE2ELNS1_3repE0EEENS1_30default_config_static_selectorELNS0_4arch9wavefront6targetE1EEEvSW_,"axG",@progbits,_ZN7rocprim17ROCPRIM_400000_NS6detail17trampoline_kernelINS0_14default_configENS1_27upper_bound_config_selectorIilEEZNS1_14transform_implILb0ES3_S5_N6thrust23THRUST_200600_302600_NS6detail15normal_iteratorINS8_7pointerIiNS8_11hip_rocprim5par_tENS8_11use_defaultESE_EEEENSA_INSB_IlSD_SE_SE_EEEEZNS1_13binary_searchIS3_S5_PiSG_SI_NS1_21upper_bound_search_opENS9_16wrapped_functionINS8_6system6detail7generic6detail18binary_search_lessEbEEEE10hipError_tPvRmT1_T2_T3_mmT4_T5_P12ihipStream_tbEUlRKiE_EEST_SX_SY_mSZ_S12_bEUlT_E_NS1_11comp_targetILNS1_3genE8ELNS1_11target_archE1030ELNS1_3gpuE2ELNS1_3repE0EEENS1_30default_config_static_selectorELNS0_4arch9wavefront6targetE1EEEvSW_,comdat
.Lfunc_end230:
	.size	_ZN7rocprim17ROCPRIM_400000_NS6detail17trampoline_kernelINS0_14default_configENS1_27upper_bound_config_selectorIilEEZNS1_14transform_implILb0ES3_S5_N6thrust23THRUST_200600_302600_NS6detail15normal_iteratorINS8_7pointerIiNS8_11hip_rocprim5par_tENS8_11use_defaultESE_EEEENSA_INSB_IlSD_SE_SE_EEEEZNS1_13binary_searchIS3_S5_PiSG_SI_NS1_21upper_bound_search_opENS9_16wrapped_functionINS8_6system6detail7generic6detail18binary_search_lessEbEEEE10hipError_tPvRmT1_T2_T3_mmT4_T5_P12ihipStream_tbEUlRKiE_EEST_SX_SY_mSZ_S12_bEUlT_E_NS1_11comp_targetILNS1_3genE8ELNS1_11target_archE1030ELNS1_3gpuE2ELNS1_3repE0EEENS1_30default_config_static_selectorELNS0_4arch9wavefront6targetE1EEEvSW_, .Lfunc_end230-_ZN7rocprim17ROCPRIM_400000_NS6detail17trampoline_kernelINS0_14default_configENS1_27upper_bound_config_selectorIilEEZNS1_14transform_implILb0ES3_S5_N6thrust23THRUST_200600_302600_NS6detail15normal_iteratorINS8_7pointerIiNS8_11hip_rocprim5par_tENS8_11use_defaultESE_EEEENSA_INSB_IlSD_SE_SE_EEEEZNS1_13binary_searchIS3_S5_PiSG_SI_NS1_21upper_bound_search_opENS9_16wrapped_functionINS8_6system6detail7generic6detail18binary_search_lessEbEEEE10hipError_tPvRmT1_T2_T3_mmT4_T5_P12ihipStream_tbEUlRKiE_EEST_SX_SY_mSZ_S12_bEUlT_E_NS1_11comp_targetILNS1_3genE8ELNS1_11target_archE1030ELNS1_3gpuE2ELNS1_3repE0EEENS1_30default_config_static_selectorELNS0_4arch9wavefront6targetE1EEEvSW_
                                        ; -- End function
	.set _ZN7rocprim17ROCPRIM_400000_NS6detail17trampoline_kernelINS0_14default_configENS1_27upper_bound_config_selectorIilEEZNS1_14transform_implILb0ES3_S5_N6thrust23THRUST_200600_302600_NS6detail15normal_iteratorINS8_7pointerIiNS8_11hip_rocprim5par_tENS8_11use_defaultESE_EEEENSA_INSB_IlSD_SE_SE_EEEEZNS1_13binary_searchIS3_S5_PiSG_SI_NS1_21upper_bound_search_opENS9_16wrapped_functionINS8_6system6detail7generic6detail18binary_search_lessEbEEEE10hipError_tPvRmT1_T2_T3_mmT4_T5_P12ihipStream_tbEUlRKiE_EEST_SX_SY_mSZ_S12_bEUlT_E_NS1_11comp_targetILNS1_3genE8ELNS1_11target_archE1030ELNS1_3gpuE2ELNS1_3repE0EEENS1_30default_config_static_selectorELNS0_4arch9wavefront6targetE1EEEvSW_.num_vgpr, 0
	.set _ZN7rocprim17ROCPRIM_400000_NS6detail17trampoline_kernelINS0_14default_configENS1_27upper_bound_config_selectorIilEEZNS1_14transform_implILb0ES3_S5_N6thrust23THRUST_200600_302600_NS6detail15normal_iteratorINS8_7pointerIiNS8_11hip_rocprim5par_tENS8_11use_defaultESE_EEEENSA_INSB_IlSD_SE_SE_EEEEZNS1_13binary_searchIS3_S5_PiSG_SI_NS1_21upper_bound_search_opENS9_16wrapped_functionINS8_6system6detail7generic6detail18binary_search_lessEbEEEE10hipError_tPvRmT1_T2_T3_mmT4_T5_P12ihipStream_tbEUlRKiE_EEST_SX_SY_mSZ_S12_bEUlT_E_NS1_11comp_targetILNS1_3genE8ELNS1_11target_archE1030ELNS1_3gpuE2ELNS1_3repE0EEENS1_30default_config_static_selectorELNS0_4arch9wavefront6targetE1EEEvSW_.num_agpr, 0
	.set _ZN7rocprim17ROCPRIM_400000_NS6detail17trampoline_kernelINS0_14default_configENS1_27upper_bound_config_selectorIilEEZNS1_14transform_implILb0ES3_S5_N6thrust23THRUST_200600_302600_NS6detail15normal_iteratorINS8_7pointerIiNS8_11hip_rocprim5par_tENS8_11use_defaultESE_EEEENSA_INSB_IlSD_SE_SE_EEEEZNS1_13binary_searchIS3_S5_PiSG_SI_NS1_21upper_bound_search_opENS9_16wrapped_functionINS8_6system6detail7generic6detail18binary_search_lessEbEEEE10hipError_tPvRmT1_T2_T3_mmT4_T5_P12ihipStream_tbEUlRKiE_EEST_SX_SY_mSZ_S12_bEUlT_E_NS1_11comp_targetILNS1_3genE8ELNS1_11target_archE1030ELNS1_3gpuE2ELNS1_3repE0EEENS1_30default_config_static_selectorELNS0_4arch9wavefront6targetE1EEEvSW_.numbered_sgpr, 0
	.set _ZN7rocprim17ROCPRIM_400000_NS6detail17trampoline_kernelINS0_14default_configENS1_27upper_bound_config_selectorIilEEZNS1_14transform_implILb0ES3_S5_N6thrust23THRUST_200600_302600_NS6detail15normal_iteratorINS8_7pointerIiNS8_11hip_rocprim5par_tENS8_11use_defaultESE_EEEENSA_INSB_IlSD_SE_SE_EEEEZNS1_13binary_searchIS3_S5_PiSG_SI_NS1_21upper_bound_search_opENS9_16wrapped_functionINS8_6system6detail7generic6detail18binary_search_lessEbEEEE10hipError_tPvRmT1_T2_T3_mmT4_T5_P12ihipStream_tbEUlRKiE_EEST_SX_SY_mSZ_S12_bEUlT_E_NS1_11comp_targetILNS1_3genE8ELNS1_11target_archE1030ELNS1_3gpuE2ELNS1_3repE0EEENS1_30default_config_static_selectorELNS0_4arch9wavefront6targetE1EEEvSW_.num_named_barrier, 0
	.set _ZN7rocprim17ROCPRIM_400000_NS6detail17trampoline_kernelINS0_14default_configENS1_27upper_bound_config_selectorIilEEZNS1_14transform_implILb0ES3_S5_N6thrust23THRUST_200600_302600_NS6detail15normal_iteratorINS8_7pointerIiNS8_11hip_rocprim5par_tENS8_11use_defaultESE_EEEENSA_INSB_IlSD_SE_SE_EEEEZNS1_13binary_searchIS3_S5_PiSG_SI_NS1_21upper_bound_search_opENS9_16wrapped_functionINS8_6system6detail7generic6detail18binary_search_lessEbEEEE10hipError_tPvRmT1_T2_T3_mmT4_T5_P12ihipStream_tbEUlRKiE_EEST_SX_SY_mSZ_S12_bEUlT_E_NS1_11comp_targetILNS1_3genE8ELNS1_11target_archE1030ELNS1_3gpuE2ELNS1_3repE0EEENS1_30default_config_static_selectorELNS0_4arch9wavefront6targetE1EEEvSW_.private_seg_size, 0
	.set _ZN7rocprim17ROCPRIM_400000_NS6detail17trampoline_kernelINS0_14default_configENS1_27upper_bound_config_selectorIilEEZNS1_14transform_implILb0ES3_S5_N6thrust23THRUST_200600_302600_NS6detail15normal_iteratorINS8_7pointerIiNS8_11hip_rocprim5par_tENS8_11use_defaultESE_EEEENSA_INSB_IlSD_SE_SE_EEEEZNS1_13binary_searchIS3_S5_PiSG_SI_NS1_21upper_bound_search_opENS9_16wrapped_functionINS8_6system6detail7generic6detail18binary_search_lessEbEEEE10hipError_tPvRmT1_T2_T3_mmT4_T5_P12ihipStream_tbEUlRKiE_EEST_SX_SY_mSZ_S12_bEUlT_E_NS1_11comp_targetILNS1_3genE8ELNS1_11target_archE1030ELNS1_3gpuE2ELNS1_3repE0EEENS1_30default_config_static_selectorELNS0_4arch9wavefront6targetE1EEEvSW_.uses_vcc, 0
	.set _ZN7rocprim17ROCPRIM_400000_NS6detail17trampoline_kernelINS0_14default_configENS1_27upper_bound_config_selectorIilEEZNS1_14transform_implILb0ES3_S5_N6thrust23THRUST_200600_302600_NS6detail15normal_iteratorINS8_7pointerIiNS8_11hip_rocprim5par_tENS8_11use_defaultESE_EEEENSA_INSB_IlSD_SE_SE_EEEEZNS1_13binary_searchIS3_S5_PiSG_SI_NS1_21upper_bound_search_opENS9_16wrapped_functionINS8_6system6detail7generic6detail18binary_search_lessEbEEEE10hipError_tPvRmT1_T2_T3_mmT4_T5_P12ihipStream_tbEUlRKiE_EEST_SX_SY_mSZ_S12_bEUlT_E_NS1_11comp_targetILNS1_3genE8ELNS1_11target_archE1030ELNS1_3gpuE2ELNS1_3repE0EEENS1_30default_config_static_selectorELNS0_4arch9wavefront6targetE1EEEvSW_.uses_flat_scratch, 0
	.set _ZN7rocprim17ROCPRIM_400000_NS6detail17trampoline_kernelINS0_14default_configENS1_27upper_bound_config_selectorIilEEZNS1_14transform_implILb0ES3_S5_N6thrust23THRUST_200600_302600_NS6detail15normal_iteratorINS8_7pointerIiNS8_11hip_rocprim5par_tENS8_11use_defaultESE_EEEENSA_INSB_IlSD_SE_SE_EEEEZNS1_13binary_searchIS3_S5_PiSG_SI_NS1_21upper_bound_search_opENS9_16wrapped_functionINS8_6system6detail7generic6detail18binary_search_lessEbEEEE10hipError_tPvRmT1_T2_T3_mmT4_T5_P12ihipStream_tbEUlRKiE_EEST_SX_SY_mSZ_S12_bEUlT_E_NS1_11comp_targetILNS1_3genE8ELNS1_11target_archE1030ELNS1_3gpuE2ELNS1_3repE0EEENS1_30default_config_static_selectorELNS0_4arch9wavefront6targetE1EEEvSW_.has_dyn_sized_stack, 0
	.set _ZN7rocprim17ROCPRIM_400000_NS6detail17trampoline_kernelINS0_14default_configENS1_27upper_bound_config_selectorIilEEZNS1_14transform_implILb0ES3_S5_N6thrust23THRUST_200600_302600_NS6detail15normal_iteratorINS8_7pointerIiNS8_11hip_rocprim5par_tENS8_11use_defaultESE_EEEENSA_INSB_IlSD_SE_SE_EEEEZNS1_13binary_searchIS3_S5_PiSG_SI_NS1_21upper_bound_search_opENS9_16wrapped_functionINS8_6system6detail7generic6detail18binary_search_lessEbEEEE10hipError_tPvRmT1_T2_T3_mmT4_T5_P12ihipStream_tbEUlRKiE_EEST_SX_SY_mSZ_S12_bEUlT_E_NS1_11comp_targetILNS1_3genE8ELNS1_11target_archE1030ELNS1_3gpuE2ELNS1_3repE0EEENS1_30default_config_static_selectorELNS0_4arch9wavefront6targetE1EEEvSW_.has_recursion, 0
	.set _ZN7rocprim17ROCPRIM_400000_NS6detail17trampoline_kernelINS0_14default_configENS1_27upper_bound_config_selectorIilEEZNS1_14transform_implILb0ES3_S5_N6thrust23THRUST_200600_302600_NS6detail15normal_iteratorINS8_7pointerIiNS8_11hip_rocprim5par_tENS8_11use_defaultESE_EEEENSA_INSB_IlSD_SE_SE_EEEEZNS1_13binary_searchIS3_S5_PiSG_SI_NS1_21upper_bound_search_opENS9_16wrapped_functionINS8_6system6detail7generic6detail18binary_search_lessEbEEEE10hipError_tPvRmT1_T2_T3_mmT4_T5_P12ihipStream_tbEUlRKiE_EEST_SX_SY_mSZ_S12_bEUlT_E_NS1_11comp_targetILNS1_3genE8ELNS1_11target_archE1030ELNS1_3gpuE2ELNS1_3repE0EEENS1_30default_config_static_selectorELNS0_4arch9wavefront6targetE1EEEvSW_.has_indirect_call, 0
	.section	.AMDGPU.csdata,"",@progbits
; Kernel info:
; codeLenInByte = 0
; TotalNumSgprs: 4
; NumVgprs: 0
; ScratchSize: 0
; MemoryBound: 0
; FloatMode: 240
; IeeeMode: 1
; LDSByteSize: 0 bytes/workgroup (compile time only)
; SGPRBlocks: 0
; VGPRBlocks: 0
; NumSGPRsForWavesPerEU: 4
; NumVGPRsForWavesPerEU: 1
; Occupancy: 10
; WaveLimiterHint : 0
; COMPUTE_PGM_RSRC2:SCRATCH_EN: 0
; COMPUTE_PGM_RSRC2:USER_SGPR: 6
; COMPUTE_PGM_RSRC2:TRAP_HANDLER: 0
; COMPUTE_PGM_RSRC2:TGID_X_EN: 1
; COMPUTE_PGM_RSRC2:TGID_Y_EN: 0
; COMPUTE_PGM_RSRC2:TGID_Z_EN: 0
; COMPUTE_PGM_RSRC2:TIDIG_COMP_CNT: 0
	.section	.text._Z18upper_bound_kernelIsEvmPT_Pl,"axG",@progbits,_Z18upper_bound_kernelIsEvmPT_Pl,comdat
	.protected	_Z18upper_bound_kernelIsEvmPT_Pl ; -- Begin function _Z18upper_bound_kernelIsEvmPT_Pl
	.globl	_Z18upper_bound_kernelIsEvmPT_Pl
	.p2align	8
	.type	_Z18upper_bound_kernelIsEvmPT_Pl,@function
_Z18upper_bound_kernelIsEvmPT_Pl:       ; @_Z18upper_bound_kernelIsEvmPT_Pl
; %bb.0:
	s_load_dwordx4 s[0:3], s[4:5], 0x0
	s_load_dwordx2 s[6:7], s[4:5], 0x10
	s_mov_b64 s[8:9], -1
	s_waitcnt lgkmcnt(0)
	s_lshl_b64 s[0:1], s[0:1], 1
	s_add_u32 s0, s2, s0
	s_addc_u32 s1, s3, s1
	s_sub_u32 s0, s0, s2
	s_subb_u32 s1, s1, s3
	s_ashr_i64 s[4:5], s[0:1], 1
	v_cmp_lt_i64_e64 s[0:1], s[4:5], 1
	s_and_b64 s[0:1], exec, s[0:1]
	s_mov_b64 vcc, s[0:1]
	s_cbranch_vccz .LBB231_2
; %bb.1:
	v_mov_b32_e32 v0, 0
	v_mov_b32_e32 v1, v0
	global_store_dwordx2 v0, v[0:1], s[6:7]
	s_mov_b64 s[8:9], 0
.LBB231_2:
	s_andn2_b64 vcc, exec, s[8:9]
	s_mov_b64 s[8:9], 0
	s_cbranch_vccnz .LBB231_7
; %bb.3:
	v_mov_b32_e32 v0, 0
	s_mov_b64 s[10:11], s[4:5]
.LBB231_4:                              ; =>This Inner Loop Header: Depth=1
	s_sub_u32 s12, s10, s8
	s_subb_u32 s13, s11, s9
	s_lshr_b64 s[12:13], s[12:13], 1
	s_add_u32 s12, s12, s8
	s_addc_u32 s13, s13, s9
	s_lshl_b64 s[14:15], s[12:13], 1
	s_add_u32 s14, s2, s14
	s_addc_u32 s15, s3, s15
	global_load_ushort v1, v0, s[14:15]
	s_add_u32 s14, s12, 1
	s_addc_u32 s15, s13, 0
	s_waitcnt vmcnt(0)
	v_readfirstlane_b32 s16, v1
	s_sext_i32_i16 s16, s16
	s_cmp_gt_i32 s16, 0
	s_cselect_b32 s10, s12, s10
	s_cselect_b32 s11, s13, s11
	v_mov_b32_e32 v1, s10
	s_cselect_b32 s9, s9, s15
	s_cselect_b32 s8, s8, s14
	v_mov_b32_e32 v2, s11
	v_cmp_lt_i64_e32 vcc, s[8:9], v[1:2]
	s_cbranch_vccnz .LBB231_4
; %bb.5:
	s_lshl_b64 s[8:9], s[8:9], 1
	s_add_u32 s8, s2, s8
	s_addc_u32 s9, s3, s9
	s_sub_u32 s8, s8, s2
	s_subb_u32 s9, s9, s3
	s_ashr_i64 s[8:9], s[8:9], 1
	v_mov_b32_e32 v1, s8
	v_mov_b32_e32 v0, 0
	;; [unrolled: 1-line block ×3, first 2 shown]
	s_mov_b64 s[8:9], 0
	s_mov_b64 s[10:11], s[4:5]
	global_store_dwordx2 v0, v[1:2], s[6:7]
.LBB231_6:                              ; =>This Inner Loop Header: Depth=1
	s_sub_u32 s12, s10, s8
	s_subb_u32 s13, s11, s9
	s_lshr_b64 s[12:13], s[12:13], 1
	s_add_u32 s12, s12, s8
	s_addc_u32 s13, s13, s9
	s_lshl_b64 s[14:15], s[12:13], 1
	s_add_u32 s14, s2, s14
	s_addc_u32 s15, s3, s15
	global_load_ushort v1, v0, s[14:15]
	s_add_u32 s14, s12, 1
	s_addc_u32 s15, s13, 0
	s_waitcnt vmcnt(0)
	v_readfirstlane_b32 s16, v1
	s_sext_i32_i16 s16, s16
	s_cmp_gt_i32 s16, 1
	s_cselect_b32 s10, s12, s10
	s_cselect_b32 s11, s13, s11
	v_mov_b32_e32 v1, s10
	s_cselect_b32 s9, s9, s15
	s_cselect_b32 s8, s8, s14
	v_mov_b32_e32 v2, s11
	v_cmp_ge_i64_e32 vcc, s[8:9], v[1:2]
	s_cbranch_vccz .LBB231_6
.LBB231_7:
	s_lshl_b64 s[8:9], s[8:9], 1
	s_add_u32 s8, s2, s8
	s_addc_u32 s9, s3, s9
	s_sub_u32 s8, s8, s2
	s_subb_u32 s9, s9, s3
	s_ashr_i64 s[8:9], s[8:9], 1
	v_mov_b32_e32 v1, s8
	v_mov_b32_e32 v0, 0
	;; [unrolled: 1-line block ×3, first 2 shown]
	s_mov_b64 s[8:9], -1
	s_mov_b64 vcc, s[0:1]
	global_store_dwordx2 v0, v[1:2], s[6:7] offset:8
	s_cbranch_vccz .LBB231_9
; %bb.8:
	v_mov_b32_e32 v1, v0
	global_store_dwordx2 v0, v[0:1], s[6:7] offset:16
	s_mov_b64 s[8:9], 0
.LBB231_9:
	s_andn2_b64 vcc, exec, s[8:9]
	s_mov_b64 s[8:9], 0
	s_cbranch_vccnz .LBB231_14
; %bb.10:
	v_mov_b32_e32 v0, 0
	s_mov_b64 s[10:11], s[4:5]
.LBB231_11:                             ; =>This Inner Loop Header: Depth=1
	s_sub_u32 s12, s10, s8
	s_subb_u32 s13, s11, s9
	s_lshr_b64 s[12:13], s[12:13], 1
	s_add_u32 s12, s12, s8
	s_addc_u32 s13, s13, s9
	s_lshl_b64 s[14:15], s[12:13], 1
	s_add_u32 s14, s2, s14
	s_addc_u32 s15, s3, s15
	global_load_ushort v1, v0, s[14:15]
	s_add_u32 s14, s12, 1
	s_addc_u32 s15, s13, 0
	s_waitcnt vmcnt(0)
	v_readfirstlane_b32 s16, v1
	s_sext_i32_i16 s16, s16
	s_cmp_gt_i32 s16, 2
	s_cselect_b32 s10, s12, s10
	s_cselect_b32 s11, s13, s11
	v_mov_b32_e32 v1, s10
	s_cselect_b32 s9, s9, s15
	s_cselect_b32 s8, s8, s14
	v_mov_b32_e32 v2, s11
	v_cmp_lt_i64_e32 vcc, s[8:9], v[1:2]
	s_cbranch_vccnz .LBB231_11
; %bb.12:
	s_lshl_b64 s[8:9], s[8:9], 1
	s_add_u32 s8, s2, s8
	s_addc_u32 s9, s3, s9
	s_sub_u32 s8, s8, s2
	s_subb_u32 s9, s9, s3
	s_ashr_i64 s[8:9], s[8:9], 1
	v_mov_b32_e32 v1, s8
	v_mov_b32_e32 v0, 0
	;; [unrolled: 1-line block ×3, first 2 shown]
	s_mov_b64 s[8:9], 0
	s_mov_b64 s[10:11], s[4:5]
	global_store_dwordx2 v0, v[1:2], s[6:7] offset:16
.LBB231_13:                             ; =>This Inner Loop Header: Depth=1
	s_sub_u32 s12, s10, s8
	s_subb_u32 s13, s11, s9
	s_lshr_b64 s[12:13], s[12:13], 1
	s_add_u32 s12, s12, s8
	s_addc_u32 s13, s13, s9
	s_lshl_b64 s[14:15], s[12:13], 1
	s_add_u32 s14, s2, s14
	s_addc_u32 s15, s3, s15
	global_load_ushort v1, v0, s[14:15]
	s_add_u32 s14, s12, 1
	s_addc_u32 s15, s13, 0
	s_waitcnt vmcnt(0)
	v_readfirstlane_b32 s16, v1
	s_sext_i32_i16 s16, s16
	s_cmp_gt_i32 s16, 3
	s_cselect_b32 s10, s12, s10
	s_cselect_b32 s11, s13, s11
	v_mov_b32_e32 v1, s10
	s_cselect_b32 s9, s9, s15
	s_cselect_b32 s8, s8, s14
	v_mov_b32_e32 v2, s11
	v_cmp_ge_i64_e32 vcc, s[8:9], v[1:2]
	s_cbranch_vccz .LBB231_13
.LBB231_14:
	s_lshl_b64 s[8:9], s[8:9], 1
	s_add_u32 s8, s2, s8
	s_addc_u32 s9, s3, s9
	s_sub_u32 s8, s8, s2
	s_subb_u32 s9, s9, s3
	s_ashr_i64 s[8:9], s[8:9], 1
	v_mov_b32_e32 v1, s8
	v_mov_b32_e32 v0, 0
	;; [unrolled: 1-line block ×3, first 2 shown]
	s_mov_b64 s[8:9], -1
	s_mov_b64 vcc, s[0:1]
	global_store_dwordx2 v0, v[1:2], s[6:7] offset:24
	s_cbranch_vccz .LBB231_16
; %bb.15:
	v_mov_b32_e32 v1, v0
	global_store_dwordx2 v0, v[0:1], s[6:7] offset:32
	s_mov_b64 s[8:9], 0
.LBB231_16:
	s_andn2_b64 vcc, exec, s[8:9]
	s_mov_b64 s[8:9], 0
	s_cbranch_vccnz .LBB231_21
; %bb.17:
	v_mov_b32_e32 v0, 0
	s_mov_b64 s[10:11], s[4:5]
.LBB231_18:                             ; =>This Inner Loop Header: Depth=1
	s_sub_u32 s12, s10, s8
	s_subb_u32 s13, s11, s9
	s_lshr_b64 s[12:13], s[12:13], 1
	s_add_u32 s12, s12, s8
	s_addc_u32 s13, s13, s9
	s_lshl_b64 s[14:15], s[12:13], 1
	s_add_u32 s14, s2, s14
	s_addc_u32 s15, s3, s15
	global_load_ushort v1, v0, s[14:15]
	s_add_u32 s14, s12, 1
	s_addc_u32 s15, s13, 0
	s_waitcnt vmcnt(0)
	v_readfirstlane_b32 s16, v1
	s_sext_i32_i16 s16, s16
	s_cmp_gt_i32 s16, 4
	s_cselect_b32 s10, s12, s10
	s_cselect_b32 s11, s13, s11
	v_mov_b32_e32 v1, s10
	s_cselect_b32 s9, s9, s15
	s_cselect_b32 s8, s8, s14
	v_mov_b32_e32 v2, s11
	v_cmp_lt_i64_e32 vcc, s[8:9], v[1:2]
	s_cbranch_vccnz .LBB231_18
; %bb.19:
	s_lshl_b64 s[8:9], s[8:9], 1
	s_add_u32 s8, s2, s8
	s_addc_u32 s9, s3, s9
	s_sub_u32 s8, s8, s2
	s_subb_u32 s9, s9, s3
	s_ashr_i64 s[8:9], s[8:9], 1
	v_mov_b32_e32 v1, s8
	v_mov_b32_e32 v0, 0
	;; [unrolled: 1-line block ×3, first 2 shown]
	s_mov_b64 s[8:9], 0
	s_mov_b64 s[10:11], s[4:5]
	global_store_dwordx2 v0, v[1:2], s[6:7] offset:32
.LBB231_20:                             ; =>This Inner Loop Header: Depth=1
	s_sub_u32 s12, s10, s8
	s_subb_u32 s13, s11, s9
	s_lshr_b64 s[12:13], s[12:13], 1
	s_add_u32 s12, s12, s8
	s_addc_u32 s13, s13, s9
	s_lshl_b64 s[14:15], s[12:13], 1
	s_add_u32 s14, s2, s14
	s_addc_u32 s15, s3, s15
	global_load_ushort v1, v0, s[14:15]
	s_add_u32 s14, s12, 1
	s_addc_u32 s15, s13, 0
	s_waitcnt vmcnt(0)
	v_readfirstlane_b32 s16, v1
	s_sext_i32_i16 s16, s16
	s_cmp_gt_i32 s16, 5
	s_cselect_b32 s10, s12, s10
	s_cselect_b32 s11, s13, s11
	v_mov_b32_e32 v1, s10
	s_cselect_b32 s9, s9, s15
	s_cselect_b32 s8, s8, s14
	v_mov_b32_e32 v2, s11
	v_cmp_ge_i64_e32 vcc, s[8:9], v[1:2]
	s_cbranch_vccz .LBB231_20
.LBB231_21:
	s_lshl_b64 s[8:9], s[8:9], 1
	s_add_u32 s8, s2, s8
	s_addc_u32 s9, s3, s9
	s_sub_u32 s8, s8, s2
	s_subb_u32 s9, s9, s3
	s_ashr_i64 s[8:9], s[8:9], 1
	v_mov_b32_e32 v1, s8
	v_mov_b32_e32 v0, 0
	;; [unrolled: 1-line block ×3, first 2 shown]
	s_mov_b64 s[8:9], -1
	s_mov_b64 vcc, s[0:1]
	global_store_dwordx2 v0, v[1:2], s[6:7] offset:40
	s_cbranch_vccz .LBB231_23
; %bb.22:
	v_mov_b32_e32 v1, v0
	global_store_dwordx2 v0, v[0:1], s[6:7] offset:48
	s_mov_b64 s[8:9], 0
.LBB231_23:
	s_andn2_b64 vcc, exec, s[8:9]
	s_mov_b64 s[8:9], 0
	s_cbranch_vccnz .LBB231_28
; %bb.24:
	v_mov_b32_e32 v0, 0
	s_mov_b64 s[10:11], s[4:5]
.LBB231_25:                             ; =>This Inner Loop Header: Depth=1
	s_sub_u32 s12, s10, s8
	s_subb_u32 s13, s11, s9
	s_lshr_b64 s[12:13], s[12:13], 1
	s_add_u32 s12, s12, s8
	s_addc_u32 s13, s13, s9
	s_lshl_b64 s[14:15], s[12:13], 1
	s_add_u32 s14, s2, s14
	s_addc_u32 s15, s3, s15
	global_load_ushort v1, v0, s[14:15]
	s_add_u32 s14, s12, 1
	s_addc_u32 s15, s13, 0
	s_waitcnt vmcnt(0)
	v_readfirstlane_b32 s16, v1
	s_sext_i32_i16 s16, s16
	s_cmp_gt_i32 s16, 6
	s_cselect_b32 s10, s12, s10
	s_cselect_b32 s11, s13, s11
	v_mov_b32_e32 v1, s10
	s_cselect_b32 s9, s9, s15
	s_cselect_b32 s8, s8, s14
	v_mov_b32_e32 v2, s11
	v_cmp_lt_i64_e32 vcc, s[8:9], v[1:2]
	s_cbranch_vccnz .LBB231_25
; %bb.26:
	s_lshl_b64 s[8:9], s[8:9], 1
	s_add_u32 s8, s2, s8
	s_addc_u32 s9, s3, s9
	s_sub_u32 s8, s8, s2
	s_subb_u32 s9, s9, s3
	s_ashr_i64 s[8:9], s[8:9], 1
	v_mov_b32_e32 v1, s8
	v_mov_b32_e32 v0, 0
	;; [unrolled: 1-line block ×3, first 2 shown]
	s_mov_b64 s[8:9], 0
	s_mov_b64 s[10:11], s[4:5]
	global_store_dwordx2 v0, v[1:2], s[6:7] offset:48
.LBB231_27:                             ; =>This Inner Loop Header: Depth=1
	s_sub_u32 s12, s10, s8
	s_subb_u32 s13, s11, s9
	s_lshr_b64 s[12:13], s[12:13], 1
	s_add_u32 s12, s12, s8
	s_addc_u32 s13, s13, s9
	s_lshl_b64 s[14:15], s[12:13], 1
	s_add_u32 s14, s2, s14
	s_addc_u32 s15, s3, s15
	global_load_ushort v1, v0, s[14:15]
	s_add_u32 s14, s12, 1
	s_addc_u32 s15, s13, 0
	s_waitcnt vmcnt(0)
	v_readfirstlane_b32 s16, v1
	s_sext_i32_i16 s16, s16
	s_cmp_gt_i32 s16, 7
	s_cselect_b32 s10, s12, s10
	s_cselect_b32 s11, s13, s11
	v_mov_b32_e32 v1, s10
	s_cselect_b32 s9, s9, s15
	s_cselect_b32 s8, s8, s14
	v_mov_b32_e32 v2, s11
	v_cmp_ge_i64_e32 vcc, s[8:9], v[1:2]
	s_cbranch_vccz .LBB231_27
.LBB231_28:
	s_lshl_b64 s[8:9], s[8:9], 1
	s_add_u32 s8, s2, s8
	s_addc_u32 s9, s3, s9
	s_sub_u32 s8, s8, s2
	s_subb_u32 s9, s9, s3
	s_ashr_i64 s[8:9], s[8:9], 1
	v_mov_b32_e32 v1, s8
	v_mov_b32_e32 v0, 0
	;; [unrolled: 1-line block ×3, first 2 shown]
	s_mov_b64 s[8:9], -1
	s_mov_b64 vcc, s[0:1]
	global_store_dwordx2 v0, v[1:2], s[6:7] offset:56
	s_cbranch_vccz .LBB231_30
; %bb.29:
	v_mov_b32_e32 v1, v0
	global_store_dwordx2 v0, v[0:1], s[6:7] offset:64
	s_mov_b64 s[8:9], 0
.LBB231_30:
	s_andn2_b64 vcc, exec, s[8:9]
	s_mov_b64 s[0:1], 0
	s_cbranch_vccnz .LBB231_35
; %bb.31:
	v_mov_b32_e32 v0, 0
	s_mov_b64 s[8:9], s[4:5]
.LBB231_32:                             ; =>This Inner Loop Header: Depth=1
	s_sub_u32 s10, s8, s0
	s_subb_u32 s11, s9, s1
	s_lshr_b64 s[10:11], s[10:11], 1
	s_add_u32 s10, s10, s0
	s_addc_u32 s11, s11, s1
	s_lshl_b64 s[12:13], s[10:11], 1
	s_add_u32 s12, s2, s12
	s_addc_u32 s13, s3, s13
	global_load_ushort v1, v0, s[12:13]
	s_add_u32 s12, s10, 1
	s_addc_u32 s13, s11, 0
	s_waitcnt vmcnt(0)
	v_readfirstlane_b32 s14, v1
	s_sext_i32_i16 s14, s14
	s_cmp_gt_i32 s14, 8
	s_cselect_b32 s8, s10, s8
	s_cselect_b32 s9, s11, s9
	v_mov_b32_e32 v1, s8
	s_cselect_b32 s1, s1, s13
	s_cselect_b32 s0, s0, s12
	v_mov_b32_e32 v2, s9
	v_cmp_lt_i64_e32 vcc, s[0:1], v[1:2]
	s_cbranch_vccnz .LBB231_32
; %bb.33:
	s_lshl_b64 s[0:1], s[0:1], 1
	s_add_u32 s0, s2, s0
	s_addc_u32 s1, s3, s1
	s_sub_u32 s0, s0, s2
	s_subb_u32 s1, s1, s3
	s_ashr_i64 s[0:1], s[0:1], 1
	v_mov_b32_e32 v2, s1
	v_mov_b32_e32 v0, 0
	;; [unrolled: 1-line block ×3, first 2 shown]
	s_mov_b64 s[0:1], 0
	global_store_dwordx2 v0, v[1:2], s[6:7] offset:64
.LBB231_34:                             ; =>This Inner Loop Header: Depth=1
	s_sub_u32 s8, s4, s0
	s_subb_u32 s9, s5, s1
	s_lshr_b64 s[8:9], s[8:9], 1
	s_add_u32 s8, s8, s0
	s_addc_u32 s9, s9, s1
	s_lshl_b64 s[10:11], s[8:9], 1
	s_add_u32 s10, s2, s10
	s_addc_u32 s11, s3, s11
	global_load_ushort v1, v0, s[10:11]
	s_add_u32 s10, s8, 1
	s_addc_u32 s11, s9, 0
	s_waitcnt vmcnt(0)
	v_readfirstlane_b32 s12, v1
	s_sext_i32_i16 s12, s12
	s_cmp_gt_i32 s12, 9
	s_cselect_b32 s4, s8, s4
	s_cselect_b32 s5, s9, s5
	v_mov_b32_e32 v1, s4
	s_cselect_b32 s1, s1, s11
	s_cselect_b32 s0, s0, s10
	v_mov_b32_e32 v2, s5
	v_cmp_ge_i64_e32 vcc, s[0:1], v[1:2]
	s_cbranch_vccz .LBB231_34
.LBB231_35:
	s_lshl_b64 s[0:1], s[0:1], 1
	s_add_u32 s0, s2, s0
	s_addc_u32 s1, s3, s1
	s_sub_u32 s0, s0, s2
	s_subb_u32 s1, s1, s3
	s_ashr_i64 s[0:1], s[0:1], 1
	v_mov_b32_e32 v0, s0
	v_mov_b32_e32 v2, 0
	;; [unrolled: 1-line block ×3, first 2 shown]
	global_store_dwordx2 v2, v[0:1], s[6:7] offset:72
	s_endpgm
	.section	.rodata,"a",@progbits
	.p2align	6, 0x0
	.amdhsa_kernel _Z18upper_bound_kernelIsEvmPT_Pl
		.amdhsa_group_segment_fixed_size 0
		.amdhsa_private_segment_fixed_size 0
		.amdhsa_kernarg_size 24
		.amdhsa_user_sgpr_count 6
		.amdhsa_user_sgpr_private_segment_buffer 1
		.amdhsa_user_sgpr_dispatch_ptr 0
		.amdhsa_user_sgpr_queue_ptr 0
		.amdhsa_user_sgpr_kernarg_segment_ptr 1
		.amdhsa_user_sgpr_dispatch_id 0
		.amdhsa_user_sgpr_flat_scratch_init 0
		.amdhsa_user_sgpr_private_segment_size 0
		.amdhsa_uses_dynamic_stack 0
		.amdhsa_system_sgpr_private_segment_wavefront_offset 0
		.amdhsa_system_sgpr_workgroup_id_x 1
		.amdhsa_system_sgpr_workgroup_id_y 0
		.amdhsa_system_sgpr_workgroup_id_z 0
		.amdhsa_system_sgpr_workgroup_info 0
		.amdhsa_system_vgpr_workitem_id 0
		.amdhsa_next_free_vgpr 3
		.amdhsa_next_free_sgpr 17
		.amdhsa_reserve_vcc 1
		.amdhsa_reserve_flat_scratch 0
		.amdhsa_float_round_mode_32 0
		.amdhsa_float_round_mode_16_64 0
		.amdhsa_float_denorm_mode_32 3
		.amdhsa_float_denorm_mode_16_64 3
		.amdhsa_dx10_clamp 1
		.amdhsa_ieee_mode 1
		.amdhsa_fp16_overflow 0
		.amdhsa_exception_fp_ieee_invalid_op 0
		.amdhsa_exception_fp_denorm_src 0
		.amdhsa_exception_fp_ieee_div_zero 0
		.amdhsa_exception_fp_ieee_overflow 0
		.amdhsa_exception_fp_ieee_underflow 0
		.amdhsa_exception_fp_ieee_inexact 0
		.amdhsa_exception_int_div_zero 0
	.end_amdhsa_kernel
	.section	.text._Z18upper_bound_kernelIsEvmPT_Pl,"axG",@progbits,_Z18upper_bound_kernelIsEvmPT_Pl,comdat
.Lfunc_end231:
	.size	_Z18upper_bound_kernelIsEvmPT_Pl, .Lfunc_end231-_Z18upper_bound_kernelIsEvmPT_Pl
                                        ; -- End function
	.set _Z18upper_bound_kernelIsEvmPT_Pl.num_vgpr, 3
	.set _Z18upper_bound_kernelIsEvmPT_Pl.num_agpr, 0
	.set _Z18upper_bound_kernelIsEvmPT_Pl.numbered_sgpr, 17
	.set _Z18upper_bound_kernelIsEvmPT_Pl.num_named_barrier, 0
	.set _Z18upper_bound_kernelIsEvmPT_Pl.private_seg_size, 0
	.set _Z18upper_bound_kernelIsEvmPT_Pl.uses_vcc, 1
	.set _Z18upper_bound_kernelIsEvmPT_Pl.uses_flat_scratch, 0
	.set _Z18upper_bound_kernelIsEvmPT_Pl.has_dyn_sized_stack, 0
	.set _Z18upper_bound_kernelIsEvmPT_Pl.has_recursion, 0
	.set _Z18upper_bound_kernelIsEvmPT_Pl.has_indirect_call, 0
	.section	.AMDGPU.csdata,"",@progbits
; Kernel info:
; codeLenInByte = 1740
; TotalNumSgprs: 21
; NumVgprs: 3
; ScratchSize: 0
; MemoryBound: 0
; FloatMode: 240
; IeeeMode: 1
; LDSByteSize: 0 bytes/workgroup (compile time only)
; SGPRBlocks: 2
; VGPRBlocks: 0
; NumSGPRsForWavesPerEU: 21
; NumVGPRsForWavesPerEU: 3
; Occupancy: 10
; WaveLimiterHint : 0
; COMPUTE_PGM_RSRC2:SCRATCH_EN: 0
; COMPUTE_PGM_RSRC2:USER_SGPR: 6
; COMPUTE_PGM_RSRC2:TRAP_HANDLER: 0
; COMPUTE_PGM_RSRC2:TGID_X_EN: 1
; COMPUTE_PGM_RSRC2:TGID_Y_EN: 0
; COMPUTE_PGM_RSRC2:TGID_Z_EN: 0
; COMPUTE_PGM_RSRC2:TIDIG_COMP_CNT: 0
	.section	.text._ZN7rocprim17ROCPRIM_400000_NS6detail17trampoline_kernelINS0_14default_configENS1_27upper_bound_config_selectorIslEEZNS1_14transform_implILb0ES3_S5_N6thrust23THRUST_200600_302600_NS6detail15normal_iteratorINS8_7pointerIsNS8_11hip_rocprim5par_tENS8_11use_defaultESE_EEEENSA_INSB_IlSD_SE_SE_EEEEZNS1_13binary_searchIS3_S5_PsSG_SI_NS1_21upper_bound_search_opENS9_16wrapped_functionINS8_6system6detail7generic6detail18binary_search_lessEbEEEE10hipError_tPvRmT1_T2_T3_mmT4_T5_P12ihipStream_tbEUlRKsE_EEST_SX_SY_mSZ_S12_bEUlT_E_NS1_11comp_targetILNS1_3genE0ELNS1_11target_archE4294967295ELNS1_3gpuE0ELNS1_3repE0EEENS1_30default_config_static_selectorELNS0_4arch9wavefront6targetE1EEEvSW_,"axG",@progbits,_ZN7rocprim17ROCPRIM_400000_NS6detail17trampoline_kernelINS0_14default_configENS1_27upper_bound_config_selectorIslEEZNS1_14transform_implILb0ES3_S5_N6thrust23THRUST_200600_302600_NS6detail15normal_iteratorINS8_7pointerIsNS8_11hip_rocprim5par_tENS8_11use_defaultESE_EEEENSA_INSB_IlSD_SE_SE_EEEEZNS1_13binary_searchIS3_S5_PsSG_SI_NS1_21upper_bound_search_opENS9_16wrapped_functionINS8_6system6detail7generic6detail18binary_search_lessEbEEEE10hipError_tPvRmT1_T2_T3_mmT4_T5_P12ihipStream_tbEUlRKsE_EEST_SX_SY_mSZ_S12_bEUlT_E_NS1_11comp_targetILNS1_3genE0ELNS1_11target_archE4294967295ELNS1_3gpuE0ELNS1_3repE0EEENS1_30default_config_static_selectorELNS0_4arch9wavefront6targetE1EEEvSW_,comdat
	.protected	_ZN7rocprim17ROCPRIM_400000_NS6detail17trampoline_kernelINS0_14default_configENS1_27upper_bound_config_selectorIslEEZNS1_14transform_implILb0ES3_S5_N6thrust23THRUST_200600_302600_NS6detail15normal_iteratorINS8_7pointerIsNS8_11hip_rocprim5par_tENS8_11use_defaultESE_EEEENSA_INSB_IlSD_SE_SE_EEEEZNS1_13binary_searchIS3_S5_PsSG_SI_NS1_21upper_bound_search_opENS9_16wrapped_functionINS8_6system6detail7generic6detail18binary_search_lessEbEEEE10hipError_tPvRmT1_T2_T3_mmT4_T5_P12ihipStream_tbEUlRKsE_EEST_SX_SY_mSZ_S12_bEUlT_E_NS1_11comp_targetILNS1_3genE0ELNS1_11target_archE4294967295ELNS1_3gpuE0ELNS1_3repE0EEENS1_30default_config_static_selectorELNS0_4arch9wavefront6targetE1EEEvSW_ ; -- Begin function _ZN7rocprim17ROCPRIM_400000_NS6detail17trampoline_kernelINS0_14default_configENS1_27upper_bound_config_selectorIslEEZNS1_14transform_implILb0ES3_S5_N6thrust23THRUST_200600_302600_NS6detail15normal_iteratorINS8_7pointerIsNS8_11hip_rocprim5par_tENS8_11use_defaultESE_EEEENSA_INSB_IlSD_SE_SE_EEEEZNS1_13binary_searchIS3_S5_PsSG_SI_NS1_21upper_bound_search_opENS9_16wrapped_functionINS8_6system6detail7generic6detail18binary_search_lessEbEEEE10hipError_tPvRmT1_T2_T3_mmT4_T5_P12ihipStream_tbEUlRKsE_EEST_SX_SY_mSZ_S12_bEUlT_E_NS1_11comp_targetILNS1_3genE0ELNS1_11target_archE4294967295ELNS1_3gpuE0ELNS1_3repE0EEENS1_30default_config_static_selectorELNS0_4arch9wavefront6targetE1EEEvSW_
	.globl	_ZN7rocprim17ROCPRIM_400000_NS6detail17trampoline_kernelINS0_14default_configENS1_27upper_bound_config_selectorIslEEZNS1_14transform_implILb0ES3_S5_N6thrust23THRUST_200600_302600_NS6detail15normal_iteratorINS8_7pointerIsNS8_11hip_rocprim5par_tENS8_11use_defaultESE_EEEENSA_INSB_IlSD_SE_SE_EEEEZNS1_13binary_searchIS3_S5_PsSG_SI_NS1_21upper_bound_search_opENS9_16wrapped_functionINS8_6system6detail7generic6detail18binary_search_lessEbEEEE10hipError_tPvRmT1_T2_T3_mmT4_T5_P12ihipStream_tbEUlRKsE_EEST_SX_SY_mSZ_S12_bEUlT_E_NS1_11comp_targetILNS1_3genE0ELNS1_11target_archE4294967295ELNS1_3gpuE0ELNS1_3repE0EEENS1_30default_config_static_selectorELNS0_4arch9wavefront6targetE1EEEvSW_
	.p2align	8
	.type	_ZN7rocprim17ROCPRIM_400000_NS6detail17trampoline_kernelINS0_14default_configENS1_27upper_bound_config_selectorIslEEZNS1_14transform_implILb0ES3_S5_N6thrust23THRUST_200600_302600_NS6detail15normal_iteratorINS8_7pointerIsNS8_11hip_rocprim5par_tENS8_11use_defaultESE_EEEENSA_INSB_IlSD_SE_SE_EEEEZNS1_13binary_searchIS3_S5_PsSG_SI_NS1_21upper_bound_search_opENS9_16wrapped_functionINS8_6system6detail7generic6detail18binary_search_lessEbEEEE10hipError_tPvRmT1_T2_T3_mmT4_T5_P12ihipStream_tbEUlRKsE_EEST_SX_SY_mSZ_S12_bEUlT_E_NS1_11comp_targetILNS1_3genE0ELNS1_11target_archE4294967295ELNS1_3gpuE0ELNS1_3repE0EEENS1_30default_config_static_selectorELNS0_4arch9wavefront6targetE1EEEvSW_,@function
_ZN7rocprim17ROCPRIM_400000_NS6detail17trampoline_kernelINS0_14default_configENS1_27upper_bound_config_selectorIslEEZNS1_14transform_implILb0ES3_S5_N6thrust23THRUST_200600_302600_NS6detail15normal_iteratorINS8_7pointerIsNS8_11hip_rocprim5par_tENS8_11use_defaultESE_EEEENSA_INSB_IlSD_SE_SE_EEEEZNS1_13binary_searchIS3_S5_PsSG_SI_NS1_21upper_bound_search_opENS9_16wrapped_functionINS8_6system6detail7generic6detail18binary_search_lessEbEEEE10hipError_tPvRmT1_T2_T3_mmT4_T5_P12ihipStream_tbEUlRKsE_EEST_SX_SY_mSZ_S12_bEUlT_E_NS1_11comp_targetILNS1_3genE0ELNS1_11target_archE4294967295ELNS1_3gpuE0ELNS1_3repE0EEENS1_30default_config_static_selectorELNS0_4arch9wavefront6targetE1EEEvSW_: ; @_ZN7rocprim17ROCPRIM_400000_NS6detail17trampoline_kernelINS0_14default_configENS1_27upper_bound_config_selectorIslEEZNS1_14transform_implILb0ES3_S5_N6thrust23THRUST_200600_302600_NS6detail15normal_iteratorINS8_7pointerIsNS8_11hip_rocprim5par_tENS8_11use_defaultESE_EEEENSA_INSB_IlSD_SE_SE_EEEEZNS1_13binary_searchIS3_S5_PsSG_SI_NS1_21upper_bound_search_opENS9_16wrapped_functionINS8_6system6detail7generic6detail18binary_search_lessEbEEEE10hipError_tPvRmT1_T2_T3_mmT4_T5_P12ihipStream_tbEUlRKsE_EEST_SX_SY_mSZ_S12_bEUlT_E_NS1_11comp_targetILNS1_3genE0ELNS1_11target_archE4294967295ELNS1_3gpuE0ELNS1_3repE0EEENS1_30default_config_static_selectorELNS0_4arch9wavefront6targetE1EEEvSW_
; %bb.0:
	.section	.rodata,"a",@progbits
	.p2align	6, 0x0
	.amdhsa_kernel _ZN7rocprim17ROCPRIM_400000_NS6detail17trampoline_kernelINS0_14default_configENS1_27upper_bound_config_selectorIslEEZNS1_14transform_implILb0ES3_S5_N6thrust23THRUST_200600_302600_NS6detail15normal_iteratorINS8_7pointerIsNS8_11hip_rocprim5par_tENS8_11use_defaultESE_EEEENSA_INSB_IlSD_SE_SE_EEEEZNS1_13binary_searchIS3_S5_PsSG_SI_NS1_21upper_bound_search_opENS9_16wrapped_functionINS8_6system6detail7generic6detail18binary_search_lessEbEEEE10hipError_tPvRmT1_T2_T3_mmT4_T5_P12ihipStream_tbEUlRKsE_EEST_SX_SY_mSZ_S12_bEUlT_E_NS1_11comp_targetILNS1_3genE0ELNS1_11target_archE4294967295ELNS1_3gpuE0ELNS1_3repE0EEENS1_30default_config_static_selectorELNS0_4arch9wavefront6targetE1EEEvSW_
		.amdhsa_group_segment_fixed_size 0
		.amdhsa_private_segment_fixed_size 0
		.amdhsa_kernarg_size 56
		.amdhsa_user_sgpr_count 6
		.amdhsa_user_sgpr_private_segment_buffer 1
		.amdhsa_user_sgpr_dispatch_ptr 0
		.amdhsa_user_sgpr_queue_ptr 0
		.amdhsa_user_sgpr_kernarg_segment_ptr 1
		.amdhsa_user_sgpr_dispatch_id 0
		.amdhsa_user_sgpr_flat_scratch_init 0
		.amdhsa_user_sgpr_private_segment_size 0
		.amdhsa_uses_dynamic_stack 0
		.amdhsa_system_sgpr_private_segment_wavefront_offset 0
		.amdhsa_system_sgpr_workgroup_id_x 1
		.amdhsa_system_sgpr_workgroup_id_y 0
		.amdhsa_system_sgpr_workgroup_id_z 0
		.amdhsa_system_sgpr_workgroup_info 0
		.amdhsa_system_vgpr_workitem_id 0
		.amdhsa_next_free_vgpr 1
		.amdhsa_next_free_sgpr 0
		.amdhsa_reserve_vcc 0
		.amdhsa_reserve_flat_scratch 0
		.amdhsa_float_round_mode_32 0
		.amdhsa_float_round_mode_16_64 0
		.amdhsa_float_denorm_mode_32 3
		.amdhsa_float_denorm_mode_16_64 3
		.amdhsa_dx10_clamp 1
		.amdhsa_ieee_mode 1
		.amdhsa_fp16_overflow 0
		.amdhsa_exception_fp_ieee_invalid_op 0
		.amdhsa_exception_fp_denorm_src 0
		.amdhsa_exception_fp_ieee_div_zero 0
		.amdhsa_exception_fp_ieee_overflow 0
		.amdhsa_exception_fp_ieee_underflow 0
		.amdhsa_exception_fp_ieee_inexact 0
		.amdhsa_exception_int_div_zero 0
	.end_amdhsa_kernel
	.section	.text._ZN7rocprim17ROCPRIM_400000_NS6detail17trampoline_kernelINS0_14default_configENS1_27upper_bound_config_selectorIslEEZNS1_14transform_implILb0ES3_S5_N6thrust23THRUST_200600_302600_NS6detail15normal_iteratorINS8_7pointerIsNS8_11hip_rocprim5par_tENS8_11use_defaultESE_EEEENSA_INSB_IlSD_SE_SE_EEEEZNS1_13binary_searchIS3_S5_PsSG_SI_NS1_21upper_bound_search_opENS9_16wrapped_functionINS8_6system6detail7generic6detail18binary_search_lessEbEEEE10hipError_tPvRmT1_T2_T3_mmT4_T5_P12ihipStream_tbEUlRKsE_EEST_SX_SY_mSZ_S12_bEUlT_E_NS1_11comp_targetILNS1_3genE0ELNS1_11target_archE4294967295ELNS1_3gpuE0ELNS1_3repE0EEENS1_30default_config_static_selectorELNS0_4arch9wavefront6targetE1EEEvSW_,"axG",@progbits,_ZN7rocprim17ROCPRIM_400000_NS6detail17trampoline_kernelINS0_14default_configENS1_27upper_bound_config_selectorIslEEZNS1_14transform_implILb0ES3_S5_N6thrust23THRUST_200600_302600_NS6detail15normal_iteratorINS8_7pointerIsNS8_11hip_rocprim5par_tENS8_11use_defaultESE_EEEENSA_INSB_IlSD_SE_SE_EEEEZNS1_13binary_searchIS3_S5_PsSG_SI_NS1_21upper_bound_search_opENS9_16wrapped_functionINS8_6system6detail7generic6detail18binary_search_lessEbEEEE10hipError_tPvRmT1_T2_T3_mmT4_T5_P12ihipStream_tbEUlRKsE_EEST_SX_SY_mSZ_S12_bEUlT_E_NS1_11comp_targetILNS1_3genE0ELNS1_11target_archE4294967295ELNS1_3gpuE0ELNS1_3repE0EEENS1_30default_config_static_selectorELNS0_4arch9wavefront6targetE1EEEvSW_,comdat
.Lfunc_end232:
	.size	_ZN7rocprim17ROCPRIM_400000_NS6detail17trampoline_kernelINS0_14default_configENS1_27upper_bound_config_selectorIslEEZNS1_14transform_implILb0ES3_S5_N6thrust23THRUST_200600_302600_NS6detail15normal_iteratorINS8_7pointerIsNS8_11hip_rocprim5par_tENS8_11use_defaultESE_EEEENSA_INSB_IlSD_SE_SE_EEEEZNS1_13binary_searchIS3_S5_PsSG_SI_NS1_21upper_bound_search_opENS9_16wrapped_functionINS8_6system6detail7generic6detail18binary_search_lessEbEEEE10hipError_tPvRmT1_T2_T3_mmT4_T5_P12ihipStream_tbEUlRKsE_EEST_SX_SY_mSZ_S12_bEUlT_E_NS1_11comp_targetILNS1_3genE0ELNS1_11target_archE4294967295ELNS1_3gpuE0ELNS1_3repE0EEENS1_30default_config_static_selectorELNS0_4arch9wavefront6targetE1EEEvSW_, .Lfunc_end232-_ZN7rocprim17ROCPRIM_400000_NS6detail17trampoline_kernelINS0_14default_configENS1_27upper_bound_config_selectorIslEEZNS1_14transform_implILb0ES3_S5_N6thrust23THRUST_200600_302600_NS6detail15normal_iteratorINS8_7pointerIsNS8_11hip_rocprim5par_tENS8_11use_defaultESE_EEEENSA_INSB_IlSD_SE_SE_EEEEZNS1_13binary_searchIS3_S5_PsSG_SI_NS1_21upper_bound_search_opENS9_16wrapped_functionINS8_6system6detail7generic6detail18binary_search_lessEbEEEE10hipError_tPvRmT1_T2_T3_mmT4_T5_P12ihipStream_tbEUlRKsE_EEST_SX_SY_mSZ_S12_bEUlT_E_NS1_11comp_targetILNS1_3genE0ELNS1_11target_archE4294967295ELNS1_3gpuE0ELNS1_3repE0EEENS1_30default_config_static_selectorELNS0_4arch9wavefront6targetE1EEEvSW_
                                        ; -- End function
	.set _ZN7rocprim17ROCPRIM_400000_NS6detail17trampoline_kernelINS0_14default_configENS1_27upper_bound_config_selectorIslEEZNS1_14transform_implILb0ES3_S5_N6thrust23THRUST_200600_302600_NS6detail15normal_iteratorINS8_7pointerIsNS8_11hip_rocprim5par_tENS8_11use_defaultESE_EEEENSA_INSB_IlSD_SE_SE_EEEEZNS1_13binary_searchIS3_S5_PsSG_SI_NS1_21upper_bound_search_opENS9_16wrapped_functionINS8_6system6detail7generic6detail18binary_search_lessEbEEEE10hipError_tPvRmT1_T2_T3_mmT4_T5_P12ihipStream_tbEUlRKsE_EEST_SX_SY_mSZ_S12_bEUlT_E_NS1_11comp_targetILNS1_3genE0ELNS1_11target_archE4294967295ELNS1_3gpuE0ELNS1_3repE0EEENS1_30default_config_static_selectorELNS0_4arch9wavefront6targetE1EEEvSW_.num_vgpr, 0
	.set _ZN7rocprim17ROCPRIM_400000_NS6detail17trampoline_kernelINS0_14default_configENS1_27upper_bound_config_selectorIslEEZNS1_14transform_implILb0ES3_S5_N6thrust23THRUST_200600_302600_NS6detail15normal_iteratorINS8_7pointerIsNS8_11hip_rocprim5par_tENS8_11use_defaultESE_EEEENSA_INSB_IlSD_SE_SE_EEEEZNS1_13binary_searchIS3_S5_PsSG_SI_NS1_21upper_bound_search_opENS9_16wrapped_functionINS8_6system6detail7generic6detail18binary_search_lessEbEEEE10hipError_tPvRmT1_T2_T3_mmT4_T5_P12ihipStream_tbEUlRKsE_EEST_SX_SY_mSZ_S12_bEUlT_E_NS1_11comp_targetILNS1_3genE0ELNS1_11target_archE4294967295ELNS1_3gpuE0ELNS1_3repE0EEENS1_30default_config_static_selectorELNS0_4arch9wavefront6targetE1EEEvSW_.num_agpr, 0
	.set _ZN7rocprim17ROCPRIM_400000_NS6detail17trampoline_kernelINS0_14default_configENS1_27upper_bound_config_selectorIslEEZNS1_14transform_implILb0ES3_S5_N6thrust23THRUST_200600_302600_NS6detail15normal_iteratorINS8_7pointerIsNS8_11hip_rocprim5par_tENS8_11use_defaultESE_EEEENSA_INSB_IlSD_SE_SE_EEEEZNS1_13binary_searchIS3_S5_PsSG_SI_NS1_21upper_bound_search_opENS9_16wrapped_functionINS8_6system6detail7generic6detail18binary_search_lessEbEEEE10hipError_tPvRmT1_T2_T3_mmT4_T5_P12ihipStream_tbEUlRKsE_EEST_SX_SY_mSZ_S12_bEUlT_E_NS1_11comp_targetILNS1_3genE0ELNS1_11target_archE4294967295ELNS1_3gpuE0ELNS1_3repE0EEENS1_30default_config_static_selectorELNS0_4arch9wavefront6targetE1EEEvSW_.numbered_sgpr, 0
	.set _ZN7rocprim17ROCPRIM_400000_NS6detail17trampoline_kernelINS0_14default_configENS1_27upper_bound_config_selectorIslEEZNS1_14transform_implILb0ES3_S5_N6thrust23THRUST_200600_302600_NS6detail15normal_iteratorINS8_7pointerIsNS8_11hip_rocprim5par_tENS8_11use_defaultESE_EEEENSA_INSB_IlSD_SE_SE_EEEEZNS1_13binary_searchIS3_S5_PsSG_SI_NS1_21upper_bound_search_opENS9_16wrapped_functionINS8_6system6detail7generic6detail18binary_search_lessEbEEEE10hipError_tPvRmT1_T2_T3_mmT4_T5_P12ihipStream_tbEUlRKsE_EEST_SX_SY_mSZ_S12_bEUlT_E_NS1_11comp_targetILNS1_3genE0ELNS1_11target_archE4294967295ELNS1_3gpuE0ELNS1_3repE0EEENS1_30default_config_static_selectorELNS0_4arch9wavefront6targetE1EEEvSW_.num_named_barrier, 0
	.set _ZN7rocprim17ROCPRIM_400000_NS6detail17trampoline_kernelINS0_14default_configENS1_27upper_bound_config_selectorIslEEZNS1_14transform_implILb0ES3_S5_N6thrust23THRUST_200600_302600_NS6detail15normal_iteratorINS8_7pointerIsNS8_11hip_rocprim5par_tENS8_11use_defaultESE_EEEENSA_INSB_IlSD_SE_SE_EEEEZNS1_13binary_searchIS3_S5_PsSG_SI_NS1_21upper_bound_search_opENS9_16wrapped_functionINS8_6system6detail7generic6detail18binary_search_lessEbEEEE10hipError_tPvRmT1_T2_T3_mmT4_T5_P12ihipStream_tbEUlRKsE_EEST_SX_SY_mSZ_S12_bEUlT_E_NS1_11comp_targetILNS1_3genE0ELNS1_11target_archE4294967295ELNS1_3gpuE0ELNS1_3repE0EEENS1_30default_config_static_selectorELNS0_4arch9wavefront6targetE1EEEvSW_.private_seg_size, 0
	.set _ZN7rocprim17ROCPRIM_400000_NS6detail17trampoline_kernelINS0_14default_configENS1_27upper_bound_config_selectorIslEEZNS1_14transform_implILb0ES3_S5_N6thrust23THRUST_200600_302600_NS6detail15normal_iteratorINS8_7pointerIsNS8_11hip_rocprim5par_tENS8_11use_defaultESE_EEEENSA_INSB_IlSD_SE_SE_EEEEZNS1_13binary_searchIS3_S5_PsSG_SI_NS1_21upper_bound_search_opENS9_16wrapped_functionINS8_6system6detail7generic6detail18binary_search_lessEbEEEE10hipError_tPvRmT1_T2_T3_mmT4_T5_P12ihipStream_tbEUlRKsE_EEST_SX_SY_mSZ_S12_bEUlT_E_NS1_11comp_targetILNS1_3genE0ELNS1_11target_archE4294967295ELNS1_3gpuE0ELNS1_3repE0EEENS1_30default_config_static_selectorELNS0_4arch9wavefront6targetE1EEEvSW_.uses_vcc, 0
	.set _ZN7rocprim17ROCPRIM_400000_NS6detail17trampoline_kernelINS0_14default_configENS1_27upper_bound_config_selectorIslEEZNS1_14transform_implILb0ES3_S5_N6thrust23THRUST_200600_302600_NS6detail15normal_iteratorINS8_7pointerIsNS8_11hip_rocprim5par_tENS8_11use_defaultESE_EEEENSA_INSB_IlSD_SE_SE_EEEEZNS1_13binary_searchIS3_S5_PsSG_SI_NS1_21upper_bound_search_opENS9_16wrapped_functionINS8_6system6detail7generic6detail18binary_search_lessEbEEEE10hipError_tPvRmT1_T2_T3_mmT4_T5_P12ihipStream_tbEUlRKsE_EEST_SX_SY_mSZ_S12_bEUlT_E_NS1_11comp_targetILNS1_3genE0ELNS1_11target_archE4294967295ELNS1_3gpuE0ELNS1_3repE0EEENS1_30default_config_static_selectorELNS0_4arch9wavefront6targetE1EEEvSW_.uses_flat_scratch, 0
	.set _ZN7rocprim17ROCPRIM_400000_NS6detail17trampoline_kernelINS0_14default_configENS1_27upper_bound_config_selectorIslEEZNS1_14transform_implILb0ES3_S5_N6thrust23THRUST_200600_302600_NS6detail15normal_iteratorINS8_7pointerIsNS8_11hip_rocprim5par_tENS8_11use_defaultESE_EEEENSA_INSB_IlSD_SE_SE_EEEEZNS1_13binary_searchIS3_S5_PsSG_SI_NS1_21upper_bound_search_opENS9_16wrapped_functionINS8_6system6detail7generic6detail18binary_search_lessEbEEEE10hipError_tPvRmT1_T2_T3_mmT4_T5_P12ihipStream_tbEUlRKsE_EEST_SX_SY_mSZ_S12_bEUlT_E_NS1_11comp_targetILNS1_3genE0ELNS1_11target_archE4294967295ELNS1_3gpuE0ELNS1_3repE0EEENS1_30default_config_static_selectorELNS0_4arch9wavefront6targetE1EEEvSW_.has_dyn_sized_stack, 0
	.set _ZN7rocprim17ROCPRIM_400000_NS6detail17trampoline_kernelINS0_14default_configENS1_27upper_bound_config_selectorIslEEZNS1_14transform_implILb0ES3_S5_N6thrust23THRUST_200600_302600_NS6detail15normal_iteratorINS8_7pointerIsNS8_11hip_rocprim5par_tENS8_11use_defaultESE_EEEENSA_INSB_IlSD_SE_SE_EEEEZNS1_13binary_searchIS3_S5_PsSG_SI_NS1_21upper_bound_search_opENS9_16wrapped_functionINS8_6system6detail7generic6detail18binary_search_lessEbEEEE10hipError_tPvRmT1_T2_T3_mmT4_T5_P12ihipStream_tbEUlRKsE_EEST_SX_SY_mSZ_S12_bEUlT_E_NS1_11comp_targetILNS1_3genE0ELNS1_11target_archE4294967295ELNS1_3gpuE0ELNS1_3repE0EEENS1_30default_config_static_selectorELNS0_4arch9wavefront6targetE1EEEvSW_.has_recursion, 0
	.set _ZN7rocprim17ROCPRIM_400000_NS6detail17trampoline_kernelINS0_14default_configENS1_27upper_bound_config_selectorIslEEZNS1_14transform_implILb0ES3_S5_N6thrust23THRUST_200600_302600_NS6detail15normal_iteratorINS8_7pointerIsNS8_11hip_rocprim5par_tENS8_11use_defaultESE_EEEENSA_INSB_IlSD_SE_SE_EEEEZNS1_13binary_searchIS3_S5_PsSG_SI_NS1_21upper_bound_search_opENS9_16wrapped_functionINS8_6system6detail7generic6detail18binary_search_lessEbEEEE10hipError_tPvRmT1_T2_T3_mmT4_T5_P12ihipStream_tbEUlRKsE_EEST_SX_SY_mSZ_S12_bEUlT_E_NS1_11comp_targetILNS1_3genE0ELNS1_11target_archE4294967295ELNS1_3gpuE0ELNS1_3repE0EEENS1_30default_config_static_selectorELNS0_4arch9wavefront6targetE1EEEvSW_.has_indirect_call, 0
	.section	.AMDGPU.csdata,"",@progbits
; Kernel info:
; codeLenInByte = 0
; TotalNumSgprs: 4
; NumVgprs: 0
; ScratchSize: 0
; MemoryBound: 0
; FloatMode: 240
; IeeeMode: 1
; LDSByteSize: 0 bytes/workgroup (compile time only)
; SGPRBlocks: 0
; VGPRBlocks: 0
; NumSGPRsForWavesPerEU: 4
; NumVGPRsForWavesPerEU: 1
; Occupancy: 10
; WaveLimiterHint : 0
; COMPUTE_PGM_RSRC2:SCRATCH_EN: 0
; COMPUTE_PGM_RSRC2:USER_SGPR: 6
; COMPUTE_PGM_RSRC2:TRAP_HANDLER: 0
; COMPUTE_PGM_RSRC2:TGID_X_EN: 1
; COMPUTE_PGM_RSRC2:TGID_Y_EN: 0
; COMPUTE_PGM_RSRC2:TGID_Z_EN: 0
; COMPUTE_PGM_RSRC2:TIDIG_COMP_CNT: 0
	.section	.text._ZN7rocprim17ROCPRIM_400000_NS6detail17trampoline_kernelINS0_14default_configENS1_27upper_bound_config_selectorIslEEZNS1_14transform_implILb0ES3_S5_N6thrust23THRUST_200600_302600_NS6detail15normal_iteratorINS8_7pointerIsNS8_11hip_rocprim5par_tENS8_11use_defaultESE_EEEENSA_INSB_IlSD_SE_SE_EEEEZNS1_13binary_searchIS3_S5_PsSG_SI_NS1_21upper_bound_search_opENS9_16wrapped_functionINS8_6system6detail7generic6detail18binary_search_lessEbEEEE10hipError_tPvRmT1_T2_T3_mmT4_T5_P12ihipStream_tbEUlRKsE_EEST_SX_SY_mSZ_S12_bEUlT_E_NS1_11comp_targetILNS1_3genE5ELNS1_11target_archE942ELNS1_3gpuE9ELNS1_3repE0EEENS1_30default_config_static_selectorELNS0_4arch9wavefront6targetE1EEEvSW_,"axG",@progbits,_ZN7rocprim17ROCPRIM_400000_NS6detail17trampoline_kernelINS0_14default_configENS1_27upper_bound_config_selectorIslEEZNS1_14transform_implILb0ES3_S5_N6thrust23THRUST_200600_302600_NS6detail15normal_iteratorINS8_7pointerIsNS8_11hip_rocprim5par_tENS8_11use_defaultESE_EEEENSA_INSB_IlSD_SE_SE_EEEEZNS1_13binary_searchIS3_S5_PsSG_SI_NS1_21upper_bound_search_opENS9_16wrapped_functionINS8_6system6detail7generic6detail18binary_search_lessEbEEEE10hipError_tPvRmT1_T2_T3_mmT4_T5_P12ihipStream_tbEUlRKsE_EEST_SX_SY_mSZ_S12_bEUlT_E_NS1_11comp_targetILNS1_3genE5ELNS1_11target_archE942ELNS1_3gpuE9ELNS1_3repE0EEENS1_30default_config_static_selectorELNS0_4arch9wavefront6targetE1EEEvSW_,comdat
	.protected	_ZN7rocprim17ROCPRIM_400000_NS6detail17trampoline_kernelINS0_14default_configENS1_27upper_bound_config_selectorIslEEZNS1_14transform_implILb0ES3_S5_N6thrust23THRUST_200600_302600_NS6detail15normal_iteratorINS8_7pointerIsNS8_11hip_rocprim5par_tENS8_11use_defaultESE_EEEENSA_INSB_IlSD_SE_SE_EEEEZNS1_13binary_searchIS3_S5_PsSG_SI_NS1_21upper_bound_search_opENS9_16wrapped_functionINS8_6system6detail7generic6detail18binary_search_lessEbEEEE10hipError_tPvRmT1_T2_T3_mmT4_T5_P12ihipStream_tbEUlRKsE_EEST_SX_SY_mSZ_S12_bEUlT_E_NS1_11comp_targetILNS1_3genE5ELNS1_11target_archE942ELNS1_3gpuE9ELNS1_3repE0EEENS1_30default_config_static_selectorELNS0_4arch9wavefront6targetE1EEEvSW_ ; -- Begin function _ZN7rocprim17ROCPRIM_400000_NS6detail17trampoline_kernelINS0_14default_configENS1_27upper_bound_config_selectorIslEEZNS1_14transform_implILb0ES3_S5_N6thrust23THRUST_200600_302600_NS6detail15normal_iteratorINS8_7pointerIsNS8_11hip_rocprim5par_tENS8_11use_defaultESE_EEEENSA_INSB_IlSD_SE_SE_EEEEZNS1_13binary_searchIS3_S5_PsSG_SI_NS1_21upper_bound_search_opENS9_16wrapped_functionINS8_6system6detail7generic6detail18binary_search_lessEbEEEE10hipError_tPvRmT1_T2_T3_mmT4_T5_P12ihipStream_tbEUlRKsE_EEST_SX_SY_mSZ_S12_bEUlT_E_NS1_11comp_targetILNS1_3genE5ELNS1_11target_archE942ELNS1_3gpuE9ELNS1_3repE0EEENS1_30default_config_static_selectorELNS0_4arch9wavefront6targetE1EEEvSW_
	.globl	_ZN7rocprim17ROCPRIM_400000_NS6detail17trampoline_kernelINS0_14default_configENS1_27upper_bound_config_selectorIslEEZNS1_14transform_implILb0ES3_S5_N6thrust23THRUST_200600_302600_NS6detail15normal_iteratorINS8_7pointerIsNS8_11hip_rocprim5par_tENS8_11use_defaultESE_EEEENSA_INSB_IlSD_SE_SE_EEEEZNS1_13binary_searchIS3_S5_PsSG_SI_NS1_21upper_bound_search_opENS9_16wrapped_functionINS8_6system6detail7generic6detail18binary_search_lessEbEEEE10hipError_tPvRmT1_T2_T3_mmT4_T5_P12ihipStream_tbEUlRKsE_EEST_SX_SY_mSZ_S12_bEUlT_E_NS1_11comp_targetILNS1_3genE5ELNS1_11target_archE942ELNS1_3gpuE9ELNS1_3repE0EEENS1_30default_config_static_selectorELNS0_4arch9wavefront6targetE1EEEvSW_
	.p2align	8
	.type	_ZN7rocprim17ROCPRIM_400000_NS6detail17trampoline_kernelINS0_14default_configENS1_27upper_bound_config_selectorIslEEZNS1_14transform_implILb0ES3_S5_N6thrust23THRUST_200600_302600_NS6detail15normal_iteratorINS8_7pointerIsNS8_11hip_rocprim5par_tENS8_11use_defaultESE_EEEENSA_INSB_IlSD_SE_SE_EEEEZNS1_13binary_searchIS3_S5_PsSG_SI_NS1_21upper_bound_search_opENS9_16wrapped_functionINS8_6system6detail7generic6detail18binary_search_lessEbEEEE10hipError_tPvRmT1_T2_T3_mmT4_T5_P12ihipStream_tbEUlRKsE_EEST_SX_SY_mSZ_S12_bEUlT_E_NS1_11comp_targetILNS1_3genE5ELNS1_11target_archE942ELNS1_3gpuE9ELNS1_3repE0EEENS1_30default_config_static_selectorELNS0_4arch9wavefront6targetE1EEEvSW_,@function
_ZN7rocprim17ROCPRIM_400000_NS6detail17trampoline_kernelINS0_14default_configENS1_27upper_bound_config_selectorIslEEZNS1_14transform_implILb0ES3_S5_N6thrust23THRUST_200600_302600_NS6detail15normal_iteratorINS8_7pointerIsNS8_11hip_rocprim5par_tENS8_11use_defaultESE_EEEENSA_INSB_IlSD_SE_SE_EEEEZNS1_13binary_searchIS3_S5_PsSG_SI_NS1_21upper_bound_search_opENS9_16wrapped_functionINS8_6system6detail7generic6detail18binary_search_lessEbEEEE10hipError_tPvRmT1_T2_T3_mmT4_T5_P12ihipStream_tbEUlRKsE_EEST_SX_SY_mSZ_S12_bEUlT_E_NS1_11comp_targetILNS1_3genE5ELNS1_11target_archE942ELNS1_3gpuE9ELNS1_3repE0EEENS1_30default_config_static_selectorELNS0_4arch9wavefront6targetE1EEEvSW_: ; @_ZN7rocprim17ROCPRIM_400000_NS6detail17trampoline_kernelINS0_14default_configENS1_27upper_bound_config_selectorIslEEZNS1_14transform_implILb0ES3_S5_N6thrust23THRUST_200600_302600_NS6detail15normal_iteratorINS8_7pointerIsNS8_11hip_rocprim5par_tENS8_11use_defaultESE_EEEENSA_INSB_IlSD_SE_SE_EEEEZNS1_13binary_searchIS3_S5_PsSG_SI_NS1_21upper_bound_search_opENS9_16wrapped_functionINS8_6system6detail7generic6detail18binary_search_lessEbEEEE10hipError_tPvRmT1_T2_T3_mmT4_T5_P12ihipStream_tbEUlRKsE_EEST_SX_SY_mSZ_S12_bEUlT_E_NS1_11comp_targetILNS1_3genE5ELNS1_11target_archE942ELNS1_3gpuE9ELNS1_3repE0EEENS1_30default_config_static_selectorELNS0_4arch9wavefront6targetE1EEEvSW_
; %bb.0:
	.section	.rodata,"a",@progbits
	.p2align	6, 0x0
	.amdhsa_kernel _ZN7rocprim17ROCPRIM_400000_NS6detail17trampoline_kernelINS0_14default_configENS1_27upper_bound_config_selectorIslEEZNS1_14transform_implILb0ES3_S5_N6thrust23THRUST_200600_302600_NS6detail15normal_iteratorINS8_7pointerIsNS8_11hip_rocprim5par_tENS8_11use_defaultESE_EEEENSA_INSB_IlSD_SE_SE_EEEEZNS1_13binary_searchIS3_S5_PsSG_SI_NS1_21upper_bound_search_opENS9_16wrapped_functionINS8_6system6detail7generic6detail18binary_search_lessEbEEEE10hipError_tPvRmT1_T2_T3_mmT4_T5_P12ihipStream_tbEUlRKsE_EEST_SX_SY_mSZ_S12_bEUlT_E_NS1_11comp_targetILNS1_3genE5ELNS1_11target_archE942ELNS1_3gpuE9ELNS1_3repE0EEENS1_30default_config_static_selectorELNS0_4arch9wavefront6targetE1EEEvSW_
		.amdhsa_group_segment_fixed_size 0
		.amdhsa_private_segment_fixed_size 0
		.amdhsa_kernarg_size 56
		.amdhsa_user_sgpr_count 6
		.amdhsa_user_sgpr_private_segment_buffer 1
		.amdhsa_user_sgpr_dispatch_ptr 0
		.amdhsa_user_sgpr_queue_ptr 0
		.amdhsa_user_sgpr_kernarg_segment_ptr 1
		.amdhsa_user_sgpr_dispatch_id 0
		.amdhsa_user_sgpr_flat_scratch_init 0
		.amdhsa_user_sgpr_private_segment_size 0
		.amdhsa_uses_dynamic_stack 0
		.amdhsa_system_sgpr_private_segment_wavefront_offset 0
		.amdhsa_system_sgpr_workgroup_id_x 1
		.amdhsa_system_sgpr_workgroup_id_y 0
		.amdhsa_system_sgpr_workgroup_id_z 0
		.amdhsa_system_sgpr_workgroup_info 0
		.amdhsa_system_vgpr_workitem_id 0
		.amdhsa_next_free_vgpr 1
		.amdhsa_next_free_sgpr 0
		.amdhsa_reserve_vcc 0
		.amdhsa_reserve_flat_scratch 0
		.amdhsa_float_round_mode_32 0
		.amdhsa_float_round_mode_16_64 0
		.amdhsa_float_denorm_mode_32 3
		.amdhsa_float_denorm_mode_16_64 3
		.amdhsa_dx10_clamp 1
		.amdhsa_ieee_mode 1
		.amdhsa_fp16_overflow 0
		.amdhsa_exception_fp_ieee_invalid_op 0
		.amdhsa_exception_fp_denorm_src 0
		.amdhsa_exception_fp_ieee_div_zero 0
		.amdhsa_exception_fp_ieee_overflow 0
		.amdhsa_exception_fp_ieee_underflow 0
		.amdhsa_exception_fp_ieee_inexact 0
		.amdhsa_exception_int_div_zero 0
	.end_amdhsa_kernel
	.section	.text._ZN7rocprim17ROCPRIM_400000_NS6detail17trampoline_kernelINS0_14default_configENS1_27upper_bound_config_selectorIslEEZNS1_14transform_implILb0ES3_S5_N6thrust23THRUST_200600_302600_NS6detail15normal_iteratorINS8_7pointerIsNS8_11hip_rocprim5par_tENS8_11use_defaultESE_EEEENSA_INSB_IlSD_SE_SE_EEEEZNS1_13binary_searchIS3_S5_PsSG_SI_NS1_21upper_bound_search_opENS9_16wrapped_functionINS8_6system6detail7generic6detail18binary_search_lessEbEEEE10hipError_tPvRmT1_T2_T3_mmT4_T5_P12ihipStream_tbEUlRKsE_EEST_SX_SY_mSZ_S12_bEUlT_E_NS1_11comp_targetILNS1_3genE5ELNS1_11target_archE942ELNS1_3gpuE9ELNS1_3repE0EEENS1_30default_config_static_selectorELNS0_4arch9wavefront6targetE1EEEvSW_,"axG",@progbits,_ZN7rocprim17ROCPRIM_400000_NS6detail17trampoline_kernelINS0_14default_configENS1_27upper_bound_config_selectorIslEEZNS1_14transform_implILb0ES3_S5_N6thrust23THRUST_200600_302600_NS6detail15normal_iteratorINS8_7pointerIsNS8_11hip_rocprim5par_tENS8_11use_defaultESE_EEEENSA_INSB_IlSD_SE_SE_EEEEZNS1_13binary_searchIS3_S5_PsSG_SI_NS1_21upper_bound_search_opENS9_16wrapped_functionINS8_6system6detail7generic6detail18binary_search_lessEbEEEE10hipError_tPvRmT1_T2_T3_mmT4_T5_P12ihipStream_tbEUlRKsE_EEST_SX_SY_mSZ_S12_bEUlT_E_NS1_11comp_targetILNS1_3genE5ELNS1_11target_archE942ELNS1_3gpuE9ELNS1_3repE0EEENS1_30default_config_static_selectorELNS0_4arch9wavefront6targetE1EEEvSW_,comdat
.Lfunc_end233:
	.size	_ZN7rocprim17ROCPRIM_400000_NS6detail17trampoline_kernelINS0_14default_configENS1_27upper_bound_config_selectorIslEEZNS1_14transform_implILb0ES3_S5_N6thrust23THRUST_200600_302600_NS6detail15normal_iteratorINS8_7pointerIsNS8_11hip_rocprim5par_tENS8_11use_defaultESE_EEEENSA_INSB_IlSD_SE_SE_EEEEZNS1_13binary_searchIS3_S5_PsSG_SI_NS1_21upper_bound_search_opENS9_16wrapped_functionINS8_6system6detail7generic6detail18binary_search_lessEbEEEE10hipError_tPvRmT1_T2_T3_mmT4_T5_P12ihipStream_tbEUlRKsE_EEST_SX_SY_mSZ_S12_bEUlT_E_NS1_11comp_targetILNS1_3genE5ELNS1_11target_archE942ELNS1_3gpuE9ELNS1_3repE0EEENS1_30default_config_static_selectorELNS0_4arch9wavefront6targetE1EEEvSW_, .Lfunc_end233-_ZN7rocprim17ROCPRIM_400000_NS6detail17trampoline_kernelINS0_14default_configENS1_27upper_bound_config_selectorIslEEZNS1_14transform_implILb0ES3_S5_N6thrust23THRUST_200600_302600_NS6detail15normal_iteratorINS8_7pointerIsNS8_11hip_rocprim5par_tENS8_11use_defaultESE_EEEENSA_INSB_IlSD_SE_SE_EEEEZNS1_13binary_searchIS3_S5_PsSG_SI_NS1_21upper_bound_search_opENS9_16wrapped_functionINS8_6system6detail7generic6detail18binary_search_lessEbEEEE10hipError_tPvRmT1_T2_T3_mmT4_T5_P12ihipStream_tbEUlRKsE_EEST_SX_SY_mSZ_S12_bEUlT_E_NS1_11comp_targetILNS1_3genE5ELNS1_11target_archE942ELNS1_3gpuE9ELNS1_3repE0EEENS1_30default_config_static_selectorELNS0_4arch9wavefront6targetE1EEEvSW_
                                        ; -- End function
	.set _ZN7rocprim17ROCPRIM_400000_NS6detail17trampoline_kernelINS0_14default_configENS1_27upper_bound_config_selectorIslEEZNS1_14transform_implILb0ES3_S5_N6thrust23THRUST_200600_302600_NS6detail15normal_iteratorINS8_7pointerIsNS8_11hip_rocprim5par_tENS8_11use_defaultESE_EEEENSA_INSB_IlSD_SE_SE_EEEEZNS1_13binary_searchIS3_S5_PsSG_SI_NS1_21upper_bound_search_opENS9_16wrapped_functionINS8_6system6detail7generic6detail18binary_search_lessEbEEEE10hipError_tPvRmT1_T2_T3_mmT4_T5_P12ihipStream_tbEUlRKsE_EEST_SX_SY_mSZ_S12_bEUlT_E_NS1_11comp_targetILNS1_3genE5ELNS1_11target_archE942ELNS1_3gpuE9ELNS1_3repE0EEENS1_30default_config_static_selectorELNS0_4arch9wavefront6targetE1EEEvSW_.num_vgpr, 0
	.set _ZN7rocprim17ROCPRIM_400000_NS6detail17trampoline_kernelINS0_14default_configENS1_27upper_bound_config_selectorIslEEZNS1_14transform_implILb0ES3_S5_N6thrust23THRUST_200600_302600_NS6detail15normal_iteratorINS8_7pointerIsNS8_11hip_rocprim5par_tENS8_11use_defaultESE_EEEENSA_INSB_IlSD_SE_SE_EEEEZNS1_13binary_searchIS3_S5_PsSG_SI_NS1_21upper_bound_search_opENS9_16wrapped_functionINS8_6system6detail7generic6detail18binary_search_lessEbEEEE10hipError_tPvRmT1_T2_T3_mmT4_T5_P12ihipStream_tbEUlRKsE_EEST_SX_SY_mSZ_S12_bEUlT_E_NS1_11comp_targetILNS1_3genE5ELNS1_11target_archE942ELNS1_3gpuE9ELNS1_3repE0EEENS1_30default_config_static_selectorELNS0_4arch9wavefront6targetE1EEEvSW_.num_agpr, 0
	.set _ZN7rocprim17ROCPRIM_400000_NS6detail17trampoline_kernelINS0_14default_configENS1_27upper_bound_config_selectorIslEEZNS1_14transform_implILb0ES3_S5_N6thrust23THRUST_200600_302600_NS6detail15normal_iteratorINS8_7pointerIsNS8_11hip_rocprim5par_tENS8_11use_defaultESE_EEEENSA_INSB_IlSD_SE_SE_EEEEZNS1_13binary_searchIS3_S5_PsSG_SI_NS1_21upper_bound_search_opENS9_16wrapped_functionINS8_6system6detail7generic6detail18binary_search_lessEbEEEE10hipError_tPvRmT1_T2_T3_mmT4_T5_P12ihipStream_tbEUlRKsE_EEST_SX_SY_mSZ_S12_bEUlT_E_NS1_11comp_targetILNS1_3genE5ELNS1_11target_archE942ELNS1_3gpuE9ELNS1_3repE0EEENS1_30default_config_static_selectorELNS0_4arch9wavefront6targetE1EEEvSW_.numbered_sgpr, 0
	.set _ZN7rocprim17ROCPRIM_400000_NS6detail17trampoline_kernelINS0_14default_configENS1_27upper_bound_config_selectorIslEEZNS1_14transform_implILb0ES3_S5_N6thrust23THRUST_200600_302600_NS6detail15normal_iteratorINS8_7pointerIsNS8_11hip_rocprim5par_tENS8_11use_defaultESE_EEEENSA_INSB_IlSD_SE_SE_EEEEZNS1_13binary_searchIS3_S5_PsSG_SI_NS1_21upper_bound_search_opENS9_16wrapped_functionINS8_6system6detail7generic6detail18binary_search_lessEbEEEE10hipError_tPvRmT1_T2_T3_mmT4_T5_P12ihipStream_tbEUlRKsE_EEST_SX_SY_mSZ_S12_bEUlT_E_NS1_11comp_targetILNS1_3genE5ELNS1_11target_archE942ELNS1_3gpuE9ELNS1_3repE0EEENS1_30default_config_static_selectorELNS0_4arch9wavefront6targetE1EEEvSW_.num_named_barrier, 0
	.set _ZN7rocprim17ROCPRIM_400000_NS6detail17trampoline_kernelINS0_14default_configENS1_27upper_bound_config_selectorIslEEZNS1_14transform_implILb0ES3_S5_N6thrust23THRUST_200600_302600_NS6detail15normal_iteratorINS8_7pointerIsNS8_11hip_rocprim5par_tENS8_11use_defaultESE_EEEENSA_INSB_IlSD_SE_SE_EEEEZNS1_13binary_searchIS3_S5_PsSG_SI_NS1_21upper_bound_search_opENS9_16wrapped_functionINS8_6system6detail7generic6detail18binary_search_lessEbEEEE10hipError_tPvRmT1_T2_T3_mmT4_T5_P12ihipStream_tbEUlRKsE_EEST_SX_SY_mSZ_S12_bEUlT_E_NS1_11comp_targetILNS1_3genE5ELNS1_11target_archE942ELNS1_3gpuE9ELNS1_3repE0EEENS1_30default_config_static_selectorELNS0_4arch9wavefront6targetE1EEEvSW_.private_seg_size, 0
	.set _ZN7rocprim17ROCPRIM_400000_NS6detail17trampoline_kernelINS0_14default_configENS1_27upper_bound_config_selectorIslEEZNS1_14transform_implILb0ES3_S5_N6thrust23THRUST_200600_302600_NS6detail15normal_iteratorINS8_7pointerIsNS8_11hip_rocprim5par_tENS8_11use_defaultESE_EEEENSA_INSB_IlSD_SE_SE_EEEEZNS1_13binary_searchIS3_S5_PsSG_SI_NS1_21upper_bound_search_opENS9_16wrapped_functionINS8_6system6detail7generic6detail18binary_search_lessEbEEEE10hipError_tPvRmT1_T2_T3_mmT4_T5_P12ihipStream_tbEUlRKsE_EEST_SX_SY_mSZ_S12_bEUlT_E_NS1_11comp_targetILNS1_3genE5ELNS1_11target_archE942ELNS1_3gpuE9ELNS1_3repE0EEENS1_30default_config_static_selectorELNS0_4arch9wavefront6targetE1EEEvSW_.uses_vcc, 0
	.set _ZN7rocprim17ROCPRIM_400000_NS6detail17trampoline_kernelINS0_14default_configENS1_27upper_bound_config_selectorIslEEZNS1_14transform_implILb0ES3_S5_N6thrust23THRUST_200600_302600_NS6detail15normal_iteratorINS8_7pointerIsNS8_11hip_rocprim5par_tENS8_11use_defaultESE_EEEENSA_INSB_IlSD_SE_SE_EEEEZNS1_13binary_searchIS3_S5_PsSG_SI_NS1_21upper_bound_search_opENS9_16wrapped_functionINS8_6system6detail7generic6detail18binary_search_lessEbEEEE10hipError_tPvRmT1_T2_T3_mmT4_T5_P12ihipStream_tbEUlRKsE_EEST_SX_SY_mSZ_S12_bEUlT_E_NS1_11comp_targetILNS1_3genE5ELNS1_11target_archE942ELNS1_3gpuE9ELNS1_3repE0EEENS1_30default_config_static_selectorELNS0_4arch9wavefront6targetE1EEEvSW_.uses_flat_scratch, 0
	.set _ZN7rocprim17ROCPRIM_400000_NS6detail17trampoline_kernelINS0_14default_configENS1_27upper_bound_config_selectorIslEEZNS1_14transform_implILb0ES3_S5_N6thrust23THRUST_200600_302600_NS6detail15normal_iteratorINS8_7pointerIsNS8_11hip_rocprim5par_tENS8_11use_defaultESE_EEEENSA_INSB_IlSD_SE_SE_EEEEZNS1_13binary_searchIS3_S5_PsSG_SI_NS1_21upper_bound_search_opENS9_16wrapped_functionINS8_6system6detail7generic6detail18binary_search_lessEbEEEE10hipError_tPvRmT1_T2_T3_mmT4_T5_P12ihipStream_tbEUlRKsE_EEST_SX_SY_mSZ_S12_bEUlT_E_NS1_11comp_targetILNS1_3genE5ELNS1_11target_archE942ELNS1_3gpuE9ELNS1_3repE0EEENS1_30default_config_static_selectorELNS0_4arch9wavefront6targetE1EEEvSW_.has_dyn_sized_stack, 0
	.set _ZN7rocprim17ROCPRIM_400000_NS6detail17trampoline_kernelINS0_14default_configENS1_27upper_bound_config_selectorIslEEZNS1_14transform_implILb0ES3_S5_N6thrust23THRUST_200600_302600_NS6detail15normal_iteratorINS8_7pointerIsNS8_11hip_rocprim5par_tENS8_11use_defaultESE_EEEENSA_INSB_IlSD_SE_SE_EEEEZNS1_13binary_searchIS3_S5_PsSG_SI_NS1_21upper_bound_search_opENS9_16wrapped_functionINS8_6system6detail7generic6detail18binary_search_lessEbEEEE10hipError_tPvRmT1_T2_T3_mmT4_T5_P12ihipStream_tbEUlRKsE_EEST_SX_SY_mSZ_S12_bEUlT_E_NS1_11comp_targetILNS1_3genE5ELNS1_11target_archE942ELNS1_3gpuE9ELNS1_3repE0EEENS1_30default_config_static_selectorELNS0_4arch9wavefront6targetE1EEEvSW_.has_recursion, 0
	.set _ZN7rocprim17ROCPRIM_400000_NS6detail17trampoline_kernelINS0_14default_configENS1_27upper_bound_config_selectorIslEEZNS1_14transform_implILb0ES3_S5_N6thrust23THRUST_200600_302600_NS6detail15normal_iteratorINS8_7pointerIsNS8_11hip_rocprim5par_tENS8_11use_defaultESE_EEEENSA_INSB_IlSD_SE_SE_EEEEZNS1_13binary_searchIS3_S5_PsSG_SI_NS1_21upper_bound_search_opENS9_16wrapped_functionINS8_6system6detail7generic6detail18binary_search_lessEbEEEE10hipError_tPvRmT1_T2_T3_mmT4_T5_P12ihipStream_tbEUlRKsE_EEST_SX_SY_mSZ_S12_bEUlT_E_NS1_11comp_targetILNS1_3genE5ELNS1_11target_archE942ELNS1_3gpuE9ELNS1_3repE0EEENS1_30default_config_static_selectorELNS0_4arch9wavefront6targetE1EEEvSW_.has_indirect_call, 0
	.section	.AMDGPU.csdata,"",@progbits
; Kernel info:
; codeLenInByte = 0
; TotalNumSgprs: 4
; NumVgprs: 0
; ScratchSize: 0
; MemoryBound: 0
; FloatMode: 240
; IeeeMode: 1
; LDSByteSize: 0 bytes/workgroup (compile time only)
; SGPRBlocks: 0
; VGPRBlocks: 0
; NumSGPRsForWavesPerEU: 4
; NumVGPRsForWavesPerEU: 1
; Occupancy: 10
; WaveLimiterHint : 0
; COMPUTE_PGM_RSRC2:SCRATCH_EN: 0
; COMPUTE_PGM_RSRC2:USER_SGPR: 6
; COMPUTE_PGM_RSRC2:TRAP_HANDLER: 0
; COMPUTE_PGM_RSRC2:TGID_X_EN: 1
; COMPUTE_PGM_RSRC2:TGID_Y_EN: 0
; COMPUTE_PGM_RSRC2:TGID_Z_EN: 0
; COMPUTE_PGM_RSRC2:TIDIG_COMP_CNT: 0
	.section	.text._ZN7rocprim17ROCPRIM_400000_NS6detail17trampoline_kernelINS0_14default_configENS1_27upper_bound_config_selectorIslEEZNS1_14transform_implILb0ES3_S5_N6thrust23THRUST_200600_302600_NS6detail15normal_iteratorINS8_7pointerIsNS8_11hip_rocprim5par_tENS8_11use_defaultESE_EEEENSA_INSB_IlSD_SE_SE_EEEEZNS1_13binary_searchIS3_S5_PsSG_SI_NS1_21upper_bound_search_opENS9_16wrapped_functionINS8_6system6detail7generic6detail18binary_search_lessEbEEEE10hipError_tPvRmT1_T2_T3_mmT4_T5_P12ihipStream_tbEUlRKsE_EEST_SX_SY_mSZ_S12_bEUlT_E_NS1_11comp_targetILNS1_3genE4ELNS1_11target_archE910ELNS1_3gpuE8ELNS1_3repE0EEENS1_30default_config_static_selectorELNS0_4arch9wavefront6targetE1EEEvSW_,"axG",@progbits,_ZN7rocprim17ROCPRIM_400000_NS6detail17trampoline_kernelINS0_14default_configENS1_27upper_bound_config_selectorIslEEZNS1_14transform_implILb0ES3_S5_N6thrust23THRUST_200600_302600_NS6detail15normal_iteratorINS8_7pointerIsNS8_11hip_rocprim5par_tENS8_11use_defaultESE_EEEENSA_INSB_IlSD_SE_SE_EEEEZNS1_13binary_searchIS3_S5_PsSG_SI_NS1_21upper_bound_search_opENS9_16wrapped_functionINS8_6system6detail7generic6detail18binary_search_lessEbEEEE10hipError_tPvRmT1_T2_T3_mmT4_T5_P12ihipStream_tbEUlRKsE_EEST_SX_SY_mSZ_S12_bEUlT_E_NS1_11comp_targetILNS1_3genE4ELNS1_11target_archE910ELNS1_3gpuE8ELNS1_3repE0EEENS1_30default_config_static_selectorELNS0_4arch9wavefront6targetE1EEEvSW_,comdat
	.protected	_ZN7rocprim17ROCPRIM_400000_NS6detail17trampoline_kernelINS0_14default_configENS1_27upper_bound_config_selectorIslEEZNS1_14transform_implILb0ES3_S5_N6thrust23THRUST_200600_302600_NS6detail15normal_iteratorINS8_7pointerIsNS8_11hip_rocprim5par_tENS8_11use_defaultESE_EEEENSA_INSB_IlSD_SE_SE_EEEEZNS1_13binary_searchIS3_S5_PsSG_SI_NS1_21upper_bound_search_opENS9_16wrapped_functionINS8_6system6detail7generic6detail18binary_search_lessEbEEEE10hipError_tPvRmT1_T2_T3_mmT4_T5_P12ihipStream_tbEUlRKsE_EEST_SX_SY_mSZ_S12_bEUlT_E_NS1_11comp_targetILNS1_3genE4ELNS1_11target_archE910ELNS1_3gpuE8ELNS1_3repE0EEENS1_30default_config_static_selectorELNS0_4arch9wavefront6targetE1EEEvSW_ ; -- Begin function _ZN7rocprim17ROCPRIM_400000_NS6detail17trampoline_kernelINS0_14default_configENS1_27upper_bound_config_selectorIslEEZNS1_14transform_implILb0ES3_S5_N6thrust23THRUST_200600_302600_NS6detail15normal_iteratorINS8_7pointerIsNS8_11hip_rocprim5par_tENS8_11use_defaultESE_EEEENSA_INSB_IlSD_SE_SE_EEEEZNS1_13binary_searchIS3_S5_PsSG_SI_NS1_21upper_bound_search_opENS9_16wrapped_functionINS8_6system6detail7generic6detail18binary_search_lessEbEEEE10hipError_tPvRmT1_T2_T3_mmT4_T5_P12ihipStream_tbEUlRKsE_EEST_SX_SY_mSZ_S12_bEUlT_E_NS1_11comp_targetILNS1_3genE4ELNS1_11target_archE910ELNS1_3gpuE8ELNS1_3repE0EEENS1_30default_config_static_selectorELNS0_4arch9wavefront6targetE1EEEvSW_
	.globl	_ZN7rocprim17ROCPRIM_400000_NS6detail17trampoline_kernelINS0_14default_configENS1_27upper_bound_config_selectorIslEEZNS1_14transform_implILb0ES3_S5_N6thrust23THRUST_200600_302600_NS6detail15normal_iteratorINS8_7pointerIsNS8_11hip_rocprim5par_tENS8_11use_defaultESE_EEEENSA_INSB_IlSD_SE_SE_EEEEZNS1_13binary_searchIS3_S5_PsSG_SI_NS1_21upper_bound_search_opENS9_16wrapped_functionINS8_6system6detail7generic6detail18binary_search_lessEbEEEE10hipError_tPvRmT1_T2_T3_mmT4_T5_P12ihipStream_tbEUlRKsE_EEST_SX_SY_mSZ_S12_bEUlT_E_NS1_11comp_targetILNS1_3genE4ELNS1_11target_archE910ELNS1_3gpuE8ELNS1_3repE0EEENS1_30default_config_static_selectorELNS0_4arch9wavefront6targetE1EEEvSW_
	.p2align	8
	.type	_ZN7rocprim17ROCPRIM_400000_NS6detail17trampoline_kernelINS0_14default_configENS1_27upper_bound_config_selectorIslEEZNS1_14transform_implILb0ES3_S5_N6thrust23THRUST_200600_302600_NS6detail15normal_iteratorINS8_7pointerIsNS8_11hip_rocprim5par_tENS8_11use_defaultESE_EEEENSA_INSB_IlSD_SE_SE_EEEEZNS1_13binary_searchIS3_S5_PsSG_SI_NS1_21upper_bound_search_opENS9_16wrapped_functionINS8_6system6detail7generic6detail18binary_search_lessEbEEEE10hipError_tPvRmT1_T2_T3_mmT4_T5_P12ihipStream_tbEUlRKsE_EEST_SX_SY_mSZ_S12_bEUlT_E_NS1_11comp_targetILNS1_3genE4ELNS1_11target_archE910ELNS1_3gpuE8ELNS1_3repE0EEENS1_30default_config_static_selectorELNS0_4arch9wavefront6targetE1EEEvSW_,@function
_ZN7rocprim17ROCPRIM_400000_NS6detail17trampoline_kernelINS0_14default_configENS1_27upper_bound_config_selectorIslEEZNS1_14transform_implILb0ES3_S5_N6thrust23THRUST_200600_302600_NS6detail15normal_iteratorINS8_7pointerIsNS8_11hip_rocprim5par_tENS8_11use_defaultESE_EEEENSA_INSB_IlSD_SE_SE_EEEEZNS1_13binary_searchIS3_S5_PsSG_SI_NS1_21upper_bound_search_opENS9_16wrapped_functionINS8_6system6detail7generic6detail18binary_search_lessEbEEEE10hipError_tPvRmT1_T2_T3_mmT4_T5_P12ihipStream_tbEUlRKsE_EEST_SX_SY_mSZ_S12_bEUlT_E_NS1_11comp_targetILNS1_3genE4ELNS1_11target_archE910ELNS1_3gpuE8ELNS1_3repE0EEENS1_30default_config_static_selectorELNS0_4arch9wavefront6targetE1EEEvSW_: ; @_ZN7rocprim17ROCPRIM_400000_NS6detail17trampoline_kernelINS0_14default_configENS1_27upper_bound_config_selectorIslEEZNS1_14transform_implILb0ES3_S5_N6thrust23THRUST_200600_302600_NS6detail15normal_iteratorINS8_7pointerIsNS8_11hip_rocprim5par_tENS8_11use_defaultESE_EEEENSA_INSB_IlSD_SE_SE_EEEEZNS1_13binary_searchIS3_S5_PsSG_SI_NS1_21upper_bound_search_opENS9_16wrapped_functionINS8_6system6detail7generic6detail18binary_search_lessEbEEEE10hipError_tPvRmT1_T2_T3_mmT4_T5_P12ihipStream_tbEUlRKsE_EEST_SX_SY_mSZ_S12_bEUlT_E_NS1_11comp_targetILNS1_3genE4ELNS1_11target_archE910ELNS1_3gpuE8ELNS1_3repE0EEENS1_30default_config_static_selectorELNS0_4arch9wavefront6targetE1EEEvSW_
; %bb.0:
	.section	.rodata,"a",@progbits
	.p2align	6, 0x0
	.amdhsa_kernel _ZN7rocprim17ROCPRIM_400000_NS6detail17trampoline_kernelINS0_14default_configENS1_27upper_bound_config_selectorIslEEZNS1_14transform_implILb0ES3_S5_N6thrust23THRUST_200600_302600_NS6detail15normal_iteratorINS8_7pointerIsNS8_11hip_rocprim5par_tENS8_11use_defaultESE_EEEENSA_INSB_IlSD_SE_SE_EEEEZNS1_13binary_searchIS3_S5_PsSG_SI_NS1_21upper_bound_search_opENS9_16wrapped_functionINS8_6system6detail7generic6detail18binary_search_lessEbEEEE10hipError_tPvRmT1_T2_T3_mmT4_T5_P12ihipStream_tbEUlRKsE_EEST_SX_SY_mSZ_S12_bEUlT_E_NS1_11comp_targetILNS1_3genE4ELNS1_11target_archE910ELNS1_3gpuE8ELNS1_3repE0EEENS1_30default_config_static_selectorELNS0_4arch9wavefront6targetE1EEEvSW_
		.amdhsa_group_segment_fixed_size 0
		.amdhsa_private_segment_fixed_size 0
		.amdhsa_kernarg_size 56
		.amdhsa_user_sgpr_count 6
		.amdhsa_user_sgpr_private_segment_buffer 1
		.amdhsa_user_sgpr_dispatch_ptr 0
		.amdhsa_user_sgpr_queue_ptr 0
		.amdhsa_user_sgpr_kernarg_segment_ptr 1
		.amdhsa_user_sgpr_dispatch_id 0
		.amdhsa_user_sgpr_flat_scratch_init 0
		.amdhsa_user_sgpr_private_segment_size 0
		.amdhsa_uses_dynamic_stack 0
		.amdhsa_system_sgpr_private_segment_wavefront_offset 0
		.amdhsa_system_sgpr_workgroup_id_x 1
		.amdhsa_system_sgpr_workgroup_id_y 0
		.amdhsa_system_sgpr_workgroup_id_z 0
		.amdhsa_system_sgpr_workgroup_info 0
		.amdhsa_system_vgpr_workitem_id 0
		.amdhsa_next_free_vgpr 1
		.amdhsa_next_free_sgpr 0
		.amdhsa_reserve_vcc 0
		.amdhsa_reserve_flat_scratch 0
		.amdhsa_float_round_mode_32 0
		.amdhsa_float_round_mode_16_64 0
		.amdhsa_float_denorm_mode_32 3
		.amdhsa_float_denorm_mode_16_64 3
		.amdhsa_dx10_clamp 1
		.amdhsa_ieee_mode 1
		.amdhsa_fp16_overflow 0
		.amdhsa_exception_fp_ieee_invalid_op 0
		.amdhsa_exception_fp_denorm_src 0
		.amdhsa_exception_fp_ieee_div_zero 0
		.amdhsa_exception_fp_ieee_overflow 0
		.amdhsa_exception_fp_ieee_underflow 0
		.amdhsa_exception_fp_ieee_inexact 0
		.amdhsa_exception_int_div_zero 0
	.end_amdhsa_kernel
	.section	.text._ZN7rocprim17ROCPRIM_400000_NS6detail17trampoline_kernelINS0_14default_configENS1_27upper_bound_config_selectorIslEEZNS1_14transform_implILb0ES3_S5_N6thrust23THRUST_200600_302600_NS6detail15normal_iteratorINS8_7pointerIsNS8_11hip_rocprim5par_tENS8_11use_defaultESE_EEEENSA_INSB_IlSD_SE_SE_EEEEZNS1_13binary_searchIS3_S5_PsSG_SI_NS1_21upper_bound_search_opENS9_16wrapped_functionINS8_6system6detail7generic6detail18binary_search_lessEbEEEE10hipError_tPvRmT1_T2_T3_mmT4_T5_P12ihipStream_tbEUlRKsE_EEST_SX_SY_mSZ_S12_bEUlT_E_NS1_11comp_targetILNS1_3genE4ELNS1_11target_archE910ELNS1_3gpuE8ELNS1_3repE0EEENS1_30default_config_static_selectorELNS0_4arch9wavefront6targetE1EEEvSW_,"axG",@progbits,_ZN7rocprim17ROCPRIM_400000_NS6detail17trampoline_kernelINS0_14default_configENS1_27upper_bound_config_selectorIslEEZNS1_14transform_implILb0ES3_S5_N6thrust23THRUST_200600_302600_NS6detail15normal_iteratorINS8_7pointerIsNS8_11hip_rocprim5par_tENS8_11use_defaultESE_EEEENSA_INSB_IlSD_SE_SE_EEEEZNS1_13binary_searchIS3_S5_PsSG_SI_NS1_21upper_bound_search_opENS9_16wrapped_functionINS8_6system6detail7generic6detail18binary_search_lessEbEEEE10hipError_tPvRmT1_T2_T3_mmT4_T5_P12ihipStream_tbEUlRKsE_EEST_SX_SY_mSZ_S12_bEUlT_E_NS1_11comp_targetILNS1_3genE4ELNS1_11target_archE910ELNS1_3gpuE8ELNS1_3repE0EEENS1_30default_config_static_selectorELNS0_4arch9wavefront6targetE1EEEvSW_,comdat
.Lfunc_end234:
	.size	_ZN7rocprim17ROCPRIM_400000_NS6detail17trampoline_kernelINS0_14default_configENS1_27upper_bound_config_selectorIslEEZNS1_14transform_implILb0ES3_S5_N6thrust23THRUST_200600_302600_NS6detail15normal_iteratorINS8_7pointerIsNS8_11hip_rocprim5par_tENS8_11use_defaultESE_EEEENSA_INSB_IlSD_SE_SE_EEEEZNS1_13binary_searchIS3_S5_PsSG_SI_NS1_21upper_bound_search_opENS9_16wrapped_functionINS8_6system6detail7generic6detail18binary_search_lessEbEEEE10hipError_tPvRmT1_T2_T3_mmT4_T5_P12ihipStream_tbEUlRKsE_EEST_SX_SY_mSZ_S12_bEUlT_E_NS1_11comp_targetILNS1_3genE4ELNS1_11target_archE910ELNS1_3gpuE8ELNS1_3repE0EEENS1_30default_config_static_selectorELNS0_4arch9wavefront6targetE1EEEvSW_, .Lfunc_end234-_ZN7rocprim17ROCPRIM_400000_NS6detail17trampoline_kernelINS0_14default_configENS1_27upper_bound_config_selectorIslEEZNS1_14transform_implILb0ES3_S5_N6thrust23THRUST_200600_302600_NS6detail15normal_iteratorINS8_7pointerIsNS8_11hip_rocprim5par_tENS8_11use_defaultESE_EEEENSA_INSB_IlSD_SE_SE_EEEEZNS1_13binary_searchIS3_S5_PsSG_SI_NS1_21upper_bound_search_opENS9_16wrapped_functionINS8_6system6detail7generic6detail18binary_search_lessEbEEEE10hipError_tPvRmT1_T2_T3_mmT4_T5_P12ihipStream_tbEUlRKsE_EEST_SX_SY_mSZ_S12_bEUlT_E_NS1_11comp_targetILNS1_3genE4ELNS1_11target_archE910ELNS1_3gpuE8ELNS1_3repE0EEENS1_30default_config_static_selectorELNS0_4arch9wavefront6targetE1EEEvSW_
                                        ; -- End function
	.set _ZN7rocprim17ROCPRIM_400000_NS6detail17trampoline_kernelINS0_14default_configENS1_27upper_bound_config_selectorIslEEZNS1_14transform_implILb0ES3_S5_N6thrust23THRUST_200600_302600_NS6detail15normal_iteratorINS8_7pointerIsNS8_11hip_rocprim5par_tENS8_11use_defaultESE_EEEENSA_INSB_IlSD_SE_SE_EEEEZNS1_13binary_searchIS3_S5_PsSG_SI_NS1_21upper_bound_search_opENS9_16wrapped_functionINS8_6system6detail7generic6detail18binary_search_lessEbEEEE10hipError_tPvRmT1_T2_T3_mmT4_T5_P12ihipStream_tbEUlRKsE_EEST_SX_SY_mSZ_S12_bEUlT_E_NS1_11comp_targetILNS1_3genE4ELNS1_11target_archE910ELNS1_3gpuE8ELNS1_3repE0EEENS1_30default_config_static_selectorELNS0_4arch9wavefront6targetE1EEEvSW_.num_vgpr, 0
	.set _ZN7rocprim17ROCPRIM_400000_NS6detail17trampoline_kernelINS0_14default_configENS1_27upper_bound_config_selectorIslEEZNS1_14transform_implILb0ES3_S5_N6thrust23THRUST_200600_302600_NS6detail15normal_iteratorINS8_7pointerIsNS8_11hip_rocprim5par_tENS8_11use_defaultESE_EEEENSA_INSB_IlSD_SE_SE_EEEEZNS1_13binary_searchIS3_S5_PsSG_SI_NS1_21upper_bound_search_opENS9_16wrapped_functionINS8_6system6detail7generic6detail18binary_search_lessEbEEEE10hipError_tPvRmT1_T2_T3_mmT4_T5_P12ihipStream_tbEUlRKsE_EEST_SX_SY_mSZ_S12_bEUlT_E_NS1_11comp_targetILNS1_3genE4ELNS1_11target_archE910ELNS1_3gpuE8ELNS1_3repE0EEENS1_30default_config_static_selectorELNS0_4arch9wavefront6targetE1EEEvSW_.num_agpr, 0
	.set _ZN7rocprim17ROCPRIM_400000_NS6detail17trampoline_kernelINS0_14default_configENS1_27upper_bound_config_selectorIslEEZNS1_14transform_implILb0ES3_S5_N6thrust23THRUST_200600_302600_NS6detail15normal_iteratorINS8_7pointerIsNS8_11hip_rocprim5par_tENS8_11use_defaultESE_EEEENSA_INSB_IlSD_SE_SE_EEEEZNS1_13binary_searchIS3_S5_PsSG_SI_NS1_21upper_bound_search_opENS9_16wrapped_functionINS8_6system6detail7generic6detail18binary_search_lessEbEEEE10hipError_tPvRmT1_T2_T3_mmT4_T5_P12ihipStream_tbEUlRKsE_EEST_SX_SY_mSZ_S12_bEUlT_E_NS1_11comp_targetILNS1_3genE4ELNS1_11target_archE910ELNS1_3gpuE8ELNS1_3repE0EEENS1_30default_config_static_selectorELNS0_4arch9wavefront6targetE1EEEvSW_.numbered_sgpr, 0
	.set _ZN7rocprim17ROCPRIM_400000_NS6detail17trampoline_kernelINS0_14default_configENS1_27upper_bound_config_selectorIslEEZNS1_14transform_implILb0ES3_S5_N6thrust23THRUST_200600_302600_NS6detail15normal_iteratorINS8_7pointerIsNS8_11hip_rocprim5par_tENS8_11use_defaultESE_EEEENSA_INSB_IlSD_SE_SE_EEEEZNS1_13binary_searchIS3_S5_PsSG_SI_NS1_21upper_bound_search_opENS9_16wrapped_functionINS8_6system6detail7generic6detail18binary_search_lessEbEEEE10hipError_tPvRmT1_T2_T3_mmT4_T5_P12ihipStream_tbEUlRKsE_EEST_SX_SY_mSZ_S12_bEUlT_E_NS1_11comp_targetILNS1_3genE4ELNS1_11target_archE910ELNS1_3gpuE8ELNS1_3repE0EEENS1_30default_config_static_selectorELNS0_4arch9wavefront6targetE1EEEvSW_.num_named_barrier, 0
	.set _ZN7rocprim17ROCPRIM_400000_NS6detail17trampoline_kernelINS0_14default_configENS1_27upper_bound_config_selectorIslEEZNS1_14transform_implILb0ES3_S5_N6thrust23THRUST_200600_302600_NS6detail15normal_iteratorINS8_7pointerIsNS8_11hip_rocprim5par_tENS8_11use_defaultESE_EEEENSA_INSB_IlSD_SE_SE_EEEEZNS1_13binary_searchIS3_S5_PsSG_SI_NS1_21upper_bound_search_opENS9_16wrapped_functionINS8_6system6detail7generic6detail18binary_search_lessEbEEEE10hipError_tPvRmT1_T2_T3_mmT4_T5_P12ihipStream_tbEUlRKsE_EEST_SX_SY_mSZ_S12_bEUlT_E_NS1_11comp_targetILNS1_3genE4ELNS1_11target_archE910ELNS1_3gpuE8ELNS1_3repE0EEENS1_30default_config_static_selectorELNS0_4arch9wavefront6targetE1EEEvSW_.private_seg_size, 0
	.set _ZN7rocprim17ROCPRIM_400000_NS6detail17trampoline_kernelINS0_14default_configENS1_27upper_bound_config_selectorIslEEZNS1_14transform_implILb0ES3_S5_N6thrust23THRUST_200600_302600_NS6detail15normal_iteratorINS8_7pointerIsNS8_11hip_rocprim5par_tENS8_11use_defaultESE_EEEENSA_INSB_IlSD_SE_SE_EEEEZNS1_13binary_searchIS3_S5_PsSG_SI_NS1_21upper_bound_search_opENS9_16wrapped_functionINS8_6system6detail7generic6detail18binary_search_lessEbEEEE10hipError_tPvRmT1_T2_T3_mmT4_T5_P12ihipStream_tbEUlRKsE_EEST_SX_SY_mSZ_S12_bEUlT_E_NS1_11comp_targetILNS1_3genE4ELNS1_11target_archE910ELNS1_3gpuE8ELNS1_3repE0EEENS1_30default_config_static_selectorELNS0_4arch9wavefront6targetE1EEEvSW_.uses_vcc, 0
	.set _ZN7rocprim17ROCPRIM_400000_NS6detail17trampoline_kernelINS0_14default_configENS1_27upper_bound_config_selectorIslEEZNS1_14transform_implILb0ES3_S5_N6thrust23THRUST_200600_302600_NS6detail15normal_iteratorINS8_7pointerIsNS8_11hip_rocprim5par_tENS8_11use_defaultESE_EEEENSA_INSB_IlSD_SE_SE_EEEEZNS1_13binary_searchIS3_S5_PsSG_SI_NS1_21upper_bound_search_opENS9_16wrapped_functionINS8_6system6detail7generic6detail18binary_search_lessEbEEEE10hipError_tPvRmT1_T2_T3_mmT4_T5_P12ihipStream_tbEUlRKsE_EEST_SX_SY_mSZ_S12_bEUlT_E_NS1_11comp_targetILNS1_3genE4ELNS1_11target_archE910ELNS1_3gpuE8ELNS1_3repE0EEENS1_30default_config_static_selectorELNS0_4arch9wavefront6targetE1EEEvSW_.uses_flat_scratch, 0
	.set _ZN7rocprim17ROCPRIM_400000_NS6detail17trampoline_kernelINS0_14default_configENS1_27upper_bound_config_selectorIslEEZNS1_14transform_implILb0ES3_S5_N6thrust23THRUST_200600_302600_NS6detail15normal_iteratorINS8_7pointerIsNS8_11hip_rocprim5par_tENS8_11use_defaultESE_EEEENSA_INSB_IlSD_SE_SE_EEEEZNS1_13binary_searchIS3_S5_PsSG_SI_NS1_21upper_bound_search_opENS9_16wrapped_functionINS8_6system6detail7generic6detail18binary_search_lessEbEEEE10hipError_tPvRmT1_T2_T3_mmT4_T5_P12ihipStream_tbEUlRKsE_EEST_SX_SY_mSZ_S12_bEUlT_E_NS1_11comp_targetILNS1_3genE4ELNS1_11target_archE910ELNS1_3gpuE8ELNS1_3repE0EEENS1_30default_config_static_selectorELNS0_4arch9wavefront6targetE1EEEvSW_.has_dyn_sized_stack, 0
	.set _ZN7rocprim17ROCPRIM_400000_NS6detail17trampoline_kernelINS0_14default_configENS1_27upper_bound_config_selectorIslEEZNS1_14transform_implILb0ES3_S5_N6thrust23THRUST_200600_302600_NS6detail15normal_iteratorINS8_7pointerIsNS8_11hip_rocprim5par_tENS8_11use_defaultESE_EEEENSA_INSB_IlSD_SE_SE_EEEEZNS1_13binary_searchIS3_S5_PsSG_SI_NS1_21upper_bound_search_opENS9_16wrapped_functionINS8_6system6detail7generic6detail18binary_search_lessEbEEEE10hipError_tPvRmT1_T2_T3_mmT4_T5_P12ihipStream_tbEUlRKsE_EEST_SX_SY_mSZ_S12_bEUlT_E_NS1_11comp_targetILNS1_3genE4ELNS1_11target_archE910ELNS1_3gpuE8ELNS1_3repE0EEENS1_30default_config_static_selectorELNS0_4arch9wavefront6targetE1EEEvSW_.has_recursion, 0
	.set _ZN7rocprim17ROCPRIM_400000_NS6detail17trampoline_kernelINS0_14default_configENS1_27upper_bound_config_selectorIslEEZNS1_14transform_implILb0ES3_S5_N6thrust23THRUST_200600_302600_NS6detail15normal_iteratorINS8_7pointerIsNS8_11hip_rocprim5par_tENS8_11use_defaultESE_EEEENSA_INSB_IlSD_SE_SE_EEEEZNS1_13binary_searchIS3_S5_PsSG_SI_NS1_21upper_bound_search_opENS9_16wrapped_functionINS8_6system6detail7generic6detail18binary_search_lessEbEEEE10hipError_tPvRmT1_T2_T3_mmT4_T5_P12ihipStream_tbEUlRKsE_EEST_SX_SY_mSZ_S12_bEUlT_E_NS1_11comp_targetILNS1_3genE4ELNS1_11target_archE910ELNS1_3gpuE8ELNS1_3repE0EEENS1_30default_config_static_selectorELNS0_4arch9wavefront6targetE1EEEvSW_.has_indirect_call, 0
	.section	.AMDGPU.csdata,"",@progbits
; Kernel info:
; codeLenInByte = 0
; TotalNumSgprs: 4
; NumVgprs: 0
; ScratchSize: 0
; MemoryBound: 0
; FloatMode: 240
; IeeeMode: 1
; LDSByteSize: 0 bytes/workgroup (compile time only)
; SGPRBlocks: 0
; VGPRBlocks: 0
; NumSGPRsForWavesPerEU: 4
; NumVGPRsForWavesPerEU: 1
; Occupancy: 10
; WaveLimiterHint : 0
; COMPUTE_PGM_RSRC2:SCRATCH_EN: 0
; COMPUTE_PGM_RSRC2:USER_SGPR: 6
; COMPUTE_PGM_RSRC2:TRAP_HANDLER: 0
; COMPUTE_PGM_RSRC2:TGID_X_EN: 1
; COMPUTE_PGM_RSRC2:TGID_Y_EN: 0
; COMPUTE_PGM_RSRC2:TGID_Z_EN: 0
; COMPUTE_PGM_RSRC2:TIDIG_COMP_CNT: 0
	.section	.text._ZN7rocprim17ROCPRIM_400000_NS6detail17trampoline_kernelINS0_14default_configENS1_27upper_bound_config_selectorIslEEZNS1_14transform_implILb0ES3_S5_N6thrust23THRUST_200600_302600_NS6detail15normal_iteratorINS8_7pointerIsNS8_11hip_rocprim5par_tENS8_11use_defaultESE_EEEENSA_INSB_IlSD_SE_SE_EEEEZNS1_13binary_searchIS3_S5_PsSG_SI_NS1_21upper_bound_search_opENS9_16wrapped_functionINS8_6system6detail7generic6detail18binary_search_lessEbEEEE10hipError_tPvRmT1_T2_T3_mmT4_T5_P12ihipStream_tbEUlRKsE_EEST_SX_SY_mSZ_S12_bEUlT_E_NS1_11comp_targetILNS1_3genE3ELNS1_11target_archE908ELNS1_3gpuE7ELNS1_3repE0EEENS1_30default_config_static_selectorELNS0_4arch9wavefront6targetE1EEEvSW_,"axG",@progbits,_ZN7rocprim17ROCPRIM_400000_NS6detail17trampoline_kernelINS0_14default_configENS1_27upper_bound_config_selectorIslEEZNS1_14transform_implILb0ES3_S5_N6thrust23THRUST_200600_302600_NS6detail15normal_iteratorINS8_7pointerIsNS8_11hip_rocprim5par_tENS8_11use_defaultESE_EEEENSA_INSB_IlSD_SE_SE_EEEEZNS1_13binary_searchIS3_S5_PsSG_SI_NS1_21upper_bound_search_opENS9_16wrapped_functionINS8_6system6detail7generic6detail18binary_search_lessEbEEEE10hipError_tPvRmT1_T2_T3_mmT4_T5_P12ihipStream_tbEUlRKsE_EEST_SX_SY_mSZ_S12_bEUlT_E_NS1_11comp_targetILNS1_3genE3ELNS1_11target_archE908ELNS1_3gpuE7ELNS1_3repE0EEENS1_30default_config_static_selectorELNS0_4arch9wavefront6targetE1EEEvSW_,comdat
	.protected	_ZN7rocprim17ROCPRIM_400000_NS6detail17trampoline_kernelINS0_14default_configENS1_27upper_bound_config_selectorIslEEZNS1_14transform_implILb0ES3_S5_N6thrust23THRUST_200600_302600_NS6detail15normal_iteratorINS8_7pointerIsNS8_11hip_rocprim5par_tENS8_11use_defaultESE_EEEENSA_INSB_IlSD_SE_SE_EEEEZNS1_13binary_searchIS3_S5_PsSG_SI_NS1_21upper_bound_search_opENS9_16wrapped_functionINS8_6system6detail7generic6detail18binary_search_lessEbEEEE10hipError_tPvRmT1_T2_T3_mmT4_T5_P12ihipStream_tbEUlRKsE_EEST_SX_SY_mSZ_S12_bEUlT_E_NS1_11comp_targetILNS1_3genE3ELNS1_11target_archE908ELNS1_3gpuE7ELNS1_3repE0EEENS1_30default_config_static_selectorELNS0_4arch9wavefront6targetE1EEEvSW_ ; -- Begin function _ZN7rocprim17ROCPRIM_400000_NS6detail17trampoline_kernelINS0_14default_configENS1_27upper_bound_config_selectorIslEEZNS1_14transform_implILb0ES3_S5_N6thrust23THRUST_200600_302600_NS6detail15normal_iteratorINS8_7pointerIsNS8_11hip_rocprim5par_tENS8_11use_defaultESE_EEEENSA_INSB_IlSD_SE_SE_EEEEZNS1_13binary_searchIS3_S5_PsSG_SI_NS1_21upper_bound_search_opENS9_16wrapped_functionINS8_6system6detail7generic6detail18binary_search_lessEbEEEE10hipError_tPvRmT1_T2_T3_mmT4_T5_P12ihipStream_tbEUlRKsE_EEST_SX_SY_mSZ_S12_bEUlT_E_NS1_11comp_targetILNS1_3genE3ELNS1_11target_archE908ELNS1_3gpuE7ELNS1_3repE0EEENS1_30default_config_static_selectorELNS0_4arch9wavefront6targetE1EEEvSW_
	.globl	_ZN7rocprim17ROCPRIM_400000_NS6detail17trampoline_kernelINS0_14default_configENS1_27upper_bound_config_selectorIslEEZNS1_14transform_implILb0ES3_S5_N6thrust23THRUST_200600_302600_NS6detail15normal_iteratorINS8_7pointerIsNS8_11hip_rocprim5par_tENS8_11use_defaultESE_EEEENSA_INSB_IlSD_SE_SE_EEEEZNS1_13binary_searchIS3_S5_PsSG_SI_NS1_21upper_bound_search_opENS9_16wrapped_functionINS8_6system6detail7generic6detail18binary_search_lessEbEEEE10hipError_tPvRmT1_T2_T3_mmT4_T5_P12ihipStream_tbEUlRKsE_EEST_SX_SY_mSZ_S12_bEUlT_E_NS1_11comp_targetILNS1_3genE3ELNS1_11target_archE908ELNS1_3gpuE7ELNS1_3repE0EEENS1_30default_config_static_selectorELNS0_4arch9wavefront6targetE1EEEvSW_
	.p2align	8
	.type	_ZN7rocprim17ROCPRIM_400000_NS6detail17trampoline_kernelINS0_14default_configENS1_27upper_bound_config_selectorIslEEZNS1_14transform_implILb0ES3_S5_N6thrust23THRUST_200600_302600_NS6detail15normal_iteratorINS8_7pointerIsNS8_11hip_rocprim5par_tENS8_11use_defaultESE_EEEENSA_INSB_IlSD_SE_SE_EEEEZNS1_13binary_searchIS3_S5_PsSG_SI_NS1_21upper_bound_search_opENS9_16wrapped_functionINS8_6system6detail7generic6detail18binary_search_lessEbEEEE10hipError_tPvRmT1_T2_T3_mmT4_T5_P12ihipStream_tbEUlRKsE_EEST_SX_SY_mSZ_S12_bEUlT_E_NS1_11comp_targetILNS1_3genE3ELNS1_11target_archE908ELNS1_3gpuE7ELNS1_3repE0EEENS1_30default_config_static_selectorELNS0_4arch9wavefront6targetE1EEEvSW_,@function
_ZN7rocprim17ROCPRIM_400000_NS6detail17trampoline_kernelINS0_14default_configENS1_27upper_bound_config_selectorIslEEZNS1_14transform_implILb0ES3_S5_N6thrust23THRUST_200600_302600_NS6detail15normal_iteratorINS8_7pointerIsNS8_11hip_rocprim5par_tENS8_11use_defaultESE_EEEENSA_INSB_IlSD_SE_SE_EEEEZNS1_13binary_searchIS3_S5_PsSG_SI_NS1_21upper_bound_search_opENS9_16wrapped_functionINS8_6system6detail7generic6detail18binary_search_lessEbEEEE10hipError_tPvRmT1_T2_T3_mmT4_T5_P12ihipStream_tbEUlRKsE_EEST_SX_SY_mSZ_S12_bEUlT_E_NS1_11comp_targetILNS1_3genE3ELNS1_11target_archE908ELNS1_3gpuE7ELNS1_3repE0EEENS1_30default_config_static_selectorELNS0_4arch9wavefront6targetE1EEEvSW_: ; @_ZN7rocprim17ROCPRIM_400000_NS6detail17trampoline_kernelINS0_14default_configENS1_27upper_bound_config_selectorIslEEZNS1_14transform_implILb0ES3_S5_N6thrust23THRUST_200600_302600_NS6detail15normal_iteratorINS8_7pointerIsNS8_11hip_rocprim5par_tENS8_11use_defaultESE_EEEENSA_INSB_IlSD_SE_SE_EEEEZNS1_13binary_searchIS3_S5_PsSG_SI_NS1_21upper_bound_search_opENS9_16wrapped_functionINS8_6system6detail7generic6detail18binary_search_lessEbEEEE10hipError_tPvRmT1_T2_T3_mmT4_T5_P12ihipStream_tbEUlRKsE_EEST_SX_SY_mSZ_S12_bEUlT_E_NS1_11comp_targetILNS1_3genE3ELNS1_11target_archE908ELNS1_3gpuE7ELNS1_3repE0EEENS1_30default_config_static_selectorELNS0_4arch9wavefront6targetE1EEEvSW_
; %bb.0:
	.section	.rodata,"a",@progbits
	.p2align	6, 0x0
	.amdhsa_kernel _ZN7rocprim17ROCPRIM_400000_NS6detail17trampoline_kernelINS0_14default_configENS1_27upper_bound_config_selectorIslEEZNS1_14transform_implILb0ES3_S5_N6thrust23THRUST_200600_302600_NS6detail15normal_iteratorINS8_7pointerIsNS8_11hip_rocprim5par_tENS8_11use_defaultESE_EEEENSA_INSB_IlSD_SE_SE_EEEEZNS1_13binary_searchIS3_S5_PsSG_SI_NS1_21upper_bound_search_opENS9_16wrapped_functionINS8_6system6detail7generic6detail18binary_search_lessEbEEEE10hipError_tPvRmT1_T2_T3_mmT4_T5_P12ihipStream_tbEUlRKsE_EEST_SX_SY_mSZ_S12_bEUlT_E_NS1_11comp_targetILNS1_3genE3ELNS1_11target_archE908ELNS1_3gpuE7ELNS1_3repE0EEENS1_30default_config_static_selectorELNS0_4arch9wavefront6targetE1EEEvSW_
		.amdhsa_group_segment_fixed_size 0
		.amdhsa_private_segment_fixed_size 0
		.amdhsa_kernarg_size 56
		.amdhsa_user_sgpr_count 6
		.amdhsa_user_sgpr_private_segment_buffer 1
		.amdhsa_user_sgpr_dispatch_ptr 0
		.amdhsa_user_sgpr_queue_ptr 0
		.amdhsa_user_sgpr_kernarg_segment_ptr 1
		.amdhsa_user_sgpr_dispatch_id 0
		.amdhsa_user_sgpr_flat_scratch_init 0
		.amdhsa_user_sgpr_private_segment_size 0
		.amdhsa_uses_dynamic_stack 0
		.amdhsa_system_sgpr_private_segment_wavefront_offset 0
		.amdhsa_system_sgpr_workgroup_id_x 1
		.amdhsa_system_sgpr_workgroup_id_y 0
		.amdhsa_system_sgpr_workgroup_id_z 0
		.amdhsa_system_sgpr_workgroup_info 0
		.amdhsa_system_vgpr_workitem_id 0
		.amdhsa_next_free_vgpr 1
		.amdhsa_next_free_sgpr 0
		.amdhsa_reserve_vcc 0
		.amdhsa_reserve_flat_scratch 0
		.amdhsa_float_round_mode_32 0
		.amdhsa_float_round_mode_16_64 0
		.amdhsa_float_denorm_mode_32 3
		.amdhsa_float_denorm_mode_16_64 3
		.amdhsa_dx10_clamp 1
		.amdhsa_ieee_mode 1
		.amdhsa_fp16_overflow 0
		.amdhsa_exception_fp_ieee_invalid_op 0
		.amdhsa_exception_fp_denorm_src 0
		.amdhsa_exception_fp_ieee_div_zero 0
		.amdhsa_exception_fp_ieee_overflow 0
		.amdhsa_exception_fp_ieee_underflow 0
		.amdhsa_exception_fp_ieee_inexact 0
		.amdhsa_exception_int_div_zero 0
	.end_amdhsa_kernel
	.section	.text._ZN7rocprim17ROCPRIM_400000_NS6detail17trampoline_kernelINS0_14default_configENS1_27upper_bound_config_selectorIslEEZNS1_14transform_implILb0ES3_S5_N6thrust23THRUST_200600_302600_NS6detail15normal_iteratorINS8_7pointerIsNS8_11hip_rocprim5par_tENS8_11use_defaultESE_EEEENSA_INSB_IlSD_SE_SE_EEEEZNS1_13binary_searchIS3_S5_PsSG_SI_NS1_21upper_bound_search_opENS9_16wrapped_functionINS8_6system6detail7generic6detail18binary_search_lessEbEEEE10hipError_tPvRmT1_T2_T3_mmT4_T5_P12ihipStream_tbEUlRKsE_EEST_SX_SY_mSZ_S12_bEUlT_E_NS1_11comp_targetILNS1_3genE3ELNS1_11target_archE908ELNS1_3gpuE7ELNS1_3repE0EEENS1_30default_config_static_selectorELNS0_4arch9wavefront6targetE1EEEvSW_,"axG",@progbits,_ZN7rocprim17ROCPRIM_400000_NS6detail17trampoline_kernelINS0_14default_configENS1_27upper_bound_config_selectorIslEEZNS1_14transform_implILb0ES3_S5_N6thrust23THRUST_200600_302600_NS6detail15normal_iteratorINS8_7pointerIsNS8_11hip_rocprim5par_tENS8_11use_defaultESE_EEEENSA_INSB_IlSD_SE_SE_EEEEZNS1_13binary_searchIS3_S5_PsSG_SI_NS1_21upper_bound_search_opENS9_16wrapped_functionINS8_6system6detail7generic6detail18binary_search_lessEbEEEE10hipError_tPvRmT1_T2_T3_mmT4_T5_P12ihipStream_tbEUlRKsE_EEST_SX_SY_mSZ_S12_bEUlT_E_NS1_11comp_targetILNS1_3genE3ELNS1_11target_archE908ELNS1_3gpuE7ELNS1_3repE0EEENS1_30default_config_static_selectorELNS0_4arch9wavefront6targetE1EEEvSW_,comdat
.Lfunc_end235:
	.size	_ZN7rocprim17ROCPRIM_400000_NS6detail17trampoline_kernelINS0_14default_configENS1_27upper_bound_config_selectorIslEEZNS1_14transform_implILb0ES3_S5_N6thrust23THRUST_200600_302600_NS6detail15normal_iteratorINS8_7pointerIsNS8_11hip_rocprim5par_tENS8_11use_defaultESE_EEEENSA_INSB_IlSD_SE_SE_EEEEZNS1_13binary_searchIS3_S5_PsSG_SI_NS1_21upper_bound_search_opENS9_16wrapped_functionINS8_6system6detail7generic6detail18binary_search_lessEbEEEE10hipError_tPvRmT1_T2_T3_mmT4_T5_P12ihipStream_tbEUlRKsE_EEST_SX_SY_mSZ_S12_bEUlT_E_NS1_11comp_targetILNS1_3genE3ELNS1_11target_archE908ELNS1_3gpuE7ELNS1_3repE0EEENS1_30default_config_static_selectorELNS0_4arch9wavefront6targetE1EEEvSW_, .Lfunc_end235-_ZN7rocprim17ROCPRIM_400000_NS6detail17trampoline_kernelINS0_14default_configENS1_27upper_bound_config_selectorIslEEZNS1_14transform_implILb0ES3_S5_N6thrust23THRUST_200600_302600_NS6detail15normal_iteratorINS8_7pointerIsNS8_11hip_rocprim5par_tENS8_11use_defaultESE_EEEENSA_INSB_IlSD_SE_SE_EEEEZNS1_13binary_searchIS3_S5_PsSG_SI_NS1_21upper_bound_search_opENS9_16wrapped_functionINS8_6system6detail7generic6detail18binary_search_lessEbEEEE10hipError_tPvRmT1_T2_T3_mmT4_T5_P12ihipStream_tbEUlRKsE_EEST_SX_SY_mSZ_S12_bEUlT_E_NS1_11comp_targetILNS1_3genE3ELNS1_11target_archE908ELNS1_3gpuE7ELNS1_3repE0EEENS1_30default_config_static_selectorELNS0_4arch9wavefront6targetE1EEEvSW_
                                        ; -- End function
	.set _ZN7rocprim17ROCPRIM_400000_NS6detail17trampoline_kernelINS0_14default_configENS1_27upper_bound_config_selectorIslEEZNS1_14transform_implILb0ES3_S5_N6thrust23THRUST_200600_302600_NS6detail15normal_iteratorINS8_7pointerIsNS8_11hip_rocprim5par_tENS8_11use_defaultESE_EEEENSA_INSB_IlSD_SE_SE_EEEEZNS1_13binary_searchIS3_S5_PsSG_SI_NS1_21upper_bound_search_opENS9_16wrapped_functionINS8_6system6detail7generic6detail18binary_search_lessEbEEEE10hipError_tPvRmT1_T2_T3_mmT4_T5_P12ihipStream_tbEUlRKsE_EEST_SX_SY_mSZ_S12_bEUlT_E_NS1_11comp_targetILNS1_3genE3ELNS1_11target_archE908ELNS1_3gpuE7ELNS1_3repE0EEENS1_30default_config_static_selectorELNS0_4arch9wavefront6targetE1EEEvSW_.num_vgpr, 0
	.set _ZN7rocprim17ROCPRIM_400000_NS6detail17trampoline_kernelINS0_14default_configENS1_27upper_bound_config_selectorIslEEZNS1_14transform_implILb0ES3_S5_N6thrust23THRUST_200600_302600_NS6detail15normal_iteratorINS8_7pointerIsNS8_11hip_rocprim5par_tENS8_11use_defaultESE_EEEENSA_INSB_IlSD_SE_SE_EEEEZNS1_13binary_searchIS3_S5_PsSG_SI_NS1_21upper_bound_search_opENS9_16wrapped_functionINS8_6system6detail7generic6detail18binary_search_lessEbEEEE10hipError_tPvRmT1_T2_T3_mmT4_T5_P12ihipStream_tbEUlRKsE_EEST_SX_SY_mSZ_S12_bEUlT_E_NS1_11comp_targetILNS1_3genE3ELNS1_11target_archE908ELNS1_3gpuE7ELNS1_3repE0EEENS1_30default_config_static_selectorELNS0_4arch9wavefront6targetE1EEEvSW_.num_agpr, 0
	.set _ZN7rocprim17ROCPRIM_400000_NS6detail17trampoline_kernelINS0_14default_configENS1_27upper_bound_config_selectorIslEEZNS1_14transform_implILb0ES3_S5_N6thrust23THRUST_200600_302600_NS6detail15normal_iteratorINS8_7pointerIsNS8_11hip_rocprim5par_tENS8_11use_defaultESE_EEEENSA_INSB_IlSD_SE_SE_EEEEZNS1_13binary_searchIS3_S5_PsSG_SI_NS1_21upper_bound_search_opENS9_16wrapped_functionINS8_6system6detail7generic6detail18binary_search_lessEbEEEE10hipError_tPvRmT1_T2_T3_mmT4_T5_P12ihipStream_tbEUlRKsE_EEST_SX_SY_mSZ_S12_bEUlT_E_NS1_11comp_targetILNS1_3genE3ELNS1_11target_archE908ELNS1_3gpuE7ELNS1_3repE0EEENS1_30default_config_static_selectorELNS0_4arch9wavefront6targetE1EEEvSW_.numbered_sgpr, 0
	.set _ZN7rocprim17ROCPRIM_400000_NS6detail17trampoline_kernelINS0_14default_configENS1_27upper_bound_config_selectorIslEEZNS1_14transform_implILb0ES3_S5_N6thrust23THRUST_200600_302600_NS6detail15normal_iteratorINS8_7pointerIsNS8_11hip_rocprim5par_tENS8_11use_defaultESE_EEEENSA_INSB_IlSD_SE_SE_EEEEZNS1_13binary_searchIS3_S5_PsSG_SI_NS1_21upper_bound_search_opENS9_16wrapped_functionINS8_6system6detail7generic6detail18binary_search_lessEbEEEE10hipError_tPvRmT1_T2_T3_mmT4_T5_P12ihipStream_tbEUlRKsE_EEST_SX_SY_mSZ_S12_bEUlT_E_NS1_11comp_targetILNS1_3genE3ELNS1_11target_archE908ELNS1_3gpuE7ELNS1_3repE0EEENS1_30default_config_static_selectorELNS0_4arch9wavefront6targetE1EEEvSW_.num_named_barrier, 0
	.set _ZN7rocprim17ROCPRIM_400000_NS6detail17trampoline_kernelINS0_14default_configENS1_27upper_bound_config_selectorIslEEZNS1_14transform_implILb0ES3_S5_N6thrust23THRUST_200600_302600_NS6detail15normal_iteratorINS8_7pointerIsNS8_11hip_rocprim5par_tENS8_11use_defaultESE_EEEENSA_INSB_IlSD_SE_SE_EEEEZNS1_13binary_searchIS3_S5_PsSG_SI_NS1_21upper_bound_search_opENS9_16wrapped_functionINS8_6system6detail7generic6detail18binary_search_lessEbEEEE10hipError_tPvRmT1_T2_T3_mmT4_T5_P12ihipStream_tbEUlRKsE_EEST_SX_SY_mSZ_S12_bEUlT_E_NS1_11comp_targetILNS1_3genE3ELNS1_11target_archE908ELNS1_3gpuE7ELNS1_3repE0EEENS1_30default_config_static_selectorELNS0_4arch9wavefront6targetE1EEEvSW_.private_seg_size, 0
	.set _ZN7rocprim17ROCPRIM_400000_NS6detail17trampoline_kernelINS0_14default_configENS1_27upper_bound_config_selectorIslEEZNS1_14transform_implILb0ES3_S5_N6thrust23THRUST_200600_302600_NS6detail15normal_iteratorINS8_7pointerIsNS8_11hip_rocprim5par_tENS8_11use_defaultESE_EEEENSA_INSB_IlSD_SE_SE_EEEEZNS1_13binary_searchIS3_S5_PsSG_SI_NS1_21upper_bound_search_opENS9_16wrapped_functionINS8_6system6detail7generic6detail18binary_search_lessEbEEEE10hipError_tPvRmT1_T2_T3_mmT4_T5_P12ihipStream_tbEUlRKsE_EEST_SX_SY_mSZ_S12_bEUlT_E_NS1_11comp_targetILNS1_3genE3ELNS1_11target_archE908ELNS1_3gpuE7ELNS1_3repE0EEENS1_30default_config_static_selectorELNS0_4arch9wavefront6targetE1EEEvSW_.uses_vcc, 0
	.set _ZN7rocprim17ROCPRIM_400000_NS6detail17trampoline_kernelINS0_14default_configENS1_27upper_bound_config_selectorIslEEZNS1_14transform_implILb0ES3_S5_N6thrust23THRUST_200600_302600_NS6detail15normal_iteratorINS8_7pointerIsNS8_11hip_rocprim5par_tENS8_11use_defaultESE_EEEENSA_INSB_IlSD_SE_SE_EEEEZNS1_13binary_searchIS3_S5_PsSG_SI_NS1_21upper_bound_search_opENS9_16wrapped_functionINS8_6system6detail7generic6detail18binary_search_lessEbEEEE10hipError_tPvRmT1_T2_T3_mmT4_T5_P12ihipStream_tbEUlRKsE_EEST_SX_SY_mSZ_S12_bEUlT_E_NS1_11comp_targetILNS1_3genE3ELNS1_11target_archE908ELNS1_3gpuE7ELNS1_3repE0EEENS1_30default_config_static_selectorELNS0_4arch9wavefront6targetE1EEEvSW_.uses_flat_scratch, 0
	.set _ZN7rocprim17ROCPRIM_400000_NS6detail17trampoline_kernelINS0_14default_configENS1_27upper_bound_config_selectorIslEEZNS1_14transform_implILb0ES3_S5_N6thrust23THRUST_200600_302600_NS6detail15normal_iteratorINS8_7pointerIsNS8_11hip_rocprim5par_tENS8_11use_defaultESE_EEEENSA_INSB_IlSD_SE_SE_EEEEZNS1_13binary_searchIS3_S5_PsSG_SI_NS1_21upper_bound_search_opENS9_16wrapped_functionINS8_6system6detail7generic6detail18binary_search_lessEbEEEE10hipError_tPvRmT1_T2_T3_mmT4_T5_P12ihipStream_tbEUlRKsE_EEST_SX_SY_mSZ_S12_bEUlT_E_NS1_11comp_targetILNS1_3genE3ELNS1_11target_archE908ELNS1_3gpuE7ELNS1_3repE0EEENS1_30default_config_static_selectorELNS0_4arch9wavefront6targetE1EEEvSW_.has_dyn_sized_stack, 0
	.set _ZN7rocprim17ROCPRIM_400000_NS6detail17trampoline_kernelINS0_14default_configENS1_27upper_bound_config_selectorIslEEZNS1_14transform_implILb0ES3_S5_N6thrust23THRUST_200600_302600_NS6detail15normal_iteratorINS8_7pointerIsNS8_11hip_rocprim5par_tENS8_11use_defaultESE_EEEENSA_INSB_IlSD_SE_SE_EEEEZNS1_13binary_searchIS3_S5_PsSG_SI_NS1_21upper_bound_search_opENS9_16wrapped_functionINS8_6system6detail7generic6detail18binary_search_lessEbEEEE10hipError_tPvRmT1_T2_T3_mmT4_T5_P12ihipStream_tbEUlRKsE_EEST_SX_SY_mSZ_S12_bEUlT_E_NS1_11comp_targetILNS1_3genE3ELNS1_11target_archE908ELNS1_3gpuE7ELNS1_3repE0EEENS1_30default_config_static_selectorELNS0_4arch9wavefront6targetE1EEEvSW_.has_recursion, 0
	.set _ZN7rocprim17ROCPRIM_400000_NS6detail17trampoline_kernelINS0_14default_configENS1_27upper_bound_config_selectorIslEEZNS1_14transform_implILb0ES3_S5_N6thrust23THRUST_200600_302600_NS6detail15normal_iteratorINS8_7pointerIsNS8_11hip_rocprim5par_tENS8_11use_defaultESE_EEEENSA_INSB_IlSD_SE_SE_EEEEZNS1_13binary_searchIS3_S5_PsSG_SI_NS1_21upper_bound_search_opENS9_16wrapped_functionINS8_6system6detail7generic6detail18binary_search_lessEbEEEE10hipError_tPvRmT1_T2_T3_mmT4_T5_P12ihipStream_tbEUlRKsE_EEST_SX_SY_mSZ_S12_bEUlT_E_NS1_11comp_targetILNS1_3genE3ELNS1_11target_archE908ELNS1_3gpuE7ELNS1_3repE0EEENS1_30default_config_static_selectorELNS0_4arch9wavefront6targetE1EEEvSW_.has_indirect_call, 0
	.section	.AMDGPU.csdata,"",@progbits
; Kernel info:
; codeLenInByte = 0
; TotalNumSgprs: 4
; NumVgprs: 0
; ScratchSize: 0
; MemoryBound: 0
; FloatMode: 240
; IeeeMode: 1
; LDSByteSize: 0 bytes/workgroup (compile time only)
; SGPRBlocks: 0
; VGPRBlocks: 0
; NumSGPRsForWavesPerEU: 4
; NumVGPRsForWavesPerEU: 1
; Occupancy: 10
; WaveLimiterHint : 0
; COMPUTE_PGM_RSRC2:SCRATCH_EN: 0
; COMPUTE_PGM_RSRC2:USER_SGPR: 6
; COMPUTE_PGM_RSRC2:TRAP_HANDLER: 0
; COMPUTE_PGM_RSRC2:TGID_X_EN: 1
; COMPUTE_PGM_RSRC2:TGID_Y_EN: 0
; COMPUTE_PGM_RSRC2:TGID_Z_EN: 0
; COMPUTE_PGM_RSRC2:TIDIG_COMP_CNT: 0
	.section	.text._ZN7rocprim17ROCPRIM_400000_NS6detail17trampoline_kernelINS0_14default_configENS1_27upper_bound_config_selectorIslEEZNS1_14transform_implILb0ES3_S5_N6thrust23THRUST_200600_302600_NS6detail15normal_iteratorINS8_7pointerIsNS8_11hip_rocprim5par_tENS8_11use_defaultESE_EEEENSA_INSB_IlSD_SE_SE_EEEEZNS1_13binary_searchIS3_S5_PsSG_SI_NS1_21upper_bound_search_opENS9_16wrapped_functionINS8_6system6detail7generic6detail18binary_search_lessEbEEEE10hipError_tPvRmT1_T2_T3_mmT4_T5_P12ihipStream_tbEUlRKsE_EEST_SX_SY_mSZ_S12_bEUlT_E_NS1_11comp_targetILNS1_3genE2ELNS1_11target_archE906ELNS1_3gpuE6ELNS1_3repE0EEENS1_30default_config_static_selectorELNS0_4arch9wavefront6targetE1EEEvSW_,"axG",@progbits,_ZN7rocprim17ROCPRIM_400000_NS6detail17trampoline_kernelINS0_14default_configENS1_27upper_bound_config_selectorIslEEZNS1_14transform_implILb0ES3_S5_N6thrust23THRUST_200600_302600_NS6detail15normal_iteratorINS8_7pointerIsNS8_11hip_rocprim5par_tENS8_11use_defaultESE_EEEENSA_INSB_IlSD_SE_SE_EEEEZNS1_13binary_searchIS3_S5_PsSG_SI_NS1_21upper_bound_search_opENS9_16wrapped_functionINS8_6system6detail7generic6detail18binary_search_lessEbEEEE10hipError_tPvRmT1_T2_T3_mmT4_T5_P12ihipStream_tbEUlRKsE_EEST_SX_SY_mSZ_S12_bEUlT_E_NS1_11comp_targetILNS1_3genE2ELNS1_11target_archE906ELNS1_3gpuE6ELNS1_3repE0EEENS1_30default_config_static_selectorELNS0_4arch9wavefront6targetE1EEEvSW_,comdat
	.protected	_ZN7rocprim17ROCPRIM_400000_NS6detail17trampoline_kernelINS0_14default_configENS1_27upper_bound_config_selectorIslEEZNS1_14transform_implILb0ES3_S5_N6thrust23THRUST_200600_302600_NS6detail15normal_iteratorINS8_7pointerIsNS8_11hip_rocprim5par_tENS8_11use_defaultESE_EEEENSA_INSB_IlSD_SE_SE_EEEEZNS1_13binary_searchIS3_S5_PsSG_SI_NS1_21upper_bound_search_opENS9_16wrapped_functionINS8_6system6detail7generic6detail18binary_search_lessEbEEEE10hipError_tPvRmT1_T2_T3_mmT4_T5_P12ihipStream_tbEUlRKsE_EEST_SX_SY_mSZ_S12_bEUlT_E_NS1_11comp_targetILNS1_3genE2ELNS1_11target_archE906ELNS1_3gpuE6ELNS1_3repE0EEENS1_30default_config_static_selectorELNS0_4arch9wavefront6targetE1EEEvSW_ ; -- Begin function _ZN7rocprim17ROCPRIM_400000_NS6detail17trampoline_kernelINS0_14default_configENS1_27upper_bound_config_selectorIslEEZNS1_14transform_implILb0ES3_S5_N6thrust23THRUST_200600_302600_NS6detail15normal_iteratorINS8_7pointerIsNS8_11hip_rocprim5par_tENS8_11use_defaultESE_EEEENSA_INSB_IlSD_SE_SE_EEEEZNS1_13binary_searchIS3_S5_PsSG_SI_NS1_21upper_bound_search_opENS9_16wrapped_functionINS8_6system6detail7generic6detail18binary_search_lessEbEEEE10hipError_tPvRmT1_T2_T3_mmT4_T5_P12ihipStream_tbEUlRKsE_EEST_SX_SY_mSZ_S12_bEUlT_E_NS1_11comp_targetILNS1_3genE2ELNS1_11target_archE906ELNS1_3gpuE6ELNS1_3repE0EEENS1_30default_config_static_selectorELNS0_4arch9wavefront6targetE1EEEvSW_
	.globl	_ZN7rocprim17ROCPRIM_400000_NS6detail17trampoline_kernelINS0_14default_configENS1_27upper_bound_config_selectorIslEEZNS1_14transform_implILb0ES3_S5_N6thrust23THRUST_200600_302600_NS6detail15normal_iteratorINS8_7pointerIsNS8_11hip_rocprim5par_tENS8_11use_defaultESE_EEEENSA_INSB_IlSD_SE_SE_EEEEZNS1_13binary_searchIS3_S5_PsSG_SI_NS1_21upper_bound_search_opENS9_16wrapped_functionINS8_6system6detail7generic6detail18binary_search_lessEbEEEE10hipError_tPvRmT1_T2_T3_mmT4_T5_P12ihipStream_tbEUlRKsE_EEST_SX_SY_mSZ_S12_bEUlT_E_NS1_11comp_targetILNS1_3genE2ELNS1_11target_archE906ELNS1_3gpuE6ELNS1_3repE0EEENS1_30default_config_static_selectorELNS0_4arch9wavefront6targetE1EEEvSW_
	.p2align	8
	.type	_ZN7rocprim17ROCPRIM_400000_NS6detail17trampoline_kernelINS0_14default_configENS1_27upper_bound_config_selectorIslEEZNS1_14transform_implILb0ES3_S5_N6thrust23THRUST_200600_302600_NS6detail15normal_iteratorINS8_7pointerIsNS8_11hip_rocprim5par_tENS8_11use_defaultESE_EEEENSA_INSB_IlSD_SE_SE_EEEEZNS1_13binary_searchIS3_S5_PsSG_SI_NS1_21upper_bound_search_opENS9_16wrapped_functionINS8_6system6detail7generic6detail18binary_search_lessEbEEEE10hipError_tPvRmT1_T2_T3_mmT4_T5_P12ihipStream_tbEUlRKsE_EEST_SX_SY_mSZ_S12_bEUlT_E_NS1_11comp_targetILNS1_3genE2ELNS1_11target_archE906ELNS1_3gpuE6ELNS1_3repE0EEENS1_30default_config_static_selectorELNS0_4arch9wavefront6targetE1EEEvSW_,@function
_ZN7rocprim17ROCPRIM_400000_NS6detail17trampoline_kernelINS0_14default_configENS1_27upper_bound_config_selectorIslEEZNS1_14transform_implILb0ES3_S5_N6thrust23THRUST_200600_302600_NS6detail15normal_iteratorINS8_7pointerIsNS8_11hip_rocprim5par_tENS8_11use_defaultESE_EEEENSA_INSB_IlSD_SE_SE_EEEEZNS1_13binary_searchIS3_S5_PsSG_SI_NS1_21upper_bound_search_opENS9_16wrapped_functionINS8_6system6detail7generic6detail18binary_search_lessEbEEEE10hipError_tPvRmT1_T2_T3_mmT4_T5_P12ihipStream_tbEUlRKsE_EEST_SX_SY_mSZ_S12_bEUlT_E_NS1_11comp_targetILNS1_3genE2ELNS1_11target_archE906ELNS1_3gpuE6ELNS1_3repE0EEENS1_30default_config_static_selectorELNS0_4arch9wavefront6targetE1EEEvSW_: ; @_ZN7rocprim17ROCPRIM_400000_NS6detail17trampoline_kernelINS0_14default_configENS1_27upper_bound_config_selectorIslEEZNS1_14transform_implILb0ES3_S5_N6thrust23THRUST_200600_302600_NS6detail15normal_iteratorINS8_7pointerIsNS8_11hip_rocprim5par_tENS8_11use_defaultESE_EEEENSA_INSB_IlSD_SE_SE_EEEEZNS1_13binary_searchIS3_S5_PsSG_SI_NS1_21upper_bound_search_opENS9_16wrapped_functionINS8_6system6detail7generic6detail18binary_search_lessEbEEEE10hipError_tPvRmT1_T2_T3_mmT4_T5_P12ihipStream_tbEUlRKsE_EEST_SX_SY_mSZ_S12_bEUlT_E_NS1_11comp_targetILNS1_3genE2ELNS1_11target_archE906ELNS1_3gpuE6ELNS1_3repE0EEENS1_30default_config_static_selectorELNS0_4arch9wavefront6targetE1EEEvSW_
; %bb.0:
	s_load_dwordx8 s[8:15], s[4:5], 0x0
	s_load_dwordx4 s[16:19], s[4:5], 0x20
	s_load_dword s2, s[4:5], 0x38
	s_waitcnt lgkmcnt(0)
	s_lshl_b64 s[0:1], s[10:11], 1
	s_add_u32 s3, s8, s0
	s_addc_u32 s4, s9, s1
	s_lshl_b64 s[0:1], s[10:11], 3
	s_add_u32 s20, s14, s0
	s_addc_u32 s21, s15, s1
	s_lshl_b32 s8, s6, 10
	s_mov_b32 s9, 0
	s_add_i32 s2, s2, -1
	s_lshl_b64 s[0:1], s[8:9], 1
	s_add_u32 s13, s3, s0
	s_addc_u32 s14, s4, s1
	s_cmp_lg_u32 s6, s2
	s_cbranch_scc0 .LBB236_14
; %bb.1:
	v_lshlrev_b32_e32 v1, 1, v0
	v_mov_b32_e32 v2, s14
	v_add_co_u32_e32 v1, vcc, s13, v1
	v_addc_co_u32_e32 v2, vcc, 0, v2, vcc
	flat_load_ushort v7, v[1:2] offset:512
	flat_load_ushort v9, v[1:2] offset:1024
	;; [unrolled: 1-line block ×3, first 2 shown]
	s_cmp_lg_u64 s[18:19], 0
	s_cselect_b64 s[2:3], -1, 0
	s_cmp_eq_u64 s[18:19], 0
	s_mov_b64 s[0:1], 0
	s_cbranch_scc1 .LBB236_15
; %bb.2:
	flat_load_ushort v5, v[1:2]
	v_mov_b32_e32 v1, 0
	v_mov_b32_e32 v3, s18
	;; [unrolled: 1-line block ×5, first 2 shown]
.LBB236_3:                              ; =>This Inner Loop Header: Depth=1
	v_sub_co_u32_e32 v12, vcc, v3, v1
	v_subb_co_u32_e32 v13, vcc, v4, v2, vcc
	v_lshrrev_b64 v[14:15], 1, v[12:13]
	v_lshrrev_b64 v[12:13], 6, v[12:13]
	v_add_co_u32_e32 v8, vcc, v14, v1
	v_addc_co_u32_e32 v10, vcc, v15, v2, vcc
	v_add_co_u32_e32 v12, vcc, v8, v12
	v_addc_co_u32_e32 v13, vcc, v10, v13, vcc
	v_lshlrev_b64 v[14:15], 1, v[12:13]
	v_add_co_u32_e32 v14, vcc, s16, v14
	v_addc_co_u32_e32 v15, vcc, v6, v15, vcc
	global_load_ushort v8, v[14:15], off
	v_add_co_u32_e32 v10, vcc, 1, v12
	v_addc_co_u32_e32 v14, vcc, 0, v13, vcc
	s_waitcnt vmcnt(0) lgkmcnt(0)
	v_cmp_lt_i16_e32 vcc, v5, v8
	v_cndmask_b32_e32 v4, v4, v13, vcc
	v_cndmask_b32_e32 v3, v3, v12, vcc
	;; [unrolled: 1-line block ×4, first 2 shown]
	v_cmp_ge_u64_e32 vcc, v[1:2], v[3:4]
	s_or_b64 s[0:1], vcc, s[0:1]
	s_andn2_b64 exec, exec, s[0:1]
	s_cbranch_execnz .LBB236_3
; %bb.4:
	s_or_b64 exec, exec, s[0:1]
	v_cndmask_b32_e64 v3, 0, 1, s[2:3]
	v_cmp_ne_u32_e64 s[0:1], 1, v3
	s_andn2_b64 vcc, exec, s[2:3]
	s_cbranch_vccnz .LBB236_16
.LBB236_5:
	v_mov_b32_e32 v3, 0
	v_mov_b32_e32 v5, s18
	s_mov_b64 s[2:3], 0
	v_mov_b32_e32 v4, 0
	v_mov_b32_e32 v6, s19
	;; [unrolled: 1-line block ×3, first 2 shown]
.LBB236_6:                              ; =>This Inner Loop Header: Depth=1
	v_sub_co_u32_e32 v12, vcc, v5, v3
	v_subb_co_u32_e32 v13, vcc, v6, v4, vcc
	v_lshrrev_b64 v[14:15], 1, v[12:13]
	v_lshrrev_b64 v[12:13], 6, v[12:13]
	v_add_co_u32_e32 v10, vcc, v14, v3
	v_addc_co_u32_e32 v14, vcc, v15, v4, vcc
	v_add_co_u32_e32 v12, vcc, v10, v12
	v_addc_co_u32_e32 v13, vcc, v14, v13, vcc
	v_lshlrev_b64 v[14:15], 1, v[12:13]
	v_add_co_u32_e32 v14, vcc, s16, v14
	v_addc_co_u32_e32 v15, vcc, v8, v15, vcc
	global_load_ushort v10, v[14:15], off
	v_add_co_u32_e32 v14, vcc, 1, v12
	v_addc_co_u32_e32 v15, vcc, 0, v13, vcc
	s_waitcnt vmcnt(0) lgkmcnt(0)
	v_cmp_lt_i16_e32 vcc, v7, v10
	v_cndmask_b32_e32 v6, v6, v13, vcc
	v_cndmask_b32_e32 v5, v5, v12, vcc
	;; [unrolled: 1-line block ×4, first 2 shown]
	v_cmp_ge_u64_e32 vcc, v[3:4], v[5:6]
	s_or_b64 s[2:3], vcc, s[2:3]
	s_andn2_b64 exec, exec, s[2:3]
	s_cbranch_execnz .LBB236_6
; %bb.7:
	s_or_b64 exec, exec, s[2:3]
	s_and_b64 vcc, exec, s[0:1]
	s_cbranch_vccnz .LBB236_17
.LBB236_8:
	v_mov_b32_e32 v5, 0
	s_waitcnt vmcnt(0) lgkmcnt(0)
	v_mov_b32_e32 v7, s18
	s_mov_b64 s[2:3], 0
	v_mov_b32_e32 v6, 0
	v_mov_b32_e32 v8, s19
	;; [unrolled: 1-line block ×3, first 2 shown]
.LBB236_9:                              ; =>This Inner Loop Header: Depth=1
	v_sub_co_u32_e32 v12, vcc, v7, v5
	v_subb_co_u32_e32 v13, vcc, v8, v6, vcc
	v_lshrrev_b64 v[14:15], 1, v[12:13]
	v_lshrrev_b64 v[12:13], 6, v[12:13]
	v_add_co_u32_e32 v14, vcc, v14, v5
	v_addc_co_u32_e32 v15, vcc, v15, v6, vcc
	v_add_co_u32_e32 v12, vcc, v14, v12
	v_addc_co_u32_e32 v13, vcc, v15, v13, vcc
	v_lshlrev_b64 v[14:15], 1, v[12:13]
	v_add_co_u32_e32 v14, vcc, s16, v14
	v_addc_co_u32_e32 v15, vcc, v10, v15, vcc
	global_load_ushort v14, v[14:15], off
	v_add_co_u32_e32 v15, vcc, 1, v12
	v_addc_co_u32_e32 v16, vcc, 0, v13, vcc
	s_waitcnt vmcnt(0)
	v_cmp_lt_i16_e32 vcc, v9, v14
	v_cndmask_b32_e32 v8, v8, v13, vcc
	v_cndmask_b32_e32 v7, v7, v12, vcc
	;; [unrolled: 1-line block ×4, first 2 shown]
	v_cmp_ge_u64_e32 vcc, v[5:6], v[7:8]
	s_or_b64 s[2:3], vcc, s[2:3]
	s_andn2_b64 exec, exec, s[2:3]
	s_cbranch_execnz .LBB236_9
; %bb.10:
	s_or_b64 exec, exec, s[2:3]
	s_and_b64 vcc, exec, s[0:1]
	s_cbranch_vccnz .LBB236_18
.LBB236_11:
	s_waitcnt vmcnt(0) lgkmcnt(0)
	v_mov_b32_e32 v7, 0
	v_mov_b32_e32 v9, s18
	s_mov_b64 s[0:1], 0
	v_mov_b32_e32 v8, 0
	v_mov_b32_e32 v10, s19
	;; [unrolled: 1-line block ×3, first 2 shown]
.LBB236_12:                             ; =>This Inner Loop Header: Depth=1
	v_sub_co_u32_e32 v13, vcc, v9, v7
	v_subb_co_u32_e32 v14, vcc, v10, v8, vcc
	v_lshrrev_b64 v[15:16], 1, v[13:14]
	v_lshrrev_b64 v[13:14], 6, v[13:14]
	v_add_co_u32_e32 v15, vcc, v15, v7
	v_addc_co_u32_e32 v16, vcc, v16, v8, vcc
	v_add_co_u32_e32 v13, vcc, v15, v13
	v_addc_co_u32_e32 v14, vcc, v16, v14, vcc
	v_lshlrev_b64 v[15:16], 1, v[13:14]
	v_add_co_u32_e32 v15, vcc, s16, v15
	v_addc_co_u32_e32 v16, vcc, v12, v16, vcc
	global_load_ushort v15, v[15:16], off
	v_add_co_u32_e32 v16, vcc, 1, v13
	v_addc_co_u32_e32 v17, vcc, 0, v14, vcc
	s_waitcnt vmcnt(0)
	v_cmp_lt_i16_e32 vcc, v11, v15
	v_cndmask_b32_e32 v10, v10, v14, vcc
	v_cndmask_b32_e32 v9, v9, v13, vcc
	;; [unrolled: 1-line block ×4, first 2 shown]
	v_cmp_ge_u64_e32 vcc, v[7:8], v[9:10]
	s_or_b64 s[0:1], vcc, s[0:1]
	s_andn2_b64 exec, exec, s[0:1]
	s_cbranch_execnz .LBB236_12
; %bb.13:
	s_or_b64 exec, exec, s[0:1]
	s_branch .LBB236_19
.LBB236_14:
	s_mov_b64 s[6:7], 0
                                        ; implicit-def: $vgpr7_vgpr8
                                        ; implicit-def: $vgpr11_vgpr12
	s_cbranch_execnz .LBB236_20
	s_branch .LBB236_59
.LBB236_15:
	v_mov_b32_e32 v1, 0
	v_mov_b32_e32 v2, 0
	v_cndmask_b32_e64 v3, 0, 1, s[2:3]
	v_cmp_ne_u32_e64 s[0:1], 1, v3
	s_andn2_b64 vcc, exec, s[2:3]
	s_cbranch_vccz .LBB236_5
.LBB236_16:
	v_mov_b32_e32 v3, 0
	v_mov_b32_e32 v4, 0
	s_and_b64 vcc, exec, s[0:1]
	s_cbranch_vccz .LBB236_8
.LBB236_17:
	v_mov_b32_e32 v5, 0
	v_mov_b32_e32 v6, 0
	s_and_b64 vcc, exec, s[0:1]
	s_cbranch_vccz .LBB236_11
.LBB236_18:
	s_waitcnt vmcnt(0) lgkmcnt(0)
	v_mov_b32_e32 v7, 0
	v_mov_b32_e32 v8, 0
.LBB236_19:
	s_lshl_b64 s[0:1], s[8:9], 3
	s_add_u32 s0, s20, s0
	s_addc_u32 s1, s21, s1
	v_lshlrev_b32_e32 v9, 3, v0
	v_mov_b32_e32 v10, s1
	v_add_co_u32_e32 v11, vcc, s0, v9
	v_addc_co_u32_e32 v12, vcc, 0, v10, vcc
	flat_store_dwordx2 v[11:12], v[1:2]
	flat_store_dwordx2 v[11:12], v[3:4] offset:2048
	v_add_co_u32_e32 v1, vcc, 0x1000, v11
	v_addc_co_u32_e32 v2, vcc, 0, v12, vcc
	flat_store_dwordx2 v[1:2], v[5:6]
	s_mov_b64 s[6:7], -1
	s_branch .LBB236_59
.LBB236_20:
	s_sub_i32 s10, s12, s8
	v_mov_b32_e32 v1, 0
	v_cmp_gt_u32_e64 s[0:1], s10, v0
	v_mov_b32_e32 v2, v1
	s_and_saveexec_b64 s[2:3], s[0:1]
	s_cbranch_execz .LBB236_22
; %bb.21:
	v_lshlrev_b32_e32 v2, 1, v0
	v_mov_b32_e32 v3, s14
	v_add_co_u32_e32 v2, vcc, s13, v2
	v_addc_co_u32_e32 v3, vcc, 0, v3, vcc
	flat_load_ushort v2, v[2:3]
	v_mov_b32_e32 v3, v1
	s_waitcnt vmcnt(0) lgkmcnt(0)
	v_and_b32_e32 v2, 0xffff, v2
	v_mov_b32_e32 v1, v2
	v_mov_b32_e32 v2, v3
.LBB236_22:
	s_or_b64 exec, exec, s[2:3]
	v_or_b32_e32 v3, 0x100, v0
	v_cmp_gt_u32_e64 s[2:3], s10, v3
	s_and_saveexec_b64 s[4:5], s[2:3]
	s_cbranch_execz .LBB236_24
; %bb.23:
	v_lshlrev_b32_e32 v3, 1, v0
	v_mov_b32_e32 v4, s14
	v_add_co_u32_e32 v3, vcc, s13, v3
	v_addc_co_u32_e32 v4, vcc, 0, v4, vcc
	flat_load_ushort v3, v[3:4] offset:512
	s_mov_b32 s6, 0x5040100
	s_waitcnt vmcnt(0) lgkmcnt(0)
	v_perm_b32 v1, v3, v1, s6
.LBB236_24:
	s_or_b64 exec, exec, s[4:5]
	v_or_b32_e32 v3, 0x200, v0
	v_cmp_gt_u32_e64 s[4:5], s10, v3
	s_and_saveexec_b64 s[6:7], s[4:5]
	s_cbranch_execz .LBB236_26
; %bb.25:
	v_lshlrev_b32_e32 v3, 1, v0
	v_mov_b32_e32 v4, s14
	v_add_co_u32_e32 v3, vcc, s13, v3
	v_addc_co_u32_e32 v4, vcc, 0, v4, vcc
	flat_load_ushort v3, v[3:4] offset:1024
	s_mov_b32 s11, 0xffff
	s_waitcnt vmcnt(0) lgkmcnt(0)
	v_bfi_b32 v2, s11, v3, v2
.LBB236_26:
	s_or_b64 exec, exec, s[6:7]
	v_or_b32_e32 v3, 0x300, v0
	v_cmp_gt_u32_e64 s[6:7], s10, v3
	s_and_saveexec_b64 s[10:11], s[6:7]
	s_cbranch_execz .LBB236_28
; %bb.27:
	v_lshlrev_b32_e32 v3, 1, v0
	v_mov_b32_e32 v4, s14
	v_add_co_u32_e32 v3, vcc, s13, v3
	v_addc_co_u32_e32 v4, vcc, 0, v4, vcc
	flat_load_ushort v3, v[3:4] offset:1536
	s_mov_b32 s12, 0x5040100
	s_waitcnt vmcnt(0) lgkmcnt(0)
	v_perm_b32 v2, v3, v2, s12
.LBB236_28:
	s_or_b64 exec, exec, s[10:11]
	s_cmp_lg_u64 s[18:19], 0
	s_cselect_b64 s[10:11], -1, 0
                                        ; implicit-def: $vgpr3_vgpr4
	s_and_saveexec_b64 s[12:13], s[0:1]
	s_cbranch_execnz .LBB236_32
; %bb.29:
	s_or_b64 exec, exec, s[12:13]
                                        ; implicit-def: $vgpr5_vgpr6
	s_and_saveexec_b64 s[12:13], s[2:3]
	s_cbranch_execnz .LBB236_37
.LBB236_30:
	s_or_b64 exec, exec, s[12:13]
                                        ; implicit-def: $vgpr9_vgpr10
	s_and_saveexec_b64 s[12:13], s[4:5]
	s_cbranch_execnz .LBB236_42
.LBB236_31:
	s_or_b64 exec, exec, s[12:13]
                                        ; implicit-def: $vgpr7_vgpr8
	s_and_saveexec_b64 s[12:13], s[6:7]
	s_cbranch_execnz .LBB236_47
	s_branch .LBB236_52
.LBB236_32:
	s_andn2_b64 vcc, exec, s[10:11]
	s_cbranch_vccnz .LBB236_36
; %bb.33:
	v_mov_b32_e32 v3, 0
	v_mov_b32_e32 v5, s18
	s_mov_b64 s[14:15], 0
	v_mov_b32_e32 v4, 0
	v_mov_b32_e32 v6, s19
	;; [unrolled: 1-line block ×3, first 2 shown]
.LBB236_34:                             ; =>This Inner Loop Header: Depth=1
	v_sub_co_u32_e32 v8, vcc, v5, v3
	v_subb_co_u32_e32 v9, vcc, v6, v4, vcc
	v_lshrrev_b64 v[10:11], 1, v[8:9]
	v_lshrrev_b64 v[8:9], 6, v[8:9]
	v_add_co_u32_e32 v10, vcc, v10, v3
	v_addc_co_u32_e32 v11, vcc, v11, v4, vcc
	v_add_co_u32_e32 v8, vcc, v10, v8
	v_addc_co_u32_e32 v9, vcc, v11, v9, vcc
	v_lshlrev_b64 v[10:11], 1, v[8:9]
	v_add_co_u32_e32 v10, vcc, s16, v10
	v_addc_co_u32_e32 v11, vcc, v7, v11, vcc
	global_load_ushort v10, v[10:11], off
	v_add_co_u32_e32 v11, vcc, 1, v8
	v_addc_co_u32_e32 v12, vcc, 0, v9, vcc
	s_waitcnt vmcnt(0)
	v_cmp_lt_i16_e32 vcc, v1, v10
	v_cndmask_b32_e32 v6, v6, v9, vcc
	v_cndmask_b32_e32 v5, v5, v8, vcc
	;; [unrolled: 1-line block ×4, first 2 shown]
	v_cmp_ge_u64_e32 vcc, v[3:4], v[5:6]
	s_or_b64 s[14:15], vcc, s[14:15]
	s_andn2_b64 exec, exec, s[14:15]
	s_cbranch_execnz .LBB236_34
; %bb.35:
	s_or_b64 exec, exec, s[14:15]
	s_or_b64 exec, exec, s[12:13]
                                        ; implicit-def: $vgpr5_vgpr6
	s_and_saveexec_b64 s[12:13], s[2:3]
	s_cbranch_execz .LBB236_30
	s_branch .LBB236_37
.LBB236_36:
	v_mov_b32_e32 v3, 0
	v_mov_b32_e32 v4, 0
	s_or_b64 exec, exec, s[12:13]
                                        ; implicit-def: $vgpr5_vgpr6
	s_and_saveexec_b64 s[12:13], s[2:3]
	s_cbranch_execz .LBB236_30
.LBB236_37:
	s_andn2_b64 vcc, exec, s[10:11]
	s_cbranch_vccnz .LBB236_41
; %bb.38:
	v_mov_b32_e32 v5, 0
	v_mov_b32_e32 v7, s18
	s_mov_b64 s[14:15], 0
	v_mov_b32_e32 v6, 0
	v_mov_b32_e32 v8, s19
	;; [unrolled: 1-line block ×3, first 2 shown]
.LBB236_39:                             ; =>This Inner Loop Header: Depth=1
	v_sub_co_u32_e32 v10, vcc, v7, v5
	v_subb_co_u32_e32 v11, vcc, v8, v6, vcc
	v_lshrrev_b64 v[12:13], 1, v[10:11]
	v_lshrrev_b64 v[10:11], 6, v[10:11]
	v_add_co_u32_e32 v12, vcc, v12, v5
	v_addc_co_u32_e32 v13, vcc, v13, v6, vcc
	v_add_co_u32_e32 v10, vcc, v12, v10
	v_addc_co_u32_e32 v11, vcc, v13, v11, vcc
	v_lshlrev_b64 v[12:13], 1, v[10:11]
	v_add_co_u32_e32 v12, vcc, s16, v12
	v_addc_co_u32_e32 v13, vcc, v9, v13, vcc
	global_load_ushort v12, v[12:13], off
	v_add_co_u32_e32 v13, vcc, 1, v10
	v_addc_co_u32_e32 v14, vcc, 0, v11, vcc
	s_waitcnt vmcnt(0)
	v_cmp_lt_i16_sdwa vcc, v1, v12 src0_sel:WORD_1 src1_sel:DWORD
	v_cndmask_b32_e32 v8, v8, v11, vcc
	v_cndmask_b32_e32 v7, v7, v10, vcc
	;; [unrolled: 1-line block ×4, first 2 shown]
	v_cmp_ge_u64_e32 vcc, v[5:6], v[7:8]
	s_or_b64 s[14:15], vcc, s[14:15]
	s_andn2_b64 exec, exec, s[14:15]
	s_cbranch_execnz .LBB236_39
; %bb.40:
	s_or_b64 exec, exec, s[14:15]
	s_or_b64 exec, exec, s[12:13]
                                        ; implicit-def: $vgpr9_vgpr10
	s_and_saveexec_b64 s[12:13], s[4:5]
	s_cbranch_execz .LBB236_31
	s_branch .LBB236_42
.LBB236_41:
	v_mov_b32_e32 v5, 0
	v_mov_b32_e32 v6, 0
	s_or_b64 exec, exec, s[12:13]
                                        ; implicit-def: $vgpr9_vgpr10
	s_and_saveexec_b64 s[12:13], s[4:5]
	s_cbranch_execz .LBB236_31
.LBB236_42:
	s_andn2_b64 vcc, exec, s[10:11]
	s_cbranch_vccnz .LBB236_46
; %bb.43:
	v_mov_b32_e32 v9, 0
	v_mov_b32_e32 v7, s18
	s_mov_b64 s[14:15], 0
	v_mov_b32_e32 v10, 0
	v_mov_b32_e32 v8, s19
	;; [unrolled: 1-line block ×3, first 2 shown]
.LBB236_44:                             ; =>This Inner Loop Header: Depth=1
	v_sub_co_u32_e32 v11, vcc, v7, v9
	v_subb_co_u32_e32 v12, vcc, v8, v10, vcc
	v_lshrrev_b64 v[13:14], 1, v[11:12]
	v_lshrrev_b64 v[11:12], 6, v[11:12]
	v_add_co_u32_e32 v13, vcc, v13, v9
	v_addc_co_u32_e32 v14, vcc, v14, v10, vcc
	v_add_co_u32_e32 v11, vcc, v13, v11
	v_addc_co_u32_e32 v12, vcc, v14, v12, vcc
	v_lshlrev_b64 v[13:14], 1, v[11:12]
	v_add_co_u32_e32 v13, vcc, s16, v13
	v_addc_co_u32_e32 v14, vcc, v1, v14, vcc
	global_load_ushort v13, v[13:14], off
	v_add_co_u32_e32 v14, vcc, 1, v11
	v_addc_co_u32_e32 v15, vcc, 0, v12, vcc
	s_waitcnt vmcnt(0)
	v_cmp_lt_i16_e32 vcc, v2, v13
	v_cndmask_b32_e32 v8, v8, v12, vcc
	v_cndmask_b32_e32 v7, v7, v11, vcc
	;; [unrolled: 1-line block ×4, first 2 shown]
	v_cmp_ge_u64_e32 vcc, v[9:10], v[7:8]
	s_or_b64 s[14:15], vcc, s[14:15]
	s_andn2_b64 exec, exec, s[14:15]
	s_cbranch_execnz .LBB236_44
; %bb.45:
	s_or_b64 exec, exec, s[14:15]
	s_or_b64 exec, exec, s[12:13]
                                        ; implicit-def: $vgpr7_vgpr8
	s_and_saveexec_b64 s[12:13], s[6:7]
	s_cbranch_execnz .LBB236_47
	s_branch .LBB236_52
.LBB236_46:
	v_mov_b32_e32 v9, 0
	v_mov_b32_e32 v10, 0
	s_or_b64 exec, exec, s[12:13]
                                        ; implicit-def: $vgpr7_vgpr8
	s_and_saveexec_b64 s[12:13], s[6:7]
	s_cbranch_execz .LBB236_52
.LBB236_47:
	s_andn2_b64 vcc, exec, s[10:11]
	s_cbranch_vccnz .LBB236_51
; %bb.48:
	v_mov_b32_e32 v7, 0
	v_mov_b32_e32 v11, s18
	s_mov_b64 s[10:11], 0
	v_mov_b32_e32 v8, 0
	v_mov_b32_e32 v12, s19
	;; [unrolled: 1-line block ×3, first 2 shown]
.LBB236_49:                             ; =>This Inner Loop Header: Depth=1
	v_sub_co_u32_e32 v13, vcc, v11, v7
	v_subb_co_u32_e32 v14, vcc, v12, v8, vcc
	v_lshrrev_b64 v[15:16], 1, v[13:14]
	v_lshrrev_b64 v[13:14], 6, v[13:14]
	v_add_co_u32_e32 v15, vcc, v15, v7
	v_addc_co_u32_e32 v16, vcc, v16, v8, vcc
	v_add_co_u32_e32 v13, vcc, v15, v13
	v_addc_co_u32_e32 v14, vcc, v16, v14, vcc
	v_lshlrev_b64 v[15:16], 1, v[13:14]
	v_add_co_u32_e32 v15, vcc, s16, v15
	v_addc_co_u32_e32 v16, vcc, v1, v16, vcc
	global_load_ushort v15, v[15:16], off
	v_add_co_u32_e32 v16, vcc, 1, v13
	v_addc_co_u32_e32 v17, vcc, 0, v14, vcc
	s_waitcnt vmcnt(0)
	v_cmp_lt_i16_sdwa vcc, v2, v15 src0_sel:WORD_1 src1_sel:DWORD
	v_cndmask_b32_e32 v12, v12, v14, vcc
	v_cndmask_b32_e32 v11, v11, v13, vcc
	;; [unrolled: 1-line block ×4, first 2 shown]
	v_cmp_ge_u64_e32 vcc, v[7:8], v[11:12]
	s_or_b64 s[10:11], vcc, s[10:11]
	s_andn2_b64 exec, exec, s[10:11]
	s_cbranch_execnz .LBB236_49
; %bb.50:
	s_or_b64 exec, exec, s[10:11]
	s_branch .LBB236_52
.LBB236_51:
	v_mov_b32_e32 v7, 0
	v_mov_b32_e32 v8, 0
.LBB236_52:
	s_or_b64 exec, exec, s[12:13]
	s_lshl_b64 s[8:9], s[8:9], 3
	s_add_u32 s8, s20, s8
	s_addc_u32 s9, s21, s9
	v_lshlrev_b32_e32 v0, 3, v0
	v_mov_b32_e32 v1, s9
	v_add_co_u32_e32 v11, vcc, s8, v0
	v_addc_co_u32_e32 v12, vcc, 0, v1, vcc
	s_and_saveexec_b64 s[8:9], s[0:1]
	s_xor_b64 s[0:1], exec, s[8:9]
	s_cbranch_execz .LBB236_54
; %bb.53:
	flat_store_dwordx2 v[11:12], v[3:4]
.LBB236_54:
	s_or_b64 exec, exec, s[0:1]
	s_and_saveexec_b64 s[0:1], s[2:3]
	s_cbranch_execz .LBB236_56
; %bb.55:
	flat_store_dwordx2 v[11:12], v[5:6] offset:2048
.LBB236_56:
	s_or_b64 exec, exec, s[0:1]
	s_and_saveexec_b64 s[0:1], s[4:5]
	s_cbranch_execz .LBB236_58
; %bb.57:
	v_add_co_u32_e32 v0, vcc, 0x1000, v11
	v_addc_co_u32_e32 v1, vcc, 0, v12, vcc
	flat_store_dwordx2 v[0:1], v[9:10]
.LBB236_58:
	s_or_b64 exec, exec, s[0:1]
.LBB236_59:
	s_and_saveexec_b64 s[0:1], s[6:7]
	s_cbranch_execnz .LBB236_61
; %bb.60:
	s_endpgm
.LBB236_61:
	v_add_co_u32_e32 v0, vcc, 0x1000, v11
	v_addc_co_u32_e32 v1, vcc, 0, v12, vcc
	flat_store_dwordx2 v[0:1], v[7:8] offset:2048
	s_endpgm
	.section	.rodata,"a",@progbits
	.p2align	6, 0x0
	.amdhsa_kernel _ZN7rocprim17ROCPRIM_400000_NS6detail17trampoline_kernelINS0_14default_configENS1_27upper_bound_config_selectorIslEEZNS1_14transform_implILb0ES3_S5_N6thrust23THRUST_200600_302600_NS6detail15normal_iteratorINS8_7pointerIsNS8_11hip_rocprim5par_tENS8_11use_defaultESE_EEEENSA_INSB_IlSD_SE_SE_EEEEZNS1_13binary_searchIS3_S5_PsSG_SI_NS1_21upper_bound_search_opENS9_16wrapped_functionINS8_6system6detail7generic6detail18binary_search_lessEbEEEE10hipError_tPvRmT1_T2_T3_mmT4_T5_P12ihipStream_tbEUlRKsE_EEST_SX_SY_mSZ_S12_bEUlT_E_NS1_11comp_targetILNS1_3genE2ELNS1_11target_archE906ELNS1_3gpuE6ELNS1_3repE0EEENS1_30default_config_static_selectorELNS0_4arch9wavefront6targetE1EEEvSW_
		.amdhsa_group_segment_fixed_size 0
		.amdhsa_private_segment_fixed_size 0
		.amdhsa_kernarg_size 312
		.amdhsa_user_sgpr_count 6
		.amdhsa_user_sgpr_private_segment_buffer 1
		.amdhsa_user_sgpr_dispatch_ptr 0
		.amdhsa_user_sgpr_queue_ptr 0
		.amdhsa_user_sgpr_kernarg_segment_ptr 1
		.amdhsa_user_sgpr_dispatch_id 0
		.amdhsa_user_sgpr_flat_scratch_init 0
		.amdhsa_user_sgpr_private_segment_size 0
		.amdhsa_uses_dynamic_stack 0
		.amdhsa_system_sgpr_private_segment_wavefront_offset 0
		.amdhsa_system_sgpr_workgroup_id_x 1
		.amdhsa_system_sgpr_workgroup_id_y 0
		.amdhsa_system_sgpr_workgroup_id_z 0
		.amdhsa_system_sgpr_workgroup_info 0
		.amdhsa_system_vgpr_workitem_id 0
		.amdhsa_next_free_vgpr 18
		.amdhsa_next_free_sgpr 22
		.amdhsa_reserve_vcc 1
		.amdhsa_reserve_flat_scratch 0
		.amdhsa_float_round_mode_32 0
		.amdhsa_float_round_mode_16_64 0
		.amdhsa_float_denorm_mode_32 3
		.amdhsa_float_denorm_mode_16_64 3
		.amdhsa_dx10_clamp 1
		.amdhsa_ieee_mode 1
		.amdhsa_fp16_overflow 0
		.amdhsa_exception_fp_ieee_invalid_op 0
		.amdhsa_exception_fp_denorm_src 0
		.amdhsa_exception_fp_ieee_div_zero 0
		.amdhsa_exception_fp_ieee_overflow 0
		.amdhsa_exception_fp_ieee_underflow 0
		.amdhsa_exception_fp_ieee_inexact 0
		.amdhsa_exception_int_div_zero 0
	.end_amdhsa_kernel
	.section	.text._ZN7rocprim17ROCPRIM_400000_NS6detail17trampoline_kernelINS0_14default_configENS1_27upper_bound_config_selectorIslEEZNS1_14transform_implILb0ES3_S5_N6thrust23THRUST_200600_302600_NS6detail15normal_iteratorINS8_7pointerIsNS8_11hip_rocprim5par_tENS8_11use_defaultESE_EEEENSA_INSB_IlSD_SE_SE_EEEEZNS1_13binary_searchIS3_S5_PsSG_SI_NS1_21upper_bound_search_opENS9_16wrapped_functionINS8_6system6detail7generic6detail18binary_search_lessEbEEEE10hipError_tPvRmT1_T2_T3_mmT4_T5_P12ihipStream_tbEUlRKsE_EEST_SX_SY_mSZ_S12_bEUlT_E_NS1_11comp_targetILNS1_3genE2ELNS1_11target_archE906ELNS1_3gpuE6ELNS1_3repE0EEENS1_30default_config_static_selectorELNS0_4arch9wavefront6targetE1EEEvSW_,"axG",@progbits,_ZN7rocprim17ROCPRIM_400000_NS6detail17trampoline_kernelINS0_14default_configENS1_27upper_bound_config_selectorIslEEZNS1_14transform_implILb0ES3_S5_N6thrust23THRUST_200600_302600_NS6detail15normal_iteratorINS8_7pointerIsNS8_11hip_rocprim5par_tENS8_11use_defaultESE_EEEENSA_INSB_IlSD_SE_SE_EEEEZNS1_13binary_searchIS3_S5_PsSG_SI_NS1_21upper_bound_search_opENS9_16wrapped_functionINS8_6system6detail7generic6detail18binary_search_lessEbEEEE10hipError_tPvRmT1_T2_T3_mmT4_T5_P12ihipStream_tbEUlRKsE_EEST_SX_SY_mSZ_S12_bEUlT_E_NS1_11comp_targetILNS1_3genE2ELNS1_11target_archE906ELNS1_3gpuE6ELNS1_3repE0EEENS1_30default_config_static_selectorELNS0_4arch9wavefront6targetE1EEEvSW_,comdat
.Lfunc_end236:
	.size	_ZN7rocprim17ROCPRIM_400000_NS6detail17trampoline_kernelINS0_14default_configENS1_27upper_bound_config_selectorIslEEZNS1_14transform_implILb0ES3_S5_N6thrust23THRUST_200600_302600_NS6detail15normal_iteratorINS8_7pointerIsNS8_11hip_rocprim5par_tENS8_11use_defaultESE_EEEENSA_INSB_IlSD_SE_SE_EEEEZNS1_13binary_searchIS3_S5_PsSG_SI_NS1_21upper_bound_search_opENS9_16wrapped_functionINS8_6system6detail7generic6detail18binary_search_lessEbEEEE10hipError_tPvRmT1_T2_T3_mmT4_T5_P12ihipStream_tbEUlRKsE_EEST_SX_SY_mSZ_S12_bEUlT_E_NS1_11comp_targetILNS1_3genE2ELNS1_11target_archE906ELNS1_3gpuE6ELNS1_3repE0EEENS1_30default_config_static_selectorELNS0_4arch9wavefront6targetE1EEEvSW_, .Lfunc_end236-_ZN7rocprim17ROCPRIM_400000_NS6detail17trampoline_kernelINS0_14default_configENS1_27upper_bound_config_selectorIslEEZNS1_14transform_implILb0ES3_S5_N6thrust23THRUST_200600_302600_NS6detail15normal_iteratorINS8_7pointerIsNS8_11hip_rocprim5par_tENS8_11use_defaultESE_EEEENSA_INSB_IlSD_SE_SE_EEEEZNS1_13binary_searchIS3_S5_PsSG_SI_NS1_21upper_bound_search_opENS9_16wrapped_functionINS8_6system6detail7generic6detail18binary_search_lessEbEEEE10hipError_tPvRmT1_T2_T3_mmT4_T5_P12ihipStream_tbEUlRKsE_EEST_SX_SY_mSZ_S12_bEUlT_E_NS1_11comp_targetILNS1_3genE2ELNS1_11target_archE906ELNS1_3gpuE6ELNS1_3repE0EEENS1_30default_config_static_selectorELNS0_4arch9wavefront6targetE1EEEvSW_
                                        ; -- End function
	.set _ZN7rocprim17ROCPRIM_400000_NS6detail17trampoline_kernelINS0_14default_configENS1_27upper_bound_config_selectorIslEEZNS1_14transform_implILb0ES3_S5_N6thrust23THRUST_200600_302600_NS6detail15normal_iteratorINS8_7pointerIsNS8_11hip_rocprim5par_tENS8_11use_defaultESE_EEEENSA_INSB_IlSD_SE_SE_EEEEZNS1_13binary_searchIS3_S5_PsSG_SI_NS1_21upper_bound_search_opENS9_16wrapped_functionINS8_6system6detail7generic6detail18binary_search_lessEbEEEE10hipError_tPvRmT1_T2_T3_mmT4_T5_P12ihipStream_tbEUlRKsE_EEST_SX_SY_mSZ_S12_bEUlT_E_NS1_11comp_targetILNS1_3genE2ELNS1_11target_archE906ELNS1_3gpuE6ELNS1_3repE0EEENS1_30default_config_static_selectorELNS0_4arch9wavefront6targetE1EEEvSW_.num_vgpr, 18
	.set _ZN7rocprim17ROCPRIM_400000_NS6detail17trampoline_kernelINS0_14default_configENS1_27upper_bound_config_selectorIslEEZNS1_14transform_implILb0ES3_S5_N6thrust23THRUST_200600_302600_NS6detail15normal_iteratorINS8_7pointerIsNS8_11hip_rocprim5par_tENS8_11use_defaultESE_EEEENSA_INSB_IlSD_SE_SE_EEEEZNS1_13binary_searchIS3_S5_PsSG_SI_NS1_21upper_bound_search_opENS9_16wrapped_functionINS8_6system6detail7generic6detail18binary_search_lessEbEEEE10hipError_tPvRmT1_T2_T3_mmT4_T5_P12ihipStream_tbEUlRKsE_EEST_SX_SY_mSZ_S12_bEUlT_E_NS1_11comp_targetILNS1_3genE2ELNS1_11target_archE906ELNS1_3gpuE6ELNS1_3repE0EEENS1_30default_config_static_selectorELNS0_4arch9wavefront6targetE1EEEvSW_.num_agpr, 0
	.set _ZN7rocprim17ROCPRIM_400000_NS6detail17trampoline_kernelINS0_14default_configENS1_27upper_bound_config_selectorIslEEZNS1_14transform_implILb0ES3_S5_N6thrust23THRUST_200600_302600_NS6detail15normal_iteratorINS8_7pointerIsNS8_11hip_rocprim5par_tENS8_11use_defaultESE_EEEENSA_INSB_IlSD_SE_SE_EEEEZNS1_13binary_searchIS3_S5_PsSG_SI_NS1_21upper_bound_search_opENS9_16wrapped_functionINS8_6system6detail7generic6detail18binary_search_lessEbEEEE10hipError_tPvRmT1_T2_T3_mmT4_T5_P12ihipStream_tbEUlRKsE_EEST_SX_SY_mSZ_S12_bEUlT_E_NS1_11comp_targetILNS1_3genE2ELNS1_11target_archE906ELNS1_3gpuE6ELNS1_3repE0EEENS1_30default_config_static_selectorELNS0_4arch9wavefront6targetE1EEEvSW_.numbered_sgpr, 22
	.set _ZN7rocprim17ROCPRIM_400000_NS6detail17trampoline_kernelINS0_14default_configENS1_27upper_bound_config_selectorIslEEZNS1_14transform_implILb0ES3_S5_N6thrust23THRUST_200600_302600_NS6detail15normal_iteratorINS8_7pointerIsNS8_11hip_rocprim5par_tENS8_11use_defaultESE_EEEENSA_INSB_IlSD_SE_SE_EEEEZNS1_13binary_searchIS3_S5_PsSG_SI_NS1_21upper_bound_search_opENS9_16wrapped_functionINS8_6system6detail7generic6detail18binary_search_lessEbEEEE10hipError_tPvRmT1_T2_T3_mmT4_T5_P12ihipStream_tbEUlRKsE_EEST_SX_SY_mSZ_S12_bEUlT_E_NS1_11comp_targetILNS1_3genE2ELNS1_11target_archE906ELNS1_3gpuE6ELNS1_3repE0EEENS1_30default_config_static_selectorELNS0_4arch9wavefront6targetE1EEEvSW_.num_named_barrier, 0
	.set _ZN7rocprim17ROCPRIM_400000_NS6detail17trampoline_kernelINS0_14default_configENS1_27upper_bound_config_selectorIslEEZNS1_14transform_implILb0ES3_S5_N6thrust23THRUST_200600_302600_NS6detail15normal_iteratorINS8_7pointerIsNS8_11hip_rocprim5par_tENS8_11use_defaultESE_EEEENSA_INSB_IlSD_SE_SE_EEEEZNS1_13binary_searchIS3_S5_PsSG_SI_NS1_21upper_bound_search_opENS9_16wrapped_functionINS8_6system6detail7generic6detail18binary_search_lessEbEEEE10hipError_tPvRmT1_T2_T3_mmT4_T5_P12ihipStream_tbEUlRKsE_EEST_SX_SY_mSZ_S12_bEUlT_E_NS1_11comp_targetILNS1_3genE2ELNS1_11target_archE906ELNS1_3gpuE6ELNS1_3repE0EEENS1_30default_config_static_selectorELNS0_4arch9wavefront6targetE1EEEvSW_.private_seg_size, 0
	.set _ZN7rocprim17ROCPRIM_400000_NS6detail17trampoline_kernelINS0_14default_configENS1_27upper_bound_config_selectorIslEEZNS1_14transform_implILb0ES3_S5_N6thrust23THRUST_200600_302600_NS6detail15normal_iteratorINS8_7pointerIsNS8_11hip_rocprim5par_tENS8_11use_defaultESE_EEEENSA_INSB_IlSD_SE_SE_EEEEZNS1_13binary_searchIS3_S5_PsSG_SI_NS1_21upper_bound_search_opENS9_16wrapped_functionINS8_6system6detail7generic6detail18binary_search_lessEbEEEE10hipError_tPvRmT1_T2_T3_mmT4_T5_P12ihipStream_tbEUlRKsE_EEST_SX_SY_mSZ_S12_bEUlT_E_NS1_11comp_targetILNS1_3genE2ELNS1_11target_archE906ELNS1_3gpuE6ELNS1_3repE0EEENS1_30default_config_static_selectorELNS0_4arch9wavefront6targetE1EEEvSW_.uses_vcc, 1
	.set _ZN7rocprim17ROCPRIM_400000_NS6detail17trampoline_kernelINS0_14default_configENS1_27upper_bound_config_selectorIslEEZNS1_14transform_implILb0ES3_S5_N6thrust23THRUST_200600_302600_NS6detail15normal_iteratorINS8_7pointerIsNS8_11hip_rocprim5par_tENS8_11use_defaultESE_EEEENSA_INSB_IlSD_SE_SE_EEEEZNS1_13binary_searchIS3_S5_PsSG_SI_NS1_21upper_bound_search_opENS9_16wrapped_functionINS8_6system6detail7generic6detail18binary_search_lessEbEEEE10hipError_tPvRmT1_T2_T3_mmT4_T5_P12ihipStream_tbEUlRKsE_EEST_SX_SY_mSZ_S12_bEUlT_E_NS1_11comp_targetILNS1_3genE2ELNS1_11target_archE906ELNS1_3gpuE6ELNS1_3repE0EEENS1_30default_config_static_selectorELNS0_4arch9wavefront6targetE1EEEvSW_.uses_flat_scratch, 0
	.set _ZN7rocprim17ROCPRIM_400000_NS6detail17trampoline_kernelINS0_14default_configENS1_27upper_bound_config_selectorIslEEZNS1_14transform_implILb0ES3_S5_N6thrust23THRUST_200600_302600_NS6detail15normal_iteratorINS8_7pointerIsNS8_11hip_rocprim5par_tENS8_11use_defaultESE_EEEENSA_INSB_IlSD_SE_SE_EEEEZNS1_13binary_searchIS3_S5_PsSG_SI_NS1_21upper_bound_search_opENS9_16wrapped_functionINS8_6system6detail7generic6detail18binary_search_lessEbEEEE10hipError_tPvRmT1_T2_T3_mmT4_T5_P12ihipStream_tbEUlRKsE_EEST_SX_SY_mSZ_S12_bEUlT_E_NS1_11comp_targetILNS1_3genE2ELNS1_11target_archE906ELNS1_3gpuE6ELNS1_3repE0EEENS1_30default_config_static_selectorELNS0_4arch9wavefront6targetE1EEEvSW_.has_dyn_sized_stack, 0
	.set _ZN7rocprim17ROCPRIM_400000_NS6detail17trampoline_kernelINS0_14default_configENS1_27upper_bound_config_selectorIslEEZNS1_14transform_implILb0ES3_S5_N6thrust23THRUST_200600_302600_NS6detail15normal_iteratorINS8_7pointerIsNS8_11hip_rocprim5par_tENS8_11use_defaultESE_EEEENSA_INSB_IlSD_SE_SE_EEEEZNS1_13binary_searchIS3_S5_PsSG_SI_NS1_21upper_bound_search_opENS9_16wrapped_functionINS8_6system6detail7generic6detail18binary_search_lessEbEEEE10hipError_tPvRmT1_T2_T3_mmT4_T5_P12ihipStream_tbEUlRKsE_EEST_SX_SY_mSZ_S12_bEUlT_E_NS1_11comp_targetILNS1_3genE2ELNS1_11target_archE906ELNS1_3gpuE6ELNS1_3repE0EEENS1_30default_config_static_selectorELNS0_4arch9wavefront6targetE1EEEvSW_.has_recursion, 0
	.set _ZN7rocprim17ROCPRIM_400000_NS6detail17trampoline_kernelINS0_14default_configENS1_27upper_bound_config_selectorIslEEZNS1_14transform_implILb0ES3_S5_N6thrust23THRUST_200600_302600_NS6detail15normal_iteratorINS8_7pointerIsNS8_11hip_rocprim5par_tENS8_11use_defaultESE_EEEENSA_INSB_IlSD_SE_SE_EEEEZNS1_13binary_searchIS3_S5_PsSG_SI_NS1_21upper_bound_search_opENS9_16wrapped_functionINS8_6system6detail7generic6detail18binary_search_lessEbEEEE10hipError_tPvRmT1_T2_T3_mmT4_T5_P12ihipStream_tbEUlRKsE_EEST_SX_SY_mSZ_S12_bEUlT_E_NS1_11comp_targetILNS1_3genE2ELNS1_11target_archE906ELNS1_3gpuE6ELNS1_3repE0EEENS1_30default_config_static_selectorELNS0_4arch9wavefront6targetE1EEEvSW_.has_indirect_call, 0
	.section	.AMDGPU.csdata,"",@progbits
; Kernel info:
; codeLenInByte = 2136
; TotalNumSgprs: 26
; NumVgprs: 18
; ScratchSize: 0
; MemoryBound: 0
; FloatMode: 240
; IeeeMode: 1
; LDSByteSize: 0 bytes/workgroup (compile time only)
; SGPRBlocks: 3
; VGPRBlocks: 4
; NumSGPRsForWavesPerEU: 26
; NumVGPRsForWavesPerEU: 18
; Occupancy: 10
; WaveLimiterHint : 1
; COMPUTE_PGM_RSRC2:SCRATCH_EN: 0
; COMPUTE_PGM_RSRC2:USER_SGPR: 6
; COMPUTE_PGM_RSRC2:TRAP_HANDLER: 0
; COMPUTE_PGM_RSRC2:TGID_X_EN: 1
; COMPUTE_PGM_RSRC2:TGID_Y_EN: 0
; COMPUTE_PGM_RSRC2:TGID_Z_EN: 0
; COMPUTE_PGM_RSRC2:TIDIG_COMP_CNT: 0
	.section	.text._ZN7rocprim17ROCPRIM_400000_NS6detail17trampoline_kernelINS0_14default_configENS1_27upper_bound_config_selectorIslEEZNS1_14transform_implILb0ES3_S5_N6thrust23THRUST_200600_302600_NS6detail15normal_iteratorINS8_7pointerIsNS8_11hip_rocprim5par_tENS8_11use_defaultESE_EEEENSA_INSB_IlSD_SE_SE_EEEEZNS1_13binary_searchIS3_S5_PsSG_SI_NS1_21upper_bound_search_opENS9_16wrapped_functionINS8_6system6detail7generic6detail18binary_search_lessEbEEEE10hipError_tPvRmT1_T2_T3_mmT4_T5_P12ihipStream_tbEUlRKsE_EEST_SX_SY_mSZ_S12_bEUlT_E_NS1_11comp_targetILNS1_3genE10ELNS1_11target_archE1201ELNS1_3gpuE5ELNS1_3repE0EEENS1_30default_config_static_selectorELNS0_4arch9wavefront6targetE1EEEvSW_,"axG",@progbits,_ZN7rocprim17ROCPRIM_400000_NS6detail17trampoline_kernelINS0_14default_configENS1_27upper_bound_config_selectorIslEEZNS1_14transform_implILb0ES3_S5_N6thrust23THRUST_200600_302600_NS6detail15normal_iteratorINS8_7pointerIsNS8_11hip_rocprim5par_tENS8_11use_defaultESE_EEEENSA_INSB_IlSD_SE_SE_EEEEZNS1_13binary_searchIS3_S5_PsSG_SI_NS1_21upper_bound_search_opENS9_16wrapped_functionINS8_6system6detail7generic6detail18binary_search_lessEbEEEE10hipError_tPvRmT1_T2_T3_mmT4_T5_P12ihipStream_tbEUlRKsE_EEST_SX_SY_mSZ_S12_bEUlT_E_NS1_11comp_targetILNS1_3genE10ELNS1_11target_archE1201ELNS1_3gpuE5ELNS1_3repE0EEENS1_30default_config_static_selectorELNS0_4arch9wavefront6targetE1EEEvSW_,comdat
	.protected	_ZN7rocprim17ROCPRIM_400000_NS6detail17trampoline_kernelINS0_14default_configENS1_27upper_bound_config_selectorIslEEZNS1_14transform_implILb0ES3_S5_N6thrust23THRUST_200600_302600_NS6detail15normal_iteratorINS8_7pointerIsNS8_11hip_rocprim5par_tENS8_11use_defaultESE_EEEENSA_INSB_IlSD_SE_SE_EEEEZNS1_13binary_searchIS3_S5_PsSG_SI_NS1_21upper_bound_search_opENS9_16wrapped_functionINS8_6system6detail7generic6detail18binary_search_lessEbEEEE10hipError_tPvRmT1_T2_T3_mmT4_T5_P12ihipStream_tbEUlRKsE_EEST_SX_SY_mSZ_S12_bEUlT_E_NS1_11comp_targetILNS1_3genE10ELNS1_11target_archE1201ELNS1_3gpuE5ELNS1_3repE0EEENS1_30default_config_static_selectorELNS0_4arch9wavefront6targetE1EEEvSW_ ; -- Begin function _ZN7rocprim17ROCPRIM_400000_NS6detail17trampoline_kernelINS0_14default_configENS1_27upper_bound_config_selectorIslEEZNS1_14transform_implILb0ES3_S5_N6thrust23THRUST_200600_302600_NS6detail15normal_iteratorINS8_7pointerIsNS8_11hip_rocprim5par_tENS8_11use_defaultESE_EEEENSA_INSB_IlSD_SE_SE_EEEEZNS1_13binary_searchIS3_S5_PsSG_SI_NS1_21upper_bound_search_opENS9_16wrapped_functionINS8_6system6detail7generic6detail18binary_search_lessEbEEEE10hipError_tPvRmT1_T2_T3_mmT4_T5_P12ihipStream_tbEUlRKsE_EEST_SX_SY_mSZ_S12_bEUlT_E_NS1_11comp_targetILNS1_3genE10ELNS1_11target_archE1201ELNS1_3gpuE5ELNS1_3repE0EEENS1_30default_config_static_selectorELNS0_4arch9wavefront6targetE1EEEvSW_
	.globl	_ZN7rocprim17ROCPRIM_400000_NS6detail17trampoline_kernelINS0_14default_configENS1_27upper_bound_config_selectorIslEEZNS1_14transform_implILb0ES3_S5_N6thrust23THRUST_200600_302600_NS6detail15normal_iteratorINS8_7pointerIsNS8_11hip_rocprim5par_tENS8_11use_defaultESE_EEEENSA_INSB_IlSD_SE_SE_EEEEZNS1_13binary_searchIS3_S5_PsSG_SI_NS1_21upper_bound_search_opENS9_16wrapped_functionINS8_6system6detail7generic6detail18binary_search_lessEbEEEE10hipError_tPvRmT1_T2_T3_mmT4_T5_P12ihipStream_tbEUlRKsE_EEST_SX_SY_mSZ_S12_bEUlT_E_NS1_11comp_targetILNS1_3genE10ELNS1_11target_archE1201ELNS1_3gpuE5ELNS1_3repE0EEENS1_30default_config_static_selectorELNS0_4arch9wavefront6targetE1EEEvSW_
	.p2align	8
	.type	_ZN7rocprim17ROCPRIM_400000_NS6detail17trampoline_kernelINS0_14default_configENS1_27upper_bound_config_selectorIslEEZNS1_14transform_implILb0ES3_S5_N6thrust23THRUST_200600_302600_NS6detail15normal_iteratorINS8_7pointerIsNS8_11hip_rocprim5par_tENS8_11use_defaultESE_EEEENSA_INSB_IlSD_SE_SE_EEEEZNS1_13binary_searchIS3_S5_PsSG_SI_NS1_21upper_bound_search_opENS9_16wrapped_functionINS8_6system6detail7generic6detail18binary_search_lessEbEEEE10hipError_tPvRmT1_T2_T3_mmT4_T5_P12ihipStream_tbEUlRKsE_EEST_SX_SY_mSZ_S12_bEUlT_E_NS1_11comp_targetILNS1_3genE10ELNS1_11target_archE1201ELNS1_3gpuE5ELNS1_3repE0EEENS1_30default_config_static_selectorELNS0_4arch9wavefront6targetE1EEEvSW_,@function
_ZN7rocprim17ROCPRIM_400000_NS6detail17trampoline_kernelINS0_14default_configENS1_27upper_bound_config_selectorIslEEZNS1_14transform_implILb0ES3_S5_N6thrust23THRUST_200600_302600_NS6detail15normal_iteratorINS8_7pointerIsNS8_11hip_rocprim5par_tENS8_11use_defaultESE_EEEENSA_INSB_IlSD_SE_SE_EEEEZNS1_13binary_searchIS3_S5_PsSG_SI_NS1_21upper_bound_search_opENS9_16wrapped_functionINS8_6system6detail7generic6detail18binary_search_lessEbEEEE10hipError_tPvRmT1_T2_T3_mmT4_T5_P12ihipStream_tbEUlRKsE_EEST_SX_SY_mSZ_S12_bEUlT_E_NS1_11comp_targetILNS1_3genE10ELNS1_11target_archE1201ELNS1_3gpuE5ELNS1_3repE0EEENS1_30default_config_static_selectorELNS0_4arch9wavefront6targetE1EEEvSW_: ; @_ZN7rocprim17ROCPRIM_400000_NS6detail17trampoline_kernelINS0_14default_configENS1_27upper_bound_config_selectorIslEEZNS1_14transform_implILb0ES3_S5_N6thrust23THRUST_200600_302600_NS6detail15normal_iteratorINS8_7pointerIsNS8_11hip_rocprim5par_tENS8_11use_defaultESE_EEEENSA_INSB_IlSD_SE_SE_EEEEZNS1_13binary_searchIS3_S5_PsSG_SI_NS1_21upper_bound_search_opENS9_16wrapped_functionINS8_6system6detail7generic6detail18binary_search_lessEbEEEE10hipError_tPvRmT1_T2_T3_mmT4_T5_P12ihipStream_tbEUlRKsE_EEST_SX_SY_mSZ_S12_bEUlT_E_NS1_11comp_targetILNS1_3genE10ELNS1_11target_archE1201ELNS1_3gpuE5ELNS1_3repE0EEENS1_30default_config_static_selectorELNS0_4arch9wavefront6targetE1EEEvSW_
; %bb.0:
	.section	.rodata,"a",@progbits
	.p2align	6, 0x0
	.amdhsa_kernel _ZN7rocprim17ROCPRIM_400000_NS6detail17trampoline_kernelINS0_14default_configENS1_27upper_bound_config_selectorIslEEZNS1_14transform_implILb0ES3_S5_N6thrust23THRUST_200600_302600_NS6detail15normal_iteratorINS8_7pointerIsNS8_11hip_rocprim5par_tENS8_11use_defaultESE_EEEENSA_INSB_IlSD_SE_SE_EEEEZNS1_13binary_searchIS3_S5_PsSG_SI_NS1_21upper_bound_search_opENS9_16wrapped_functionINS8_6system6detail7generic6detail18binary_search_lessEbEEEE10hipError_tPvRmT1_T2_T3_mmT4_T5_P12ihipStream_tbEUlRKsE_EEST_SX_SY_mSZ_S12_bEUlT_E_NS1_11comp_targetILNS1_3genE10ELNS1_11target_archE1201ELNS1_3gpuE5ELNS1_3repE0EEENS1_30default_config_static_selectorELNS0_4arch9wavefront6targetE1EEEvSW_
		.amdhsa_group_segment_fixed_size 0
		.amdhsa_private_segment_fixed_size 0
		.amdhsa_kernarg_size 56
		.amdhsa_user_sgpr_count 6
		.amdhsa_user_sgpr_private_segment_buffer 1
		.amdhsa_user_sgpr_dispatch_ptr 0
		.amdhsa_user_sgpr_queue_ptr 0
		.amdhsa_user_sgpr_kernarg_segment_ptr 1
		.amdhsa_user_sgpr_dispatch_id 0
		.amdhsa_user_sgpr_flat_scratch_init 0
		.amdhsa_user_sgpr_private_segment_size 0
		.amdhsa_uses_dynamic_stack 0
		.amdhsa_system_sgpr_private_segment_wavefront_offset 0
		.amdhsa_system_sgpr_workgroup_id_x 1
		.amdhsa_system_sgpr_workgroup_id_y 0
		.amdhsa_system_sgpr_workgroup_id_z 0
		.amdhsa_system_sgpr_workgroup_info 0
		.amdhsa_system_vgpr_workitem_id 0
		.amdhsa_next_free_vgpr 1
		.amdhsa_next_free_sgpr 0
		.amdhsa_reserve_vcc 0
		.amdhsa_reserve_flat_scratch 0
		.amdhsa_float_round_mode_32 0
		.amdhsa_float_round_mode_16_64 0
		.amdhsa_float_denorm_mode_32 3
		.amdhsa_float_denorm_mode_16_64 3
		.amdhsa_dx10_clamp 1
		.amdhsa_ieee_mode 1
		.amdhsa_fp16_overflow 0
		.amdhsa_exception_fp_ieee_invalid_op 0
		.amdhsa_exception_fp_denorm_src 0
		.amdhsa_exception_fp_ieee_div_zero 0
		.amdhsa_exception_fp_ieee_overflow 0
		.amdhsa_exception_fp_ieee_underflow 0
		.amdhsa_exception_fp_ieee_inexact 0
		.amdhsa_exception_int_div_zero 0
	.end_amdhsa_kernel
	.section	.text._ZN7rocprim17ROCPRIM_400000_NS6detail17trampoline_kernelINS0_14default_configENS1_27upper_bound_config_selectorIslEEZNS1_14transform_implILb0ES3_S5_N6thrust23THRUST_200600_302600_NS6detail15normal_iteratorINS8_7pointerIsNS8_11hip_rocprim5par_tENS8_11use_defaultESE_EEEENSA_INSB_IlSD_SE_SE_EEEEZNS1_13binary_searchIS3_S5_PsSG_SI_NS1_21upper_bound_search_opENS9_16wrapped_functionINS8_6system6detail7generic6detail18binary_search_lessEbEEEE10hipError_tPvRmT1_T2_T3_mmT4_T5_P12ihipStream_tbEUlRKsE_EEST_SX_SY_mSZ_S12_bEUlT_E_NS1_11comp_targetILNS1_3genE10ELNS1_11target_archE1201ELNS1_3gpuE5ELNS1_3repE0EEENS1_30default_config_static_selectorELNS0_4arch9wavefront6targetE1EEEvSW_,"axG",@progbits,_ZN7rocprim17ROCPRIM_400000_NS6detail17trampoline_kernelINS0_14default_configENS1_27upper_bound_config_selectorIslEEZNS1_14transform_implILb0ES3_S5_N6thrust23THRUST_200600_302600_NS6detail15normal_iteratorINS8_7pointerIsNS8_11hip_rocprim5par_tENS8_11use_defaultESE_EEEENSA_INSB_IlSD_SE_SE_EEEEZNS1_13binary_searchIS3_S5_PsSG_SI_NS1_21upper_bound_search_opENS9_16wrapped_functionINS8_6system6detail7generic6detail18binary_search_lessEbEEEE10hipError_tPvRmT1_T2_T3_mmT4_T5_P12ihipStream_tbEUlRKsE_EEST_SX_SY_mSZ_S12_bEUlT_E_NS1_11comp_targetILNS1_3genE10ELNS1_11target_archE1201ELNS1_3gpuE5ELNS1_3repE0EEENS1_30default_config_static_selectorELNS0_4arch9wavefront6targetE1EEEvSW_,comdat
.Lfunc_end237:
	.size	_ZN7rocprim17ROCPRIM_400000_NS6detail17trampoline_kernelINS0_14default_configENS1_27upper_bound_config_selectorIslEEZNS1_14transform_implILb0ES3_S5_N6thrust23THRUST_200600_302600_NS6detail15normal_iteratorINS8_7pointerIsNS8_11hip_rocprim5par_tENS8_11use_defaultESE_EEEENSA_INSB_IlSD_SE_SE_EEEEZNS1_13binary_searchIS3_S5_PsSG_SI_NS1_21upper_bound_search_opENS9_16wrapped_functionINS8_6system6detail7generic6detail18binary_search_lessEbEEEE10hipError_tPvRmT1_T2_T3_mmT4_T5_P12ihipStream_tbEUlRKsE_EEST_SX_SY_mSZ_S12_bEUlT_E_NS1_11comp_targetILNS1_3genE10ELNS1_11target_archE1201ELNS1_3gpuE5ELNS1_3repE0EEENS1_30default_config_static_selectorELNS0_4arch9wavefront6targetE1EEEvSW_, .Lfunc_end237-_ZN7rocprim17ROCPRIM_400000_NS6detail17trampoline_kernelINS0_14default_configENS1_27upper_bound_config_selectorIslEEZNS1_14transform_implILb0ES3_S5_N6thrust23THRUST_200600_302600_NS6detail15normal_iteratorINS8_7pointerIsNS8_11hip_rocprim5par_tENS8_11use_defaultESE_EEEENSA_INSB_IlSD_SE_SE_EEEEZNS1_13binary_searchIS3_S5_PsSG_SI_NS1_21upper_bound_search_opENS9_16wrapped_functionINS8_6system6detail7generic6detail18binary_search_lessEbEEEE10hipError_tPvRmT1_T2_T3_mmT4_T5_P12ihipStream_tbEUlRKsE_EEST_SX_SY_mSZ_S12_bEUlT_E_NS1_11comp_targetILNS1_3genE10ELNS1_11target_archE1201ELNS1_3gpuE5ELNS1_3repE0EEENS1_30default_config_static_selectorELNS0_4arch9wavefront6targetE1EEEvSW_
                                        ; -- End function
	.set _ZN7rocprim17ROCPRIM_400000_NS6detail17trampoline_kernelINS0_14default_configENS1_27upper_bound_config_selectorIslEEZNS1_14transform_implILb0ES3_S5_N6thrust23THRUST_200600_302600_NS6detail15normal_iteratorINS8_7pointerIsNS8_11hip_rocprim5par_tENS8_11use_defaultESE_EEEENSA_INSB_IlSD_SE_SE_EEEEZNS1_13binary_searchIS3_S5_PsSG_SI_NS1_21upper_bound_search_opENS9_16wrapped_functionINS8_6system6detail7generic6detail18binary_search_lessEbEEEE10hipError_tPvRmT1_T2_T3_mmT4_T5_P12ihipStream_tbEUlRKsE_EEST_SX_SY_mSZ_S12_bEUlT_E_NS1_11comp_targetILNS1_3genE10ELNS1_11target_archE1201ELNS1_3gpuE5ELNS1_3repE0EEENS1_30default_config_static_selectorELNS0_4arch9wavefront6targetE1EEEvSW_.num_vgpr, 0
	.set _ZN7rocprim17ROCPRIM_400000_NS6detail17trampoline_kernelINS0_14default_configENS1_27upper_bound_config_selectorIslEEZNS1_14transform_implILb0ES3_S5_N6thrust23THRUST_200600_302600_NS6detail15normal_iteratorINS8_7pointerIsNS8_11hip_rocprim5par_tENS8_11use_defaultESE_EEEENSA_INSB_IlSD_SE_SE_EEEEZNS1_13binary_searchIS3_S5_PsSG_SI_NS1_21upper_bound_search_opENS9_16wrapped_functionINS8_6system6detail7generic6detail18binary_search_lessEbEEEE10hipError_tPvRmT1_T2_T3_mmT4_T5_P12ihipStream_tbEUlRKsE_EEST_SX_SY_mSZ_S12_bEUlT_E_NS1_11comp_targetILNS1_3genE10ELNS1_11target_archE1201ELNS1_3gpuE5ELNS1_3repE0EEENS1_30default_config_static_selectorELNS0_4arch9wavefront6targetE1EEEvSW_.num_agpr, 0
	.set _ZN7rocprim17ROCPRIM_400000_NS6detail17trampoline_kernelINS0_14default_configENS1_27upper_bound_config_selectorIslEEZNS1_14transform_implILb0ES3_S5_N6thrust23THRUST_200600_302600_NS6detail15normal_iteratorINS8_7pointerIsNS8_11hip_rocprim5par_tENS8_11use_defaultESE_EEEENSA_INSB_IlSD_SE_SE_EEEEZNS1_13binary_searchIS3_S5_PsSG_SI_NS1_21upper_bound_search_opENS9_16wrapped_functionINS8_6system6detail7generic6detail18binary_search_lessEbEEEE10hipError_tPvRmT1_T2_T3_mmT4_T5_P12ihipStream_tbEUlRKsE_EEST_SX_SY_mSZ_S12_bEUlT_E_NS1_11comp_targetILNS1_3genE10ELNS1_11target_archE1201ELNS1_3gpuE5ELNS1_3repE0EEENS1_30default_config_static_selectorELNS0_4arch9wavefront6targetE1EEEvSW_.numbered_sgpr, 0
	.set _ZN7rocprim17ROCPRIM_400000_NS6detail17trampoline_kernelINS0_14default_configENS1_27upper_bound_config_selectorIslEEZNS1_14transform_implILb0ES3_S5_N6thrust23THRUST_200600_302600_NS6detail15normal_iteratorINS8_7pointerIsNS8_11hip_rocprim5par_tENS8_11use_defaultESE_EEEENSA_INSB_IlSD_SE_SE_EEEEZNS1_13binary_searchIS3_S5_PsSG_SI_NS1_21upper_bound_search_opENS9_16wrapped_functionINS8_6system6detail7generic6detail18binary_search_lessEbEEEE10hipError_tPvRmT1_T2_T3_mmT4_T5_P12ihipStream_tbEUlRKsE_EEST_SX_SY_mSZ_S12_bEUlT_E_NS1_11comp_targetILNS1_3genE10ELNS1_11target_archE1201ELNS1_3gpuE5ELNS1_3repE0EEENS1_30default_config_static_selectorELNS0_4arch9wavefront6targetE1EEEvSW_.num_named_barrier, 0
	.set _ZN7rocprim17ROCPRIM_400000_NS6detail17trampoline_kernelINS0_14default_configENS1_27upper_bound_config_selectorIslEEZNS1_14transform_implILb0ES3_S5_N6thrust23THRUST_200600_302600_NS6detail15normal_iteratorINS8_7pointerIsNS8_11hip_rocprim5par_tENS8_11use_defaultESE_EEEENSA_INSB_IlSD_SE_SE_EEEEZNS1_13binary_searchIS3_S5_PsSG_SI_NS1_21upper_bound_search_opENS9_16wrapped_functionINS8_6system6detail7generic6detail18binary_search_lessEbEEEE10hipError_tPvRmT1_T2_T3_mmT4_T5_P12ihipStream_tbEUlRKsE_EEST_SX_SY_mSZ_S12_bEUlT_E_NS1_11comp_targetILNS1_3genE10ELNS1_11target_archE1201ELNS1_3gpuE5ELNS1_3repE0EEENS1_30default_config_static_selectorELNS0_4arch9wavefront6targetE1EEEvSW_.private_seg_size, 0
	.set _ZN7rocprim17ROCPRIM_400000_NS6detail17trampoline_kernelINS0_14default_configENS1_27upper_bound_config_selectorIslEEZNS1_14transform_implILb0ES3_S5_N6thrust23THRUST_200600_302600_NS6detail15normal_iteratorINS8_7pointerIsNS8_11hip_rocprim5par_tENS8_11use_defaultESE_EEEENSA_INSB_IlSD_SE_SE_EEEEZNS1_13binary_searchIS3_S5_PsSG_SI_NS1_21upper_bound_search_opENS9_16wrapped_functionINS8_6system6detail7generic6detail18binary_search_lessEbEEEE10hipError_tPvRmT1_T2_T3_mmT4_T5_P12ihipStream_tbEUlRKsE_EEST_SX_SY_mSZ_S12_bEUlT_E_NS1_11comp_targetILNS1_3genE10ELNS1_11target_archE1201ELNS1_3gpuE5ELNS1_3repE0EEENS1_30default_config_static_selectorELNS0_4arch9wavefront6targetE1EEEvSW_.uses_vcc, 0
	.set _ZN7rocprim17ROCPRIM_400000_NS6detail17trampoline_kernelINS0_14default_configENS1_27upper_bound_config_selectorIslEEZNS1_14transform_implILb0ES3_S5_N6thrust23THRUST_200600_302600_NS6detail15normal_iteratorINS8_7pointerIsNS8_11hip_rocprim5par_tENS8_11use_defaultESE_EEEENSA_INSB_IlSD_SE_SE_EEEEZNS1_13binary_searchIS3_S5_PsSG_SI_NS1_21upper_bound_search_opENS9_16wrapped_functionINS8_6system6detail7generic6detail18binary_search_lessEbEEEE10hipError_tPvRmT1_T2_T3_mmT4_T5_P12ihipStream_tbEUlRKsE_EEST_SX_SY_mSZ_S12_bEUlT_E_NS1_11comp_targetILNS1_3genE10ELNS1_11target_archE1201ELNS1_3gpuE5ELNS1_3repE0EEENS1_30default_config_static_selectorELNS0_4arch9wavefront6targetE1EEEvSW_.uses_flat_scratch, 0
	.set _ZN7rocprim17ROCPRIM_400000_NS6detail17trampoline_kernelINS0_14default_configENS1_27upper_bound_config_selectorIslEEZNS1_14transform_implILb0ES3_S5_N6thrust23THRUST_200600_302600_NS6detail15normal_iteratorINS8_7pointerIsNS8_11hip_rocprim5par_tENS8_11use_defaultESE_EEEENSA_INSB_IlSD_SE_SE_EEEEZNS1_13binary_searchIS3_S5_PsSG_SI_NS1_21upper_bound_search_opENS9_16wrapped_functionINS8_6system6detail7generic6detail18binary_search_lessEbEEEE10hipError_tPvRmT1_T2_T3_mmT4_T5_P12ihipStream_tbEUlRKsE_EEST_SX_SY_mSZ_S12_bEUlT_E_NS1_11comp_targetILNS1_3genE10ELNS1_11target_archE1201ELNS1_3gpuE5ELNS1_3repE0EEENS1_30default_config_static_selectorELNS0_4arch9wavefront6targetE1EEEvSW_.has_dyn_sized_stack, 0
	.set _ZN7rocprim17ROCPRIM_400000_NS6detail17trampoline_kernelINS0_14default_configENS1_27upper_bound_config_selectorIslEEZNS1_14transform_implILb0ES3_S5_N6thrust23THRUST_200600_302600_NS6detail15normal_iteratorINS8_7pointerIsNS8_11hip_rocprim5par_tENS8_11use_defaultESE_EEEENSA_INSB_IlSD_SE_SE_EEEEZNS1_13binary_searchIS3_S5_PsSG_SI_NS1_21upper_bound_search_opENS9_16wrapped_functionINS8_6system6detail7generic6detail18binary_search_lessEbEEEE10hipError_tPvRmT1_T2_T3_mmT4_T5_P12ihipStream_tbEUlRKsE_EEST_SX_SY_mSZ_S12_bEUlT_E_NS1_11comp_targetILNS1_3genE10ELNS1_11target_archE1201ELNS1_3gpuE5ELNS1_3repE0EEENS1_30default_config_static_selectorELNS0_4arch9wavefront6targetE1EEEvSW_.has_recursion, 0
	.set _ZN7rocprim17ROCPRIM_400000_NS6detail17trampoline_kernelINS0_14default_configENS1_27upper_bound_config_selectorIslEEZNS1_14transform_implILb0ES3_S5_N6thrust23THRUST_200600_302600_NS6detail15normal_iteratorINS8_7pointerIsNS8_11hip_rocprim5par_tENS8_11use_defaultESE_EEEENSA_INSB_IlSD_SE_SE_EEEEZNS1_13binary_searchIS3_S5_PsSG_SI_NS1_21upper_bound_search_opENS9_16wrapped_functionINS8_6system6detail7generic6detail18binary_search_lessEbEEEE10hipError_tPvRmT1_T2_T3_mmT4_T5_P12ihipStream_tbEUlRKsE_EEST_SX_SY_mSZ_S12_bEUlT_E_NS1_11comp_targetILNS1_3genE10ELNS1_11target_archE1201ELNS1_3gpuE5ELNS1_3repE0EEENS1_30default_config_static_selectorELNS0_4arch9wavefront6targetE1EEEvSW_.has_indirect_call, 0
	.section	.AMDGPU.csdata,"",@progbits
; Kernel info:
; codeLenInByte = 0
; TotalNumSgprs: 4
; NumVgprs: 0
; ScratchSize: 0
; MemoryBound: 0
; FloatMode: 240
; IeeeMode: 1
; LDSByteSize: 0 bytes/workgroup (compile time only)
; SGPRBlocks: 0
; VGPRBlocks: 0
; NumSGPRsForWavesPerEU: 4
; NumVGPRsForWavesPerEU: 1
; Occupancy: 10
; WaveLimiterHint : 0
; COMPUTE_PGM_RSRC2:SCRATCH_EN: 0
; COMPUTE_PGM_RSRC2:USER_SGPR: 6
; COMPUTE_PGM_RSRC2:TRAP_HANDLER: 0
; COMPUTE_PGM_RSRC2:TGID_X_EN: 1
; COMPUTE_PGM_RSRC2:TGID_Y_EN: 0
; COMPUTE_PGM_RSRC2:TGID_Z_EN: 0
; COMPUTE_PGM_RSRC2:TIDIG_COMP_CNT: 0
	.section	.text._ZN7rocprim17ROCPRIM_400000_NS6detail17trampoline_kernelINS0_14default_configENS1_27upper_bound_config_selectorIslEEZNS1_14transform_implILb0ES3_S5_N6thrust23THRUST_200600_302600_NS6detail15normal_iteratorINS8_7pointerIsNS8_11hip_rocprim5par_tENS8_11use_defaultESE_EEEENSA_INSB_IlSD_SE_SE_EEEEZNS1_13binary_searchIS3_S5_PsSG_SI_NS1_21upper_bound_search_opENS9_16wrapped_functionINS8_6system6detail7generic6detail18binary_search_lessEbEEEE10hipError_tPvRmT1_T2_T3_mmT4_T5_P12ihipStream_tbEUlRKsE_EEST_SX_SY_mSZ_S12_bEUlT_E_NS1_11comp_targetILNS1_3genE10ELNS1_11target_archE1200ELNS1_3gpuE4ELNS1_3repE0EEENS1_30default_config_static_selectorELNS0_4arch9wavefront6targetE1EEEvSW_,"axG",@progbits,_ZN7rocprim17ROCPRIM_400000_NS6detail17trampoline_kernelINS0_14default_configENS1_27upper_bound_config_selectorIslEEZNS1_14transform_implILb0ES3_S5_N6thrust23THRUST_200600_302600_NS6detail15normal_iteratorINS8_7pointerIsNS8_11hip_rocprim5par_tENS8_11use_defaultESE_EEEENSA_INSB_IlSD_SE_SE_EEEEZNS1_13binary_searchIS3_S5_PsSG_SI_NS1_21upper_bound_search_opENS9_16wrapped_functionINS8_6system6detail7generic6detail18binary_search_lessEbEEEE10hipError_tPvRmT1_T2_T3_mmT4_T5_P12ihipStream_tbEUlRKsE_EEST_SX_SY_mSZ_S12_bEUlT_E_NS1_11comp_targetILNS1_3genE10ELNS1_11target_archE1200ELNS1_3gpuE4ELNS1_3repE0EEENS1_30default_config_static_selectorELNS0_4arch9wavefront6targetE1EEEvSW_,comdat
	.protected	_ZN7rocprim17ROCPRIM_400000_NS6detail17trampoline_kernelINS0_14default_configENS1_27upper_bound_config_selectorIslEEZNS1_14transform_implILb0ES3_S5_N6thrust23THRUST_200600_302600_NS6detail15normal_iteratorINS8_7pointerIsNS8_11hip_rocprim5par_tENS8_11use_defaultESE_EEEENSA_INSB_IlSD_SE_SE_EEEEZNS1_13binary_searchIS3_S5_PsSG_SI_NS1_21upper_bound_search_opENS9_16wrapped_functionINS8_6system6detail7generic6detail18binary_search_lessEbEEEE10hipError_tPvRmT1_T2_T3_mmT4_T5_P12ihipStream_tbEUlRKsE_EEST_SX_SY_mSZ_S12_bEUlT_E_NS1_11comp_targetILNS1_3genE10ELNS1_11target_archE1200ELNS1_3gpuE4ELNS1_3repE0EEENS1_30default_config_static_selectorELNS0_4arch9wavefront6targetE1EEEvSW_ ; -- Begin function _ZN7rocprim17ROCPRIM_400000_NS6detail17trampoline_kernelINS0_14default_configENS1_27upper_bound_config_selectorIslEEZNS1_14transform_implILb0ES3_S5_N6thrust23THRUST_200600_302600_NS6detail15normal_iteratorINS8_7pointerIsNS8_11hip_rocprim5par_tENS8_11use_defaultESE_EEEENSA_INSB_IlSD_SE_SE_EEEEZNS1_13binary_searchIS3_S5_PsSG_SI_NS1_21upper_bound_search_opENS9_16wrapped_functionINS8_6system6detail7generic6detail18binary_search_lessEbEEEE10hipError_tPvRmT1_T2_T3_mmT4_T5_P12ihipStream_tbEUlRKsE_EEST_SX_SY_mSZ_S12_bEUlT_E_NS1_11comp_targetILNS1_3genE10ELNS1_11target_archE1200ELNS1_3gpuE4ELNS1_3repE0EEENS1_30default_config_static_selectorELNS0_4arch9wavefront6targetE1EEEvSW_
	.globl	_ZN7rocprim17ROCPRIM_400000_NS6detail17trampoline_kernelINS0_14default_configENS1_27upper_bound_config_selectorIslEEZNS1_14transform_implILb0ES3_S5_N6thrust23THRUST_200600_302600_NS6detail15normal_iteratorINS8_7pointerIsNS8_11hip_rocprim5par_tENS8_11use_defaultESE_EEEENSA_INSB_IlSD_SE_SE_EEEEZNS1_13binary_searchIS3_S5_PsSG_SI_NS1_21upper_bound_search_opENS9_16wrapped_functionINS8_6system6detail7generic6detail18binary_search_lessEbEEEE10hipError_tPvRmT1_T2_T3_mmT4_T5_P12ihipStream_tbEUlRKsE_EEST_SX_SY_mSZ_S12_bEUlT_E_NS1_11comp_targetILNS1_3genE10ELNS1_11target_archE1200ELNS1_3gpuE4ELNS1_3repE0EEENS1_30default_config_static_selectorELNS0_4arch9wavefront6targetE1EEEvSW_
	.p2align	8
	.type	_ZN7rocprim17ROCPRIM_400000_NS6detail17trampoline_kernelINS0_14default_configENS1_27upper_bound_config_selectorIslEEZNS1_14transform_implILb0ES3_S5_N6thrust23THRUST_200600_302600_NS6detail15normal_iteratorINS8_7pointerIsNS8_11hip_rocprim5par_tENS8_11use_defaultESE_EEEENSA_INSB_IlSD_SE_SE_EEEEZNS1_13binary_searchIS3_S5_PsSG_SI_NS1_21upper_bound_search_opENS9_16wrapped_functionINS8_6system6detail7generic6detail18binary_search_lessEbEEEE10hipError_tPvRmT1_T2_T3_mmT4_T5_P12ihipStream_tbEUlRKsE_EEST_SX_SY_mSZ_S12_bEUlT_E_NS1_11comp_targetILNS1_3genE10ELNS1_11target_archE1200ELNS1_3gpuE4ELNS1_3repE0EEENS1_30default_config_static_selectorELNS0_4arch9wavefront6targetE1EEEvSW_,@function
_ZN7rocprim17ROCPRIM_400000_NS6detail17trampoline_kernelINS0_14default_configENS1_27upper_bound_config_selectorIslEEZNS1_14transform_implILb0ES3_S5_N6thrust23THRUST_200600_302600_NS6detail15normal_iteratorINS8_7pointerIsNS8_11hip_rocprim5par_tENS8_11use_defaultESE_EEEENSA_INSB_IlSD_SE_SE_EEEEZNS1_13binary_searchIS3_S5_PsSG_SI_NS1_21upper_bound_search_opENS9_16wrapped_functionINS8_6system6detail7generic6detail18binary_search_lessEbEEEE10hipError_tPvRmT1_T2_T3_mmT4_T5_P12ihipStream_tbEUlRKsE_EEST_SX_SY_mSZ_S12_bEUlT_E_NS1_11comp_targetILNS1_3genE10ELNS1_11target_archE1200ELNS1_3gpuE4ELNS1_3repE0EEENS1_30default_config_static_selectorELNS0_4arch9wavefront6targetE1EEEvSW_: ; @_ZN7rocprim17ROCPRIM_400000_NS6detail17trampoline_kernelINS0_14default_configENS1_27upper_bound_config_selectorIslEEZNS1_14transform_implILb0ES3_S5_N6thrust23THRUST_200600_302600_NS6detail15normal_iteratorINS8_7pointerIsNS8_11hip_rocprim5par_tENS8_11use_defaultESE_EEEENSA_INSB_IlSD_SE_SE_EEEEZNS1_13binary_searchIS3_S5_PsSG_SI_NS1_21upper_bound_search_opENS9_16wrapped_functionINS8_6system6detail7generic6detail18binary_search_lessEbEEEE10hipError_tPvRmT1_T2_T3_mmT4_T5_P12ihipStream_tbEUlRKsE_EEST_SX_SY_mSZ_S12_bEUlT_E_NS1_11comp_targetILNS1_3genE10ELNS1_11target_archE1200ELNS1_3gpuE4ELNS1_3repE0EEENS1_30default_config_static_selectorELNS0_4arch9wavefront6targetE1EEEvSW_
; %bb.0:
	.section	.rodata,"a",@progbits
	.p2align	6, 0x0
	.amdhsa_kernel _ZN7rocprim17ROCPRIM_400000_NS6detail17trampoline_kernelINS0_14default_configENS1_27upper_bound_config_selectorIslEEZNS1_14transform_implILb0ES3_S5_N6thrust23THRUST_200600_302600_NS6detail15normal_iteratorINS8_7pointerIsNS8_11hip_rocprim5par_tENS8_11use_defaultESE_EEEENSA_INSB_IlSD_SE_SE_EEEEZNS1_13binary_searchIS3_S5_PsSG_SI_NS1_21upper_bound_search_opENS9_16wrapped_functionINS8_6system6detail7generic6detail18binary_search_lessEbEEEE10hipError_tPvRmT1_T2_T3_mmT4_T5_P12ihipStream_tbEUlRKsE_EEST_SX_SY_mSZ_S12_bEUlT_E_NS1_11comp_targetILNS1_3genE10ELNS1_11target_archE1200ELNS1_3gpuE4ELNS1_3repE0EEENS1_30default_config_static_selectorELNS0_4arch9wavefront6targetE1EEEvSW_
		.amdhsa_group_segment_fixed_size 0
		.amdhsa_private_segment_fixed_size 0
		.amdhsa_kernarg_size 56
		.amdhsa_user_sgpr_count 6
		.amdhsa_user_sgpr_private_segment_buffer 1
		.amdhsa_user_sgpr_dispatch_ptr 0
		.amdhsa_user_sgpr_queue_ptr 0
		.amdhsa_user_sgpr_kernarg_segment_ptr 1
		.amdhsa_user_sgpr_dispatch_id 0
		.amdhsa_user_sgpr_flat_scratch_init 0
		.amdhsa_user_sgpr_private_segment_size 0
		.amdhsa_uses_dynamic_stack 0
		.amdhsa_system_sgpr_private_segment_wavefront_offset 0
		.amdhsa_system_sgpr_workgroup_id_x 1
		.amdhsa_system_sgpr_workgroup_id_y 0
		.amdhsa_system_sgpr_workgroup_id_z 0
		.amdhsa_system_sgpr_workgroup_info 0
		.amdhsa_system_vgpr_workitem_id 0
		.amdhsa_next_free_vgpr 1
		.amdhsa_next_free_sgpr 0
		.amdhsa_reserve_vcc 0
		.amdhsa_reserve_flat_scratch 0
		.amdhsa_float_round_mode_32 0
		.amdhsa_float_round_mode_16_64 0
		.amdhsa_float_denorm_mode_32 3
		.amdhsa_float_denorm_mode_16_64 3
		.amdhsa_dx10_clamp 1
		.amdhsa_ieee_mode 1
		.amdhsa_fp16_overflow 0
		.amdhsa_exception_fp_ieee_invalid_op 0
		.amdhsa_exception_fp_denorm_src 0
		.amdhsa_exception_fp_ieee_div_zero 0
		.amdhsa_exception_fp_ieee_overflow 0
		.amdhsa_exception_fp_ieee_underflow 0
		.amdhsa_exception_fp_ieee_inexact 0
		.amdhsa_exception_int_div_zero 0
	.end_amdhsa_kernel
	.section	.text._ZN7rocprim17ROCPRIM_400000_NS6detail17trampoline_kernelINS0_14default_configENS1_27upper_bound_config_selectorIslEEZNS1_14transform_implILb0ES3_S5_N6thrust23THRUST_200600_302600_NS6detail15normal_iteratorINS8_7pointerIsNS8_11hip_rocprim5par_tENS8_11use_defaultESE_EEEENSA_INSB_IlSD_SE_SE_EEEEZNS1_13binary_searchIS3_S5_PsSG_SI_NS1_21upper_bound_search_opENS9_16wrapped_functionINS8_6system6detail7generic6detail18binary_search_lessEbEEEE10hipError_tPvRmT1_T2_T3_mmT4_T5_P12ihipStream_tbEUlRKsE_EEST_SX_SY_mSZ_S12_bEUlT_E_NS1_11comp_targetILNS1_3genE10ELNS1_11target_archE1200ELNS1_3gpuE4ELNS1_3repE0EEENS1_30default_config_static_selectorELNS0_4arch9wavefront6targetE1EEEvSW_,"axG",@progbits,_ZN7rocprim17ROCPRIM_400000_NS6detail17trampoline_kernelINS0_14default_configENS1_27upper_bound_config_selectorIslEEZNS1_14transform_implILb0ES3_S5_N6thrust23THRUST_200600_302600_NS6detail15normal_iteratorINS8_7pointerIsNS8_11hip_rocprim5par_tENS8_11use_defaultESE_EEEENSA_INSB_IlSD_SE_SE_EEEEZNS1_13binary_searchIS3_S5_PsSG_SI_NS1_21upper_bound_search_opENS9_16wrapped_functionINS8_6system6detail7generic6detail18binary_search_lessEbEEEE10hipError_tPvRmT1_T2_T3_mmT4_T5_P12ihipStream_tbEUlRKsE_EEST_SX_SY_mSZ_S12_bEUlT_E_NS1_11comp_targetILNS1_3genE10ELNS1_11target_archE1200ELNS1_3gpuE4ELNS1_3repE0EEENS1_30default_config_static_selectorELNS0_4arch9wavefront6targetE1EEEvSW_,comdat
.Lfunc_end238:
	.size	_ZN7rocprim17ROCPRIM_400000_NS6detail17trampoline_kernelINS0_14default_configENS1_27upper_bound_config_selectorIslEEZNS1_14transform_implILb0ES3_S5_N6thrust23THRUST_200600_302600_NS6detail15normal_iteratorINS8_7pointerIsNS8_11hip_rocprim5par_tENS8_11use_defaultESE_EEEENSA_INSB_IlSD_SE_SE_EEEEZNS1_13binary_searchIS3_S5_PsSG_SI_NS1_21upper_bound_search_opENS9_16wrapped_functionINS8_6system6detail7generic6detail18binary_search_lessEbEEEE10hipError_tPvRmT1_T2_T3_mmT4_T5_P12ihipStream_tbEUlRKsE_EEST_SX_SY_mSZ_S12_bEUlT_E_NS1_11comp_targetILNS1_3genE10ELNS1_11target_archE1200ELNS1_3gpuE4ELNS1_3repE0EEENS1_30default_config_static_selectorELNS0_4arch9wavefront6targetE1EEEvSW_, .Lfunc_end238-_ZN7rocprim17ROCPRIM_400000_NS6detail17trampoline_kernelINS0_14default_configENS1_27upper_bound_config_selectorIslEEZNS1_14transform_implILb0ES3_S5_N6thrust23THRUST_200600_302600_NS6detail15normal_iteratorINS8_7pointerIsNS8_11hip_rocprim5par_tENS8_11use_defaultESE_EEEENSA_INSB_IlSD_SE_SE_EEEEZNS1_13binary_searchIS3_S5_PsSG_SI_NS1_21upper_bound_search_opENS9_16wrapped_functionINS8_6system6detail7generic6detail18binary_search_lessEbEEEE10hipError_tPvRmT1_T2_T3_mmT4_T5_P12ihipStream_tbEUlRKsE_EEST_SX_SY_mSZ_S12_bEUlT_E_NS1_11comp_targetILNS1_3genE10ELNS1_11target_archE1200ELNS1_3gpuE4ELNS1_3repE0EEENS1_30default_config_static_selectorELNS0_4arch9wavefront6targetE1EEEvSW_
                                        ; -- End function
	.set _ZN7rocprim17ROCPRIM_400000_NS6detail17trampoline_kernelINS0_14default_configENS1_27upper_bound_config_selectorIslEEZNS1_14transform_implILb0ES3_S5_N6thrust23THRUST_200600_302600_NS6detail15normal_iteratorINS8_7pointerIsNS8_11hip_rocprim5par_tENS8_11use_defaultESE_EEEENSA_INSB_IlSD_SE_SE_EEEEZNS1_13binary_searchIS3_S5_PsSG_SI_NS1_21upper_bound_search_opENS9_16wrapped_functionINS8_6system6detail7generic6detail18binary_search_lessEbEEEE10hipError_tPvRmT1_T2_T3_mmT4_T5_P12ihipStream_tbEUlRKsE_EEST_SX_SY_mSZ_S12_bEUlT_E_NS1_11comp_targetILNS1_3genE10ELNS1_11target_archE1200ELNS1_3gpuE4ELNS1_3repE0EEENS1_30default_config_static_selectorELNS0_4arch9wavefront6targetE1EEEvSW_.num_vgpr, 0
	.set _ZN7rocprim17ROCPRIM_400000_NS6detail17trampoline_kernelINS0_14default_configENS1_27upper_bound_config_selectorIslEEZNS1_14transform_implILb0ES3_S5_N6thrust23THRUST_200600_302600_NS6detail15normal_iteratorINS8_7pointerIsNS8_11hip_rocprim5par_tENS8_11use_defaultESE_EEEENSA_INSB_IlSD_SE_SE_EEEEZNS1_13binary_searchIS3_S5_PsSG_SI_NS1_21upper_bound_search_opENS9_16wrapped_functionINS8_6system6detail7generic6detail18binary_search_lessEbEEEE10hipError_tPvRmT1_T2_T3_mmT4_T5_P12ihipStream_tbEUlRKsE_EEST_SX_SY_mSZ_S12_bEUlT_E_NS1_11comp_targetILNS1_3genE10ELNS1_11target_archE1200ELNS1_3gpuE4ELNS1_3repE0EEENS1_30default_config_static_selectorELNS0_4arch9wavefront6targetE1EEEvSW_.num_agpr, 0
	.set _ZN7rocprim17ROCPRIM_400000_NS6detail17trampoline_kernelINS0_14default_configENS1_27upper_bound_config_selectorIslEEZNS1_14transform_implILb0ES3_S5_N6thrust23THRUST_200600_302600_NS6detail15normal_iteratorINS8_7pointerIsNS8_11hip_rocprim5par_tENS8_11use_defaultESE_EEEENSA_INSB_IlSD_SE_SE_EEEEZNS1_13binary_searchIS3_S5_PsSG_SI_NS1_21upper_bound_search_opENS9_16wrapped_functionINS8_6system6detail7generic6detail18binary_search_lessEbEEEE10hipError_tPvRmT1_T2_T3_mmT4_T5_P12ihipStream_tbEUlRKsE_EEST_SX_SY_mSZ_S12_bEUlT_E_NS1_11comp_targetILNS1_3genE10ELNS1_11target_archE1200ELNS1_3gpuE4ELNS1_3repE0EEENS1_30default_config_static_selectorELNS0_4arch9wavefront6targetE1EEEvSW_.numbered_sgpr, 0
	.set _ZN7rocprim17ROCPRIM_400000_NS6detail17trampoline_kernelINS0_14default_configENS1_27upper_bound_config_selectorIslEEZNS1_14transform_implILb0ES3_S5_N6thrust23THRUST_200600_302600_NS6detail15normal_iteratorINS8_7pointerIsNS8_11hip_rocprim5par_tENS8_11use_defaultESE_EEEENSA_INSB_IlSD_SE_SE_EEEEZNS1_13binary_searchIS3_S5_PsSG_SI_NS1_21upper_bound_search_opENS9_16wrapped_functionINS8_6system6detail7generic6detail18binary_search_lessEbEEEE10hipError_tPvRmT1_T2_T3_mmT4_T5_P12ihipStream_tbEUlRKsE_EEST_SX_SY_mSZ_S12_bEUlT_E_NS1_11comp_targetILNS1_3genE10ELNS1_11target_archE1200ELNS1_3gpuE4ELNS1_3repE0EEENS1_30default_config_static_selectorELNS0_4arch9wavefront6targetE1EEEvSW_.num_named_barrier, 0
	.set _ZN7rocprim17ROCPRIM_400000_NS6detail17trampoline_kernelINS0_14default_configENS1_27upper_bound_config_selectorIslEEZNS1_14transform_implILb0ES3_S5_N6thrust23THRUST_200600_302600_NS6detail15normal_iteratorINS8_7pointerIsNS8_11hip_rocprim5par_tENS8_11use_defaultESE_EEEENSA_INSB_IlSD_SE_SE_EEEEZNS1_13binary_searchIS3_S5_PsSG_SI_NS1_21upper_bound_search_opENS9_16wrapped_functionINS8_6system6detail7generic6detail18binary_search_lessEbEEEE10hipError_tPvRmT1_T2_T3_mmT4_T5_P12ihipStream_tbEUlRKsE_EEST_SX_SY_mSZ_S12_bEUlT_E_NS1_11comp_targetILNS1_3genE10ELNS1_11target_archE1200ELNS1_3gpuE4ELNS1_3repE0EEENS1_30default_config_static_selectorELNS0_4arch9wavefront6targetE1EEEvSW_.private_seg_size, 0
	.set _ZN7rocprim17ROCPRIM_400000_NS6detail17trampoline_kernelINS0_14default_configENS1_27upper_bound_config_selectorIslEEZNS1_14transform_implILb0ES3_S5_N6thrust23THRUST_200600_302600_NS6detail15normal_iteratorINS8_7pointerIsNS8_11hip_rocprim5par_tENS8_11use_defaultESE_EEEENSA_INSB_IlSD_SE_SE_EEEEZNS1_13binary_searchIS3_S5_PsSG_SI_NS1_21upper_bound_search_opENS9_16wrapped_functionINS8_6system6detail7generic6detail18binary_search_lessEbEEEE10hipError_tPvRmT1_T2_T3_mmT4_T5_P12ihipStream_tbEUlRKsE_EEST_SX_SY_mSZ_S12_bEUlT_E_NS1_11comp_targetILNS1_3genE10ELNS1_11target_archE1200ELNS1_3gpuE4ELNS1_3repE0EEENS1_30default_config_static_selectorELNS0_4arch9wavefront6targetE1EEEvSW_.uses_vcc, 0
	.set _ZN7rocprim17ROCPRIM_400000_NS6detail17trampoline_kernelINS0_14default_configENS1_27upper_bound_config_selectorIslEEZNS1_14transform_implILb0ES3_S5_N6thrust23THRUST_200600_302600_NS6detail15normal_iteratorINS8_7pointerIsNS8_11hip_rocprim5par_tENS8_11use_defaultESE_EEEENSA_INSB_IlSD_SE_SE_EEEEZNS1_13binary_searchIS3_S5_PsSG_SI_NS1_21upper_bound_search_opENS9_16wrapped_functionINS8_6system6detail7generic6detail18binary_search_lessEbEEEE10hipError_tPvRmT1_T2_T3_mmT4_T5_P12ihipStream_tbEUlRKsE_EEST_SX_SY_mSZ_S12_bEUlT_E_NS1_11comp_targetILNS1_3genE10ELNS1_11target_archE1200ELNS1_3gpuE4ELNS1_3repE0EEENS1_30default_config_static_selectorELNS0_4arch9wavefront6targetE1EEEvSW_.uses_flat_scratch, 0
	.set _ZN7rocprim17ROCPRIM_400000_NS6detail17trampoline_kernelINS0_14default_configENS1_27upper_bound_config_selectorIslEEZNS1_14transform_implILb0ES3_S5_N6thrust23THRUST_200600_302600_NS6detail15normal_iteratorINS8_7pointerIsNS8_11hip_rocprim5par_tENS8_11use_defaultESE_EEEENSA_INSB_IlSD_SE_SE_EEEEZNS1_13binary_searchIS3_S5_PsSG_SI_NS1_21upper_bound_search_opENS9_16wrapped_functionINS8_6system6detail7generic6detail18binary_search_lessEbEEEE10hipError_tPvRmT1_T2_T3_mmT4_T5_P12ihipStream_tbEUlRKsE_EEST_SX_SY_mSZ_S12_bEUlT_E_NS1_11comp_targetILNS1_3genE10ELNS1_11target_archE1200ELNS1_3gpuE4ELNS1_3repE0EEENS1_30default_config_static_selectorELNS0_4arch9wavefront6targetE1EEEvSW_.has_dyn_sized_stack, 0
	.set _ZN7rocprim17ROCPRIM_400000_NS6detail17trampoline_kernelINS0_14default_configENS1_27upper_bound_config_selectorIslEEZNS1_14transform_implILb0ES3_S5_N6thrust23THRUST_200600_302600_NS6detail15normal_iteratorINS8_7pointerIsNS8_11hip_rocprim5par_tENS8_11use_defaultESE_EEEENSA_INSB_IlSD_SE_SE_EEEEZNS1_13binary_searchIS3_S5_PsSG_SI_NS1_21upper_bound_search_opENS9_16wrapped_functionINS8_6system6detail7generic6detail18binary_search_lessEbEEEE10hipError_tPvRmT1_T2_T3_mmT4_T5_P12ihipStream_tbEUlRKsE_EEST_SX_SY_mSZ_S12_bEUlT_E_NS1_11comp_targetILNS1_3genE10ELNS1_11target_archE1200ELNS1_3gpuE4ELNS1_3repE0EEENS1_30default_config_static_selectorELNS0_4arch9wavefront6targetE1EEEvSW_.has_recursion, 0
	.set _ZN7rocprim17ROCPRIM_400000_NS6detail17trampoline_kernelINS0_14default_configENS1_27upper_bound_config_selectorIslEEZNS1_14transform_implILb0ES3_S5_N6thrust23THRUST_200600_302600_NS6detail15normal_iteratorINS8_7pointerIsNS8_11hip_rocprim5par_tENS8_11use_defaultESE_EEEENSA_INSB_IlSD_SE_SE_EEEEZNS1_13binary_searchIS3_S5_PsSG_SI_NS1_21upper_bound_search_opENS9_16wrapped_functionINS8_6system6detail7generic6detail18binary_search_lessEbEEEE10hipError_tPvRmT1_T2_T3_mmT4_T5_P12ihipStream_tbEUlRKsE_EEST_SX_SY_mSZ_S12_bEUlT_E_NS1_11comp_targetILNS1_3genE10ELNS1_11target_archE1200ELNS1_3gpuE4ELNS1_3repE0EEENS1_30default_config_static_selectorELNS0_4arch9wavefront6targetE1EEEvSW_.has_indirect_call, 0
	.section	.AMDGPU.csdata,"",@progbits
; Kernel info:
; codeLenInByte = 0
; TotalNumSgprs: 4
; NumVgprs: 0
; ScratchSize: 0
; MemoryBound: 0
; FloatMode: 240
; IeeeMode: 1
; LDSByteSize: 0 bytes/workgroup (compile time only)
; SGPRBlocks: 0
; VGPRBlocks: 0
; NumSGPRsForWavesPerEU: 4
; NumVGPRsForWavesPerEU: 1
; Occupancy: 10
; WaveLimiterHint : 0
; COMPUTE_PGM_RSRC2:SCRATCH_EN: 0
; COMPUTE_PGM_RSRC2:USER_SGPR: 6
; COMPUTE_PGM_RSRC2:TRAP_HANDLER: 0
; COMPUTE_PGM_RSRC2:TGID_X_EN: 1
; COMPUTE_PGM_RSRC2:TGID_Y_EN: 0
; COMPUTE_PGM_RSRC2:TGID_Z_EN: 0
; COMPUTE_PGM_RSRC2:TIDIG_COMP_CNT: 0
	.section	.text._ZN7rocprim17ROCPRIM_400000_NS6detail17trampoline_kernelINS0_14default_configENS1_27upper_bound_config_selectorIslEEZNS1_14transform_implILb0ES3_S5_N6thrust23THRUST_200600_302600_NS6detail15normal_iteratorINS8_7pointerIsNS8_11hip_rocprim5par_tENS8_11use_defaultESE_EEEENSA_INSB_IlSD_SE_SE_EEEEZNS1_13binary_searchIS3_S5_PsSG_SI_NS1_21upper_bound_search_opENS9_16wrapped_functionINS8_6system6detail7generic6detail18binary_search_lessEbEEEE10hipError_tPvRmT1_T2_T3_mmT4_T5_P12ihipStream_tbEUlRKsE_EEST_SX_SY_mSZ_S12_bEUlT_E_NS1_11comp_targetILNS1_3genE9ELNS1_11target_archE1100ELNS1_3gpuE3ELNS1_3repE0EEENS1_30default_config_static_selectorELNS0_4arch9wavefront6targetE1EEEvSW_,"axG",@progbits,_ZN7rocprim17ROCPRIM_400000_NS6detail17trampoline_kernelINS0_14default_configENS1_27upper_bound_config_selectorIslEEZNS1_14transform_implILb0ES3_S5_N6thrust23THRUST_200600_302600_NS6detail15normal_iteratorINS8_7pointerIsNS8_11hip_rocprim5par_tENS8_11use_defaultESE_EEEENSA_INSB_IlSD_SE_SE_EEEEZNS1_13binary_searchIS3_S5_PsSG_SI_NS1_21upper_bound_search_opENS9_16wrapped_functionINS8_6system6detail7generic6detail18binary_search_lessEbEEEE10hipError_tPvRmT1_T2_T3_mmT4_T5_P12ihipStream_tbEUlRKsE_EEST_SX_SY_mSZ_S12_bEUlT_E_NS1_11comp_targetILNS1_3genE9ELNS1_11target_archE1100ELNS1_3gpuE3ELNS1_3repE0EEENS1_30default_config_static_selectorELNS0_4arch9wavefront6targetE1EEEvSW_,comdat
	.protected	_ZN7rocprim17ROCPRIM_400000_NS6detail17trampoline_kernelINS0_14default_configENS1_27upper_bound_config_selectorIslEEZNS1_14transform_implILb0ES3_S5_N6thrust23THRUST_200600_302600_NS6detail15normal_iteratorINS8_7pointerIsNS8_11hip_rocprim5par_tENS8_11use_defaultESE_EEEENSA_INSB_IlSD_SE_SE_EEEEZNS1_13binary_searchIS3_S5_PsSG_SI_NS1_21upper_bound_search_opENS9_16wrapped_functionINS8_6system6detail7generic6detail18binary_search_lessEbEEEE10hipError_tPvRmT1_T2_T3_mmT4_T5_P12ihipStream_tbEUlRKsE_EEST_SX_SY_mSZ_S12_bEUlT_E_NS1_11comp_targetILNS1_3genE9ELNS1_11target_archE1100ELNS1_3gpuE3ELNS1_3repE0EEENS1_30default_config_static_selectorELNS0_4arch9wavefront6targetE1EEEvSW_ ; -- Begin function _ZN7rocprim17ROCPRIM_400000_NS6detail17trampoline_kernelINS0_14default_configENS1_27upper_bound_config_selectorIslEEZNS1_14transform_implILb0ES3_S5_N6thrust23THRUST_200600_302600_NS6detail15normal_iteratorINS8_7pointerIsNS8_11hip_rocprim5par_tENS8_11use_defaultESE_EEEENSA_INSB_IlSD_SE_SE_EEEEZNS1_13binary_searchIS3_S5_PsSG_SI_NS1_21upper_bound_search_opENS9_16wrapped_functionINS8_6system6detail7generic6detail18binary_search_lessEbEEEE10hipError_tPvRmT1_T2_T3_mmT4_T5_P12ihipStream_tbEUlRKsE_EEST_SX_SY_mSZ_S12_bEUlT_E_NS1_11comp_targetILNS1_3genE9ELNS1_11target_archE1100ELNS1_3gpuE3ELNS1_3repE0EEENS1_30default_config_static_selectorELNS0_4arch9wavefront6targetE1EEEvSW_
	.globl	_ZN7rocprim17ROCPRIM_400000_NS6detail17trampoline_kernelINS0_14default_configENS1_27upper_bound_config_selectorIslEEZNS1_14transform_implILb0ES3_S5_N6thrust23THRUST_200600_302600_NS6detail15normal_iteratorINS8_7pointerIsNS8_11hip_rocprim5par_tENS8_11use_defaultESE_EEEENSA_INSB_IlSD_SE_SE_EEEEZNS1_13binary_searchIS3_S5_PsSG_SI_NS1_21upper_bound_search_opENS9_16wrapped_functionINS8_6system6detail7generic6detail18binary_search_lessEbEEEE10hipError_tPvRmT1_T2_T3_mmT4_T5_P12ihipStream_tbEUlRKsE_EEST_SX_SY_mSZ_S12_bEUlT_E_NS1_11comp_targetILNS1_3genE9ELNS1_11target_archE1100ELNS1_3gpuE3ELNS1_3repE0EEENS1_30default_config_static_selectorELNS0_4arch9wavefront6targetE1EEEvSW_
	.p2align	8
	.type	_ZN7rocprim17ROCPRIM_400000_NS6detail17trampoline_kernelINS0_14default_configENS1_27upper_bound_config_selectorIslEEZNS1_14transform_implILb0ES3_S5_N6thrust23THRUST_200600_302600_NS6detail15normal_iteratorINS8_7pointerIsNS8_11hip_rocprim5par_tENS8_11use_defaultESE_EEEENSA_INSB_IlSD_SE_SE_EEEEZNS1_13binary_searchIS3_S5_PsSG_SI_NS1_21upper_bound_search_opENS9_16wrapped_functionINS8_6system6detail7generic6detail18binary_search_lessEbEEEE10hipError_tPvRmT1_T2_T3_mmT4_T5_P12ihipStream_tbEUlRKsE_EEST_SX_SY_mSZ_S12_bEUlT_E_NS1_11comp_targetILNS1_3genE9ELNS1_11target_archE1100ELNS1_3gpuE3ELNS1_3repE0EEENS1_30default_config_static_selectorELNS0_4arch9wavefront6targetE1EEEvSW_,@function
_ZN7rocprim17ROCPRIM_400000_NS6detail17trampoline_kernelINS0_14default_configENS1_27upper_bound_config_selectorIslEEZNS1_14transform_implILb0ES3_S5_N6thrust23THRUST_200600_302600_NS6detail15normal_iteratorINS8_7pointerIsNS8_11hip_rocprim5par_tENS8_11use_defaultESE_EEEENSA_INSB_IlSD_SE_SE_EEEEZNS1_13binary_searchIS3_S5_PsSG_SI_NS1_21upper_bound_search_opENS9_16wrapped_functionINS8_6system6detail7generic6detail18binary_search_lessEbEEEE10hipError_tPvRmT1_T2_T3_mmT4_T5_P12ihipStream_tbEUlRKsE_EEST_SX_SY_mSZ_S12_bEUlT_E_NS1_11comp_targetILNS1_3genE9ELNS1_11target_archE1100ELNS1_3gpuE3ELNS1_3repE0EEENS1_30default_config_static_selectorELNS0_4arch9wavefront6targetE1EEEvSW_: ; @_ZN7rocprim17ROCPRIM_400000_NS6detail17trampoline_kernelINS0_14default_configENS1_27upper_bound_config_selectorIslEEZNS1_14transform_implILb0ES3_S5_N6thrust23THRUST_200600_302600_NS6detail15normal_iteratorINS8_7pointerIsNS8_11hip_rocprim5par_tENS8_11use_defaultESE_EEEENSA_INSB_IlSD_SE_SE_EEEEZNS1_13binary_searchIS3_S5_PsSG_SI_NS1_21upper_bound_search_opENS9_16wrapped_functionINS8_6system6detail7generic6detail18binary_search_lessEbEEEE10hipError_tPvRmT1_T2_T3_mmT4_T5_P12ihipStream_tbEUlRKsE_EEST_SX_SY_mSZ_S12_bEUlT_E_NS1_11comp_targetILNS1_3genE9ELNS1_11target_archE1100ELNS1_3gpuE3ELNS1_3repE0EEENS1_30default_config_static_selectorELNS0_4arch9wavefront6targetE1EEEvSW_
; %bb.0:
	.section	.rodata,"a",@progbits
	.p2align	6, 0x0
	.amdhsa_kernel _ZN7rocprim17ROCPRIM_400000_NS6detail17trampoline_kernelINS0_14default_configENS1_27upper_bound_config_selectorIslEEZNS1_14transform_implILb0ES3_S5_N6thrust23THRUST_200600_302600_NS6detail15normal_iteratorINS8_7pointerIsNS8_11hip_rocprim5par_tENS8_11use_defaultESE_EEEENSA_INSB_IlSD_SE_SE_EEEEZNS1_13binary_searchIS3_S5_PsSG_SI_NS1_21upper_bound_search_opENS9_16wrapped_functionINS8_6system6detail7generic6detail18binary_search_lessEbEEEE10hipError_tPvRmT1_T2_T3_mmT4_T5_P12ihipStream_tbEUlRKsE_EEST_SX_SY_mSZ_S12_bEUlT_E_NS1_11comp_targetILNS1_3genE9ELNS1_11target_archE1100ELNS1_3gpuE3ELNS1_3repE0EEENS1_30default_config_static_selectorELNS0_4arch9wavefront6targetE1EEEvSW_
		.amdhsa_group_segment_fixed_size 0
		.amdhsa_private_segment_fixed_size 0
		.amdhsa_kernarg_size 56
		.amdhsa_user_sgpr_count 6
		.amdhsa_user_sgpr_private_segment_buffer 1
		.amdhsa_user_sgpr_dispatch_ptr 0
		.amdhsa_user_sgpr_queue_ptr 0
		.amdhsa_user_sgpr_kernarg_segment_ptr 1
		.amdhsa_user_sgpr_dispatch_id 0
		.amdhsa_user_sgpr_flat_scratch_init 0
		.amdhsa_user_sgpr_private_segment_size 0
		.amdhsa_uses_dynamic_stack 0
		.amdhsa_system_sgpr_private_segment_wavefront_offset 0
		.amdhsa_system_sgpr_workgroup_id_x 1
		.amdhsa_system_sgpr_workgroup_id_y 0
		.amdhsa_system_sgpr_workgroup_id_z 0
		.amdhsa_system_sgpr_workgroup_info 0
		.amdhsa_system_vgpr_workitem_id 0
		.amdhsa_next_free_vgpr 1
		.amdhsa_next_free_sgpr 0
		.amdhsa_reserve_vcc 0
		.amdhsa_reserve_flat_scratch 0
		.amdhsa_float_round_mode_32 0
		.amdhsa_float_round_mode_16_64 0
		.amdhsa_float_denorm_mode_32 3
		.amdhsa_float_denorm_mode_16_64 3
		.amdhsa_dx10_clamp 1
		.amdhsa_ieee_mode 1
		.amdhsa_fp16_overflow 0
		.amdhsa_exception_fp_ieee_invalid_op 0
		.amdhsa_exception_fp_denorm_src 0
		.amdhsa_exception_fp_ieee_div_zero 0
		.amdhsa_exception_fp_ieee_overflow 0
		.amdhsa_exception_fp_ieee_underflow 0
		.amdhsa_exception_fp_ieee_inexact 0
		.amdhsa_exception_int_div_zero 0
	.end_amdhsa_kernel
	.section	.text._ZN7rocprim17ROCPRIM_400000_NS6detail17trampoline_kernelINS0_14default_configENS1_27upper_bound_config_selectorIslEEZNS1_14transform_implILb0ES3_S5_N6thrust23THRUST_200600_302600_NS6detail15normal_iteratorINS8_7pointerIsNS8_11hip_rocprim5par_tENS8_11use_defaultESE_EEEENSA_INSB_IlSD_SE_SE_EEEEZNS1_13binary_searchIS3_S5_PsSG_SI_NS1_21upper_bound_search_opENS9_16wrapped_functionINS8_6system6detail7generic6detail18binary_search_lessEbEEEE10hipError_tPvRmT1_T2_T3_mmT4_T5_P12ihipStream_tbEUlRKsE_EEST_SX_SY_mSZ_S12_bEUlT_E_NS1_11comp_targetILNS1_3genE9ELNS1_11target_archE1100ELNS1_3gpuE3ELNS1_3repE0EEENS1_30default_config_static_selectorELNS0_4arch9wavefront6targetE1EEEvSW_,"axG",@progbits,_ZN7rocprim17ROCPRIM_400000_NS6detail17trampoline_kernelINS0_14default_configENS1_27upper_bound_config_selectorIslEEZNS1_14transform_implILb0ES3_S5_N6thrust23THRUST_200600_302600_NS6detail15normal_iteratorINS8_7pointerIsNS8_11hip_rocprim5par_tENS8_11use_defaultESE_EEEENSA_INSB_IlSD_SE_SE_EEEEZNS1_13binary_searchIS3_S5_PsSG_SI_NS1_21upper_bound_search_opENS9_16wrapped_functionINS8_6system6detail7generic6detail18binary_search_lessEbEEEE10hipError_tPvRmT1_T2_T3_mmT4_T5_P12ihipStream_tbEUlRKsE_EEST_SX_SY_mSZ_S12_bEUlT_E_NS1_11comp_targetILNS1_3genE9ELNS1_11target_archE1100ELNS1_3gpuE3ELNS1_3repE0EEENS1_30default_config_static_selectorELNS0_4arch9wavefront6targetE1EEEvSW_,comdat
.Lfunc_end239:
	.size	_ZN7rocprim17ROCPRIM_400000_NS6detail17trampoline_kernelINS0_14default_configENS1_27upper_bound_config_selectorIslEEZNS1_14transform_implILb0ES3_S5_N6thrust23THRUST_200600_302600_NS6detail15normal_iteratorINS8_7pointerIsNS8_11hip_rocprim5par_tENS8_11use_defaultESE_EEEENSA_INSB_IlSD_SE_SE_EEEEZNS1_13binary_searchIS3_S5_PsSG_SI_NS1_21upper_bound_search_opENS9_16wrapped_functionINS8_6system6detail7generic6detail18binary_search_lessEbEEEE10hipError_tPvRmT1_T2_T3_mmT4_T5_P12ihipStream_tbEUlRKsE_EEST_SX_SY_mSZ_S12_bEUlT_E_NS1_11comp_targetILNS1_3genE9ELNS1_11target_archE1100ELNS1_3gpuE3ELNS1_3repE0EEENS1_30default_config_static_selectorELNS0_4arch9wavefront6targetE1EEEvSW_, .Lfunc_end239-_ZN7rocprim17ROCPRIM_400000_NS6detail17trampoline_kernelINS0_14default_configENS1_27upper_bound_config_selectorIslEEZNS1_14transform_implILb0ES3_S5_N6thrust23THRUST_200600_302600_NS6detail15normal_iteratorINS8_7pointerIsNS8_11hip_rocprim5par_tENS8_11use_defaultESE_EEEENSA_INSB_IlSD_SE_SE_EEEEZNS1_13binary_searchIS3_S5_PsSG_SI_NS1_21upper_bound_search_opENS9_16wrapped_functionINS8_6system6detail7generic6detail18binary_search_lessEbEEEE10hipError_tPvRmT1_T2_T3_mmT4_T5_P12ihipStream_tbEUlRKsE_EEST_SX_SY_mSZ_S12_bEUlT_E_NS1_11comp_targetILNS1_3genE9ELNS1_11target_archE1100ELNS1_3gpuE3ELNS1_3repE0EEENS1_30default_config_static_selectorELNS0_4arch9wavefront6targetE1EEEvSW_
                                        ; -- End function
	.set _ZN7rocprim17ROCPRIM_400000_NS6detail17trampoline_kernelINS0_14default_configENS1_27upper_bound_config_selectorIslEEZNS1_14transform_implILb0ES3_S5_N6thrust23THRUST_200600_302600_NS6detail15normal_iteratorINS8_7pointerIsNS8_11hip_rocprim5par_tENS8_11use_defaultESE_EEEENSA_INSB_IlSD_SE_SE_EEEEZNS1_13binary_searchIS3_S5_PsSG_SI_NS1_21upper_bound_search_opENS9_16wrapped_functionINS8_6system6detail7generic6detail18binary_search_lessEbEEEE10hipError_tPvRmT1_T2_T3_mmT4_T5_P12ihipStream_tbEUlRKsE_EEST_SX_SY_mSZ_S12_bEUlT_E_NS1_11comp_targetILNS1_3genE9ELNS1_11target_archE1100ELNS1_3gpuE3ELNS1_3repE0EEENS1_30default_config_static_selectorELNS0_4arch9wavefront6targetE1EEEvSW_.num_vgpr, 0
	.set _ZN7rocprim17ROCPRIM_400000_NS6detail17trampoline_kernelINS0_14default_configENS1_27upper_bound_config_selectorIslEEZNS1_14transform_implILb0ES3_S5_N6thrust23THRUST_200600_302600_NS6detail15normal_iteratorINS8_7pointerIsNS8_11hip_rocprim5par_tENS8_11use_defaultESE_EEEENSA_INSB_IlSD_SE_SE_EEEEZNS1_13binary_searchIS3_S5_PsSG_SI_NS1_21upper_bound_search_opENS9_16wrapped_functionINS8_6system6detail7generic6detail18binary_search_lessEbEEEE10hipError_tPvRmT1_T2_T3_mmT4_T5_P12ihipStream_tbEUlRKsE_EEST_SX_SY_mSZ_S12_bEUlT_E_NS1_11comp_targetILNS1_3genE9ELNS1_11target_archE1100ELNS1_3gpuE3ELNS1_3repE0EEENS1_30default_config_static_selectorELNS0_4arch9wavefront6targetE1EEEvSW_.num_agpr, 0
	.set _ZN7rocprim17ROCPRIM_400000_NS6detail17trampoline_kernelINS0_14default_configENS1_27upper_bound_config_selectorIslEEZNS1_14transform_implILb0ES3_S5_N6thrust23THRUST_200600_302600_NS6detail15normal_iteratorINS8_7pointerIsNS8_11hip_rocprim5par_tENS8_11use_defaultESE_EEEENSA_INSB_IlSD_SE_SE_EEEEZNS1_13binary_searchIS3_S5_PsSG_SI_NS1_21upper_bound_search_opENS9_16wrapped_functionINS8_6system6detail7generic6detail18binary_search_lessEbEEEE10hipError_tPvRmT1_T2_T3_mmT4_T5_P12ihipStream_tbEUlRKsE_EEST_SX_SY_mSZ_S12_bEUlT_E_NS1_11comp_targetILNS1_3genE9ELNS1_11target_archE1100ELNS1_3gpuE3ELNS1_3repE0EEENS1_30default_config_static_selectorELNS0_4arch9wavefront6targetE1EEEvSW_.numbered_sgpr, 0
	.set _ZN7rocprim17ROCPRIM_400000_NS6detail17trampoline_kernelINS0_14default_configENS1_27upper_bound_config_selectorIslEEZNS1_14transform_implILb0ES3_S5_N6thrust23THRUST_200600_302600_NS6detail15normal_iteratorINS8_7pointerIsNS8_11hip_rocprim5par_tENS8_11use_defaultESE_EEEENSA_INSB_IlSD_SE_SE_EEEEZNS1_13binary_searchIS3_S5_PsSG_SI_NS1_21upper_bound_search_opENS9_16wrapped_functionINS8_6system6detail7generic6detail18binary_search_lessEbEEEE10hipError_tPvRmT1_T2_T3_mmT4_T5_P12ihipStream_tbEUlRKsE_EEST_SX_SY_mSZ_S12_bEUlT_E_NS1_11comp_targetILNS1_3genE9ELNS1_11target_archE1100ELNS1_3gpuE3ELNS1_3repE0EEENS1_30default_config_static_selectorELNS0_4arch9wavefront6targetE1EEEvSW_.num_named_barrier, 0
	.set _ZN7rocprim17ROCPRIM_400000_NS6detail17trampoline_kernelINS0_14default_configENS1_27upper_bound_config_selectorIslEEZNS1_14transform_implILb0ES3_S5_N6thrust23THRUST_200600_302600_NS6detail15normal_iteratorINS8_7pointerIsNS8_11hip_rocprim5par_tENS8_11use_defaultESE_EEEENSA_INSB_IlSD_SE_SE_EEEEZNS1_13binary_searchIS3_S5_PsSG_SI_NS1_21upper_bound_search_opENS9_16wrapped_functionINS8_6system6detail7generic6detail18binary_search_lessEbEEEE10hipError_tPvRmT1_T2_T3_mmT4_T5_P12ihipStream_tbEUlRKsE_EEST_SX_SY_mSZ_S12_bEUlT_E_NS1_11comp_targetILNS1_3genE9ELNS1_11target_archE1100ELNS1_3gpuE3ELNS1_3repE0EEENS1_30default_config_static_selectorELNS0_4arch9wavefront6targetE1EEEvSW_.private_seg_size, 0
	.set _ZN7rocprim17ROCPRIM_400000_NS6detail17trampoline_kernelINS0_14default_configENS1_27upper_bound_config_selectorIslEEZNS1_14transform_implILb0ES3_S5_N6thrust23THRUST_200600_302600_NS6detail15normal_iteratorINS8_7pointerIsNS8_11hip_rocprim5par_tENS8_11use_defaultESE_EEEENSA_INSB_IlSD_SE_SE_EEEEZNS1_13binary_searchIS3_S5_PsSG_SI_NS1_21upper_bound_search_opENS9_16wrapped_functionINS8_6system6detail7generic6detail18binary_search_lessEbEEEE10hipError_tPvRmT1_T2_T3_mmT4_T5_P12ihipStream_tbEUlRKsE_EEST_SX_SY_mSZ_S12_bEUlT_E_NS1_11comp_targetILNS1_3genE9ELNS1_11target_archE1100ELNS1_3gpuE3ELNS1_3repE0EEENS1_30default_config_static_selectorELNS0_4arch9wavefront6targetE1EEEvSW_.uses_vcc, 0
	.set _ZN7rocprim17ROCPRIM_400000_NS6detail17trampoline_kernelINS0_14default_configENS1_27upper_bound_config_selectorIslEEZNS1_14transform_implILb0ES3_S5_N6thrust23THRUST_200600_302600_NS6detail15normal_iteratorINS8_7pointerIsNS8_11hip_rocprim5par_tENS8_11use_defaultESE_EEEENSA_INSB_IlSD_SE_SE_EEEEZNS1_13binary_searchIS3_S5_PsSG_SI_NS1_21upper_bound_search_opENS9_16wrapped_functionINS8_6system6detail7generic6detail18binary_search_lessEbEEEE10hipError_tPvRmT1_T2_T3_mmT4_T5_P12ihipStream_tbEUlRKsE_EEST_SX_SY_mSZ_S12_bEUlT_E_NS1_11comp_targetILNS1_3genE9ELNS1_11target_archE1100ELNS1_3gpuE3ELNS1_3repE0EEENS1_30default_config_static_selectorELNS0_4arch9wavefront6targetE1EEEvSW_.uses_flat_scratch, 0
	.set _ZN7rocprim17ROCPRIM_400000_NS6detail17trampoline_kernelINS0_14default_configENS1_27upper_bound_config_selectorIslEEZNS1_14transform_implILb0ES3_S5_N6thrust23THRUST_200600_302600_NS6detail15normal_iteratorINS8_7pointerIsNS8_11hip_rocprim5par_tENS8_11use_defaultESE_EEEENSA_INSB_IlSD_SE_SE_EEEEZNS1_13binary_searchIS3_S5_PsSG_SI_NS1_21upper_bound_search_opENS9_16wrapped_functionINS8_6system6detail7generic6detail18binary_search_lessEbEEEE10hipError_tPvRmT1_T2_T3_mmT4_T5_P12ihipStream_tbEUlRKsE_EEST_SX_SY_mSZ_S12_bEUlT_E_NS1_11comp_targetILNS1_3genE9ELNS1_11target_archE1100ELNS1_3gpuE3ELNS1_3repE0EEENS1_30default_config_static_selectorELNS0_4arch9wavefront6targetE1EEEvSW_.has_dyn_sized_stack, 0
	.set _ZN7rocprim17ROCPRIM_400000_NS6detail17trampoline_kernelINS0_14default_configENS1_27upper_bound_config_selectorIslEEZNS1_14transform_implILb0ES3_S5_N6thrust23THRUST_200600_302600_NS6detail15normal_iteratorINS8_7pointerIsNS8_11hip_rocprim5par_tENS8_11use_defaultESE_EEEENSA_INSB_IlSD_SE_SE_EEEEZNS1_13binary_searchIS3_S5_PsSG_SI_NS1_21upper_bound_search_opENS9_16wrapped_functionINS8_6system6detail7generic6detail18binary_search_lessEbEEEE10hipError_tPvRmT1_T2_T3_mmT4_T5_P12ihipStream_tbEUlRKsE_EEST_SX_SY_mSZ_S12_bEUlT_E_NS1_11comp_targetILNS1_3genE9ELNS1_11target_archE1100ELNS1_3gpuE3ELNS1_3repE0EEENS1_30default_config_static_selectorELNS0_4arch9wavefront6targetE1EEEvSW_.has_recursion, 0
	.set _ZN7rocprim17ROCPRIM_400000_NS6detail17trampoline_kernelINS0_14default_configENS1_27upper_bound_config_selectorIslEEZNS1_14transform_implILb0ES3_S5_N6thrust23THRUST_200600_302600_NS6detail15normal_iteratorINS8_7pointerIsNS8_11hip_rocprim5par_tENS8_11use_defaultESE_EEEENSA_INSB_IlSD_SE_SE_EEEEZNS1_13binary_searchIS3_S5_PsSG_SI_NS1_21upper_bound_search_opENS9_16wrapped_functionINS8_6system6detail7generic6detail18binary_search_lessEbEEEE10hipError_tPvRmT1_T2_T3_mmT4_T5_P12ihipStream_tbEUlRKsE_EEST_SX_SY_mSZ_S12_bEUlT_E_NS1_11comp_targetILNS1_3genE9ELNS1_11target_archE1100ELNS1_3gpuE3ELNS1_3repE0EEENS1_30default_config_static_selectorELNS0_4arch9wavefront6targetE1EEEvSW_.has_indirect_call, 0
	.section	.AMDGPU.csdata,"",@progbits
; Kernel info:
; codeLenInByte = 0
; TotalNumSgprs: 4
; NumVgprs: 0
; ScratchSize: 0
; MemoryBound: 0
; FloatMode: 240
; IeeeMode: 1
; LDSByteSize: 0 bytes/workgroup (compile time only)
; SGPRBlocks: 0
; VGPRBlocks: 0
; NumSGPRsForWavesPerEU: 4
; NumVGPRsForWavesPerEU: 1
; Occupancy: 10
; WaveLimiterHint : 0
; COMPUTE_PGM_RSRC2:SCRATCH_EN: 0
; COMPUTE_PGM_RSRC2:USER_SGPR: 6
; COMPUTE_PGM_RSRC2:TRAP_HANDLER: 0
; COMPUTE_PGM_RSRC2:TGID_X_EN: 1
; COMPUTE_PGM_RSRC2:TGID_Y_EN: 0
; COMPUTE_PGM_RSRC2:TGID_Z_EN: 0
; COMPUTE_PGM_RSRC2:TIDIG_COMP_CNT: 0
	.section	.text._ZN7rocprim17ROCPRIM_400000_NS6detail17trampoline_kernelINS0_14default_configENS1_27upper_bound_config_selectorIslEEZNS1_14transform_implILb0ES3_S5_N6thrust23THRUST_200600_302600_NS6detail15normal_iteratorINS8_7pointerIsNS8_11hip_rocprim5par_tENS8_11use_defaultESE_EEEENSA_INSB_IlSD_SE_SE_EEEEZNS1_13binary_searchIS3_S5_PsSG_SI_NS1_21upper_bound_search_opENS9_16wrapped_functionINS8_6system6detail7generic6detail18binary_search_lessEbEEEE10hipError_tPvRmT1_T2_T3_mmT4_T5_P12ihipStream_tbEUlRKsE_EEST_SX_SY_mSZ_S12_bEUlT_E_NS1_11comp_targetILNS1_3genE8ELNS1_11target_archE1030ELNS1_3gpuE2ELNS1_3repE0EEENS1_30default_config_static_selectorELNS0_4arch9wavefront6targetE1EEEvSW_,"axG",@progbits,_ZN7rocprim17ROCPRIM_400000_NS6detail17trampoline_kernelINS0_14default_configENS1_27upper_bound_config_selectorIslEEZNS1_14transform_implILb0ES3_S5_N6thrust23THRUST_200600_302600_NS6detail15normal_iteratorINS8_7pointerIsNS8_11hip_rocprim5par_tENS8_11use_defaultESE_EEEENSA_INSB_IlSD_SE_SE_EEEEZNS1_13binary_searchIS3_S5_PsSG_SI_NS1_21upper_bound_search_opENS9_16wrapped_functionINS8_6system6detail7generic6detail18binary_search_lessEbEEEE10hipError_tPvRmT1_T2_T3_mmT4_T5_P12ihipStream_tbEUlRKsE_EEST_SX_SY_mSZ_S12_bEUlT_E_NS1_11comp_targetILNS1_3genE8ELNS1_11target_archE1030ELNS1_3gpuE2ELNS1_3repE0EEENS1_30default_config_static_selectorELNS0_4arch9wavefront6targetE1EEEvSW_,comdat
	.protected	_ZN7rocprim17ROCPRIM_400000_NS6detail17trampoline_kernelINS0_14default_configENS1_27upper_bound_config_selectorIslEEZNS1_14transform_implILb0ES3_S5_N6thrust23THRUST_200600_302600_NS6detail15normal_iteratorINS8_7pointerIsNS8_11hip_rocprim5par_tENS8_11use_defaultESE_EEEENSA_INSB_IlSD_SE_SE_EEEEZNS1_13binary_searchIS3_S5_PsSG_SI_NS1_21upper_bound_search_opENS9_16wrapped_functionINS8_6system6detail7generic6detail18binary_search_lessEbEEEE10hipError_tPvRmT1_T2_T3_mmT4_T5_P12ihipStream_tbEUlRKsE_EEST_SX_SY_mSZ_S12_bEUlT_E_NS1_11comp_targetILNS1_3genE8ELNS1_11target_archE1030ELNS1_3gpuE2ELNS1_3repE0EEENS1_30default_config_static_selectorELNS0_4arch9wavefront6targetE1EEEvSW_ ; -- Begin function _ZN7rocprim17ROCPRIM_400000_NS6detail17trampoline_kernelINS0_14default_configENS1_27upper_bound_config_selectorIslEEZNS1_14transform_implILb0ES3_S5_N6thrust23THRUST_200600_302600_NS6detail15normal_iteratorINS8_7pointerIsNS8_11hip_rocprim5par_tENS8_11use_defaultESE_EEEENSA_INSB_IlSD_SE_SE_EEEEZNS1_13binary_searchIS3_S5_PsSG_SI_NS1_21upper_bound_search_opENS9_16wrapped_functionINS8_6system6detail7generic6detail18binary_search_lessEbEEEE10hipError_tPvRmT1_T2_T3_mmT4_T5_P12ihipStream_tbEUlRKsE_EEST_SX_SY_mSZ_S12_bEUlT_E_NS1_11comp_targetILNS1_3genE8ELNS1_11target_archE1030ELNS1_3gpuE2ELNS1_3repE0EEENS1_30default_config_static_selectorELNS0_4arch9wavefront6targetE1EEEvSW_
	.globl	_ZN7rocprim17ROCPRIM_400000_NS6detail17trampoline_kernelINS0_14default_configENS1_27upper_bound_config_selectorIslEEZNS1_14transform_implILb0ES3_S5_N6thrust23THRUST_200600_302600_NS6detail15normal_iteratorINS8_7pointerIsNS8_11hip_rocprim5par_tENS8_11use_defaultESE_EEEENSA_INSB_IlSD_SE_SE_EEEEZNS1_13binary_searchIS3_S5_PsSG_SI_NS1_21upper_bound_search_opENS9_16wrapped_functionINS8_6system6detail7generic6detail18binary_search_lessEbEEEE10hipError_tPvRmT1_T2_T3_mmT4_T5_P12ihipStream_tbEUlRKsE_EEST_SX_SY_mSZ_S12_bEUlT_E_NS1_11comp_targetILNS1_3genE8ELNS1_11target_archE1030ELNS1_3gpuE2ELNS1_3repE0EEENS1_30default_config_static_selectorELNS0_4arch9wavefront6targetE1EEEvSW_
	.p2align	8
	.type	_ZN7rocprim17ROCPRIM_400000_NS6detail17trampoline_kernelINS0_14default_configENS1_27upper_bound_config_selectorIslEEZNS1_14transform_implILb0ES3_S5_N6thrust23THRUST_200600_302600_NS6detail15normal_iteratorINS8_7pointerIsNS8_11hip_rocprim5par_tENS8_11use_defaultESE_EEEENSA_INSB_IlSD_SE_SE_EEEEZNS1_13binary_searchIS3_S5_PsSG_SI_NS1_21upper_bound_search_opENS9_16wrapped_functionINS8_6system6detail7generic6detail18binary_search_lessEbEEEE10hipError_tPvRmT1_T2_T3_mmT4_T5_P12ihipStream_tbEUlRKsE_EEST_SX_SY_mSZ_S12_bEUlT_E_NS1_11comp_targetILNS1_3genE8ELNS1_11target_archE1030ELNS1_3gpuE2ELNS1_3repE0EEENS1_30default_config_static_selectorELNS0_4arch9wavefront6targetE1EEEvSW_,@function
_ZN7rocprim17ROCPRIM_400000_NS6detail17trampoline_kernelINS0_14default_configENS1_27upper_bound_config_selectorIslEEZNS1_14transform_implILb0ES3_S5_N6thrust23THRUST_200600_302600_NS6detail15normal_iteratorINS8_7pointerIsNS8_11hip_rocprim5par_tENS8_11use_defaultESE_EEEENSA_INSB_IlSD_SE_SE_EEEEZNS1_13binary_searchIS3_S5_PsSG_SI_NS1_21upper_bound_search_opENS9_16wrapped_functionINS8_6system6detail7generic6detail18binary_search_lessEbEEEE10hipError_tPvRmT1_T2_T3_mmT4_T5_P12ihipStream_tbEUlRKsE_EEST_SX_SY_mSZ_S12_bEUlT_E_NS1_11comp_targetILNS1_3genE8ELNS1_11target_archE1030ELNS1_3gpuE2ELNS1_3repE0EEENS1_30default_config_static_selectorELNS0_4arch9wavefront6targetE1EEEvSW_: ; @_ZN7rocprim17ROCPRIM_400000_NS6detail17trampoline_kernelINS0_14default_configENS1_27upper_bound_config_selectorIslEEZNS1_14transform_implILb0ES3_S5_N6thrust23THRUST_200600_302600_NS6detail15normal_iteratorINS8_7pointerIsNS8_11hip_rocprim5par_tENS8_11use_defaultESE_EEEENSA_INSB_IlSD_SE_SE_EEEEZNS1_13binary_searchIS3_S5_PsSG_SI_NS1_21upper_bound_search_opENS9_16wrapped_functionINS8_6system6detail7generic6detail18binary_search_lessEbEEEE10hipError_tPvRmT1_T2_T3_mmT4_T5_P12ihipStream_tbEUlRKsE_EEST_SX_SY_mSZ_S12_bEUlT_E_NS1_11comp_targetILNS1_3genE8ELNS1_11target_archE1030ELNS1_3gpuE2ELNS1_3repE0EEENS1_30default_config_static_selectorELNS0_4arch9wavefront6targetE1EEEvSW_
; %bb.0:
	.section	.rodata,"a",@progbits
	.p2align	6, 0x0
	.amdhsa_kernel _ZN7rocprim17ROCPRIM_400000_NS6detail17trampoline_kernelINS0_14default_configENS1_27upper_bound_config_selectorIslEEZNS1_14transform_implILb0ES3_S5_N6thrust23THRUST_200600_302600_NS6detail15normal_iteratorINS8_7pointerIsNS8_11hip_rocprim5par_tENS8_11use_defaultESE_EEEENSA_INSB_IlSD_SE_SE_EEEEZNS1_13binary_searchIS3_S5_PsSG_SI_NS1_21upper_bound_search_opENS9_16wrapped_functionINS8_6system6detail7generic6detail18binary_search_lessEbEEEE10hipError_tPvRmT1_T2_T3_mmT4_T5_P12ihipStream_tbEUlRKsE_EEST_SX_SY_mSZ_S12_bEUlT_E_NS1_11comp_targetILNS1_3genE8ELNS1_11target_archE1030ELNS1_3gpuE2ELNS1_3repE0EEENS1_30default_config_static_selectorELNS0_4arch9wavefront6targetE1EEEvSW_
		.amdhsa_group_segment_fixed_size 0
		.amdhsa_private_segment_fixed_size 0
		.amdhsa_kernarg_size 56
		.amdhsa_user_sgpr_count 6
		.amdhsa_user_sgpr_private_segment_buffer 1
		.amdhsa_user_sgpr_dispatch_ptr 0
		.amdhsa_user_sgpr_queue_ptr 0
		.amdhsa_user_sgpr_kernarg_segment_ptr 1
		.amdhsa_user_sgpr_dispatch_id 0
		.amdhsa_user_sgpr_flat_scratch_init 0
		.amdhsa_user_sgpr_private_segment_size 0
		.amdhsa_uses_dynamic_stack 0
		.amdhsa_system_sgpr_private_segment_wavefront_offset 0
		.amdhsa_system_sgpr_workgroup_id_x 1
		.amdhsa_system_sgpr_workgroup_id_y 0
		.amdhsa_system_sgpr_workgroup_id_z 0
		.amdhsa_system_sgpr_workgroup_info 0
		.amdhsa_system_vgpr_workitem_id 0
		.amdhsa_next_free_vgpr 1
		.amdhsa_next_free_sgpr 0
		.amdhsa_reserve_vcc 0
		.amdhsa_reserve_flat_scratch 0
		.amdhsa_float_round_mode_32 0
		.amdhsa_float_round_mode_16_64 0
		.amdhsa_float_denorm_mode_32 3
		.amdhsa_float_denorm_mode_16_64 3
		.amdhsa_dx10_clamp 1
		.amdhsa_ieee_mode 1
		.amdhsa_fp16_overflow 0
		.amdhsa_exception_fp_ieee_invalid_op 0
		.amdhsa_exception_fp_denorm_src 0
		.amdhsa_exception_fp_ieee_div_zero 0
		.amdhsa_exception_fp_ieee_overflow 0
		.amdhsa_exception_fp_ieee_underflow 0
		.amdhsa_exception_fp_ieee_inexact 0
		.amdhsa_exception_int_div_zero 0
	.end_amdhsa_kernel
	.section	.text._ZN7rocprim17ROCPRIM_400000_NS6detail17trampoline_kernelINS0_14default_configENS1_27upper_bound_config_selectorIslEEZNS1_14transform_implILb0ES3_S5_N6thrust23THRUST_200600_302600_NS6detail15normal_iteratorINS8_7pointerIsNS8_11hip_rocprim5par_tENS8_11use_defaultESE_EEEENSA_INSB_IlSD_SE_SE_EEEEZNS1_13binary_searchIS3_S5_PsSG_SI_NS1_21upper_bound_search_opENS9_16wrapped_functionINS8_6system6detail7generic6detail18binary_search_lessEbEEEE10hipError_tPvRmT1_T2_T3_mmT4_T5_P12ihipStream_tbEUlRKsE_EEST_SX_SY_mSZ_S12_bEUlT_E_NS1_11comp_targetILNS1_3genE8ELNS1_11target_archE1030ELNS1_3gpuE2ELNS1_3repE0EEENS1_30default_config_static_selectorELNS0_4arch9wavefront6targetE1EEEvSW_,"axG",@progbits,_ZN7rocprim17ROCPRIM_400000_NS6detail17trampoline_kernelINS0_14default_configENS1_27upper_bound_config_selectorIslEEZNS1_14transform_implILb0ES3_S5_N6thrust23THRUST_200600_302600_NS6detail15normal_iteratorINS8_7pointerIsNS8_11hip_rocprim5par_tENS8_11use_defaultESE_EEEENSA_INSB_IlSD_SE_SE_EEEEZNS1_13binary_searchIS3_S5_PsSG_SI_NS1_21upper_bound_search_opENS9_16wrapped_functionINS8_6system6detail7generic6detail18binary_search_lessEbEEEE10hipError_tPvRmT1_T2_T3_mmT4_T5_P12ihipStream_tbEUlRKsE_EEST_SX_SY_mSZ_S12_bEUlT_E_NS1_11comp_targetILNS1_3genE8ELNS1_11target_archE1030ELNS1_3gpuE2ELNS1_3repE0EEENS1_30default_config_static_selectorELNS0_4arch9wavefront6targetE1EEEvSW_,comdat
.Lfunc_end240:
	.size	_ZN7rocprim17ROCPRIM_400000_NS6detail17trampoline_kernelINS0_14default_configENS1_27upper_bound_config_selectorIslEEZNS1_14transform_implILb0ES3_S5_N6thrust23THRUST_200600_302600_NS6detail15normal_iteratorINS8_7pointerIsNS8_11hip_rocprim5par_tENS8_11use_defaultESE_EEEENSA_INSB_IlSD_SE_SE_EEEEZNS1_13binary_searchIS3_S5_PsSG_SI_NS1_21upper_bound_search_opENS9_16wrapped_functionINS8_6system6detail7generic6detail18binary_search_lessEbEEEE10hipError_tPvRmT1_T2_T3_mmT4_T5_P12ihipStream_tbEUlRKsE_EEST_SX_SY_mSZ_S12_bEUlT_E_NS1_11comp_targetILNS1_3genE8ELNS1_11target_archE1030ELNS1_3gpuE2ELNS1_3repE0EEENS1_30default_config_static_selectorELNS0_4arch9wavefront6targetE1EEEvSW_, .Lfunc_end240-_ZN7rocprim17ROCPRIM_400000_NS6detail17trampoline_kernelINS0_14default_configENS1_27upper_bound_config_selectorIslEEZNS1_14transform_implILb0ES3_S5_N6thrust23THRUST_200600_302600_NS6detail15normal_iteratorINS8_7pointerIsNS8_11hip_rocprim5par_tENS8_11use_defaultESE_EEEENSA_INSB_IlSD_SE_SE_EEEEZNS1_13binary_searchIS3_S5_PsSG_SI_NS1_21upper_bound_search_opENS9_16wrapped_functionINS8_6system6detail7generic6detail18binary_search_lessEbEEEE10hipError_tPvRmT1_T2_T3_mmT4_T5_P12ihipStream_tbEUlRKsE_EEST_SX_SY_mSZ_S12_bEUlT_E_NS1_11comp_targetILNS1_3genE8ELNS1_11target_archE1030ELNS1_3gpuE2ELNS1_3repE0EEENS1_30default_config_static_selectorELNS0_4arch9wavefront6targetE1EEEvSW_
                                        ; -- End function
	.set _ZN7rocprim17ROCPRIM_400000_NS6detail17trampoline_kernelINS0_14default_configENS1_27upper_bound_config_selectorIslEEZNS1_14transform_implILb0ES3_S5_N6thrust23THRUST_200600_302600_NS6detail15normal_iteratorINS8_7pointerIsNS8_11hip_rocprim5par_tENS8_11use_defaultESE_EEEENSA_INSB_IlSD_SE_SE_EEEEZNS1_13binary_searchIS3_S5_PsSG_SI_NS1_21upper_bound_search_opENS9_16wrapped_functionINS8_6system6detail7generic6detail18binary_search_lessEbEEEE10hipError_tPvRmT1_T2_T3_mmT4_T5_P12ihipStream_tbEUlRKsE_EEST_SX_SY_mSZ_S12_bEUlT_E_NS1_11comp_targetILNS1_3genE8ELNS1_11target_archE1030ELNS1_3gpuE2ELNS1_3repE0EEENS1_30default_config_static_selectorELNS0_4arch9wavefront6targetE1EEEvSW_.num_vgpr, 0
	.set _ZN7rocprim17ROCPRIM_400000_NS6detail17trampoline_kernelINS0_14default_configENS1_27upper_bound_config_selectorIslEEZNS1_14transform_implILb0ES3_S5_N6thrust23THRUST_200600_302600_NS6detail15normal_iteratorINS8_7pointerIsNS8_11hip_rocprim5par_tENS8_11use_defaultESE_EEEENSA_INSB_IlSD_SE_SE_EEEEZNS1_13binary_searchIS3_S5_PsSG_SI_NS1_21upper_bound_search_opENS9_16wrapped_functionINS8_6system6detail7generic6detail18binary_search_lessEbEEEE10hipError_tPvRmT1_T2_T3_mmT4_T5_P12ihipStream_tbEUlRKsE_EEST_SX_SY_mSZ_S12_bEUlT_E_NS1_11comp_targetILNS1_3genE8ELNS1_11target_archE1030ELNS1_3gpuE2ELNS1_3repE0EEENS1_30default_config_static_selectorELNS0_4arch9wavefront6targetE1EEEvSW_.num_agpr, 0
	.set _ZN7rocprim17ROCPRIM_400000_NS6detail17trampoline_kernelINS0_14default_configENS1_27upper_bound_config_selectorIslEEZNS1_14transform_implILb0ES3_S5_N6thrust23THRUST_200600_302600_NS6detail15normal_iteratorINS8_7pointerIsNS8_11hip_rocprim5par_tENS8_11use_defaultESE_EEEENSA_INSB_IlSD_SE_SE_EEEEZNS1_13binary_searchIS3_S5_PsSG_SI_NS1_21upper_bound_search_opENS9_16wrapped_functionINS8_6system6detail7generic6detail18binary_search_lessEbEEEE10hipError_tPvRmT1_T2_T3_mmT4_T5_P12ihipStream_tbEUlRKsE_EEST_SX_SY_mSZ_S12_bEUlT_E_NS1_11comp_targetILNS1_3genE8ELNS1_11target_archE1030ELNS1_3gpuE2ELNS1_3repE0EEENS1_30default_config_static_selectorELNS0_4arch9wavefront6targetE1EEEvSW_.numbered_sgpr, 0
	.set _ZN7rocprim17ROCPRIM_400000_NS6detail17trampoline_kernelINS0_14default_configENS1_27upper_bound_config_selectorIslEEZNS1_14transform_implILb0ES3_S5_N6thrust23THRUST_200600_302600_NS6detail15normal_iteratorINS8_7pointerIsNS8_11hip_rocprim5par_tENS8_11use_defaultESE_EEEENSA_INSB_IlSD_SE_SE_EEEEZNS1_13binary_searchIS3_S5_PsSG_SI_NS1_21upper_bound_search_opENS9_16wrapped_functionINS8_6system6detail7generic6detail18binary_search_lessEbEEEE10hipError_tPvRmT1_T2_T3_mmT4_T5_P12ihipStream_tbEUlRKsE_EEST_SX_SY_mSZ_S12_bEUlT_E_NS1_11comp_targetILNS1_3genE8ELNS1_11target_archE1030ELNS1_3gpuE2ELNS1_3repE0EEENS1_30default_config_static_selectorELNS0_4arch9wavefront6targetE1EEEvSW_.num_named_barrier, 0
	.set _ZN7rocprim17ROCPRIM_400000_NS6detail17trampoline_kernelINS0_14default_configENS1_27upper_bound_config_selectorIslEEZNS1_14transform_implILb0ES3_S5_N6thrust23THRUST_200600_302600_NS6detail15normal_iteratorINS8_7pointerIsNS8_11hip_rocprim5par_tENS8_11use_defaultESE_EEEENSA_INSB_IlSD_SE_SE_EEEEZNS1_13binary_searchIS3_S5_PsSG_SI_NS1_21upper_bound_search_opENS9_16wrapped_functionINS8_6system6detail7generic6detail18binary_search_lessEbEEEE10hipError_tPvRmT1_T2_T3_mmT4_T5_P12ihipStream_tbEUlRKsE_EEST_SX_SY_mSZ_S12_bEUlT_E_NS1_11comp_targetILNS1_3genE8ELNS1_11target_archE1030ELNS1_3gpuE2ELNS1_3repE0EEENS1_30default_config_static_selectorELNS0_4arch9wavefront6targetE1EEEvSW_.private_seg_size, 0
	.set _ZN7rocprim17ROCPRIM_400000_NS6detail17trampoline_kernelINS0_14default_configENS1_27upper_bound_config_selectorIslEEZNS1_14transform_implILb0ES3_S5_N6thrust23THRUST_200600_302600_NS6detail15normal_iteratorINS8_7pointerIsNS8_11hip_rocprim5par_tENS8_11use_defaultESE_EEEENSA_INSB_IlSD_SE_SE_EEEEZNS1_13binary_searchIS3_S5_PsSG_SI_NS1_21upper_bound_search_opENS9_16wrapped_functionINS8_6system6detail7generic6detail18binary_search_lessEbEEEE10hipError_tPvRmT1_T2_T3_mmT4_T5_P12ihipStream_tbEUlRKsE_EEST_SX_SY_mSZ_S12_bEUlT_E_NS1_11comp_targetILNS1_3genE8ELNS1_11target_archE1030ELNS1_3gpuE2ELNS1_3repE0EEENS1_30default_config_static_selectorELNS0_4arch9wavefront6targetE1EEEvSW_.uses_vcc, 0
	.set _ZN7rocprim17ROCPRIM_400000_NS6detail17trampoline_kernelINS0_14default_configENS1_27upper_bound_config_selectorIslEEZNS1_14transform_implILb0ES3_S5_N6thrust23THRUST_200600_302600_NS6detail15normal_iteratorINS8_7pointerIsNS8_11hip_rocprim5par_tENS8_11use_defaultESE_EEEENSA_INSB_IlSD_SE_SE_EEEEZNS1_13binary_searchIS3_S5_PsSG_SI_NS1_21upper_bound_search_opENS9_16wrapped_functionINS8_6system6detail7generic6detail18binary_search_lessEbEEEE10hipError_tPvRmT1_T2_T3_mmT4_T5_P12ihipStream_tbEUlRKsE_EEST_SX_SY_mSZ_S12_bEUlT_E_NS1_11comp_targetILNS1_3genE8ELNS1_11target_archE1030ELNS1_3gpuE2ELNS1_3repE0EEENS1_30default_config_static_selectorELNS0_4arch9wavefront6targetE1EEEvSW_.uses_flat_scratch, 0
	.set _ZN7rocprim17ROCPRIM_400000_NS6detail17trampoline_kernelINS0_14default_configENS1_27upper_bound_config_selectorIslEEZNS1_14transform_implILb0ES3_S5_N6thrust23THRUST_200600_302600_NS6detail15normal_iteratorINS8_7pointerIsNS8_11hip_rocprim5par_tENS8_11use_defaultESE_EEEENSA_INSB_IlSD_SE_SE_EEEEZNS1_13binary_searchIS3_S5_PsSG_SI_NS1_21upper_bound_search_opENS9_16wrapped_functionINS8_6system6detail7generic6detail18binary_search_lessEbEEEE10hipError_tPvRmT1_T2_T3_mmT4_T5_P12ihipStream_tbEUlRKsE_EEST_SX_SY_mSZ_S12_bEUlT_E_NS1_11comp_targetILNS1_3genE8ELNS1_11target_archE1030ELNS1_3gpuE2ELNS1_3repE0EEENS1_30default_config_static_selectorELNS0_4arch9wavefront6targetE1EEEvSW_.has_dyn_sized_stack, 0
	.set _ZN7rocprim17ROCPRIM_400000_NS6detail17trampoline_kernelINS0_14default_configENS1_27upper_bound_config_selectorIslEEZNS1_14transform_implILb0ES3_S5_N6thrust23THRUST_200600_302600_NS6detail15normal_iteratorINS8_7pointerIsNS8_11hip_rocprim5par_tENS8_11use_defaultESE_EEEENSA_INSB_IlSD_SE_SE_EEEEZNS1_13binary_searchIS3_S5_PsSG_SI_NS1_21upper_bound_search_opENS9_16wrapped_functionINS8_6system6detail7generic6detail18binary_search_lessEbEEEE10hipError_tPvRmT1_T2_T3_mmT4_T5_P12ihipStream_tbEUlRKsE_EEST_SX_SY_mSZ_S12_bEUlT_E_NS1_11comp_targetILNS1_3genE8ELNS1_11target_archE1030ELNS1_3gpuE2ELNS1_3repE0EEENS1_30default_config_static_selectorELNS0_4arch9wavefront6targetE1EEEvSW_.has_recursion, 0
	.set _ZN7rocprim17ROCPRIM_400000_NS6detail17trampoline_kernelINS0_14default_configENS1_27upper_bound_config_selectorIslEEZNS1_14transform_implILb0ES3_S5_N6thrust23THRUST_200600_302600_NS6detail15normal_iteratorINS8_7pointerIsNS8_11hip_rocprim5par_tENS8_11use_defaultESE_EEEENSA_INSB_IlSD_SE_SE_EEEEZNS1_13binary_searchIS3_S5_PsSG_SI_NS1_21upper_bound_search_opENS9_16wrapped_functionINS8_6system6detail7generic6detail18binary_search_lessEbEEEE10hipError_tPvRmT1_T2_T3_mmT4_T5_P12ihipStream_tbEUlRKsE_EEST_SX_SY_mSZ_S12_bEUlT_E_NS1_11comp_targetILNS1_3genE8ELNS1_11target_archE1030ELNS1_3gpuE2ELNS1_3repE0EEENS1_30default_config_static_selectorELNS0_4arch9wavefront6targetE1EEEvSW_.has_indirect_call, 0
	.section	.AMDGPU.csdata,"",@progbits
; Kernel info:
; codeLenInByte = 0
; TotalNumSgprs: 4
; NumVgprs: 0
; ScratchSize: 0
; MemoryBound: 0
; FloatMode: 240
; IeeeMode: 1
; LDSByteSize: 0 bytes/workgroup (compile time only)
; SGPRBlocks: 0
; VGPRBlocks: 0
; NumSGPRsForWavesPerEU: 4
; NumVGPRsForWavesPerEU: 1
; Occupancy: 10
; WaveLimiterHint : 0
; COMPUTE_PGM_RSRC2:SCRATCH_EN: 0
; COMPUTE_PGM_RSRC2:USER_SGPR: 6
; COMPUTE_PGM_RSRC2:TRAP_HANDLER: 0
; COMPUTE_PGM_RSRC2:TGID_X_EN: 1
; COMPUTE_PGM_RSRC2:TGID_Y_EN: 0
; COMPUTE_PGM_RSRC2:TGID_Z_EN: 0
; COMPUTE_PGM_RSRC2:TIDIG_COMP_CNT: 0
	.section	.text._ZN6thrust23THRUST_200600_302600_NS11hip_rocprim14__parallel_for6kernelILj256ENS1_20__uninitialized_fill7functorINS0_10device_ptrIbEEbEEmLj1EEEvT0_T1_SA_,"axG",@progbits,_ZN6thrust23THRUST_200600_302600_NS11hip_rocprim14__parallel_for6kernelILj256ENS1_20__uninitialized_fill7functorINS0_10device_ptrIbEEbEEmLj1EEEvT0_T1_SA_,comdat
	.protected	_ZN6thrust23THRUST_200600_302600_NS11hip_rocprim14__parallel_for6kernelILj256ENS1_20__uninitialized_fill7functorINS0_10device_ptrIbEEbEEmLj1EEEvT0_T1_SA_ ; -- Begin function _ZN6thrust23THRUST_200600_302600_NS11hip_rocprim14__parallel_for6kernelILj256ENS1_20__uninitialized_fill7functorINS0_10device_ptrIbEEbEEmLj1EEEvT0_T1_SA_
	.globl	_ZN6thrust23THRUST_200600_302600_NS11hip_rocprim14__parallel_for6kernelILj256ENS1_20__uninitialized_fill7functorINS0_10device_ptrIbEEbEEmLj1EEEvT0_T1_SA_
	.p2align	8
	.type	_ZN6thrust23THRUST_200600_302600_NS11hip_rocprim14__parallel_for6kernelILj256ENS1_20__uninitialized_fill7functorINS0_10device_ptrIbEEbEEmLj1EEEvT0_T1_SA_,@function
_ZN6thrust23THRUST_200600_302600_NS11hip_rocprim14__parallel_for6kernelILj256ENS1_20__uninitialized_fill7functorINS0_10device_ptrIbEEbEEmLj1EEEvT0_T1_SA_: ; @_ZN6thrust23THRUST_200600_302600_NS11hip_rocprim14__parallel_for6kernelILj256ENS1_20__uninitialized_fill7functorINS0_10device_ptrIbEEbEEmLj1EEEvT0_T1_SA_
; %bb.0:
	s_load_dwordx4 s[12:15], s[4:5], 0x10
	s_load_dwordx2 s[0:1], s[4:5], 0x0
	s_load_dword s7, s[4:5], 0x8
	s_lshl_b32 s2, s6, 8
	v_mov_b32_e32 v1, 0xff
	s_waitcnt lgkmcnt(0)
	s_add_u32 s6, s14, s2
	s_addc_u32 s8, s15, 0
	s_sub_u32 s2, s12, s6
	v_mov_b32_e32 v2, 0
	s_subb_u32 s3, s13, s8
	v_cmp_gt_u64_e32 vcc, s[2:3], v[1:2]
	s_mov_b64 s[4:5], -1
	s_cbranch_vccz .LBB241_3
; %bb.1:
	s_andn2_b64 vcc, exec, s[4:5]
	s_cbranch_vccz .LBB241_6
.LBB241_2:
	s_endpgm
.LBB241_3:
	v_cmp_gt_u32_e32 vcc, s2, v0
	s_and_saveexec_b64 s[2:3], vcc
	s_cbranch_execz .LBB241_5
; %bb.4:
	s_add_u32 s4, s0, s6
	s_addc_u32 s5, s1, s8
	v_mov_b32_e32 v2, s5
	v_add_co_u32_e32 v1, vcc, s4, v0
	v_addc_co_u32_e32 v2, vcc, 0, v2, vcc
	v_mov_b32_e32 v3, s7
	flat_store_byte v[1:2], v3
.LBB241_5:
	s_or_b64 exec, exec, s[2:3]
	s_cbranch_execnz .LBB241_2
.LBB241_6:
	s_add_u32 s0, s0, s6
	s_addc_u32 s1, s1, s8
	v_mov_b32_e32 v1, s1
	v_add_co_u32_e32 v0, vcc, s0, v0
	v_addc_co_u32_e32 v1, vcc, 0, v1, vcc
	v_mov_b32_e32 v2, s7
	flat_store_byte v[0:1], v2
	s_endpgm
	.section	.rodata,"a",@progbits
	.p2align	6, 0x0
	.amdhsa_kernel _ZN6thrust23THRUST_200600_302600_NS11hip_rocprim14__parallel_for6kernelILj256ENS1_20__uninitialized_fill7functorINS0_10device_ptrIbEEbEEmLj1EEEvT0_T1_SA_
		.amdhsa_group_segment_fixed_size 0
		.amdhsa_private_segment_fixed_size 0
		.amdhsa_kernarg_size 32
		.amdhsa_user_sgpr_count 6
		.amdhsa_user_sgpr_private_segment_buffer 1
		.amdhsa_user_sgpr_dispatch_ptr 0
		.amdhsa_user_sgpr_queue_ptr 0
		.amdhsa_user_sgpr_kernarg_segment_ptr 1
		.amdhsa_user_sgpr_dispatch_id 0
		.amdhsa_user_sgpr_flat_scratch_init 0
		.amdhsa_user_sgpr_private_segment_size 0
		.amdhsa_uses_dynamic_stack 0
		.amdhsa_system_sgpr_private_segment_wavefront_offset 0
		.amdhsa_system_sgpr_workgroup_id_x 1
		.amdhsa_system_sgpr_workgroup_id_y 0
		.amdhsa_system_sgpr_workgroup_id_z 0
		.amdhsa_system_sgpr_workgroup_info 0
		.amdhsa_system_vgpr_workitem_id 0
		.amdhsa_next_free_vgpr 4
		.amdhsa_next_free_sgpr 16
		.amdhsa_reserve_vcc 1
		.amdhsa_reserve_flat_scratch 0
		.amdhsa_float_round_mode_32 0
		.amdhsa_float_round_mode_16_64 0
		.amdhsa_float_denorm_mode_32 3
		.amdhsa_float_denorm_mode_16_64 3
		.amdhsa_dx10_clamp 1
		.amdhsa_ieee_mode 1
		.amdhsa_fp16_overflow 0
		.amdhsa_exception_fp_ieee_invalid_op 0
		.amdhsa_exception_fp_denorm_src 0
		.amdhsa_exception_fp_ieee_div_zero 0
		.amdhsa_exception_fp_ieee_overflow 0
		.amdhsa_exception_fp_ieee_underflow 0
		.amdhsa_exception_fp_ieee_inexact 0
		.amdhsa_exception_int_div_zero 0
	.end_amdhsa_kernel
	.section	.text._ZN6thrust23THRUST_200600_302600_NS11hip_rocprim14__parallel_for6kernelILj256ENS1_20__uninitialized_fill7functorINS0_10device_ptrIbEEbEEmLj1EEEvT0_T1_SA_,"axG",@progbits,_ZN6thrust23THRUST_200600_302600_NS11hip_rocprim14__parallel_for6kernelILj256ENS1_20__uninitialized_fill7functorINS0_10device_ptrIbEEbEEmLj1EEEvT0_T1_SA_,comdat
.Lfunc_end241:
	.size	_ZN6thrust23THRUST_200600_302600_NS11hip_rocprim14__parallel_for6kernelILj256ENS1_20__uninitialized_fill7functorINS0_10device_ptrIbEEbEEmLj1EEEvT0_T1_SA_, .Lfunc_end241-_ZN6thrust23THRUST_200600_302600_NS11hip_rocprim14__parallel_for6kernelILj256ENS1_20__uninitialized_fill7functorINS0_10device_ptrIbEEbEEmLj1EEEvT0_T1_SA_
                                        ; -- End function
	.set _ZN6thrust23THRUST_200600_302600_NS11hip_rocprim14__parallel_for6kernelILj256ENS1_20__uninitialized_fill7functorINS0_10device_ptrIbEEbEEmLj1EEEvT0_T1_SA_.num_vgpr, 4
	.set _ZN6thrust23THRUST_200600_302600_NS11hip_rocprim14__parallel_for6kernelILj256ENS1_20__uninitialized_fill7functorINS0_10device_ptrIbEEbEEmLj1EEEvT0_T1_SA_.num_agpr, 0
	.set _ZN6thrust23THRUST_200600_302600_NS11hip_rocprim14__parallel_for6kernelILj256ENS1_20__uninitialized_fill7functorINS0_10device_ptrIbEEbEEmLj1EEEvT0_T1_SA_.numbered_sgpr, 16
	.set _ZN6thrust23THRUST_200600_302600_NS11hip_rocprim14__parallel_for6kernelILj256ENS1_20__uninitialized_fill7functorINS0_10device_ptrIbEEbEEmLj1EEEvT0_T1_SA_.num_named_barrier, 0
	.set _ZN6thrust23THRUST_200600_302600_NS11hip_rocprim14__parallel_for6kernelILj256ENS1_20__uninitialized_fill7functorINS0_10device_ptrIbEEbEEmLj1EEEvT0_T1_SA_.private_seg_size, 0
	.set _ZN6thrust23THRUST_200600_302600_NS11hip_rocprim14__parallel_for6kernelILj256ENS1_20__uninitialized_fill7functorINS0_10device_ptrIbEEbEEmLj1EEEvT0_T1_SA_.uses_vcc, 1
	.set _ZN6thrust23THRUST_200600_302600_NS11hip_rocprim14__parallel_for6kernelILj256ENS1_20__uninitialized_fill7functorINS0_10device_ptrIbEEbEEmLj1EEEvT0_T1_SA_.uses_flat_scratch, 0
	.set _ZN6thrust23THRUST_200600_302600_NS11hip_rocprim14__parallel_for6kernelILj256ENS1_20__uninitialized_fill7functorINS0_10device_ptrIbEEbEEmLj1EEEvT0_T1_SA_.has_dyn_sized_stack, 0
	.set _ZN6thrust23THRUST_200600_302600_NS11hip_rocprim14__parallel_for6kernelILj256ENS1_20__uninitialized_fill7functorINS0_10device_ptrIbEEbEEmLj1EEEvT0_T1_SA_.has_recursion, 0
	.set _ZN6thrust23THRUST_200600_302600_NS11hip_rocprim14__parallel_for6kernelILj256ENS1_20__uninitialized_fill7functorINS0_10device_ptrIbEEbEEmLj1EEEvT0_T1_SA_.has_indirect_call, 0
	.section	.AMDGPU.csdata,"",@progbits
; Kernel info:
; codeLenInByte = 172
; TotalNumSgprs: 20
; NumVgprs: 4
; ScratchSize: 0
; MemoryBound: 0
; FloatMode: 240
; IeeeMode: 1
; LDSByteSize: 0 bytes/workgroup (compile time only)
; SGPRBlocks: 2
; VGPRBlocks: 0
; NumSGPRsForWavesPerEU: 20
; NumVGPRsForWavesPerEU: 4
; Occupancy: 10
; WaveLimiterHint : 0
; COMPUTE_PGM_RSRC2:SCRATCH_EN: 0
; COMPUTE_PGM_RSRC2:USER_SGPR: 6
; COMPUTE_PGM_RSRC2:TRAP_HANDLER: 0
; COMPUTE_PGM_RSRC2:TGID_X_EN: 1
; COMPUTE_PGM_RSRC2:TGID_Y_EN: 0
; COMPUTE_PGM_RSRC2:TGID_Z_EN: 0
; COMPUTE_PGM_RSRC2:TIDIG_COMP_CNT: 0
	.section	.text._Z20binary_search_kernelIdEvmPT_Pb,"axG",@progbits,_Z20binary_search_kernelIdEvmPT_Pb,comdat
	.protected	_Z20binary_search_kernelIdEvmPT_Pb ; -- Begin function _Z20binary_search_kernelIdEvmPT_Pb
	.globl	_Z20binary_search_kernelIdEvmPT_Pb
	.p2align	8
	.type	_Z20binary_search_kernelIdEvmPT_Pb,@function
_Z20binary_search_kernelIdEvmPT_Pb:     ; @_Z20binary_search_kernelIdEvmPT_Pb
; %bb.0:
	s_load_dwordx4 s[8:11], s[4:5], 0x0
	s_load_dwordx2 s[2:3], s[4:5], 0x10
	s_waitcnt lgkmcnt(0)
	s_lshl_b64 s[0:1], s[8:9], 3
	s_add_u32 s0, s10, s0
	s_addc_u32 s1, s11, s1
	s_sub_u32 s0, s0, s10
	s_subb_u32 s1, s1, s11
	s_ashr_i64 s[4:5], s[0:1], 3
	v_cmp_lt_i64_e64 s[6:7], s[4:5], 1
	s_mov_b64 s[0:1], 0
	s_and_b64 vcc, exec, s[6:7]
	s_cbranch_vccnz .LBB242_3
; %bb.1:
	s_mov_b64 s[6:7], s[4:5]
.LBB242_2:                              ; =>This Inner Loop Header: Depth=1
	s_sub_u32 s12, s6, s0
	s_subb_u32 s13, s7, s1
	s_lshr_b64 s[12:13], s[12:13], 1
	s_add_u32 s12, s12, s0
	s_addc_u32 s13, s13, s1
	s_lshl_b64 s[14:15], s[12:13], 3
	s_add_u32 s14, s10, s14
	s_addc_u32 s15, s11, s15
	s_load_dwordx2 s[14:15], s[14:15], 0x0
	s_add_u32 s16, s12, 1
	s_addc_u32 s17, s13, 0
	s_waitcnt lgkmcnt(0)
	v_cmp_lt_f64_e64 s[14:15], s[14:15], 0
	s_and_b64 s[14:15], s[14:15], exec
	s_cselect_b32 s6, s6, s12
	s_cselect_b32 s7, s7, s13
	v_mov_b32_e32 v0, s6
	s_cselect_b32 s1, s17, s1
	s_cselect_b32 s0, s16, s0
	v_mov_b32_e32 v1, s7
	v_cmp_lt_i64_e32 vcc, s[0:1], v[0:1]
	s_cbranch_vccnz .LBB242_2
.LBB242_3:
	v_cmp_gt_i64_e64 s[12:13], s[4:5], 0
	s_mov_b64 s[6:7], 0
	s_cmp_eq_u64 s[0:1], s[8:9]
	s_mov_b64 s[14:15], 0
	s_cbranch_scc1 .LBB242_5
; %bb.4:
	s_lshl_b64 s[0:1], s[0:1], 3
	s_add_u32 s0, s10, s0
	s_addc_u32 s1, s11, s1
	s_load_dwordx2 s[0:1], s[0:1], 0x0
	s_waitcnt lgkmcnt(0)
	v_cmp_ngt_f64_e64 s[14:15], s[0:1], 0
.LBB242_5:
	v_cndmask_b32_e64 v2, 0, 1, s[12:13]
	v_mov_b32_e32 v0, 0
	v_cndmask_b32_e64 v1, 0, 1, s[14:15]
	v_cmp_ne_u32_e64 s[0:1], 1, v2
	s_andn2_b64 vcc, exec, s[12:13]
	global_store_byte v0, v1, s[2:3]
	s_cbranch_vccnz .LBB242_8
; %bb.6:
	s_mov_b64 s[12:13], s[4:5]
.LBB242_7:                              ; =>This Inner Loop Header: Depth=1
	s_sub_u32 s14, s12, s6
	s_subb_u32 s15, s13, s7
	s_lshr_b64 s[14:15], s[14:15], 1
	s_add_u32 s14, s14, s6
	s_addc_u32 s15, s15, s7
	s_lshl_b64 s[16:17], s[14:15], 3
	s_add_u32 s16, s10, s16
	s_addc_u32 s17, s11, s17
	s_load_dwordx2 s[16:17], s[16:17], 0x0
	s_add_u32 s18, s14, 1
	s_addc_u32 s19, s15, 0
	s_waitcnt lgkmcnt(0)
	v_cmp_lt_f64_e64 s[16:17], s[16:17], 1.0
	s_and_b64 s[16:17], s[16:17], exec
	s_cselect_b32 s12, s12, s14
	s_cselect_b32 s13, s13, s15
	v_mov_b32_e32 v0, s12
	s_cselect_b32 s7, s19, s7
	s_cselect_b32 s6, s18, s6
	v_mov_b32_e32 v1, s13
	v_cmp_lt_i64_e32 vcc, s[6:7], v[0:1]
	s_cbranch_vccnz .LBB242_7
.LBB242_8:
	s_mov_b64 s[12:13], 0
	s_cmp_eq_u64 s[6:7], s[8:9]
	s_mov_b64 s[14:15], 0
	s_cbranch_scc1 .LBB242_10
; %bb.9:
	s_lshl_b64 s[6:7], s[6:7], 3
	s_add_u32 s6, s10, s6
	s_addc_u32 s7, s11, s7
	s_load_dwordx2 s[6:7], s[6:7], 0x0
	s_waitcnt lgkmcnt(0)
	v_cmp_ngt_f64_e64 s[14:15], s[6:7], 1.0
.LBB242_10:
	v_mov_b32_e32 v0, 0
	v_cndmask_b32_e64 v1, 0, 1, s[14:15]
	s_and_b64 vcc, exec, s[0:1]
	global_store_byte v0, v1, s[2:3] offset:1
	s_cbranch_vccnz .LBB242_13
; %bb.11:
	s_mov_b64 s[6:7], s[4:5]
.LBB242_12:                             ; =>This Inner Loop Header: Depth=1
	s_sub_u32 s14, s6, s12
	s_subb_u32 s15, s7, s13
	s_lshr_b64 s[14:15], s[14:15], 1
	s_add_u32 s14, s14, s12
	s_addc_u32 s15, s15, s13
	s_lshl_b64 s[16:17], s[14:15], 3
	s_add_u32 s16, s10, s16
	s_addc_u32 s17, s11, s17
	s_load_dwordx2 s[16:17], s[16:17], 0x0
	s_add_u32 s18, s14, 1
	s_addc_u32 s19, s15, 0
	s_waitcnt lgkmcnt(0)
	v_cmp_lt_f64_e64 s[16:17], s[16:17], 2.0
	s_and_b64 s[16:17], s[16:17], exec
	s_cselect_b32 s6, s6, s14
	s_cselect_b32 s7, s7, s15
	v_mov_b32_e32 v0, s6
	s_cselect_b32 s13, s19, s13
	s_cselect_b32 s12, s18, s12
	v_mov_b32_e32 v1, s7
	v_cmp_lt_i64_e32 vcc, s[12:13], v[0:1]
	s_cbranch_vccnz .LBB242_12
.LBB242_13:
	s_mov_b64 s[6:7], 0
	s_cmp_eq_u64 s[12:13], s[8:9]
	s_mov_b64 s[14:15], 0
	s_cbranch_scc1 .LBB242_15
; %bb.14:
	s_lshl_b64 s[12:13], s[12:13], 3
	s_add_u32 s12, s10, s12
	s_addc_u32 s13, s11, s13
	s_load_dwordx2 s[12:13], s[12:13], 0x0
	s_waitcnt lgkmcnt(0)
	v_cmp_ngt_f64_e64 s[14:15], s[12:13], 2.0
.LBB242_15:
	v_mov_b32_e32 v0, 0
	v_cndmask_b32_e64 v1, 0, 1, s[14:15]
	s_and_b64 vcc, exec, s[0:1]
	global_store_byte v0, v1, s[2:3] offset:2
	s_cbranch_vccnz .LBB242_18
; %bb.16:
	v_mov_b32_e32 v0, 0
	v_mov_b32_e32 v1, 0x40080000
	s_mov_b64 s[12:13], s[4:5]
.LBB242_17:                             ; =>This Inner Loop Header: Depth=1
	s_sub_u32 s14, s12, s6
	s_subb_u32 s15, s13, s7
	s_lshr_b64 s[14:15], s[14:15], 1
	s_add_u32 s14, s14, s6
	s_addc_u32 s15, s15, s7
	s_lshl_b64 s[16:17], s[14:15], 3
	s_add_u32 s16, s10, s16
	s_addc_u32 s17, s11, s17
	s_load_dwordx2 s[16:17], s[16:17], 0x0
	s_add_u32 s18, s14, 1
	s_addc_u32 s19, s15, 0
	s_waitcnt lgkmcnt(0)
	v_cmp_lt_f64_e32 vcc, s[16:17], v[0:1]
	s_and_b64 s[16:17], vcc, exec
	s_cselect_b32 s12, s12, s14
	s_cselect_b32 s13, s13, s15
	v_mov_b32_e32 v2, s12
	s_cselect_b32 s7, s19, s7
	s_cselect_b32 s6, s18, s6
	v_mov_b32_e32 v3, s13
	v_cmp_lt_i64_e32 vcc, s[6:7], v[2:3]
	s_cbranch_vccnz .LBB242_17
.LBB242_18:
	s_mov_b64 s[12:13], 0
	s_cmp_eq_u64 s[6:7], s[8:9]
	s_mov_b64 s[14:15], 0
	s_cbranch_scc1 .LBB242_20
; %bb.19:
	s_lshl_b64 s[6:7], s[6:7], 3
	s_add_u32 s6, s10, s6
	s_addc_u32 s7, s11, s7
	s_load_dwordx2 s[6:7], s[6:7], 0x0
	v_mov_b32_e32 v0, 0
	v_mov_b32_e32 v1, 0x40080000
	s_waitcnt lgkmcnt(0)
	v_cmp_ngt_f64_e64 s[14:15], s[6:7], v[0:1]
.LBB242_20:
	v_mov_b32_e32 v0, 0
	v_cndmask_b32_e64 v1, 0, 1, s[14:15]
	s_and_b64 vcc, exec, s[0:1]
	global_store_byte v0, v1, s[2:3] offset:3
	s_cbranch_vccnz .LBB242_23
; %bb.21:
	s_mov_b64 s[6:7], s[4:5]
.LBB242_22:                             ; =>This Inner Loop Header: Depth=1
	s_sub_u32 s14, s6, s12
	s_subb_u32 s15, s7, s13
	s_lshr_b64 s[14:15], s[14:15], 1
	s_add_u32 s14, s14, s12
	s_addc_u32 s15, s15, s13
	s_lshl_b64 s[16:17], s[14:15], 3
	s_add_u32 s16, s10, s16
	s_addc_u32 s17, s11, s17
	s_load_dwordx2 s[16:17], s[16:17], 0x0
	s_add_u32 s18, s14, 1
	s_addc_u32 s19, s15, 0
	s_waitcnt lgkmcnt(0)
	v_cmp_lt_f64_e64 s[16:17], s[16:17], 4.0
	s_and_b64 s[16:17], s[16:17], exec
	s_cselect_b32 s6, s6, s14
	s_cselect_b32 s7, s7, s15
	v_mov_b32_e32 v0, s6
	s_cselect_b32 s13, s19, s13
	s_cselect_b32 s12, s18, s12
	v_mov_b32_e32 v1, s7
	v_cmp_lt_i64_e32 vcc, s[12:13], v[0:1]
	s_cbranch_vccnz .LBB242_22
.LBB242_23:
	s_mov_b64 s[14:15], 0
	s_cmp_eq_u64 s[12:13], s[8:9]
	s_mov_b64 s[6:7], 0
	s_cbranch_scc1 .LBB242_25
; %bb.24:
	s_lshl_b64 s[6:7], s[12:13], 3
	s_add_u32 s6, s10, s6
	s_addc_u32 s7, s11, s7
	s_load_dwordx2 s[6:7], s[6:7], 0x0
	s_waitcnt lgkmcnt(0)
	v_cmp_ngt_f64_e64 s[6:7], s[6:7], 4.0
.LBB242_25:
	v_mov_b32_e32 v0, 0
	v_cndmask_b32_e64 v1, 0, 1, s[6:7]
	s_and_b64 vcc, exec, s[0:1]
	global_store_byte v0, v1, s[2:3] offset:4
	s_cbranch_vccnz .LBB242_28
; %bb.26:
	v_mov_b32_e32 v0, 0
	v_mov_b32_e32 v1, 0x40140000
	s_mov_b64 s[6:7], s[4:5]
.LBB242_27:                             ; =>This Inner Loop Header: Depth=1
	s_sub_u32 s12, s6, s14
	s_subb_u32 s13, s7, s15
	s_lshr_b64 s[12:13], s[12:13], 1
	s_add_u32 s12, s12, s14
	s_addc_u32 s13, s13, s15
	s_lshl_b64 s[16:17], s[12:13], 3
	s_add_u32 s16, s10, s16
	s_addc_u32 s17, s11, s17
	s_load_dwordx2 s[16:17], s[16:17], 0x0
	s_add_u32 s18, s12, 1
	s_addc_u32 s19, s13, 0
	s_waitcnt lgkmcnt(0)
	v_cmp_lt_f64_e32 vcc, s[16:17], v[0:1]
	s_and_b64 s[16:17], vcc, exec
	s_cselect_b32 s6, s6, s12
	s_cselect_b32 s7, s7, s13
	v_mov_b32_e32 v2, s6
	s_cselect_b32 s15, s19, s15
	s_cselect_b32 s14, s18, s14
	v_mov_b32_e32 v3, s7
	v_cmp_lt_i64_e32 vcc, s[14:15], v[2:3]
	s_cbranch_vccnz .LBB242_27
.LBB242_28:
	s_mov_b64 s[6:7], 0
	s_cmp_eq_u64 s[14:15], s[8:9]
	s_mov_b64 s[12:13], 0
	s_cbranch_scc1 .LBB242_30
; %bb.29:
	s_lshl_b64 s[12:13], s[14:15], 3
	s_add_u32 s12, s10, s12
	s_addc_u32 s13, s11, s13
	s_load_dwordx2 s[12:13], s[12:13], 0x0
	v_mov_b32_e32 v0, 0
	v_mov_b32_e32 v1, 0x40140000
	s_waitcnt lgkmcnt(0)
	v_cmp_ngt_f64_e64 s[12:13], s[12:13], v[0:1]
.LBB242_30:
	v_mov_b32_e32 v0, 0
	v_cndmask_b32_e64 v1, 0, 1, s[12:13]
	s_and_b64 vcc, exec, s[0:1]
	global_store_byte v0, v1, s[2:3] offset:5
	s_cbranch_vccnz .LBB242_33
; %bb.31:
	v_mov_b32_e32 v0, 0
	v_mov_b32_e32 v1, 0x40180000
	s_mov_b64 s[12:13], s[4:5]
.LBB242_32:                             ; =>This Inner Loop Header: Depth=1
	s_sub_u32 s14, s12, s6
	s_subb_u32 s15, s13, s7
	s_lshr_b64 s[14:15], s[14:15], 1
	s_add_u32 s14, s14, s6
	s_addc_u32 s15, s15, s7
	s_lshl_b64 s[16:17], s[14:15], 3
	s_add_u32 s16, s10, s16
	s_addc_u32 s17, s11, s17
	s_load_dwordx2 s[16:17], s[16:17], 0x0
	s_add_u32 s18, s14, 1
	s_addc_u32 s19, s15, 0
	s_waitcnt lgkmcnt(0)
	v_cmp_lt_f64_e32 vcc, s[16:17], v[0:1]
	s_and_b64 s[16:17], vcc, exec
	s_cselect_b32 s12, s12, s14
	s_cselect_b32 s13, s13, s15
	v_mov_b32_e32 v2, s12
	s_cselect_b32 s7, s19, s7
	s_cselect_b32 s6, s18, s6
	v_mov_b32_e32 v3, s13
	v_cmp_lt_i64_e32 vcc, s[6:7], v[2:3]
	s_cbranch_vccnz .LBB242_32
.LBB242_33:
	s_mov_b64 s[12:13], 0
	s_cmp_eq_u64 s[6:7], s[8:9]
	s_mov_b64 s[14:15], 0
	s_cbranch_scc1 .LBB242_35
; %bb.34:
	s_lshl_b64 s[6:7], s[6:7], 3
	s_add_u32 s6, s10, s6
	s_addc_u32 s7, s11, s7
	s_load_dwordx2 s[6:7], s[6:7], 0x0
	v_mov_b32_e32 v0, 0
	v_mov_b32_e32 v1, 0x40180000
	s_waitcnt lgkmcnt(0)
	v_cmp_ngt_f64_e64 s[14:15], s[6:7], v[0:1]
.LBB242_35:
	v_mov_b32_e32 v0, 0
	v_cndmask_b32_e64 v1, 0, 1, s[14:15]
	s_and_b64 vcc, exec, s[0:1]
	global_store_byte v0, v1, s[2:3] offset:6
	s_cbranch_vccnz .LBB242_38
; %bb.36:
	v_mov_b32_e32 v0, 0
	v_mov_b32_e32 v1, 0x401c0000
	s_mov_b64 s[6:7], s[4:5]
.LBB242_37:                             ; =>This Inner Loop Header: Depth=1
	s_sub_u32 s14, s6, s12
	s_subb_u32 s15, s7, s13
	s_lshr_b64 s[14:15], s[14:15], 1
	s_add_u32 s14, s14, s12
	s_addc_u32 s15, s15, s13
	s_lshl_b64 s[16:17], s[14:15], 3
	s_add_u32 s16, s10, s16
	s_addc_u32 s17, s11, s17
	s_load_dwordx2 s[16:17], s[16:17], 0x0
	s_add_u32 s18, s14, 1
	s_addc_u32 s19, s15, 0
	s_waitcnt lgkmcnt(0)
	v_cmp_lt_f64_e32 vcc, s[16:17], v[0:1]
	s_and_b64 s[16:17], vcc, exec
	s_cselect_b32 s6, s6, s14
	s_cselect_b32 s7, s7, s15
	v_mov_b32_e32 v2, s6
	s_cselect_b32 s13, s19, s13
	s_cselect_b32 s12, s18, s12
	v_mov_b32_e32 v3, s7
	v_cmp_lt_i64_e32 vcc, s[12:13], v[2:3]
	s_cbranch_vccnz .LBB242_37
.LBB242_38:
	s_mov_b64 s[6:7], 0
	s_cmp_eq_u64 s[12:13], s[8:9]
	s_mov_b64 s[14:15], 0
	s_cbranch_scc1 .LBB242_40
; %bb.39:
	s_lshl_b64 s[12:13], s[12:13], 3
	s_add_u32 s12, s10, s12
	s_addc_u32 s13, s11, s13
	s_load_dwordx2 s[12:13], s[12:13], 0x0
	v_mov_b32_e32 v0, 0
	v_mov_b32_e32 v1, 0x401c0000
	s_waitcnt lgkmcnt(0)
	v_cmp_ngt_f64_e64 s[14:15], s[12:13], v[0:1]
.LBB242_40:
	v_mov_b32_e32 v0, 0
	v_cndmask_b32_e64 v1, 0, 1, s[14:15]
	s_and_b64 vcc, exec, s[0:1]
	global_store_byte v0, v1, s[2:3] offset:7
	s_cbranch_vccnz .LBB242_43
; %bb.41:
	v_mov_b32_e32 v0, 0
	v_mov_b32_e32 v1, 0x40200000
	s_mov_b64 s[12:13], s[4:5]
.LBB242_42:                             ; =>This Inner Loop Header: Depth=1
	s_sub_u32 s14, s12, s6
	s_subb_u32 s15, s13, s7
	s_lshr_b64 s[14:15], s[14:15], 1
	s_add_u32 s14, s14, s6
	s_addc_u32 s15, s15, s7
	s_lshl_b64 s[16:17], s[14:15], 3
	s_add_u32 s16, s10, s16
	s_addc_u32 s17, s11, s17
	s_load_dwordx2 s[16:17], s[16:17], 0x0
	s_add_u32 s18, s14, 1
	s_addc_u32 s19, s15, 0
	s_waitcnt lgkmcnt(0)
	v_cmp_lt_f64_e32 vcc, s[16:17], v[0:1]
	s_and_b64 s[16:17], vcc, exec
	s_cselect_b32 s12, s12, s14
	s_cselect_b32 s13, s13, s15
	v_mov_b32_e32 v2, s12
	s_cselect_b32 s7, s19, s7
	s_cselect_b32 s6, s18, s6
	v_mov_b32_e32 v3, s13
	v_cmp_lt_i64_e32 vcc, s[6:7], v[2:3]
	s_cbranch_vccnz .LBB242_42
.LBB242_43:
	s_mov_b64 s[12:13], 0
	s_cmp_eq_u64 s[6:7], s[8:9]
	s_mov_b64 s[14:15], 0
	s_cbranch_scc1 .LBB242_45
; %bb.44:
	s_lshl_b64 s[6:7], s[6:7], 3
	s_add_u32 s6, s10, s6
	s_addc_u32 s7, s11, s7
	s_load_dwordx2 s[6:7], s[6:7], 0x0
	v_mov_b32_e32 v0, 0
	v_mov_b32_e32 v1, 0x40200000
	s_waitcnt lgkmcnt(0)
	v_cmp_ngt_f64_e64 s[14:15], s[6:7], v[0:1]
.LBB242_45:
	v_mov_b32_e32 v0, 0
	v_cndmask_b32_e64 v1, 0, 1, s[14:15]
	s_and_b64 vcc, exec, s[0:1]
	global_store_byte v0, v1, s[2:3] offset:8
	s_cbranch_vccnz .LBB242_48
; %bb.46:
	v_mov_b32_e32 v0, 0
	v_mov_b32_e32 v1, 0x40220000
.LBB242_47:                             ; =>This Inner Loop Header: Depth=1
	s_sub_u32 s0, s4, s12
	s_subb_u32 s1, s5, s13
	s_lshr_b64 s[0:1], s[0:1], 1
	s_add_u32 s0, s0, s12
	s_addc_u32 s1, s1, s13
	s_lshl_b64 s[6:7], s[0:1], 3
	s_add_u32 s6, s10, s6
	s_addc_u32 s7, s11, s7
	s_load_dwordx2 s[6:7], s[6:7], 0x0
	s_add_u32 s14, s0, 1
	s_addc_u32 s15, s1, 0
	s_waitcnt lgkmcnt(0)
	v_cmp_lt_f64_e32 vcc, s[6:7], v[0:1]
	s_and_b64 s[6:7], vcc, exec
	s_cselect_b32 s4, s4, s0
	s_cselect_b32 s5, s5, s1
	v_mov_b32_e32 v2, s4
	s_cselect_b32 s13, s15, s13
	s_cselect_b32 s12, s14, s12
	v_mov_b32_e32 v3, s5
	v_cmp_lt_i64_e32 vcc, s[12:13], v[2:3]
	s_cbranch_vccnz .LBB242_47
.LBB242_48:
	s_cmp_eq_u64 s[12:13], s[8:9]
	s_mov_b64 s[0:1], 0
	s_cbranch_scc1 .LBB242_50
; %bb.49:
	s_lshl_b64 s[0:1], s[12:13], 3
	s_add_u32 s0, s10, s0
	s_addc_u32 s1, s11, s1
	s_load_dwordx2 s[0:1], s[0:1], 0x0
	v_mov_b32_e32 v0, 0
	v_mov_b32_e32 v1, 0x40220000
	s_waitcnt lgkmcnt(0)
	v_cmp_ngt_f64_e64 s[0:1], s[0:1], v[0:1]
.LBB242_50:
	v_mov_b32_e32 v0, 0
	v_cndmask_b32_e64 v1, 0, 1, s[0:1]
	global_store_byte v0, v1, s[2:3] offset:9
	s_endpgm
	.section	.rodata,"a",@progbits
	.p2align	6, 0x0
	.amdhsa_kernel _Z20binary_search_kernelIdEvmPT_Pb
		.amdhsa_group_segment_fixed_size 0
		.amdhsa_private_segment_fixed_size 0
		.amdhsa_kernarg_size 24
		.amdhsa_user_sgpr_count 6
		.amdhsa_user_sgpr_private_segment_buffer 1
		.amdhsa_user_sgpr_dispatch_ptr 0
		.amdhsa_user_sgpr_queue_ptr 0
		.amdhsa_user_sgpr_kernarg_segment_ptr 1
		.amdhsa_user_sgpr_dispatch_id 0
		.amdhsa_user_sgpr_flat_scratch_init 0
		.amdhsa_user_sgpr_private_segment_size 0
		.amdhsa_uses_dynamic_stack 0
		.amdhsa_system_sgpr_private_segment_wavefront_offset 0
		.amdhsa_system_sgpr_workgroup_id_x 1
		.amdhsa_system_sgpr_workgroup_id_y 0
		.amdhsa_system_sgpr_workgroup_id_z 0
		.amdhsa_system_sgpr_workgroup_info 0
		.amdhsa_system_vgpr_workitem_id 0
		.amdhsa_next_free_vgpr 4
		.amdhsa_next_free_sgpr 20
		.amdhsa_reserve_vcc 1
		.amdhsa_reserve_flat_scratch 0
		.amdhsa_float_round_mode_32 0
		.amdhsa_float_round_mode_16_64 0
		.amdhsa_float_denorm_mode_32 3
		.amdhsa_float_denorm_mode_16_64 3
		.amdhsa_dx10_clamp 1
		.amdhsa_ieee_mode 1
		.amdhsa_fp16_overflow 0
		.amdhsa_exception_fp_ieee_invalid_op 0
		.amdhsa_exception_fp_denorm_src 0
		.amdhsa_exception_fp_ieee_div_zero 0
		.amdhsa_exception_fp_ieee_overflow 0
		.amdhsa_exception_fp_ieee_underflow 0
		.amdhsa_exception_fp_ieee_inexact 0
		.amdhsa_exception_int_div_zero 0
	.end_amdhsa_kernel
	.section	.text._Z20binary_search_kernelIdEvmPT_Pb,"axG",@progbits,_Z20binary_search_kernelIdEvmPT_Pb,comdat
.Lfunc_end242:
	.size	_Z20binary_search_kernelIdEvmPT_Pb, .Lfunc_end242-_Z20binary_search_kernelIdEvmPT_Pb
                                        ; -- End function
	.set _Z20binary_search_kernelIdEvmPT_Pb.num_vgpr, 4
	.set _Z20binary_search_kernelIdEvmPT_Pb.num_agpr, 0
	.set _Z20binary_search_kernelIdEvmPT_Pb.numbered_sgpr, 20
	.set _Z20binary_search_kernelIdEvmPT_Pb.num_named_barrier, 0
	.set _Z20binary_search_kernelIdEvmPT_Pb.private_seg_size, 0
	.set _Z20binary_search_kernelIdEvmPT_Pb.uses_vcc, 1
	.set _Z20binary_search_kernelIdEvmPT_Pb.uses_flat_scratch, 0
	.set _Z20binary_search_kernelIdEvmPT_Pb.has_dyn_sized_stack, 0
	.set _Z20binary_search_kernelIdEvmPT_Pb.has_recursion, 0
	.set _Z20binary_search_kernelIdEvmPT_Pb.has_indirect_call, 0
	.section	.AMDGPU.csdata,"",@progbits
; Kernel info:
; codeLenInByte = 1956
; TotalNumSgprs: 24
; NumVgprs: 4
; ScratchSize: 0
; MemoryBound: 0
; FloatMode: 240
; IeeeMode: 1
; LDSByteSize: 0 bytes/workgroup (compile time only)
; SGPRBlocks: 2
; VGPRBlocks: 0
; NumSGPRsForWavesPerEU: 24
; NumVGPRsForWavesPerEU: 4
; Occupancy: 10
; WaveLimiterHint : 0
; COMPUTE_PGM_RSRC2:SCRATCH_EN: 0
; COMPUTE_PGM_RSRC2:USER_SGPR: 6
; COMPUTE_PGM_RSRC2:TRAP_HANDLER: 0
; COMPUTE_PGM_RSRC2:TGID_X_EN: 1
; COMPUTE_PGM_RSRC2:TGID_Y_EN: 0
; COMPUTE_PGM_RSRC2:TGID_Z_EN: 0
; COMPUTE_PGM_RSRC2:TIDIG_COMP_CNT: 0
	.section	.text._ZN7rocprim17ROCPRIM_400000_NS6detail17trampoline_kernelINS0_14default_configENS1_29binary_search_config_selectorIdiEEZNS1_14transform_implILb0ES3_S5_N6thrust23THRUST_200600_302600_NS6detail15normal_iteratorINS8_7pointerIdNS8_11hip_rocprim5par_tENS8_11use_defaultESE_EEEENSA_INSB_IiSD_SE_SE_EEEEZNS1_13binary_searchIS3_S5_PdSG_SI_NS1_16binary_search_opENS9_16wrapped_functionINS8_6system6detail7generic6detail18binary_search_lessEbEEEE10hipError_tPvRmT1_T2_T3_mmT4_T5_P12ihipStream_tbEUlRKdE_EEST_SX_SY_mSZ_S12_bEUlT_E_NS1_11comp_targetILNS1_3genE0ELNS1_11target_archE4294967295ELNS1_3gpuE0ELNS1_3repE0EEENS1_30default_config_static_selectorELNS0_4arch9wavefront6targetE1EEEvSW_,"axG",@progbits,_ZN7rocprim17ROCPRIM_400000_NS6detail17trampoline_kernelINS0_14default_configENS1_29binary_search_config_selectorIdiEEZNS1_14transform_implILb0ES3_S5_N6thrust23THRUST_200600_302600_NS6detail15normal_iteratorINS8_7pointerIdNS8_11hip_rocprim5par_tENS8_11use_defaultESE_EEEENSA_INSB_IiSD_SE_SE_EEEEZNS1_13binary_searchIS3_S5_PdSG_SI_NS1_16binary_search_opENS9_16wrapped_functionINS8_6system6detail7generic6detail18binary_search_lessEbEEEE10hipError_tPvRmT1_T2_T3_mmT4_T5_P12ihipStream_tbEUlRKdE_EEST_SX_SY_mSZ_S12_bEUlT_E_NS1_11comp_targetILNS1_3genE0ELNS1_11target_archE4294967295ELNS1_3gpuE0ELNS1_3repE0EEENS1_30default_config_static_selectorELNS0_4arch9wavefront6targetE1EEEvSW_,comdat
	.protected	_ZN7rocprim17ROCPRIM_400000_NS6detail17trampoline_kernelINS0_14default_configENS1_29binary_search_config_selectorIdiEEZNS1_14transform_implILb0ES3_S5_N6thrust23THRUST_200600_302600_NS6detail15normal_iteratorINS8_7pointerIdNS8_11hip_rocprim5par_tENS8_11use_defaultESE_EEEENSA_INSB_IiSD_SE_SE_EEEEZNS1_13binary_searchIS3_S5_PdSG_SI_NS1_16binary_search_opENS9_16wrapped_functionINS8_6system6detail7generic6detail18binary_search_lessEbEEEE10hipError_tPvRmT1_T2_T3_mmT4_T5_P12ihipStream_tbEUlRKdE_EEST_SX_SY_mSZ_S12_bEUlT_E_NS1_11comp_targetILNS1_3genE0ELNS1_11target_archE4294967295ELNS1_3gpuE0ELNS1_3repE0EEENS1_30default_config_static_selectorELNS0_4arch9wavefront6targetE1EEEvSW_ ; -- Begin function _ZN7rocprim17ROCPRIM_400000_NS6detail17trampoline_kernelINS0_14default_configENS1_29binary_search_config_selectorIdiEEZNS1_14transform_implILb0ES3_S5_N6thrust23THRUST_200600_302600_NS6detail15normal_iteratorINS8_7pointerIdNS8_11hip_rocprim5par_tENS8_11use_defaultESE_EEEENSA_INSB_IiSD_SE_SE_EEEEZNS1_13binary_searchIS3_S5_PdSG_SI_NS1_16binary_search_opENS9_16wrapped_functionINS8_6system6detail7generic6detail18binary_search_lessEbEEEE10hipError_tPvRmT1_T2_T3_mmT4_T5_P12ihipStream_tbEUlRKdE_EEST_SX_SY_mSZ_S12_bEUlT_E_NS1_11comp_targetILNS1_3genE0ELNS1_11target_archE4294967295ELNS1_3gpuE0ELNS1_3repE0EEENS1_30default_config_static_selectorELNS0_4arch9wavefront6targetE1EEEvSW_
	.globl	_ZN7rocprim17ROCPRIM_400000_NS6detail17trampoline_kernelINS0_14default_configENS1_29binary_search_config_selectorIdiEEZNS1_14transform_implILb0ES3_S5_N6thrust23THRUST_200600_302600_NS6detail15normal_iteratorINS8_7pointerIdNS8_11hip_rocprim5par_tENS8_11use_defaultESE_EEEENSA_INSB_IiSD_SE_SE_EEEEZNS1_13binary_searchIS3_S5_PdSG_SI_NS1_16binary_search_opENS9_16wrapped_functionINS8_6system6detail7generic6detail18binary_search_lessEbEEEE10hipError_tPvRmT1_T2_T3_mmT4_T5_P12ihipStream_tbEUlRKdE_EEST_SX_SY_mSZ_S12_bEUlT_E_NS1_11comp_targetILNS1_3genE0ELNS1_11target_archE4294967295ELNS1_3gpuE0ELNS1_3repE0EEENS1_30default_config_static_selectorELNS0_4arch9wavefront6targetE1EEEvSW_
	.p2align	8
	.type	_ZN7rocprim17ROCPRIM_400000_NS6detail17trampoline_kernelINS0_14default_configENS1_29binary_search_config_selectorIdiEEZNS1_14transform_implILb0ES3_S5_N6thrust23THRUST_200600_302600_NS6detail15normal_iteratorINS8_7pointerIdNS8_11hip_rocprim5par_tENS8_11use_defaultESE_EEEENSA_INSB_IiSD_SE_SE_EEEEZNS1_13binary_searchIS3_S5_PdSG_SI_NS1_16binary_search_opENS9_16wrapped_functionINS8_6system6detail7generic6detail18binary_search_lessEbEEEE10hipError_tPvRmT1_T2_T3_mmT4_T5_P12ihipStream_tbEUlRKdE_EEST_SX_SY_mSZ_S12_bEUlT_E_NS1_11comp_targetILNS1_3genE0ELNS1_11target_archE4294967295ELNS1_3gpuE0ELNS1_3repE0EEENS1_30default_config_static_selectorELNS0_4arch9wavefront6targetE1EEEvSW_,@function
_ZN7rocprim17ROCPRIM_400000_NS6detail17trampoline_kernelINS0_14default_configENS1_29binary_search_config_selectorIdiEEZNS1_14transform_implILb0ES3_S5_N6thrust23THRUST_200600_302600_NS6detail15normal_iteratorINS8_7pointerIdNS8_11hip_rocprim5par_tENS8_11use_defaultESE_EEEENSA_INSB_IiSD_SE_SE_EEEEZNS1_13binary_searchIS3_S5_PdSG_SI_NS1_16binary_search_opENS9_16wrapped_functionINS8_6system6detail7generic6detail18binary_search_lessEbEEEE10hipError_tPvRmT1_T2_T3_mmT4_T5_P12ihipStream_tbEUlRKdE_EEST_SX_SY_mSZ_S12_bEUlT_E_NS1_11comp_targetILNS1_3genE0ELNS1_11target_archE4294967295ELNS1_3gpuE0ELNS1_3repE0EEENS1_30default_config_static_selectorELNS0_4arch9wavefront6targetE1EEEvSW_: ; @_ZN7rocprim17ROCPRIM_400000_NS6detail17trampoline_kernelINS0_14default_configENS1_29binary_search_config_selectorIdiEEZNS1_14transform_implILb0ES3_S5_N6thrust23THRUST_200600_302600_NS6detail15normal_iteratorINS8_7pointerIdNS8_11hip_rocprim5par_tENS8_11use_defaultESE_EEEENSA_INSB_IiSD_SE_SE_EEEEZNS1_13binary_searchIS3_S5_PdSG_SI_NS1_16binary_search_opENS9_16wrapped_functionINS8_6system6detail7generic6detail18binary_search_lessEbEEEE10hipError_tPvRmT1_T2_T3_mmT4_T5_P12ihipStream_tbEUlRKdE_EEST_SX_SY_mSZ_S12_bEUlT_E_NS1_11comp_targetILNS1_3genE0ELNS1_11target_archE4294967295ELNS1_3gpuE0ELNS1_3repE0EEENS1_30default_config_static_selectorELNS0_4arch9wavefront6targetE1EEEvSW_
; %bb.0:
	.section	.rodata,"a",@progbits
	.p2align	6, 0x0
	.amdhsa_kernel _ZN7rocprim17ROCPRIM_400000_NS6detail17trampoline_kernelINS0_14default_configENS1_29binary_search_config_selectorIdiEEZNS1_14transform_implILb0ES3_S5_N6thrust23THRUST_200600_302600_NS6detail15normal_iteratorINS8_7pointerIdNS8_11hip_rocprim5par_tENS8_11use_defaultESE_EEEENSA_INSB_IiSD_SE_SE_EEEEZNS1_13binary_searchIS3_S5_PdSG_SI_NS1_16binary_search_opENS9_16wrapped_functionINS8_6system6detail7generic6detail18binary_search_lessEbEEEE10hipError_tPvRmT1_T2_T3_mmT4_T5_P12ihipStream_tbEUlRKdE_EEST_SX_SY_mSZ_S12_bEUlT_E_NS1_11comp_targetILNS1_3genE0ELNS1_11target_archE4294967295ELNS1_3gpuE0ELNS1_3repE0EEENS1_30default_config_static_selectorELNS0_4arch9wavefront6targetE1EEEvSW_
		.amdhsa_group_segment_fixed_size 0
		.amdhsa_private_segment_fixed_size 0
		.amdhsa_kernarg_size 56
		.amdhsa_user_sgpr_count 6
		.amdhsa_user_sgpr_private_segment_buffer 1
		.amdhsa_user_sgpr_dispatch_ptr 0
		.amdhsa_user_sgpr_queue_ptr 0
		.amdhsa_user_sgpr_kernarg_segment_ptr 1
		.amdhsa_user_sgpr_dispatch_id 0
		.amdhsa_user_sgpr_flat_scratch_init 0
		.amdhsa_user_sgpr_private_segment_size 0
		.amdhsa_uses_dynamic_stack 0
		.amdhsa_system_sgpr_private_segment_wavefront_offset 0
		.amdhsa_system_sgpr_workgroup_id_x 1
		.amdhsa_system_sgpr_workgroup_id_y 0
		.amdhsa_system_sgpr_workgroup_id_z 0
		.amdhsa_system_sgpr_workgroup_info 0
		.amdhsa_system_vgpr_workitem_id 0
		.amdhsa_next_free_vgpr 1
		.amdhsa_next_free_sgpr 0
		.amdhsa_reserve_vcc 0
		.amdhsa_reserve_flat_scratch 0
		.amdhsa_float_round_mode_32 0
		.amdhsa_float_round_mode_16_64 0
		.amdhsa_float_denorm_mode_32 3
		.amdhsa_float_denorm_mode_16_64 3
		.amdhsa_dx10_clamp 1
		.amdhsa_ieee_mode 1
		.amdhsa_fp16_overflow 0
		.amdhsa_exception_fp_ieee_invalid_op 0
		.amdhsa_exception_fp_denorm_src 0
		.amdhsa_exception_fp_ieee_div_zero 0
		.amdhsa_exception_fp_ieee_overflow 0
		.amdhsa_exception_fp_ieee_underflow 0
		.amdhsa_exception_fp_ieee_inexact 0
		.amdhsa_exception_int_div_zero 0
	.end_amdhsa_kernel
	.section	.text._ZN7rocprim17ROCPRIM_400000_NS6detail17trampoline_kernelINS0_14default_configENS1_29binary_search_config_selectorIdiEEZNS1_14transform_implILb0ES3_S5_N6thrust23THRUST_200600_302600_NS6detail15normal_iteratorINS8_7pointerIdNS8_11hip_rocprim5par_tENS8_11use_defaultESE_EEEENSA_INSB_IiSD_SE_SE_EEEEZNS1_13binary_searchIS3_S5_PdSG_SI_NS1_16binary_search_opENS9_16wrapped_functionINS8_6system6detail7generic6detail18binary_search_lessEbEEEE10hipError_tPvRmT1_T2_T3_mmT4_T5_P12ihipStream_tbEUlRKdE_EEST_SX_SY_mSZ_S12_bEUlT_E_NS1_11comp_targetILNS1_3genE0ELNS1_11target_archE4294967295ELNS1_3gpuE0ELNS1_3repE0EEENS1_30default_config_static_selectorELNS0_4arch9wavefront6targetE1EEEvSW_,"axG",@progbits,_ZN7rocprim17ROCPRIM_400000_NS6detail17trampoline_kernelINS0_14default_configENS1_29binary_search_config_selectorIdiEEZNS1_14transform_implILb0ES3_S5_N6thrust23THRUST_200600_302600_NS6detail15normal_iteratorINS8_7pointerIdNS8_11hip_rocprim5par_tENS8_11use_defaultESE_EEEENSA_INSB_IiSD_SE_SE_EEEEZNS1_13binary_searchIS3_S5_PdSG_SI_NS1_16binary_search_opENS9_16wrapped_functionINS8_6system6detail7generic6detail18binary_search_lessEbEEEE10hipError_tPvRmT1_T2_T3_mmT4_T5_P12ihipStream_tbEUlRKdE_EEST_SX_SY_mSZ_S12_bEUlT_E_NS1_11comp_targetILNS1_3genE0ELNS1_11target_archE4294967295ELNS1_3gpuE0ELNS1_3repE0EEENS1_30default_config_static_selectorELNS0_4arch9wavefront6targetE1EEEvSW_,comdat
.Lfunc_end243:
	.size	_ZN7rocprim17ROCPRIM_400000_NS6detail17trampoline_kernelINS0_14default_configENS1_29binary_search_config_selectorIdiEEZNS1_14transform_implILb0ES3_S5_N6thrust23THRUST_200600_302600_NS6detail15normal_iteratorINS8_7pointerIdNS8_11hip_rocprim5par_tENS8_11use_defaultESE_EEEENSA_INSB_IiSD_SE_SE_EEEEZNS1_13binary_searchIS3_S5_PdSG_SI_NS1_16binary_search_opENS9_16wrapped_functionINS8_6system6detail7generic6detail18binary_search_lessEbEEEE10hipError_tPvRmT1_T2_T3_mmT4_T5_P12ihipStream_tbEUlRKdE_EEST_SX_SY_mSZ_S12_bEUlT_E_NS1_11comp_targetILNS1_3genE0ELNS1_11target_archE4294967295ELNS1_3gpuE0ELNS1_3repE0EEENS1_30default_config_static_selectorELNS0_4arch9wavefront6targetE1EEEvSW_, .Lfunc_end243-_ZN7rocprim17ROCPRIM_400000_NS6detail17trampoline_kernelINS0_14default_configENS1_29binary_search_config_selectorIdiEEZNS1_14transform_implILb0ES3_S5_N6thrust23THRUST_200600_302600_NS6detail15normal_iteratorINS8_7pointerIdNS8_11hip_rocprim5par_tENS8_11use_defaultESE_EEEENSA_INSB_IiSD_SE_SE_EEEEZNS1_13binary_searchIS3_S5_PdSG_SI_NS1_16binary_search_opENS9_16wrapped_functionINS8_6system6detail7generic6detail18binary_search_lessEbEEEE10hipError_tPvRmT1_T2_T3_mmT4_T5_P12ihipStream_tbEUlRKdE_EEST_SX_SY_mSZ_S12_bEUlT_E_NS1_11comp_targetILNS1_3genE0ELNS1_11target_archE4294967295ELNS1_3gpuE0ELNS1_3repE0EEENS1_30default_config_static_selectorELNS0_4arch9wavefront6targetE1EEEvSW_
                                        ; -- End function
	.set _ZN7rocprim17ROCPRIM_400000_NS6detail17trampoline_kernelINS0_14default_configENS1_29binary_search_config_selectorIdiEEZNS1_14transform_implILb0ES3_S5_N6thrust23THRUST_200600_302600_NS6detail15normal_iteratorINS8_7pointerIdNS8_11hip_rocprim5par_tENS8_11use_defaultESE_EEEENSA_INSB_IiSD_SE_SE_EEEEZNS1_13binary_searchIS3_S5_PdSG_SI_NS1_16binary_search_opENS9_16wrapped_functionINS8_6system6detail7generic6detail18binary_search_lessEbEEEE10hipError_tPvRmT1_T2_T3_mmT4_T5_P12ihipStream_tbEUlRKdE_EEST_SX_SY_mSZ_S12_bEUlT_E_NS1_11comp_targetILNS1_3genE0ELNS1_11target_archE4294967295ELNS1_3gpuE0ELNS1_3repE0EEENS1_30default_config_static_selectorELNS0_4arch9wavefront6targetE1EEEvSW_.num_vgpr, 0
	.set _ZN7rocprim17ROCPRIM_400000_NS6detail17trampoline_kernelINS0_14default_configENS1_29binary_search_config_selectorIdiEEZNS1_14transform_implILb0ES3_S5_N6thrust23THRUST_200600_302600_NS6detail15normal_iteratorINS8_7pointerIdNS8_11hip_rocprim5par_tENS8_11use_defaultESE_EEEENSA_INSB_IiSD_SE_SE_EEEEZNS1_13binary_searchIS3_S5_PdSG_SI_NS1_16binary_search_opENS9_16wrapped_functionINS8_6system6detail7generic6detail18binary_search_lessEbEEEE10hipError_tPvRmT1_T2_T3_mmT4_T5_P12ihipStream_tbEUlRKdE_EEST_SX_SY_mSZ_S12_bEUlT_E_NS1_11comp_targetILNS1_3genE0ELNS1_11target_archE4294967295ELNS1_3gpuE0ELNS1_3repE0EEENS1_30default_config_static_selectorELNS0_4arch9wavefront6targetE1EEEvSW_.num_agpr, 0
	.set _ZN7rocprim17ROCPRIM_400000_NS6detail17trampoline_kernelINS0_14default_configENS1_29binary_search_config_selectorIdiEEZNS1_14transform_implILb0ES3_S5_N6thrust23THRUST_200600_302600_NS6detail15normal_iteratorINS8_7pointerIdNS8_11hip_rocprim5par_tENS8_11use_defaultESE_EEEENSA_INSB_IiSD_SE_SE_EEEEZNS1_13binary_searchIS3_S5_PdSG_SI_NS1_16binary_search_opENS9_16wrapped_functionINS8_6system6detail7generic6detail18binary_search_lessEbEEEE10hipError_tPvRmT1_T2_T3_mmT4_T5_P12ihipStream_tbEUlRKdE_EEST_SX_SY_mSZ_S12_bEUlT_E_NS1_11comp_targetILNS1_3genE0ELNS1_11target_archE4294967295ELNS1_3gpuE0ELNS1_3repE0EEENS1_30default_config_static_selectorELNS0_4arch9wavefront6targetE1EEEvSW_.numbered_sgpr, 0
	.set _ZN7rocprim17ROCPRIM_400000_NS6detail17trampoline_kernelINS0_14default_configENS1_29binary_search_config_selectorIdiEEZNS1_14transform_implILb0ES3_S5_N6thrust23THRUST_200600_302600_NS6detail15normal_iteratorINS8_7pointerIdNS8_11hip_rocprim5par_tENS8_11use_defaultESE_EEEENSA_INSB_IiSD_SE_SE_EEEEZNS1_13binary_searchIS3_S5_PdSG_SI_NS1_16binary_search_opENS9_16wrapped_functionINS8_6system6detail7generic6detail18binary_search_lessEbEEEE10hipError_tPvRmT1_T2_T3_mmT4_T5_P12ihipStream_tbEUlRKdE_EEST_SX_SY_mSZ_S12_bEUlT_E_NS1_11comp_targetILNS1_3genE0ELNS1_11target_archE4294967295ELNS1_3gpuE0ELNS1_3repE0EEENS1_30default_config_static_selectorELNS0_4arch9wavefront6targetE1EEEvSW_.num_named_barrier, 0
	.set _ZN7rocprim17ROCPRIM_400000_NS6detail17trampoline_kernelINS0_14default_configENS1_29binary_search_config_selectorIdiEEZNS1_14transform_implILb0ES3_S5_N6thrust23THRUST_200600_302600_NS6detail15normal_iteratorINS8_7pointerIdNS8_11hip_rocprim5par_tENS8_11use_defaultESE_EEEENSA_INSB_IiSD_SE_SE_EEEEZNS1_13binary_searchIS3_S5_PdSG_SI_NS1_16binary_search_opENS9_16wrapped_functionINS8_6system6detail7generic6detail18binary_search_lessEbEEEE10hipError_tPvRmT1_T2_T3_mmT4_T5_P12ihipStream_tbEUlRKdE_EEST_SX_SY_mSZ_S12_bEUlT_E_NS1_11comp_targetILNS1_3genE0ELNS1_11target_archE4294967295ELNS1_3gpuE0ELNS1_3repE0EEENS1_30default_config_static_selectorELNS0_4arch9wavefront6targetE1EEEvSW_.private_seg_size, 0
	.set _ZN7rocprim17ROCPRIM_400000_NS6detail17trampoline_kernelINS0_14default_configENS1_29binary_search_config_selectorIdiEEZNS1_14transform_implILb0ES3_S5_N6thrust23THRUST_200600_302600_NS6detail15normal_iteratorINS8_7pointerIdNS8_11hip_rocprim5par_tENS8_11use_defaultESE_EEEENSA_INSB_IiSD_SE_SE_EEEEZNS1_13binary_searchIS3_S5_PdSG_SI_NS1_16binary_search_opENS9_16wrapped_functionINS8_6system6detail7generic6detail18binary_search_lessEbEEEE10hipError_tPvRmT1_T2_T3_mmT4_T5_P12ihipStream_tbEUlRKdE_EEST_SX_SY_mSZ_S12_bEUlT_E_NS1_11comp_targetILNS1_3genE0ELNS1_11target_archE4294967295ELNS1_3gpuE0ELNS1_3repE0EEENS1_30default_config_static_selectorELNS0_4arch9wavefront6targetE1EEEvSW_.uses_vcc, 0
	.set _ZN7rocprim17ROCPRIM_400000_NS6detail17trampoline_kernelINS0_14default_configENS1_29binary_search_config_selectorIdiEEZNS1_14transform_implILb0ES3_S5_N6thrust23THRUST_200600_302600_NS6detail15normal_iteratorINS8_7pointerIdNS8_11hip_rocprim5par_tENS8_11use_defaultESE_EEEENSA_INSB_IiSD_SE_SE_EEEEZNS1_13binary_searchIS3_S5_PdSG_SI_NS1_16binary_search_opENS9_16wrapped_functionINS8_6system6detail7generic6detail18binary_search_lessEbEEEE10hipError_tPvRmT1_T2_T3_mmT4_T5_P12ihipStream_tbEUlRKdE_EEST_SX_SY_mSZ_S12_bEUlT_E_NS1_11comp_targetILNS1_3genE0ELNS1_11target_archE4294967295ELNS1_3gpuE0ELNS1_3repE0EEENS1_30default_config_static_selectorELNS0_4arch9wavefront6targetE1EEEvSW_.uses_flat_scratch, 0
	.set _ZN7rocprim17ROCPRIM_400000_NS6detail17trampoline_kernelINS0_14default_configENS1_29binary_search_config_selectorIdiEEZNS1_14transform_implILb0ES3_S5_N6thrust23THRUST_200600_302600_NS6detail15normal_iteratorINS8_7pointerIdNS8_11hip_rocprim5par_tENS8_11use_defaultESE_EEEENSA_INSB_IiSD_SE_SE_EEEEZNS1_13binary_searchIS3_S5_PdSG_SI_NS1_16binary_search_opENS9_16wrapped_functionINS8_6system6detail7generic6detail18binary_search_lessEbEEEE10hipError_tPvRmT1_T2_T3_mmT4_T5_P12ihipStream_tbEUlRKdE_EEST_SX_SY_mSZ_S12_bEUlT_E_NS1_11comp_targetILNS1_3genE0ELNS1_11target_archE4294967295ELNS1_3gpuE0ELNS1_3repE0EEENS1_30default_config_static_selectorELNS0_4arch9wavefront6targetE1EEEvSW_.has_dyn_sized_stack, 0
	.set _ZN7rocprim17ROCPRIM_400000_NS6detail17trampoline_kernelINS0_14default_configENS1_29binary_search_config_selectorIdiEEZNS1_14transform_implILb0ES3_S5_N6thrust23THRUST_200600_302600_NS6detail15normal_iteratorINS8_7pointerIdNS8_11hip_rocprim5par_tENS8_11use_defaultESE_EEEENSA_INSB_IiSD_SE_SE_EEEEZNS1_13binary_searchIS3_S5_PdSG_SI_NS1_16binary_search_opENS9_16wrapped_functionINS8_6system6detail7generic6detail18binary_search_lessEbEEEE10hipError_tPvRmT1_T2_T3_mmT4_T5_P12ihipStream_tbEUlRKdE_EEST_SX_SY_mSZ_S12_bEUlT_E_NS1_11comp_targetILNS1_3genE0ELNS1_11target_archE4294967295ELNS1_3gpuE0ELNS1_3repE0EEENS1_30default_config_static_selectorELNS0_4arch9wavefront6targetE1EEEvSW_.has_recursion, 0
	.set _ZN7rocprim17ROCPRIM_400000_NS6detail17trampoline_kernelINS0_14default_configENS1_29binary_search_config_selectorIdiEEZNS1_14transform_implILb0ES3_S5_N6thrust23THRUST_200600_302600_NS6detail15normal_iteratorINS8_7pointerIdNS8_11hip_rocprim5par_tENS8_11use_defaultESE_EEEENSA_INSB_IiSD_SE_SE_EEEEZNS1_13binary_searchIS3_S5_PdSG_SI_NS1_16binary_search_opENS9_16wrapped_functionINS8_6system6detail7generic6detail18binary_search_lessEbEEEE10hipError_tPvRmT1_T2_T3_mmT4_T5_P12ihipStream_tbEUlRKdE_EEST_SX_SY_mSZ_S12_bEUlT_E_NS1_11comp_targetILNS1_3genE0ELNS1_11target_archE4294967295ELNS1_3gpuE0ELNS1_3repE0EEENS1_30default_config_static_selectorELNS0_4arch9wavefront6targetE1EEEvSW_.has_indirect_call, 0
	.section	.AMDGPU.csdata,"",@progbits
; Kernel info:
; codeLenInByte = 0
; TotalNumSgprs: 4
; NumVgprs: 0
; ScratchSize: 0
; MemoryBound: 0
; FloatMode: 240
; IeeeMode: 1
; LDSByteSize: 0 bytes/workgroup (compile time only)
; SGPRBlocks: 0
; VGPRBlocks: 0
; NumSGPRsForWavesPerEU: 4
; NumVGPRsForWavesPerEU: 1
; Occupancy: 10
; WaveLimiterHint : 0
; COMPUTE_PGM_RSRC2:SCRATCH_EN: 0
; COMPUTE_PGM_RSRC2:USER_SGPR: 6
; COMPUTE_PGM_RSRC2:TRAP_HANDLER: 0
; COMPUTE_PGM_RSRC2:TGID_X_EN: 1
; COMPUTE_PGM_RSRC2:TGID_Y_EN: 0
; COMPUTE_PGM_RSRC2:TGID_Z_EN: 0
; COMPUTE_PGM_RSRC2:TIDIG_COMP_CNT: 0
	.section	.text._ZN7rocprim17ROCPRIM_400000_NS6detail17trampoline_kernelINS0_14default_configENS1_29binary_search_config_selectorIdiEEZNS1_14transform_implILb0ES3_S5_N6thrust23THRUST_200600_302600_NS6detail15normal_iteratorINS8_7pointerIdNS8_11hip_rocprim5par_tENS8_11use_defaultESE_EEEENSA_INSB_IiSD_SE_SE_EEEEZNS1_13binary_searchIS3_S5_PdSG_SI_NS1_16binary_search_opENS9_16wrapped_functionINS8_6system6detail7generic6detail18binary_search_lessEbEEEE10hipError_tPvRmT1_T2_T3_mmT4_T5_P12ihipStream_tbEUlRKdE_EEST_SX_SY_mSZ_S12_bEUlT_E_NS1_11comp_targetILNS1_3genE5ELNS1_11target_archE942ELNS1_3gpuE9ELNS1_3repE0EEENS1_30default_config_static_selectorELNS0_4arch9wavefront6targetE1EEEvSW_,"axG",@progbits,_ZN7rocprim17ROCPRIM_400000_NS6detail17trampoline_kernelINS0_14default_configENS1_29binary_search_config_selectorIdiEEZNS1_14transform_implILb0ES3_S5_N6thrust23THRUST_200600_302600_NS6detail15normal_iteratorINS8_7pointerIdNS8_11hip_rocprim5par_tENS8_11use_defaultESE_EEEENSA_INSB_IiSD_SE_SE_EEEEZNS1_13binary_searchIS3_S5_PdSG_SI_NS1_16binary_search_opENS9_16wrapped_functionINS8_6system6detail7generic6detail18binary_search_lessEbEEEE10hipError_tPvRmT1_T2_T3_mmT4_T5_P12ihipStream_tbEUlRKdE_EEST_SX_SY_mSZ_S12_bEUlT_E_NS1_11comp_targetILNS1_3genE5ELNS1_11target_archE942ELNS1_3gpuE9ELNS1_3repE0EEENS1_30default_config_static_selectorELNS0_4arch9wavefront6targetE1EEEvSW_,comdat
	.protected	_ZN7rocprim17ROCPRIM_400000_NS6detail17trampoline_kernelINS0_14default_configENS1_29binary_search_config_selectorIdiEEZNS1_14transform_implILb0ES3_S5_N6thrust23THRUST_200600_302600_NS6detail15normal_iteratorINS8_7pointerIdNS8_11hip_rocprim5par_tENS8_11use_defaultESE_EEEENSA_INSB_IiSD_SE_SE_EEEEZNS1_13binary_searchIS3_S5_PdSG_SI_NS1_16binary_search_opENS9_16wrapped_functionINS8_6system6detail7generic6detail18binary_search_lessEbEEEE10hipError_tPvRmT1_T2_T3_mmT4_T5_P12ihipStream_tbEUlRKdE_EEST_SX_SY_mSZ_S12_bEUlT_E_NS1_11comp_targetILNS1_3genE5ELNS1_11target_archE942ELNS1_3gpuE9ELNS1_3repE0EEENS1_30default_config_static_selectorELNS0_4arch9wavefront6targetE1EEEvSW_ ; -- Begin function _ZN7rocprim17ROCPRIM_400000_NS6detail17trampoline_kernelINS0_14default_configENS1_29binary_search_config_selectorIdiEEZNS1_14transform_implILb0ES3_S5_N6thrust23THRUST_200600_302600_NS6detail15normal_iteratorINS8_7pointerIdNS8_11hip_rocprim5par_tENS8_11use_defaultESE_EEEENSA_INSB_IiSD_SE_SE_EEEEZNS1_13binary_searchIS3_S5_PdSG_SI_NS1_16binary_search_opENS9_16wrapped_functionINS8_6system6detail7generic6detail18binary_search_lessEbEEEE10hipError_tPvRmT1_T2_T3_mmT4_T5_P12ihipStream_tbEUlRKdE_EEST_SX_SY_mSZ_S12_bEUlT_E_NS1_11comp_targetILNS1_3genE5ELNS1_11target_archE942ELNS1_3gpuE9ELNS1_3repE0EEENS1_30default_config_static_selectorELNS0_4arch9wavefront6targetE1EEEvSW_
	.globl	_ZN7rocprim17ROCPRIM_400000_NS6detail17trampoline_kernelINS0_14default_configENS1_29binary_search_config_selectorIdiEEZNS1_14transform_implILb0ES3_S5_N6thrust23THRUST_200600_302600_NS6detail15normal_iteratorINS8_7pointerIdNS8_11hip_rocprim5par_tENS8_11use_defaultESE_EEEENSA_INSB_IiSD_SE_SE_EEEEZNS1_13binary_searchIS3_S5_PdSG_SI_NS1_16binary_search_opENS9_16wrapped_functionINS8_6system6detail7generic6detail18binary_search_lessEbEEEE10hipError_tPvRmT1_T2_T3_mmT4_T5_P12ihipStream_tbEUlRKdE_EEST_SX_SY_mSZ_S12_bEUlT_E_NS1_11comp_targetILNS1_3genE5ELNS1_11target_archE942ELNS1_3gpuE9ELNS1_3repE0EEENS1_30default_config_static_selectorELNS0_4arch9wavefront6targetE1EEEvSW_
	.p2align	8
	.type	_ZN7rocprim17ROCPRIM_400000_NS6detail17trampoline_kernelINS0_14default_configENS1_29binary_search_config_selectorIdiEEZNS1_14transform_implILb0ES3_S5_N6thrust23THRUST_200600_302600_NS6detail15normal_iteratorINS8_7pointerIdNS8_11hip_rocprim5par_tENS8_11use_defaultESE_EEEENSA_INSB_IiSD_SE_SE_EEEEZNS1_13binary_searchIS3_S5_PdSG_SI_NS1_16binary_search_opENS9_16wrapped_functionINS8_6system6detail7generic6detail18binary_search_lessEbEEEE10hipError_tPvRmT1_T2_T3_mmT4_T5_P12ihipStream_tbEUlRKdE_EEST_SX_SY_mSZ_S12_bEUlT_E_NS1_11comp_targetILNS1_3genE5ELNS1_11target_archE942ELNS1_3gpuE9ELNS1_3repE0EEENS1_30default_config_static_selectorELNS0_4arch9wavefront6targetE1EEEvSW_,@function
_ZN7rocprim17ROCPRIM_400000_NS6detail17trampoline_kernelINS0_14default_configENS1_29binary_search_config_selectorIdiEEZNS1_14transform_implILb0ES3_S5_N6thrust23THRUST_200600_302600_NS6detail15normal_iteratorINS8_7pointerIdNS8_11hip_rocprim5par_tENS8_11use_defaultESE_EEEENSA_INSB_IiSD_SE_SE_EEEEZNS1_13binary_searchIS3_S5_PdSG_SI_NS1_16binary_search_opENS9_16wrapped_functionINS8_6system6detail7generic6detail18binary_search_lessEbEEEE10hipError_tPvRmT1_T2_T3_mmT4_T5_P12ihipStream_tbEUlRKdE_EEST_SX_SY_mSZ_S12_bEUlT_E_NS1_11comp_targetILNS1_3genE5ELNS1_11target_archE942ELNS1_3gpuE9ELNS1_3repE0EEENS1_30default_config_static_selectorELNS0_4arch9wavefront6targetE1EEEvSW_: ; @_ZN7rocprim17ROCPRIM_400000_NS6detail17trampoline_kernelINS0_14default_configENS1_29binary_search_config_selectorIdiEEZNS1_14transform_implILb0ES3_S5_N6thrust23THRUST_200600_302600_NS6detail15normal_iteratorINS8_7pointerIdNS8_11hip_rocprim5par_tENS8_11use_defaultESE_EEEENSA_INSB_IiSD_SE_SE_EEEEZNS1_13binary_searchIS3_S5_PdSG_SI_NS1_16binary_search_opENS9_16wrapped_functionINS8_6system6detail7generic6detail18binary_search_lessEbEEEE10hipError_tPvRmT1_T2_T3_mmT4_T5_P12ihipStream_tbEUlRKdE_EEST_SX_SY_mSZ_S12_bEUlT_E_NS1_11comp_targetILNS1_3genE5ELNS1_11target_archE942ELNS1_3gpuE9ELNS1_3repE0EEENS1_30default_config_static_selectorELNS0_4arch9wavefront6targetE1EEEvSW_
; %bb.0:
	.section	.rodata,"a",@progbits
	.p2align	6, 0x0
	.amdhsa_kernel _ZN7rocprim17ROCPRIM_400000_NS6detail17trampoline_kernelINS0_14default_configENS1_29binary_search_config_selectorIdiEEZNS1_14transform_implILb0ES3_S5_N6thrust23THRUST_200600_302600_NS6detail15normal_iteratorINS8_7pointerIdNS8_11hip_rocprim5par_tENS8_11use_defaultESE_EEEENSA_INSB_IiSD_SE_SE_EEEEZNS1_13binary_searchIS3_S5_PdSG_SI_NS1_16binary_search_opENS9_16wrapped_functionINS8_6system6detail7generic6detail18binary_search_lessEbEEEE10hipError_tPvRmT1_T2_T3_mmT4_T5_P12ihipStream_tbEUlRKdE_EEST_SX_SY_mSZ_S12_bEUlT_E_NS1_11comp_targetILNS1_3genE5ELNS1_11target_archE942ELNS1_3gpuE9ELNS1_3repE0EEENS1_30default_config_static_selectorELNS0_4arch9wavefront6targetE1EEEvSW_
		.amdhsa_group_segment_fixed_size 0
		.amdhsa_private_segment_fixed_size 0
		.amdhsa_kernarg_size 56
		.amdhsa_user_sgpr_count 6
		.amdhsa_user_sgpr_private_segment_buffer 1
		.amdhsa_user_sgpr_dispatch_ptr 0
		.amdhsa_user_sgpr_queue_ptr 0
		.amdhsa_user_sgpr_kernarg_segment_ptr 1
		.amdhsa_user_sgpr_dispatch_id 0
		.amdhsa_user_sgpr_flat_scratch_init 0
		.amdhsa_user_sgpr_private_segment_size 0
		.amdhsa_uses_dynamic_stack 0
		.amdhsa_system_sgpr_private_segment_wavefront_offset 0
		.amdhsa_system_sgpr_workgroup_id_x 1
		.amdhsa_system_sgpr_workgroup_id_y 0
		.amdhsa_system_sgpr_workgroup_id_z 0
		.amdhsa_system_sgpr_workgroup_info 0
		.amdhsa_system_vgpr_workitem_id 0
		.amdhsa_next_free_vgpr 1
		.amdhsa_next_free_sgpr 0
		.amdhsa_reserve_vcc 0
		.amdhsa_reserve_flat_scratch 0
		.amdhsa_float_round_mode_32 0
		.amdhsa_float_round_mode_16_64 0
		.amdhsa_float_denorm_mode_32 3
		.amdhsa_float_denorm_mode_16_64 3
		.amdhsa_dx10_clamp 1
		.amdhsa_ieee_mode 1
		.amdhsa_fp16_overflow 0
		.amdhsa_exception_fp_ieee_invalid_op 0
		.amdhsa_exception_fp_denorm_src 0
		.amdhsa_exception_fp_ieee_div_zero 0
		.amdhsa_exception_fp_ieee_overflow 0
		.amdhsa_exception_fp_ieee_underflow 0
		.amdhsa_exception_fp_ieee_inexact 0
		.amdhsa_exception_int_div_zero 0
	.end_amdhsa_kernel
	.section	.text._ZN7rocprim17ROCPRIM_400000_NS6detail17trampoline_kernelINS0_14default_configENS1_29binary_search_config_selectorIdiEEZNS1_14transform_implILb0ES3_S5_N6thrust23THRUST_200600_302600_NS6detail15normal_iteratorINS8_7pointerIdNS8_11hip_rocprim5par_tENS8_11use_defaultESE_EEEENSA_INSB_IiSD_SE_SE_EEEEZNS1_13binary_searchIS3_S5_PdSG_SI_NS1_16binary_search_opENS9_16wrapped_functionINS8_6system6detail7generic6detail18binary_search_lessEbEEEE10hipError_tPvRmT1_T2_T3_mmT4_T5_P12ihipStream_tbEUlRKdE_EEST_SX_SY_mSZ_S12_bEUlT_E_NS1_11comp_targetILNS1_3genE5ELNS1_11target_archE942ELNS1_3gpuE9ELNS1_3repE0EEENS1_30default_config_static_selectorELNS0_4arch9wavefront6targetE1EEEvSW_,"axG",@progbits,_ZN7rocprim17ROCPRIM_400000_NS6detail17trampoline_kernelINS0_14default_configENS1_29binary_search_config_selectorIdiEEZNS1_14transform_implILb0ES3_S5_N6thrust23THRUST_200600_302600_NS6detail15normal_iteratorINS8_7pointerIdNS8_11hip_rocprim5par_tENS8_11use_defaultESE_EEEENSA_INSB_IiSD_SE_SE_EEEEZNS1_13binary_searchIS3_S5_PdSG_SI_NS1_16binary_search_opENS9_16wrapped_functionINS8_6system6detail7generic6detail18binary_search_lessEbEEEE10hipError_tPvRmT1_T2_T3_mmT4_T5_P12ihipStream_tbEUlRKdE_EEST_SX_SY_mSZ_S12_bEUlT_E_NS1_11comp_targetILNS1_3genE5ELNS1_11target_archE942ELNS1_3gpuE9ELNS1_3repE0EEENS1_30default_config_static_selectorELNS0_4arch9wavefront6targetE1EEEvSW_,comdat
.Lfunc_end244:
	.size	_ZN7rocprim17ROCPRIM_400000_NS6detail17trampoline_kernelINS0_14default_configENS1_29binary_search_config_selectorIdiEEZNS1_14transform_implILb0ES3_S5_N6thrust23THRUST_200600_302600_NS6detail15normal_iteratorINS8_7pointerIdNS8_11hip_rocprim5par_tENS8_11use_defaultESE_EEEENSA_INSB_IiSD_SE_SE_EEEEZNS1_13binary_searchIS3_S5_PdSG_SI_NS1_16binary_search_opENS9_16wrapped_functionINS8_6system6detail7generic6detail18binary_search_lessEbEEEE10hipError_tPvRmT1_T2_T3_mmT4_T5_P12ihipStream_tbEUlRKdE_EEST_SX_SY_mSZ_S12_bEUlT_E_NS1_11comp_targetILNS1_3genE5ELNS1_11target_archE942ELNS1_3gpuE9ELNS1_3repE0EEENS1_30default_config_static_selectorELNS0_4arch9wavefront6targetE1EEEvSW_, .Lfunc_end244-_ZN7rocprim17ROCPRIM_400000_NS6detail17trampoline_kernelINS0_14default_configENS1_29binary_search_config_selectorIdiEEZNS1_14transform_implILb0ES3_S5_N6thrust23THRUST_200600_302600_NS6detail15normal_iteratorINS8_7pointerIdNS8_11hip_rocprim5par_tENS8_11use_defaultESE_EEEENSA_INSB_IiSD_SE_SE_EEEEZNS1_13binary_searchIS3_S5_PdSG_SI_NS1_16binary_search_opENS9_16wrapped_functionINS8_6system6detail7generic6detail18binary_search_lessEbEEEE10hipError_tPvRmT1_T2_T3_mmT4_T5_P12ihipStream_tbEUlRKdE_EEST_SX_SY_mSZ_S12_bEUlT_E_NS1_11comp_targetILNS1_3genE5ELNS1_11target_archE942ELNS1_3gpuE9ELNS1_3repE0EEENS1_30default_config_static_selectorELNS0_4arch9wavefront6targetE1EEEvSW_
                                        ; -- End function
	.set _ZN7rocprim17ROCPRIM_400000_NS6detail17trampoline_kernelINS0_14default_configENS1_29binary_search_config_selectorIdiEEZNS1_14transform_implILb0ES3_S5_N6thrust23THRUST_200600_302600_NS6detail15normal_iteratorINS8_7pointerIdNS8_11hip_rocprim5par_tENS8_11use_defaultESE_EEEENSA_INSB_IiSD_SE_SE_EEEEZNS1_13binary_searchIS3_S5_PdSG_SI_NS1_16binary_search_opENS9_16wrapped_functionINS8_6system6detail7generic6detail18binary_search_lessEbEEEE10hipError_tPvRmT1_T2_T3_mmT4_T5_P12ihipStream_tbEUlRKdE_EEST_SX_SY_mSZ_S12_bEUlT_E_NS1_11comp_targetILNS1_3genE5ELNS1_11target_archE942ELNS1_3gpuE9ELNS1_3repE0EEENS1_30default_config_static_selectorELNS0_4arch9wavefront6targetE1EEEvSW_.num_vgpr, 0
	.set _ZN7rocprim17ROCPRIM_400000_NS6detail17trampoline_kernelINS0_14default_configENS1_29binary_search_config_selectorIdiEEZNS1_14transform_implILb0ES3_S5_N6thrust23THRUST_200600_302600_NS6detail15normal_iteratorINS8_7pointerIdNS8_11hip_rocprim5par_tENS8_11use_defaultESE_EEEENSA_INSB_IiSD_SE_SE_EEEEZNS1_13binary_searchIS3_S5_PdSG_SI_NS1_16binary_search_opENS9_16wrapped_functionINS8_6system6detail7generic6detail18binary_search_lessEbEEEE10hipError_tPvRmT1_T2_T3_mmT4_T5_P12ihipStream_tbEUlRKdE_EEST_SX_SY_mSZ_S12_bEUlT_E_NS1_11comp_targetILNS1_3genE5ELNS1_11target_archE942ELNS1_3gpuE9ELNS1_3repE0EEENS1_30default_config_static_selectorELNS0_4arch9wavefront6targetE1EEEvSW_.num_agpr, 0
	.set _ZN7rocprim17ROCPRIM_400000_NS6detail17trampoline_kernelINS0_14default_configENS1_29binary_search_config_selectorIdiEEZNS1_14transform_implILb0ES3_S5_N6thrust23THRUST_200600_302600_NS6detail15normal_iteratorINS8_7pointerIdNS8_11hip_rocprim5par_tENS8_11use_defaultESE_EEEENSA_INSB_IiSD_SE_SE_EEEEZNS1_13binary_searchIS3_S5_PdSG_SI_NS1_16binary_search_opENS9_16wrapped_functionINS8_6system6detail7generic6detail18binary_search_lessEbEEEE10hipError_tPvRmT1_T2_T3_mmT4_T5_P12ihipStream_tbEUlRKdE_EEST_SX_SY_mSZ_S12_bEUlT_E_NS1_11comp_targetILNS1_3genE5ELNS1_11target_archE942ELNS1_3gpuE9ELNS1_3repE0EEENS1_30default_config_static_selectorELNS0_4arch9wavefront6targetE1EEEvSW_.numbered_sgpr, 0
	.set _ZN7rocprim17ROCPRIM_400000_NS6detail17trampoline_kernelINS0_14default_configENS1_29binary_search_config_selectorIdiEEZNS1_14transform_implILb0ES3_S5_N6thrust23THRUST_200600_302600_NS6detail15normal_iteratorINS8_7pointerIdNS8_11hip_rocprim5par_tENS8_11use_defaultESE_EEEENSA_INSB_IiSD_SE_SE_EEEEZNS1_13binary_searchIS3_S5_PdSG_SI_NS1_16binary_search_opENS9_16wrapped_functionINS8_6system6detail7generic6detail18binary_search_lessEbEEEE10hipError_tPvRmT1_T2_T3_mmT4_T5_P12ihipStream_tbEUlRKdE_EEST_SX_SY_mSZ_S12_bEUlT_E_NS1_11comp_targetILNS1_3genE5ELNS1_11target_archE942ELNS1_3gpuE9ELNS1_3repE0EEENS1_30default_config_static_selectorELNS0_4arch9wavefront6targetE1EEEvSW_.num_named_barrier, 0
	.set _ZN7rocprim17ROCPRIM_400000_NS6detail17trampoline_kernelINS0_14default_configENS1_29binary_search_config_selectorIdiEEZNS1_14transform_implILb0ES3_S5_N6thrust23THRUST_200600_302600_NS6detail15normal_iteratorINS8_7pointerIdNS8_11hip_rocprim5par_tENS8_11use_defaultESE_EEEENSA_INSB_IiSD_SE_SE_EEEEZNS1_13binary_searchIS3_S5_PdSG_SI_NS1_16binary_search_opENS9_16wrapped_functionINS8_6system6detail7generic6detail18binary_search_lessEbEEEE10hipError_tPvRmT1_T2_T3_mmT4_T5_P12ihipStream_tbEUlRKdE_EEST_SX_SY_mSZ_S12_bEUlT_E_NS1_11comp_targetILNS1_3genE5ELNS1_11target_archE942ELNS1_3gpuE9ELNS1_3repE0EEENS1_30default_config_static_selectorELNS0_4arch9wavefront6targetE1EEEvSW_.private_seg_size, 0
	.set _ZN7rocprim17ROCPRIM_400000_NS6detail17trampoline_kernelINS0_14default_configENS1_29binary_search_config_selectorIdiEEZNS1_14transform_implILb0ES3_S5_N6thrust23THRUST_200600_302600_NS6detail15normal_iteratorINS8_7pointerIdNS8_11hip_rocprim5par_tENS8_11use_defaultESE_EEEENSA_INSB_IiSD_SE_SE_EEEEZNS1_13binary_searchIS3_S5_PdSG_SI_NS1_16binary_search_opENS9_16wrapped_functionINS8_6system6detail7generic6detail18binary_search_lessEbEEEE10hipError_tPvRmT1_T2_T3_mmT4_T5_P12ihipStream_tbEUlRKdE_EEST_SX_SY_mSZ_S12_bEUlT_E_NS1_11comp_targetILNS1_3genE5ELNS1_11target_archE942ELNS1_3gpuE9ELNS1_3repE0EEENS1_30default_config_static_selectorELNS0_4arch9wavefront6targetE1EEEvSW_.uses_vcc, 0
	.set _ZN7rocprim17ROCPRIM_400000_NS6detail17trampoline_kernelINS0_14default_configENS1_29binary_search_config_selectorIdiEEZNS1_14transform_implILb0ES3_S5_N6thrust23THRUST_200600_302600_NS6detail15normal_iteratorINS8_7pointerIdNS8_11hip_rocprim5par_tENS8_11use_defaultESE_EEEENSA_INSB_IiSD_SE_SE_EEEEZNS1_13binary_searchIS3_S5_PdSG_SI_NS1_16binary_search_opENS9_16wrapped_functionINS8_6system6detail7generic6detail18binary_search_lessEbEEEE10hipError_tPvRmT1_T2_T3_mmT4_T5_P12ihipStream_tbEUlRKdE_EEST_SX_SY_mSZ_S12_bEUlT_E_NS1_11comp_targetILNS1_3genE5ELNS1_11target_archE942ELNS1_3gpuE9ELNS1_3repE0EEENS1_30default_config_static_selectorELNS0_4arch9wavefront6targetE1EEEvSW_.uses_flat_scratch, 0
	.set _ZN7rocprim17ROCPRIM_400000_NS6detail17trampoline_kernelINS0_14default_configENS1_29binary_search_config_selectorIdiEEZNS1_14transform_implILb0ES3_S5_N6thrust23THRUST_200600_302600_NS6detail15normal_iteratorINS8_7pointerIdNS8_11hip_rocprim5par_tENS8_11use_defaultESE_EEEENSA_INSB_IiSD_SE_SE_EEEEZNS1_13binary_searchIS3_S5_PdSG_SI_NS1_16binary_search_opENS9_16wrapped_functionINS8_6system6detail7generic6detail18binary_search_lessEbEEEE10hipError_tPvRmT1_T2_T3_mmT4_T5_P12ihipStream_tbEUlRKdE_EEST_SX_SY_mSZ_S12_bEUlT_E_NS1_11comp_targetILNS1_3genE5ELNS1_11target_archE942ELNS1_3gpuE9ELNS1_3repE0EEENS1_30default_config_static_selectorELNS0_4arch9wavefront6targetE1EEEvSW_.has_dyn_sized_stack, 0
	.set _ZN7rocprim17ROCPRIM_400000_NS6detail17trampoline_kernelINS0_14default_configENS1_29binary_search_config_selectorIdiEEZNS1_14transform_implILb0ES3_S5_N6thrust23THRUST_200600_302600_NS6detail15normal_iteratorINS8_7pointerIdNS8_11hip_rocprim5par_tENS8_11use_defaultESE_EEEENSA_INSB_IiSD_SE_SE_EEEEZNS1_13binary_searchIS3_S5_PdSG_SI_NS1_16binary_search_opENS9_16wrapped_functionINS8_6system6detail7generic6detail18binary_search_lessEbEEEE10hipError_tPvRmT1_T2_T3_mmT4_T5_P12ihipStream_tbEUlRKdE_EEST_SX_SY_mSZ_S12_bEUlT_E_NS1_11comp_targetILNS1_3genE5ELNS1_11target_archE942ELNS1_3gpuE9ELNS1_3repE0EEENS1_30default_config_static_selectorELNS0_4arch9wavefront6targetE1EEEvSW_.has_recursion, 0
	.set _ZN7rocprim17ROCPRIM_400000_NS6detail17trampoline_kernelINS0_14default_configENS1_29binary_search_config_selectorIdiEEZNS1_14transform_implILb0ES3_S5_N6thrust23THRUST_200600_302600_NS6detail15normal_iteratorINS8_7pointerIdNS8_11hip_rocprim5par_tENS8_11use_defaultESE_EEEENSA_INSB_IiSD_SE_SE_EEEEZNS1_13binary_searchIS3_S5_PdSG_SI_NS1_16binary_search_opENS9_16wrapped_functionINS8_6system6detail7generic6detail18binary_search_lessEbEEEE10hipError_tPvRmT1_T2_T3_mmT4_T5_P12ihipStream_tbEUlRKdE_EEST_SX_SY_mSZ_S12_bEUlT_E_NS1_11comp_targetILNS1_3genE5ELNS1_11target_archE942ELNS1_3gpuE9ELNS1_3repE0EEENS1_30default_config_static_selectorELNS0_4arch9wavefront6targetE1EEEvSW_.has_indirect_call, 0
	.section	.AMDGPU.csdata,"",@progbits
; Kernel info:
; codeLenInByte = 0
; TotalNumSgprs: 4
; NumVgprs: 0
; ScratchSize: 0
; MemoryBound: 0
; FloatMode: 240
; IeeeMode: 1
; LDSByteSize: 0 bytes/workgroup (compile time only)
; SGPRBlocks: 0
; VGPRBlocks: 0
; NumSGPRsForWavesPerEU: 4
; NumVGPRsForWavesPerEU: 1
; Occupancy: 10
; WaveLimiterHint : 0
; COMPUTE_PGM_RSRC2:SCRATCH_EN: 0
; COMPUTE_PGM_RSRC2:USER_SGPR: 6
; COMPUTE_PGM_RSRC2:TRAP_HANDLER: 0
; COMPUTE_PGM_RSRC2:TGID_X_EN: 1
; COMPUTE_PGM_RSRC2:TGID_Y_EN: 0
; COMPUTE_PGM_RSRC2:TGID_Z_EN: 0
; COMPUTE_PGM_RSRC2:TIDIG_COMP_CNT: 0
	.section	.text._ZN7rocprim17ROCPRIM_400000_NS6detail17trampoline_kernelINS0_14default_configENS1_29binary_search_config_selectorIdiEEZNS1_14transform_implILb0ES3_S5_N6thrust23THRUST_200600_302600_NS6detail15normal_iteratorINS8_7pointerIdNS8_11hip_rocprim5par_tENS8_11use_defaultESE_EEEENSA_INSB_IiSD_SE_SE_EEEEZNS1_13binary_searchIS3_S5_PdSG_SI_NS1_16binary_search_opENS9_16wrapped_functionINS8_6system6detail7generic6detail18binary_search_lessEbEEEE10hipError_tPvRmT1_T2_T3_mmT4_T5_P12ihipStream_tbEUlRKdE_EEST_SX_SY_mSZ_S12_bEUlT_E_NS1_11comp_targetILNS1_3genE4ELNS1_11target_archE910ELNS1_3gpuE8ELNS1_3repE0EEENS1_30default_config_static_selectorELNS0_4arch9wavefront6targetE1EEEvSW_,"axG",@progbits,_ZN7rocprim17ROCPRIM_400000_NS6detail17trampoline_kernelINS0_14default_configENS1_29binary_search_config_selectorIdiEEZNS1_14transform_implILb0ES3_S5_N6thrust23THRUST_200600_302600_NS6detail15normal_iteratorINS8_7pointerIdNS8_11hip_rocprim5par_tENS8_11use_defaultESE_EEEENSA_INSB_IiSD_SE_SE_EEEEZNS1_13binary_searchIS3_S5_PdSG_SI_NS1_16binary_search_opENS9_16wrapped_functionINS8_6system6detail7generic6detail18binary_search_lessEbEEEE10hipError_tPvRmT1_T2_T3_mmT4_T5_P12ihipStream_tbEUlRKdE_EEST_SX_SY_mSZ_S12_bEUlT_E_NS1_11comp_targetILNS1_3genE4ELNS1_11target_archE910ELNS1_3gpuE8ELNS1_3repE0EEENS1_30default_config_static_selectorELNS0_4arch9wavefront6targetE1EEEvSW_,comdat
	.protected	_ZN7rocprim17ROCPRIM_400000_NS6detail17trampoline_kernelINS0_14default_configENS1_29binary_search_config_selectorIdiEEZNS1_14transform_implILb0ES3_S5_N6thrust23THRUST_200600_302600_NS6detail15normal_iteratorINS8_7pointerIdNS8_11hip_rocprim5par_tENS8_11use_defaultESE_EEEENSA_INSB_IiSD_SE_SE_EEEEZNS1_13binary_searchIS3_S5_PdSG_SI_NS1_16binary_search_opENS9_16wrapped_functionINS8_6system6detail7generic6detail18binary_search_lessEbEEEE10hipError_tPvRmT1_T2_T3_mmT4_T5_P12ihipStream_tbEUlRKdE_EEST_SX_SY_mSZ_S12_bEUlT_E_NS1_11comp_targetILNS1_3genE4ELNS1_11target_archE910ELNS1_3gpuE8ELNS1_3repE0EEENS1_30default_config_static_selectorELNS0_4arch9wavefront6targetE1EEEvSW_ ; -- Begin function _ZN7rocprim17ROCPRIM_400000_NS6detail17trampoline_kernelINS0_14default_configENS1_29binary_search_config_selectorIdiEEZNS1_14transform_implILb0ES3_S5_N6thrust23THRUST_200600_302600_NS6detail15normal_iteratorINS8_7pointerIdNS8_11hip_rocprim5par_tENS8_11use_defaultESE_EEEENSA_INSB_IiSD_SE_SE_EEEEZNS1_13binary_searchIS3_S5_PdSG_SI_NS1_16binary_search_opENS9_16wrapped_functionINS8_6system6detail7generic6detail18binary_search_lessEbEEEE10hipError_tPvRmT1_T2_T3_mmT4_T5_P12ihipStream_tbEUlRKdE_EEST_SX_SY_mSZ_S12_bEUlT_E_NS1_11comp_targetILNS1_3genE4ELNS1_11target_archE910ELNS1_3gpuE8ELNS1_3repE0EEENS1_30default_config_static_selectorELNS0_4arch9wavefront6targetE1EEEvSW_
	.globl	_ZN7rocprim17ROCPRIM_400000_NS6detail17trampoline_kernelINS0_14default_configENS1_29binary_search_config_selectorIdiEEZNS1_14transform_implILb0ES3_S5_N6thrust23THRUST_200600_302600_NS6detail15normal_iteratorINS8_7pointerIdNS8_11hip_rocprim5par_tENS8_11use_defaultESE_EEEENSA_INSB_IiSD_SE_SE_EEEEZNS1_13binary_searchIS3_S5_PdSG_SI_NS1_16binary_search_opENS9_16wrapped_functionINS8_6system6detail7generic6detail18binary_search_lessEbEEEE10hipError_tPvRmT1_T2_T3_mmT4_T5_P12ihipStream_tbEUlRKdE_EEST_SX_SY_mSZ_S12_bEUlT_E_NS1_11comp_targetILNS1_3genE4ELNS1_11target_archE910ELNS1_3gpuE8ELNS1_3repE0EEENS1_30default_config_static_selectorELNS0_4arch9wavefront6targetE1EEEvSW_
	.p2align	8
	.type	_ZN7rocprim17ROCPRIM_400000_NS6detail17trampoline_kernelINS0_14default_configENS1_29binary_search_config_selectorIdiEEZNS1_14transform_implILb0ES3_S5_N6thrust23THRUST_200600_302600_NS6detail15normal_iteratorINS8_7pointerIdNS8_11hip_rocprim5par_tENS8_11use_defaultESE_EEEENSA_INSB_IiSD_SE_SE_EEEEZNS1_13binary_searchIS3_S5_PdSG_SI_NS1_16binary_search_opENS9_16wrapped_functionINS8_6system6detail7generic6detail18binary_search_lessEbEEEE10hipError_tPvRmT1_T2_T3_mmT4_T5_P12ihipStream_tbEUlRKdE_EEST_SX_SY_mSZ_S12_bEUlT_E_NS1_11comp_targetILNS1_3genE4ELNS1_11target_archE910ELNS1_3gpuE8ELNS1_3repE0EEENS1_30default_config_static_selectorELNS0_4arch9wavefront6targetE1EEEvSW_,@function
_ZN7rocprim17ROCPRIM_400000_NS6detail17trampoline_kernelINS0_14default_configENS1_29binary_search_config_selectorIdiEEZNS1_14transform_implILb0ES3_S5_N6thrust23THRUST_200600_302600_NS6detail15normal_iteratorINS8_7pointerIdNS8_11hip_rocprim5par_tENS8_11use_defaultESE_EEEENSA_INSB_IiSD_SE_SE_EEEEZNS1_13binary_searchIS3_S5_PdSG_SI_NS1_16binary_search_opENS9_16wrapped_functionINS8_6system6detail7generic6detail18binary_search_lessEbEEEE10hipError_tPvRmT1_T2_T3_mmT4_T5_P12ihipStream_tbEUlRKdE_EEST_SX_SY_mSZ_S12_bEUlT_E_NS1_11comp_targetILNS1_3genE4ELNS1_11target_archE910ELNS1_3gpuE8ELNS1_3repE0EEENS1_30default_config_static_selectorELNS0_4arch9wavefront6targetE1EEEvSW_: ; @_ZN7rocprim17ROCPRIM_400000_NS6detail17trampoline_kernelINS0_14default_configENS1_29binary_search_config_selectorIdiEEZNS1_14transform_implILb0ES3_S5_N6thrust23THRUST_200600_302600_NS6detail15normal_iteratorINS8_7pointerIdNS8_11hip_rocprim5par_tENS8_11use_defaultESE_EEEENSA_INSB_IiSD_SE_SE_EEEEZNS1_13binary_searchIS3_S5_PdSG_SI_NS1_16binary_search_opENS9_16wrapped_functionINS8_6system6detail7generic6detail18binary_search_lessEbEEEE10hipError_tPvRmT1_T2_T3_mmT4_T5_P12ihipStream_tbEUlRKdE_EEST_SX_SY_mSZ_S12_bEUlT_E_NS1_11comp_targetILNS1_3genE4ELNS1_11target_archE910ELNS1_3gpuE8ELNS1_3repE0EEENS1_30default_config_static_selectorELNS0_4arch9wavefront6targetE1EEEvSW_
; %bb.0:
	.section	.rodata,"a",@progbits
	.p2align	6, 0x0
	.amdhsa_kernel _ZN7rocprim17ROCPRIM_400000_NS6detail17trampoline_kernelINS0_14default_configENS1_29binary_search_config_selectorIdiEEZNS1_14transform_implILb0ES3_S5_N6thrust23THRUST_200600_302600_NS6detail15normal_iteratorINS8_7pointerIdNS8_11hip_rocprim5par_tENS8_11use_defaultESE_EEEENSA_INSB_IiSD_SE_SE_EEEEZNS1_13binary_searchIS3_S5_PdSG_SI_NS1_16binary_search_opENS9_16wrapped_functionINS8_6system6detail7generic6detail18binary_search_lessEbEEEE10hipError_tPvRmT1_T2_T3_mmT4_T5_P12ihipStream_tbEUlRKdE_EEST_SX_SY_mSZ_S12_bEUlT_E_NS1_11comp_targetILNS1_3genE4ELNS1_11target_archE910ELNS1_3gpuE8ELNS1_3repE0EEENS1_30default_config_static_selectorELNS0_4arch9wavefront6targetE1EEEvSW_
		.amdhsa_group_segment_fixed_size 0
		.amdhsa_private_segment_fixed_size 0
		.amdhsa_kernarg_size 56
		.amdhsa_user_sgpr_count 6
		.amdhsa_user_sgpr_private_segment_buffer 1
		.amdhsa_user_sgpr_dispatch_ptr 0
		.amdhsa_user_sgpr_queue_ptr 0
		.amdhsa_user_sgpr_kernarg_segment_ptr 1
		.amdhsa_user_sgpr_dispatch_id 0
		.amdhsa_user_sgpr_flat_scratch_init 0
		.amdhsa_user_sgpr_private_segment_size 0
		.amdhsa_uses_dynamic_stack 0
		.amdhsa_system_sgpr_private_segment_wavefront_offset 0
		.amdhsa_system_sgpr_workgroup_id_x 1
		.amdhsa_system_sgpr_workgroup_id_y 0
		.amdhsa_system_sgpr_workgroup_id_z 0
		.amdhsa_system_sgpr_workgroup_info 0
		.amdhsa_system_vgpr_workitem_id 0
		.amdhsa_next_free_vgpr 1
		.amdhsa_next_free_sgpr 0
		.amdhsa_reserve_vcc 0
		.amdhsa_reserve_flat_scratch 0
		.amdhsa_float_round_mode_32 0
		.amdhsa_float_round_mode_16_64 0
		.amdhsa_float_denorm_mode_32 3
		.amdhsa_float_denorm_mode_16_64 3
		.amdhsa_dx10_clamp 1
		.amdhsa_ieee_mode 1
		.amdhsa_fp16_overflow 0
		.amdhsa_exception_fp_ieee_invalid_op 0
		.amdhsa_exception_fp_denorm_src 0
		.amdhsa_exception_fp_ieee_div_zero 0
		.amdhsa_exception_fp_ieee_overflow 0
		.amdhsa_exception_fp_ieee_underflow 0
		.amdhsa_exception_fp_ieee_inexact 0
		.amdhsa_exception_int_div_zero 0
	.end_amdhsa_kernel
	.section	.text._ZN7rocprim17ROCPRIM_400000_NS6detail17trampoline_kernelINS0_14default_configENS1_29binary_search_config_selectorIdiEEZNS1_14transform_implILb0ES3_S5_N6thrust23THRUST_200600_302600_NS6detail15normal_iteratorINS8_7pointerIdNS8_11hip_rocprim5par_tENS8_11use_defaultESE_EEEENSA_INSB_IiSD_SE_SE_EEEEZNS1_13binary_searchIS3_S5_PdSG_SI_NS1_16binary_search_opENS9_16wrapped_functionINS8_6system6detail7generic6detail18binary_search_lessEbEEEE10hipError_tPvRmT1_T2_T3_mmT4_T5_P12ihipStream_tbEUlRKdE_EEST_SX_SY_mSZ_S12_bEUlT_E_NS1_11comp_targetILNS1_3genE4ELNS1_11target_archE910ELNS1_3gpuE8ELNS1_3repE0EEENS1_30default_config_static_selectorELNS0_4arch9wavefront6targetE1EEEvSW_,"axG",@progbits,_ZN7rocprim17ROCPRIM_400000_NS6detail17trampoline_kernelINS0_14default_configENS1_29binary_search_config_selectorIdiEEZNS1_14transform_implILb0ES3_S5_N6thrust23THRUST_200600_302600_NS6detail15normal_iteratorINS8_7pointerIdNS8_11hip_rocprim5par_tENS8_11use_defaultESE_EEEENSA_INSB_IiSD_SE_SE_EEEEZNS1_13binary_searchIS3_S5_PdSG_SI_NS1_16binary_search_opENS9_16wrapped_functionINS8_6system6detail7generic6detail18binary_search_lessEbEEEE10hipError_tPvRmT1_T2_T3_mmT4_T5_P12ihipStream_tbEUlRKdE_EEST_SX_SY_mSZ_S12_bEUlT_E_NS1_11comp_targetILNS1_3genE4ELNS1_11target_archE910ELNS1_3gpuE8ELNS1_3repE0EEENS1_30default_config_static_selectorELNS0_4arch9wavefront6targetE1EEEvSW_,comdat
.Lfunc_end245:
	.size	_ZN7rocprim17ROCPRIM_400000_NS6detail17trampoline_kernelINS0_14default_configENS1_29binary_search_config_selectorIdiEEZNS1_14transform_implILb0ES3_S5_N6thrust23THRUST_200600_302600_NS6detail15normal_iteratorINS8_7pointerIdNS8_11hip_rocprim5par_tENS8_11use_defaultESE_EEEENSA_INSB_IiSD_SE_SE_EEEEZNS1_13binary_searchIS3_S5_PdSG_SI_NS1_16binary_search_opENS9_16wrapped_functionINS8_6system6detail7generic6detail18binary_search_lessEbEEEE10hipError_tPvRmT1_T2_T3_mmT4_T5_P12ihipStream_tbEUlRKdE_EEST_SX_SY_mSZ_S12_bEUlT_E_NS1_11comp_targetILNS1_3genE4ELNS1_11target_archE910ELNS1_3gpuE8ELNS1_3repE0EEENS1_30default_config_static_selectorELNS0_4arch9wavefront6targetE1EEEvSW_, .Lfunc_end245-_ZN7rocprim17ROCPRIM_400000_NS6detail17trampoline_kernelINS0_14default_configENS1_29binary_search_config_selectorIdiEEZNS1_14transform_implILb0ES3_S5_N6thrust23THRUST_200600_302600_NS6detail15normal_iteratorINS8_7pointerIdNS8_11hip_rocprim5par_tENS8_11use_defaultESE_EEEENSA_INSB_IiSD_SE_SE_EEEEZNS1_13binary_searchIS3_S5_PdSG_SI_NS1_16binary_search_opENS9_16wrapped_functionINS8_6system6detail7generic6detail18binary_search_lessEbEEEE10hipError_tPvRmT1_T2_T3_mmT4_T5_P12ihipStream_tbEUlRKdE_EEST_SX_SY_mSZ_S12_bEUlT_E_NS1_11comp_targetILNS1_3genE4ELNS1_11target_archE910ELNS1_3gpuE8ELNS1_3repE0EEENS1_30default_config_static_selectorELNS0_4arch9wavefront6targetE1EEEvSW_
                                        ; -- End function
	.set _ZN7rocprim17ROCPRIM_400000_NS6detail17trampoline_kernelINS0_14default_configENS1_29binary_search_config_selectorIdiEEZNS1_14transform_implILb0ES3_S5_N6thrust23THRUST_200600_302600_NS6detail15normal_iteratorINS8_7pointerIdNS8_11hip_rocprim5par_tENS8_11use_defaultESE_EEEENSA_INSB_IiSD_SE_SE_EEEEZNS1_13binary_searchIS3_S5_PdSG_SI_NS1_16binary_search_opENS9_16wrapped_functionINS8_6system6detail7generic6detail18binary_search_lessEbEEEE10hipError_tPvRmT1_T2_T3_mmT4_T5_P12ihipStream_tbEUlRKdE_EEST_SX_SY_mSZ_S12_bEUlT_E_NS1_11comp_targetILNS1_3genE4ELNS1_11target_archE910ELNS1_3gpuE8ELNS1_3repE0EEENS1_30default_config_static_selectorELNS0_4arch9wavefront6targetE1EEEvSW_.num_vgpr, 0
	.set _ZN7rocprim17ROCPRIM_400000_NS6detail17trampoline_kernelINS0_14default_configENS1_29binary_search_config_selectorIdiEEZNS1_14transform_implILb0ES3_S5_N6thrust23THRUST_200600_302600_NS6detail15normal_iteratorINS8_7pointerIdNS8_11hip_rocprim5par_tENS8_11use_defaultESE_EEEENSA_INSB_IiSD_SE_SE_EEEEZNS1_13binary_searchIS3_S5_PdSG_SI_NS1_16binary_search_opENS9_16wrapped_functionINS8_6system6detail7generic6detail18binary_search_lessEbEEEE10hipError_tPvRmT1_T2_T3_mmT4_T5_P12ihipStream_tbEUlRKdE_EEST_SX_SY_mSZ_S12_bEUlT_E_NS1_11comp_targetILNS1_3genE4ELNS1_11target_archE910ELNS1_3gpuE8ELNS1_3repE0EEENS1_30default_config_static_selectorELNS0_4arch9wavefront6targetE1EEEvSW_.num_agpr, 0
	.set _ZN7rocprim17ROCPRIM_400000_NS6detail17trampoline_kernelINS0_14default_configENS1_29binary_search_config_selectorIdiEEZNS1_14transform_implILb0ES3_S5_N6thrust23THRUST_200600_302600_NS6detail15normal_iteratorINS8_7pointerIdNS8_11hip_rocprim5par_tENS8_11use_defaultESE_EEEENSA_INSB_IiSD_SE_SE_EEEEZNS1_13binary_searchIS3_S5_PdSG_SI_NS1_16binary_search_opENS9_16wrapped_functionINS8_6system6detail7generic6detail18binary_search_lessEbEEEE10hipError_tPvRmT1_T2_T3_mmT4_T5_P12ihipStream_tbEUlRKdE_EEST_SX_SY_mSZ_S12_bEUlT_E_NS1_11comp_targetILNS1_3genE4ELNS1_11target_archE910ELNS1_3gpuE8ELNS1_3repE0EEENS1_30default_config_static_selectorELNS0_4arch9wavefront6targetE1EEEvSW_.numbered_sgpr, 0
	.set _ZN7rocprim17ROCPRIM_400000_NS6detail17trampoline_kernelINS0_14default_configENS1_29binary_search_config_selectorIdiEEZNS1_14transform_implILb0ES3_S5_N6thrust23THRUST_200600_302600_NS6detail15normal_iteratorINS8_7pointerIdNS8_11hip_rocprim5par_tENS8_11use_defaultESE_EEEENSA_INSB_IiSD_SE_SE_EEEEZNS1_13binary_searchIS3_S5_PdSG_SI_NS1_16binary_search_opENS9_16wrapped_functionINS8_6system6detail7generic6detail18binary_search_lessEbEEEE10hipError_tPvRmT1_T2_T3_mmT4_T5_P12ihipStream_tbEUlRKdE_EEST_SX_SY_mSZ_S12_bEUlT_E_NS1_11comp_targetILNS1_3genE4ELNS1_11target_archE910ELNS1_3gpuE8ELNS1_3repE0EEENS1_30default_config_static_selectorELNS0_4arch9wavefront6targetE1EEEvSW_.num_named_barrier, 0
	.set _ZN7rocprim17ROCPRIM_400000_NS6detail17trampoline_kernelINS0_14default_configENS1_29binary_search_config_selectorIdiEEZNS1_14transform_implILb0ES3_S5_N6thrust23THRUST_200600_302600_NS6detail15normal_iteratorINS8_7pointerIdNS8_11hip_rocprim5par_tENS8_11use_defaultESE_EEEENSA_INSB_IiSD_SE_SE_EEEEZNS1_13binary_searchIS3_S5_PdSG_SI_NS1_16binary_search_opENS9_16wrapped_functionINS8_6system6detail7generic6detail18binary_search_lessEbEEEE10hipError_tPvRmT1_T2_T3_mmT4_T5_P12ihipStream_tbEUlRKdE_EEST_SX_SY_mSZ_S12_bEUlT_E_NS1_11comp_targetILNS1_3genE4ELNS1_11target_archE910ELNS1_3gpuE8ELNS1_3repE0EEENS1_30default_config_static_selectorELNS0_4arch9wavefront6targetE1EEEvSW_.private_seg_size, 0
	.set _ZN7rocprim17ROCPRIM_400000_NS6detail17trampoline_kernelINS0_14default_configENS1_29binary_search_config_selectorIdiEEZNS1_14transform_implILb0ES3_S5_N6thrust23THRUST_200600_302600_NS6detail15normal_iteratorINS8_7pointerIdNS8_11hip_rocprim5par_tENS8_11use_defaultESE_EEEENSA_INSB_IiSD_SE_SE_EEEEZNS1_13binary_searchIS3_S5_PdSG_SI_NS1_16binary_search_opENS9_16wrapped_functionINS8_6system6detail7generic6detail18binary_search_lessEbEEEE10hipError_tPvRmT1_T2_T3_mmT4_T5_P12ihipStream_tbEUlRKdE_EEST_SX_SY_mSZ_S12_bEUlT_E_NS1_11comp_targetILNS1_3genE4ELNS1_11target_archE910ELNS1_3gpuE8ELNS1_3repE0EEENS1_30default_config_static_selectorELNS0_4arch9wavefront6targetE1EEEvSW_.uses_vcc, 0
	.set _ZN7rocprim17ROCPRIM_400000_NS6detail17trampoline_kernelINS0_14default_configENS1_29binary_search_config_selectorIdiEEZNS1_14transform_implILb0ES3_S5_N6thrust23THRUST_200600_302600_NS6detail15normal_iteratorINS8_7pointerIdNS8_11hip_rocprim5par_tENS8_11use_defaultESE_EEEENSA_INSB_IiSD_SE_SE_EEEEZNS1_13binary_searchIS3_S5_PdSG_SI_NS1_16binary_search_opENS9_16wrapped_functionINS8_6system6detail7generic6detail18binary_search_lessEbEEEE10hipError_tPvRmT1_T2_T3_mmT4_T5_P12ihipStream_tbEUlRKdE_EEST_SX_SY_mSZ_S12_bEUlT_E_NS1_11comp_targetILNS1_3genE4ELNS1_11target_archE910ELNS1_3gpuE8ELNS1_3repE0EEENS1_30default_config_static_selectorELNS0_4arch9wavefront6targetE1EEEvSW_.uses_flat_scratch, 0
	.set _ZN7rocprim17ROCPRIM_400000_NS6detail17trampoline_kernelINS0_14default_configENS1_29binary_search_config_selectorIdiEEZNS1_14transform_implILb0ES3_S5_N6thrust23THRUST_200600_302600_NS6detail15normal_iteratorINS8_7pointerIdNS8_11hip_rocprim5par_tENS8_11use_defaultESE_EEEENSA_INSB_IiSD_SE_SE_EEEEZNS1_13binary_searchIS3_S5_PdSG_SI_NS1_16binary_search_opENS9_16wrapped_functionINS8_6system6detail7generic6detail18binary_search_lessEbEEEE10hipError_tPvRmT1_T2_T3_mmT4_T5_P12ihipStream_tbEUlRKdE_EEST_SX_SY_mSZ_S12_bEUlT_E_NS1_11comp_targetILNS1_3genE4ELNS1_11target_archE910ELNS1_3gpuE8ELNS1_3repE0EEENS1_30default_config_static_selectorELNS0_4arch9wavefront6targetE1EEEvSW_.has_dyn_sized_stack, 0
	.set _ZN7rocprim17ROCPRIM_400000_NS6detail17trampoline_kernelINS0_14default_configENS1_29binary_search_config_selectorIdiEEZNS1_14transform_implILb0ES3_S5_N6thrust23THRUST_200600_302600_NS6detail15normal_iteratorINS8_7pointerIdNS8_11hip_rocprim5par_tENS8_11use_defaultESE_EEEENSA_INSB_IiSD_SE_SE_EEEEZNS1_13binary_searchIS3_S5_PdSG_SI_NS1_16binary_search_opENS9_16wrapped_functionINS8_6system6detail7generic6detail18binary_search_lessEbEEEE10hipError_tPvRmT1_T2_T3_mmT4_T5_P12ihipStream_tbEUlRKdE_EEST_SX_SY_mSZ_S12_bEUlT_E_NS1_11comp_targetILNS1_3genE4ELNS1_11target_archE910ELNS1_3gpuE8ELNS1_3repE0EEENS1_30default_config_static_selectorELNS0_4arch9wavefront6targetE1EEEvSW_.has_recursion, 0
	.set _ZN7rocprim17ROCPRIM_400000_NS6detail17trampoline_kernelINS0_14default_configENS1_29binary_search_config_selectorIdiEEZNS1_14transform_implILb0ES3_S5_N6thrust23THRUST_200600_302600_NS6detail15normal_iteratorINS8_7pointerIdNS8_11hip_rocprim5par_tENS8_11use_defaultESE_EEEENSA_INSB_IiSD_SE_SE_EEEEZNS1_13binary_searchIS3_S5_PdSG_SI_NS1_16binary_search_opENS9_16wrapped_functionINS8_6system6detail7generic6detail18binary_search_lessEbEEEE10hipError_tPvRmT1_T2_T3_mmT4_T5_P12ihipStream_tbEUlRKdE_EEST_SX_SY_mSZ_S12_bEUlT_E_NS1_11comp_targetILNS1_3genE4ELNS1_11target_archE910ELNS1_3gpuE8ELNS1_3repE0EEENS1_30default_config_static_selectorELNS0_4arch9wavefront6targetE1EEEvSW_.has_indirect_call, 0
	.section	.AMDGPU.csdata,"",@progbits
; Kernel info:
; codeLenInByte = 0
; TotalNumSgprs: 4
; NumVgprs: 0
; ScratchSize: 0
; MemoryBound: 0
; FloatMode: 240
; IeeeMode: 1
; LDSByteSize: 0 bytes/workgroup (compile time only)
; SGPRBlocks: 0
; VGPRBlocks: 0
; NumSGPRsForWavesPerEU: 4
; NumVGPRsForWavesPerEU: 1
; Occupancy: 10
; WaveLimiterHint : 0
; COMPUTE_PGM_RSRC2:SCRATCH_EN: 0
; COMPUTE_PGM_RSRC2:USER_SGPR: 6
; COMPUTE_PGM_RSRC2:TRAP_HANDLER: 0
; COMPUTE_PGM_RSRC2:TGID_X_EN: 1
; COMPUTE_PGM_RSRC2:TGID_Y_EN: 0
; COMPUTE_PGM_RSRC2:TGID_Z_EN: 0
; COMPUTE_PGM_RSRC2:TIDIG_COMP_CNT: 0
	.section	.text._ZN7rocprim17ROCPRIM_400000_NS6detail17trampoline_kernelINS0_14default_configENS1_29binary_search_config_selectorIdiEEZNS1_14transform_implILb0ES3_S5_N6thrust23THRUST_200600_302600_NS6detail15normal_iteratorINS8_7pointerIdNS8_11hip_rocprim5par_tENS8_11use_defaultESE_EEEENSA_INSB_IiSD_SE_SE_EEEEZNS1_13binary_searchIS3_S5_PdSG_SI_NS1_16binary_search_opENS9_16wrapped_functionINS8_6system6detail7generic6detail18binary_search_lessEbEEEE10hipError_tPvRmT1_T2_T3_mmT4_T5_P12ihipStream_tbEUlRKdE_EEST_SX_SY_mSZ_S12_bEUlT_E_NS1_11comp_targetILNS1_3genE3ELNS1_11target_archE908ELNS1_3gpuE7ELNS1_3repE0EEENS1_30default_config_static_selectorELNS0_4arch9wavefront6targetE1EEEvSW_,"axG",@progbits,_ZN7rocprim17ROCPRIM_400000_NS6detail17trampoline_kernelINS0_14default_configENS1_29binary_search_config_selectorIdiEEZNS1_14transform_implILb0ES3_S5_N6thrust23THRUST_200600_302600_NS6detail15normal_iteratorINS8_7pointerIdNS8_11hip_rocprim5par_tENS8_11use_defaultESE_EEEENSA_INSB_IiSD_SE_SE_EEEEZNS1_13binary_searchIS3_S5_PdSG_SI_NS1_16binary_search_opENS9_16wrapped_functionINS8_6system6detail7generic6detail18binary_search_lessEbEEEE10hipError_tPvRmT1_T2_T3_mmT4_T5_P12ihipStream_tbEUlRKdE_EEST_SX_SY_mSZ_S12_bEUlT_E_NS1_11comp_targetILNS1_3genE3ELNS1_11target_archE908ELNS1_3gpuE7ELNS1_3repE0EEENS1_30default_config_static_selectorELNS0_4arch9wavefront6targetE1EEEvSW_,comdat
	.protected	_ZN7rocprim17ROCPRIM_400000_NS6detail17trampoline_kernelINS0_14default_configENS1_29binary_search_config_selectorIdiEEZNS1_14transform_implILb0ES3_S5_N6thrust23THRUST_200600_302600_NS6detail15normal_iteratorINS8_7pointerIdNS8_11hip_rocprim5par_tENS8_11use_defaultESE_EEEENSA_INSB_IiSD_SE_SE_EEEEZNS1_13binary_searchIS3_S5_PdSG_SI_NS1_16binary_search_opENS9_16wrapped_functionINS8_6system6detail7generic6detail18binary_search_lessEbEEEE10hipError_tPvRmT1_T2_T3_mmT4_T5_P12ihipStream_tbEUlRKdE_EEST_SX_SY_mSZ_S12_bEUlT_E_NS1_11comp_targetILNS1_3genE3ELNS1_11target_archE908ELNS1_3gpuE7ELNS1_3repE0EEENS1_30default_config_static_selectorELNS0_4arch9wavefront6targetE1EEEvSW_ ; -- Begin function _ZN7rocprim17ROCPRIM_400000_NS6detail17trampoline_kernelINS0_14default_configENS1_29binary_search_config_selectorIdiEEZNS1_14transform_implILb0ES3_S5_N6thrust23THRUST_200600_302600_NS6detail15normal_iteratorINS8_7pointerIdNS8_11hip_rocprim5par_tENS8_11use_defaultESE_EEEENSA_INSB_IiSD_SE_SE_EEEEZNS1_13binary_searchIS3_S5_PdSG_SI_NS1_16binary_search_opENS9_16wrapped_functionINS8_6system6detail7generic6detail18binary_search_lessEbEEEE10hipError_tPvRmT1_T2_T3_mmT4_T5_P12ihipStream_tbEUlRKdE_EEST_SX_SY_mSZ_S12_bEUlT_E_NS1_11comp_targetILNS1_3genE3ELNS1_11target_archE908ELNS1_3gpuE7ELNS1_3repE0EEENS1_30default_config_static_selectorELNS0_4arch9wavefront6targetE1EEEvSW_
	.globl	_ZN7rocprim17ROCPRIM_400000_NS6detail17trampoline_kernelINS0_14default_configENS1_29binary_search_config_selectorIdiEEZNS1_14transform_implILb0ES3_S5_N6thrust23THRUST_200600_302600_NS6detail15normal_iteratorINS8_7pointerIdNS8_11hip_rocprim5par_tENS8_11use_defaultESE_EEEENSA_INSB_IiSD_SE_SE_EEEEZNS1_13binary_searchIS3_S5_PdSG_SI_NS1_16binary_search_opENS9_16wrapped_functionINS8_6system6detail7generic6detail18binary_search_lessEbEEEE10hipError_tPvRmT1_T2_T3_mmT4_T5_P12ihipStream_tbEUlRKdE_EEST_SX_SY_mSZ_S12_bEUlT_E_NS1_11comp_targetILNS1_3genE3ELNS1_11target_archE908ELNS1_3gpuE7ELNS1_3repE0EEENS1_30default_config_static_selectorELNS0_4arch9wavefront6targetE1EEEvSW_
	.p2align	8
	.type	_ZN7rocprim17ROCPRIM_400000_NS6detail17trampoline_kernelINS0_14default_configENS1_29binary_search_config_selectorIdiEEZNS1_14transform_implILb0ES3_S5_N6thrust23THRUST_200600_302600_NS6detail15normal_iteratorINS8_7pointerIdNS8_11hip_rocprim5par_tENS8_11use_defaultESE_EEEENSA_INSB_IiSD_SE_SE_EEEEZNS1_13binary_searchIS3_S5_PdSG_SI_NS1_16binary_search_opENS9_16wrapped_functionINS8_6system6detail7generic6detail18binary_search_lessEbEEEE10hipError_tPvRmT1_T2_T3_mmT4_T5_P12ihipStream_tbEUlRKdE_EEST_SX_SY_mSZ_S12_bEUlT_E_NS1_11comp_targetILNS1_3genE3ELNS1_11target_archE908ELNS1_3gpuE7ELNS1_3repE0EEENS1_30default_config_static_selectorELNS0_4arch9wavefront6targetE1EEEvSW_,@function
_ZN7rocprim17ROCPRIM_400000_NS6detail17trampoline_kernelINS0_14default_configENS1_29binary_search_config_selectorIdiEEZNS1_14transform_implILb0ES3_S5_N6thrust23THRUST_200600_302600_NS6detail15normal_iteratorINS8_7pointerIdNS8_11hip_rocprim5par_tENS8_11use_defaultESE_EEEENSA_INSB_IiSD_SE_SE_EEEEZNS1_13binary_searchIS3_S5_PdSG_SI_NS1_16binary_search_opENS9_16wrapped_functionINS8_6system6detail7generic6detail18binary_search_lessEbEEEE10hipError_tPvRmT1_T2_T3_mmT4_T5_P12ihipStream_tbEUlRKdE_EEST_SX_SY_mSZ_S12_bEUlT_E_NS1_11comp_targetILNS1_3genE3ELNS1_11target_archE908ELNS1_3gpuE7ELNS1_3repE0EEENS1_30default_config_static_selectorELNS0_4arch9wavefront6targetE1EEEvSW_: ; @_ZN7rocprim17ROCPRIM_400000_NS6detail17trampoline_kernelINS0_14default_configENS1_29binary_search_config_selectorIdiEEZNS1_14transform_implILb0ES3_S5_N6thrust23THRUST_200600_302600_NS6detail15normal_iteratorINS8_7pointerIdNS8_11hip_rocprim5par_tENS8_11use_defaultESE_EEEENSA_INSB_IiSD_SE_SE_EEEEZNS1_13binary_searchIS3_S5_PdSG_SI_NS1_16binary_search_opENS9_16wrapped_functionINS8_6system6detail7generic6detail18binary_search_lessEbEEEE10hipError_tPvRmT1_T2_T3_mmT4_T5_P12ihipStream_tbEUlRKdE_EEST_SX_SY_mSZ_S12_bEUlT_E_NS1_11comp_targetILNS1_3genE3ELNS1_11target_archE908ELNS1_3gpuE7ELNS1_3repE0EEENS1_30default_config_static_selectorELNS0_4arch9wavefront6targetE1EEEvSW_
; %bb.0:
	.section	.rodata,"a",@progbits
	.p2align	6, 0x0
	.amdhsa_kernel _ZN7rocprim17ROCPRIM_400000_NS6detail17trampoline_kernelINS0_14default_configENS1_29binary_search_config_selectorIdiEEZNS1_14transform_implILb0ES3_S5_N6thrust23THRUST_200600_302600_NS6detail15normal_iteratorINS8_7pointerIdNS8_11hip_rocprim5par_tENS8_11use_defaultESE_EEEENSA_INSB_IiSD_SE_SE_EEEEZNS1_13binary_searchIS3_S5_PdSG_SI_NS1_16binary_search_opENS9_16wrapped_functionINS8_6system6detail7generic6detail18binary_search_lessEbEEEE10hipError_tPvRmT1_T2_T3_mmT4_T5_P12ihipStream_tbEUlRKdE_EEST_SX_SY_mSZ_S12_bEUlT_E_NS1_11comp_targetILNS1_3genE3ELNS1_11target_archE908ELNS1_3gpuE7ELNS1_3repE0EEENS1_30default_config_static_selectorELNS0_4arch9wavefront6targetE1EEEvSW_
		.amdhsa_group_segment_fixed_size 0
		.amdhsa_private_segment_fixed_size 0
		.amdhsa_kernarg_size 56
		.amdhsa_user_sgpr_count 6
		.amdhsa_user_sgpr_private_segment_buffer 1
		.amdhsa_user_sgpr_dispatch_ptr 0
		.amdhsa_user_sgpr_queue_ptr 0
		.amdhsa_user_sgpr_kernarg_segment_ptr 1
		.amdhsa_user_sgpr_dispatch_id 0
		.amdhsa_user_sgpr_flat_scratch_init 0
		.amdhsa_user_sgpr_private_segment_size 0
		.amdhsa_uses_dynamic_stack 0
		.amdhsa_system_sgpr_private_segment_wavefront_offset 0
		.amdhsa_system_sgpr_workgroup_id_x 1
		.amdhsa_system_sgpr_workgroup_id_y 0
		.amdhsa_system_sgpr_workgroup_id_z 0
		.amdhsa_system_sgpr_workgroup_info 0
		.amdhsa_system_vgpr_workitem_id 0
		.amdhsa_next_free_vgpr 1
		.amdhsa_next_free_sgpr 0
		.amdhsa_reserve_vcc 0
		.amdhsa_reserve_flat_scratch 0
		.amdhsa_float_round_mode_32 0
		.amdhsa_float_round_mode_16_64 0
		.amdhsa_float_denorm_mode_32 3
		.amdhsa_float_denorm_mode_16_64 3
		.amdhsa_dx10_clamp 1
		.amdhsa_ieee_mode 1
		.amdhsa_fp16_overflow 0
		.amdhsa_exception_fp_ieee_invalid_op 0
		.amdhsa_exception_fp_denorm_src 0
		.amdhsa_exception_fp_ieee_div_zero 0
		.amdhsa_exception_fp_ieee_overflow 0
		.amdhsa_exception_fp_ieee_underflow 0
		.amdhsa_exception_fp_ieee_inexact 0
		.amdhsa_exception_int_div_zero 0
	.end_amdhsa_kernel
	.section	.text._ZN7rocprim17ROCPRIM_400000_NS6detail17trampoline_kernelINS0_14default_configENS1_29binary_search_config_selectorIdiEEZNS1_14transform_implILb0ES3_S5_N6thrust23THRUST_200600_302600_NS6detail15normal_iteratorINS8_7pointerIdNS8_11hip_rocprim5par_tENS8_11use_defaultESE_EEEENSA_INSB_IiSD_SE_SE_EEEEZNS1_13binary_searchIS3_S5_PdSG_SI_NS1_16binary_search_opENS9_16wrapped_functionINS8_6system6detail7generic6detail18binary_search_lessEbEEEE10hipError_tPvRmT1_T2_T3_mmT4_T5_P12ihipStream_tbEUlRKdE_EEST_SX_SY_mSZ_S12_bEUlT_E_NS1_11comp_targetILNS1_3genE3ELNS1_11target_archE908ELNS1_3gpuE7ELNS1_3repE0EEENS1_30default_config_static_selectorELNS0_4arch9wavefront6targetE1EEEvSW_,"axG",@progbits,_ZN7rocprim17ROCPRIM_400000_NS6detail17trampoline_kernelINS0_14default_configENS1_29binary_search_config_selectorIdiEEZNS1_14transform_implILb0ES3_S5_N6thrust23THRUST_200600_302600_NS6detail15normal_iteratorINS8_7pointerIdNS8_11hip_rocprim5par_tENS8_11use_defaultESE_EEEENSA_INSB_IiSD_SE_SE_EEEEZNS1_13binary_searchIS3_S5_PdSG_SI_NS1_16binary_search_opENS9_16wrapped_functionINS8_6system6detail7generic6detail18binary_search_lessEbEEEE10hipError_tPvRmT1_T2_T3_mmT4_T5_P12ihipStream_tbEUlRKdE_EEST_SX_SY_mSZ_S12_bEUlT_E_NS1_11comp_targetILNS1_3genE3ELNS1_11target_archE908ELNS1_3gpuE7ELNS1_3repE0EEENS1_30default_config_static_selectorELNS0_4arch9wavefront6targetE1EEEvSW_,comdat
.Lfunc_end246:
	.size	_ZN7rocprim17ROCPRIM_400000_NS6detail17trampoline_kernelINS0_14default_configENS1_29binary_search_config_selectorIdiEEZNS1_14transform_implILb0ES3_S5_N6thrust23THRUST_200600_302600_NS6detail15normal_iteratorINS8_7pointerIdNS8_11hip_rocprim5par_tENS8_11use_defaultESE_EEEENSA_INSB_IiSD_SE_SE_EEEEZNS1_13binary_searchIS3_S5_PdSG_SI_NS1_16binary_search_opENS9_16wrapped_functionINS8_6system6detail7generic6detail18binary_search_lessEbEEEE10hipError_tPvRmT1_T2_T3_mmT4_T5_P12ihipStream_tbEUlRKdE_EEST_SX_SY_mSZ_S12_bEUlT_E_NS1_11comp_targetILNS1_3genE3ELNS1_11target_archE908ELNS1_3gpuE7ELNS1_3repE0EEENS1_30default_config_static_selectorELNS0_4arch9wavefront6targetE1EEEvSW_, .Lfunc_end246-_ZN7rocprim17ROCPRIM_400000_NS6detail17trampoline_kernelINS0_14default_configENS1_29binary_search_config_selectorIdiEEZNS1_14transform_implILb0ES3_S5_N6thrust23THRUST_200600_302600_NS6detail15normal_iteratorINS8_7pointerIdNS8_11hip_rocprim5par_tENS8_11use_defaultESE_EEEENSA_INSB_IiSD_SE_SE_EEEEZNS1_13binary_searchIS3_S5_PdSG_SI_NS1_16binary_search_opENS9_16wrapped_functionINS8_6system6detail7generic6detail18binary_search_lessEbEEEE10hipError_tPvRmT1_T2_T3_mmT4_T5_P12ihipStream_tbEUlRKdE_EEST_SX_SY_mSZ_S12_bEUlT_E_NS1_11comp_targetILNS1_3genE3ELNS1_11target_archE908ELNS1_3gpuE7ELNS1_3repE0EEENS1_30default_config_static_selectorELNS0_4arch9wavefront6targetE1EEEvSW_
                                        ; -- End function
	.set _ZN7rocprim17ROCPRIM_400000_NS6detail17trampoline_kernelINS0_14default_configENS1_29binary_search_config_selectorIdiEEZNS1_14transform_implILb0ES3_S5_N6thrust23THRUST_200600_302600_NS6detail15normal_iteratorINS8_7pointerIdNS8_11hip_rocprim5par_tENS8_11use_defaultESE_EEEENSA_INSB_IiSD_SE_SE_EEEEZNS1_13binary_searchIS3_S5_PdSG_SI_NS1_16binary_search_opENS9_16wrapped_functionINS8_6system6detail7generic6detail18binary_search_lessEbEEEE10hipError_tPvRmT1_T2_T3_mmT4_T5_P12ihipStream_tbEUlRKdE_EEST_SX_SY_mSZ_S12_bEUlT_E_NS1_11comp_targetILNS1_3genE3ELNS1_11target_archE908ELNS1_3gpuE7ELNS1_3repE0EEENS1_30default_config_static_selectorELNS0_4arch9wavefront6targetE1EEEvSW_.num_vgpr, 0
	.set _ZN7rocprim17ROCPRIM_400000_NS6detail17trampoline_kernelINS0_14default_configENS1_29binary_search_config_selectorIdiEEZNS1_14transform_implILb0ES3_S5_N6thrust23THRUST_200600_302600_NS6detail15normal_iteratorINS8_7pointerIdNS8_11hip_rocprim5par_tENS8_11use_defaultESE_EEEENSA_INSB_IiSD_SE_SE_EEEEZNS1_13binary_searchIS3_S5_PdSG_SI_NS1_16binary_search_opENS9_16wrapped_functionINS8_6system6detail7generic6detail18binary_search_lessEbEEEE10hipError_tPvRmT1_T2_T3_mmT4_T5_P12ihipStream_tbEUlRKdE_EEST_SX_SY_mSZ_S12_bEUlT_E_NS1_11comp_targetILNS1_3genE3ELNS1_11target_archE908ELNS1_3gpuE7ELNS1_3repE0EEENS1_30default_config_static_selectorELNS0_4arch9wavefront6targetE1EEEvSW_.num_agpr, 0
	.set _ZN7rocprim17ROCPRIM_400000_NS6detail17trampoline_kernelINS0_14default_configENS1_29binary_search_config_selectorIdiEEZNS1_14transform_implILb0ES3_S5_N6thrust23THRUST_200600_302600_NS6detail15normal_iteratorINS8_7pointerIdNS8_11hip_rocprim5par_tENS8_11use_defaultESE_EEEENSA_INSB_IiSD_SE_SE_EEEEZNS1_13binary_searchIS3_S5_PdSG_SI_NS1_16binary_search_opENS9_16wrapped_functionINS8_6system6detail7generic6detail18binary_search_lessEbEEEE10hipError_tPvRmT1_T2_T3_mmT4_T5_P12ihipStream_tbEUlRKdE_EEST_SX_SY_mSZ_S12_bEUlT_E_NS1_11comp_targetILNS1_3genE3ELNS1_11target_archE908ELNS1_3gpuE7ELNS1_3repE0EEENS1_30default_config_static_selectorELNS0_4arch9wavefront6targetE1EEEvSW_.numbered_sgpr, 0
	.set _ZN7rocprim17ROCPRIM_400000_NS6detail17trampoline_kernelINS0_14default_configENS1_29binary_search_config_selectorIdiEEZNS1_14transform_implILb0ES3_S5_N6thrust23THRUST_200600_302600_NS6detail15normal_iteratorINS8_7pointerIdNS8_11hip_rocprim5par_tENS8_11use_defaultESE_EEEENSA_INSB_IiSD_SE_SE_EEEEZNS1_13binary_searchIS3_S5_PdSG_SI_NS1_16binary_search_opENS9_16wrapped_functionINS8_6system6detail7generic6detail18binary_search_lessEbEEEE10hipError_tPvRmT1_T2_T3_mmT4_T5_P12ihipStream_tbEUlRKdE_EEST_SX_SY_mSZ_S12_bEUlT_E_NS1_11comp_targetILNS1_3genE3ELNS1_11target_archE908ELNS1_3gpuE7ELNS1_3repE0EEENS1_30default_config_static_selectorELNS0_4arch9wavefront6targetE1EEEvSW_.num_named_barrier, 0
	.set _ZN7rocprim17ROCPRIM_400000_NS6detail17trampoline_kernelINS0_14default_configENS1_29binary_search_config_selectorIdiEEZNS1_14transform_implILb0ES3_S5_N6thrust23THRUST_200600_302600_NS6detail15normal_iteratorINS8_7pointerIdNS8_11hip_rocprim5par_tENS8_11use_defaultESE_EEEENSA_INSB_IiSD_SE_SE_EEEEZNS1_13binary_searchIS3_S5_PdSG_SI_NS1_16binary_search_opENS9_16wrapped_functionINS8_6system6detail7generic6detail18binary_search_lessEbEEEE10hipError_tPvRmT1_T2_T3_mmT4_T5_P12ihipStream_tbEUlRKdE_EEST_SX_SY_mSZ_S12_bEUlT_E_NS1_11comp_targetILNS1_3genE3ELNS1_11target_archE908ELNS1_3gpuE7ELNS1_3repE0EEENS1_30default_config_static_selectorELNS0_4arch9wavefront6targetE1EEEvSW_.private_seg_size, 0
	.set _ZN7rocprim17ROCPRIM_400000_NS6detail17trampoline_kernelINS0_14default_configENS1_29binary_search_config_selectorIdiEEZNS1_14transform_implILb0ES3_S5_N6thrust23THRUST_200600_302600_NS6detail15normal_iteratorINS8_7pointerIdNS8_11hip_rocprim5par_tENS8_11use_defaultESE_EEEENSA_INSB_IiSD_SE_SE_EEEEZNS1_13binary_searchIS3_S5_PdSG_SI_NS1_16binary_search_opENS9_16wrapped_functionINS8_6system6detail7generic6detail18binary_search_lessEbEEEE10hipError_tPvRmT1_T2_T3_mmT4_T5_P12ihipStream_tbEUlRKdE_EEST_SX_SY_mSZ_S12_bEUlT_E_NS1_11comp_targetILNS1_3genE3ELNS1_11target_archE908ELNS1_3gpuE7ELNS1_3repE0EEENS1_30default_config_static_selectorELNS0_4arch9wavefront6targetE1EEEvSW_.uses_vcc, 0
	.set _ZN7rocprim17ROCPRIM_400000_NS6detail17trampoline_kernelINS0_14default_configENS1_29binary_search_config_selectorIdiEEZNS1_14transform_implILb0ES3_S5_N6thrust23THRUST_200600_302600_NS6detail15normal_iteratorINS8_7pointerIdNS8_11hip_rocprim5par_tENS8_11use_defaultESE_EEEENSA_INSB_IiSD_SE_SE_EEEEZNS1_13binary_searchIS3_S5_PdSG_SI_NS1_16binary_search_opENS9_16wrapped_functionINS8_6system6detail7generic6detail18binary_search_lessEbEEEE10hipError_tPvRmT1_T2_T3_mmT4_T5_P12ihipStream_tbEUlRKdE_EEST_SX_SY_mSZ_S12_bEUlT_E_NS1_11comp_targetILNS1_3genE3ELNS1_11target_archE908ELNS1_3gpuE7ELNS1_3repE0EEENS1_30default_config_static_selectorELNS0_4arch9wavefront6targetE1EEEvSW_.uses_flat_scratch, 0
	.set _ZN7rocprim17ROCPRIM_400000_NS6detail17trampoline_kernelINS0_14default_configENS1_29binary_search_config_selectorIdiEEZNS1_14transform_implILb0ES3_S5_N6thrust23THRUST_200600_302600_NS6detail15normal_iteratorINS8_7pointerIdNS8_11hip_rocprim5par_tENS8_11use_defaultESE_EEEENSA_INSB_IiSD_SE_SE_EEEEZNS1_13binary_searchIS3_S5_PdSG_SI_NS1_16binary_search_opENS9_16wrapped_functionINS8_6system6detail7generic6detail18binary_search_lessEbEEEE10hipError_tPvRmT1_T2_T3_mmT4_T5_P12ihipStream_tbEUlRKdE_EEST_SX_SY_mSZ_S12_bEUlT_E_NS1_11comp_targetILNS1_3genE3ELNS1_11target_archE908ELNS1_3gpuE7ELNS1_3repE0EEENS1_30default_config_static_selectorELNS0_4arch9wavefront6targetE1EEEvSW_.has_dyn_sized_stack, 0
	.set _ZN7rocprim17ROCPRIM_400000_NS6detail17trampoline_kernelINS0_14default_configENS1_29binary_search_config_selectorIdiEEZNS1_14transform_implILb0ES3_S5_N6thrust23THRUST_200600_302600_NS6detail15normal_iteratorINS8_7pointerIdNS8_11hip_rocprim5par_tENS8_11use_defaultESE_EEEENSA_INSB_IiSD_SE_SE_EEEEZNS1_13binary_searchIS3_S5_PdSG_SI_NS1_16binary_search_opENS9_16wrapped_functionINS8_6system6detail7generic6detail18binary_search_lessEbEEEE10hipError_tPvRmT1_T2_T3_mmT4_T5_P12ihipStream_tbEUlRKdE_EEST_SX_SY_mSZ_S12_bEUlT_E_NS1_11comp_targetILNS1_3genE3ELNS1_11target_archE908ELNS1_3gpuE7ELNS1_3repE0EEENS1_30default_config_static_selectorELNS0_4arch9wavefront6targetE1EEEvSW_.has_recursion, 0
	.set _ZN7rocprim17ROCPRIM_400000_NS6detail17trampoline_kernelINS0_14default_configENS1_29binary_search_config_selectorIdiEEZNS1_14transform_implILb0ES3_S5_N6thrust23THRUST_200600_302600_NS6detail15normal_iteratorINS8_7pointerIdNS8_11hip_rocprim5par_tENS8_11use_defaultESE_EEEENSA_INSB_IiSD_SE_SE_EEEEZNS1_13binary_searchIS3_S5_PdSG_SI_NS1_16binary_search_opENS9_16wrapped_functionINS8_6system6detail7generic6detail18binary_search_lessEbEEEE10hipError_tPvRmT1_T2_T3_mmT4_T5_P12ihipStream_tbEUlRKdE_EEST_SX_SY_mSZ_S12_bEUlT_E_NS1_11comp_targetILNS1_3genE3ELNS1_11target_archE908ELNS1_3gpuE7ELNS1_3repE0EEENS1_30default_config_static_selectorELNS0_4arch9wavefront6targetE1EEEvSW_.has_indirect_call, 0
	.section	.AMDGPU.csdata,"",@progbits
; Kernel info:
; codeLenInByte = 0
; TotalNumSgprs: 4
; NumVgprs: 0
; ScratchSize: 0
; MemoryBound: 0
; FloatMode: 240
; IeeeMode: 1
; LDSByteSize: 0 bytes/workgroup (compile time only)
; SGPRBlocks: 0
; VGPRBlocks: 0
; NumSGPRsForWavesPerEU: 4
; NumVGPRsForWavesPerEU: 1
; Occupancy: 10
; WaveLimiterHint : 0
; COMPUTE_PGM_RSRC2:SCRATCH_EN: 0
; COMPUTE_PGM_RSRC2:USER_SGPR: 6
; COMPUTE_PGM_RSRC2:TRAP_HANDLER: 0
; COMPUTE_PGM_RSRC2:TGID_X_EN: 1
; COMPUTE_PGM_RSRC2:TGID_Y_EN: 0
; COMPUTE_PGM_RSRC2:TGID_Z_EN: 0
; COMPUTE_PGM_RSRC2:TIDIG_COMP_CNT: 0
	.section	.text._ZN7rocprim17ROCPRIM_400000_NS6detail17trampoline_kernelINS0_14default_configENS1_29binary_search_config_selectorIdiEEZNS1_14transform_implILb0ES3_S5_N6thrust23THRUST_200600_302600_NS6detail15normal_iteratorINS8_7pointerIdNS8_11hip_rocprim5par_tENS8_11use_defaultESE_EEEENSA_INSB_IiSD_SE_SE_EEEEZNS1_13binary_searchIS3_S5_PdSG_SI_NS1_16binary_search_opENS9_16wrapped_functionINS8_6system6detail7generic6detail18binary_search_lessEbEEEE10hipError_tPvRmT1_T2_T3_mmT4_T5_P12ihipStream_tbEUlRKdE_EEST_SX_SY_mSZ_S12_bEUlT_E_NS1_11comp_targetILNS1_3genE2ELNS1_11target_archE906ELNS1_3gpuE6ELNS1_3repE0EEENS1_30default_config_static_selectorELNS0_4arch9wavefront6targetE1EEEvSW_,"axG",@progbits,_ZN7rocprim17ROCPRIM_400000_NS6detail17trampoline_kernelINS0_14default_configENS1_29binary_search_config_selectorIdiEEZNS1_14transform_implILb0ES3_S5_N6thrust23THRUST_200600_302600_NS6detail15normal_iteratorINS8_7pointerIdNS8_11hip_rocprim5par_tENS8_11use_defaultESE_EEEENSA_INSB_IiSD_SE_SE_EEEEZNS1_13binary_searchIS3_S5_PdSG_SI_NS1_16binary_search_opENS9_16wrapped_functionINS8_6system6detail7generic6detail18binary_search_lessEbEEEE10hipError_tPvRmT1_T2_T3_mmT4_T5_P12ihipStream_tbEUlRKdE_EEST_SX_SY_mSZ_S12_bEUlT_E_NS1_11comp_targetILNS1_3genE2ELNS1_11target_archE906ELNS1_3gpuE6ELNS1_3repE0EEENS1_30default_config_static_selectorELNS0_4arch9wavefront6targetE1EEEvSW_,comdat
	.protected	_ZN7rocprim17ROCPRIM_400000_NS6detail17trampoline_kernelINS0_14default_configENS1_29binary_search_config_selectorIdiEEZNS1_14transform_implILb0ES3_S5_N6thrust23THRUST_200600_302600_NS6detail15normal_iteratorINS8_7pointerIdNS8_11hip_rocprim5par_tENS8_11use_defaultESE_EEEENSA_INSB_IiSD_SE_SE_EEEEZNS1_13binary_searchIS3_S5_PdSG_SI_NS1_16binary_search_opENS9_16wrapped_functionINS8_6system6detail7generic6detail18binary_search_lessEbEEEE10hipError_tPvRmT1_T2_T3_mmT4_T5_P12ihipStream_tbEUlRKdE_EEST_SX_SY_mSZ_S12_bEUlT_E_NS1_11comp_targetILNS1_3genE2ELNS1_11target_archE906ELNS1_3gpuE6ELNS1_3repE0EEENS1_30default_config_static_selectorELNS0_4arch9wavefront6targetE1EEEvSW_ ; -- Begin function _ZN7rocprim17ROCPRIM_400000_NS6detail17trampoline_kernelINS0_14default_configENS1_29binary_search_config_selectorIdiEEZNS1_14transform_implILb0ES3_S5_N6thrust23THRUST_200600_302600_NS6detail15normal_iteratorINS8_7pointerIdNS8_11hip_rocprim5par_tENS8_11use_defaultESE_EEEENSA_INSB_IiSD_SE_SE_EEEEZNS1_13binary_searchIS3_S5_PdSG_SI_NS1_16binary_search_opENS9_16wrapped_functionINS8_6system6detail7generic6detail18binary_search_lessEbEEEE10hipError_tPvRmT1_T2_T3_mmT4_T5_P12ihipStream_tbEUlRKdE_EEST_SX_SY_mSZ_S12_bEUlT_E_NS1_11comp_targetILNS1_3genE2ELNS1_11target_archE906ELNS1_3gpuE6ELNS1_3repE0EEENS1_30default_config_static_selectorELNS0_4arch9wavefront6targetE1EEEvSW_
	.globl	_ZN7rocprim17ROCPRIM_400000_NS6detail17trampoline_kernelINS0_14default_configENS1_29binary_search_config_selectorIdiEEZNS1_14transform_implILb0ES3_S5_N6thrust23THRUST_200600_302600_NS6detail15normal_iteratorINS8_7pointerIdNS8_11hip_rocprim5par_tENS8_11use_defaultESE_EEEENSA_INSB_IiSD_SE_SE_EEEEZNS1_13binary_searchIS3_S5_PdSG_SI_NS1_16binary_search_opENS9_16wrapped_functionINS8_6system6detail7generic6detail18binary_search_lessEbEEEE10hipError_tPvRmT1_T2_T3_mmT4_T5_P12ihipStream_tbEUlRKdE_EEST_SX_SY_mSZ_S12_bEUlT_E_NS1_11comp_targetILNS1_3genE2ELNS1_11target_archE906ELNS1_3gpuE6ELNS1_3repE0EEENS1_30default_config_static_selectorELNS0_4arch9wavefront6targetE1EEEvSW_
	.p2align	8
	.type	_ZN7rocprim17ROCPRIM_400000_NS6detail17trampoline_kernelINS0_14default_configENS1_29binary_search_config_selectorIdiEEZNS1_14transform_implILb0ES3_S5_N6thrust23THRUST_200600_302600_NS6detail15normal_iteratorINS8_7pointerIdNS8_11hip_rocprim5par_tENS8_11use_defaultESE_EEEENSA_INSB_IiSD_SE_SE_EEEEZNS1_13binary_searchIS3_S5_PdSG_SI_NS1_16binary_search_opENS9_16wrapped_functionINS8_6system6detail7generic6detail18binary_search_lessEbEEEE10hipError_tPvRmT1_T2_T3_mmT4_T5_P12ihipStream_tbEUlRKdE_EEST_SX_SY_mSZ_S12_bEUlT_E_NS1_11comp_targetILNS1_3genE2ELNS1_11target_archE906ELNS1_3gpuE6ELNS1_3repE0EEENS1_30default_config_static_selectorELNS0_4arch9wavefront6targetE1EEEvSW_,@function
_ZN7rocprim17ROCPRIM_400000_NS6detail17trampoline_kernelINS0_14default_configENS1_29binary_search_config_selectorIdiEEZNS1_14transform_implILb0ES3_S5_N6thrust23THRUST_200600_302600_NS6detail15normal_iteratorINS8_7pointerIdNS8_11hip_rocprim5par_tENS8_11use_defaultESE_EEEENSA_INSB_IiSD_SE_SE_EEEEZNS1_13binary_searchIS3_S5_PdSG_SI_NS1_16binary_search_opENS9_16wrapped_functionINS8_6system6detail7generic6detail18binary_search_lessEbEEEE10hipError_tPvRmT1_T2_T3_mmT4_T5_P12ihipStream_tbEUlRKdE_EEST_SX_SY_mSZ_S12_bEUlT_E_NS1_11comp_targetILNS1_3genE2ELNS1_11target_archE906ELNS1_3gpuE6ELNS1_3repE0EEENS1_30default_config_static_selectorELNS0_4arch9wavefront6targetE1EEEvSW_: ; @_ZN7rocprim17ROCPRIM_400000_NS6detail17trampoline_kernelINS0_14default_configENS1_29binary_search_config_selectorIdiEEZNS1_14transform_implILb0ES3_S5_N6thrust23THRUST_200600_302600_NS6detail15normal_iteratorINS8_7pointerIdNS8_11hip_rocprim5par_tENS8_11use_defaultESE_EEEENSA_INSB_IiSD_SE_SE_EEEEZNS1_13binary_searchIS3_S5_PdSG_SI_NS1_16binary_search_opENS9_16wrapped_functionINS8_6system6detail7generic6detail18binary_search_lessEbEEEE10hipError_tPvRmT1_T2_T3_mmT4_T5_P12ihipStream_tbEUlRKdE_EEST_SX_SY_mSZ_S12_bEUlT_E_NS1_11comp_targetILNS1_3genE2ELNS1_11target_archE906ELNS1_3gpuE6ELNS1_3repE0EEENS1_30default_config_static_selectorELNS0_4arch9wavefront6targetE1EEEvSW_
; %bb.0:
	s_load_dwordx4 s[0:3], s[4:5], 0x0
	s_load_dwordx4 s[8:11], s[4:5], 0x18
	s_load_dwordx2 s[14:15], s[4:5], 0x28
	s_load_dword s7, s[4:5], 0x38
	s_waitcnt lgkmcnt(0)
	s_lshl_b64 s[12:13], s[2:3], 3
	s_add_u32 s18, s0, s12
	s_addc_u32 s19, s1, s13
	s_lshl_b32 s12, s6, 8
	s_add_i32 s7, s7, -1
	s_cmp_lg_u32 s6, s7
	s_mov_b32 s13, 0
	s_cbranch_scc0 .LBB247_6
; %bb.1:
	s_lshl_b64 s[0:1], s[12:13], 3
	s_add_u32 s0, s18, s0
	s_addc_u32 s1, s19, s1
	v_lshlrev_b32_e32 v1, 3, v0
	v_mov_b32_e32 v2, s1
	v_add_co_u32_e32 v1, vcc, s0, v1
	v_addc_co_u32_e32 v2, vcc, 0, v2, vcc
	flat_load_dwordx2 v[2:3], v[1:2]
	v_mov_b32_e32 v4, 0
	v_mov_b32_e32 v1, 0
	s_cmp_eq_u64 s[14:15], 0
	s_mov_b64 s[6:7], 0
	v_mov_b32_e32 v5, 0
	s_cbranch_scc1 .LBB247_5
; %bb.2:
	v_mov_b32_e32 v6, s14
	v_mov_b32_e32 v7, s15
	;; [unrolled: 1-line block ×3, first 2 shown]
.LBB247_3:                              ; =>This Inner Loop Header: Depth=1
	v_sub_co_u32_e32 v9, vcc, v6, v4
	v_subb_co_u32_e32 v10, vcc, v7, v5, vcc
	v_lshrrev_b64 v[11:12], 1, v[9:10]
	v_lshrrev_b64 v[9:10], 6, v[9:10]
	v_add_co_u32_e32 v11, vcc, v11, v4
	v_addc_co_u32_e32 v12, vcc, v12, v5, vcc
	v_add_co_u32_e32 v9, vcc, v11, v9
	v_addc_co_u32_e32 v10, vcc, v12, v10, vcc
	v_lshlrev_b64 v[11:12], 3, v[9:10]
	v_add_co_u32_e32 v11, vcc, s10, v11
	v_addc_co_u32_e32 v12, vcc, v8, v12, vcc
	global_load_dwordx2 v[11:12], v[11:12], off
	s_waitcnt vmcnt(0) lgkmcnt(0)
	v_cmp_lt_f64_e32 vcc, v[11:12], v[2:3]
	v_add_co_u32_e64 v11, s[0:1], 1, v9
	v_addc_co_u32_e64 v12, s[0:1], 0, v10, s[0:1]
	v_cndmask_b32_e32 v7, v10, v7, vcc
	v_cndmask_b32_e32 v6, v9, v6, vcc
	;; [unrolled: 1-line block ×4, first 2 shown]
	v_cmp_ge_u64_e32 vcc, v[4:5], v[6:7]
	s_or_b64 s[6:7], vcc, s[6:7]
	s_andn2_b64 exec, exec, s[6:7]
	s_cbranch_execnz .LBB247_3
; %bb.4:
	s_or_b64 exec, exec, s[6:7]
.LBB247_5:
	v_cmp_eq_u64_e64 s[6:7], s[14:15], v[4:5]
	v_cmp_ne_u64_e64 s[16:17], s[14:15], v[4:5]
	s_branch .LBB247_14
.LBB247_6:
	s_mov_b64 s[16:17], 0
	s_mov_b64 s[6:7], 0
                                        ; implicit-def: $vgpr2_vgpr3
                                        ; implicit-def: $vgpr4_vgpr5
	s_cbranch_execz .LBB247_14
; %bb.7:
	s_load_dword s0, s[4:5], 0x10
                                        ; implicit-def: $vgpr2_vgpr3
                                        ; implicit-def: $vgpr4_vgpr5
	s_waitcnt lgkmcnt(0)
	s_sub_i32 s0, s0, s12
	v_cmp_gt_u32_e32 vcc, s0, v0
	s_and_saveexec_b64 s[4:5], vcc
	s_cbranch_execz .LBB247_13
; %bb.8:
	s_lshl_b64 s[0:1], s[12:13], 3
	s_add_u32 s0, s18, s0
	s_addc_u32 s1, s19, s1
	v_lshlrev_b32_e32 v1, 3, v0
	s_waitcnt vmcnt(0)
	v_mov_b32_e32 v2, s1
	v_add_co_u32_e32 v1, vcc, s0, v1
	v_addc_co_u32_e32 v2, vcc, 0, v2, vcc
	flat_load_dwordx2 v[2:3], v[1:2]
	v_mov_b32_e32 v4, 0
	v_mov_b32_e32 v1, 0
	s_cmp_eq_u64 s[14:15], 0
	s_mov_b64 s[18:19], 0
	v_mov_b32_e32 v5, 0
	s_cbranch_scc1 .LBB247_12
; %bb.9:
	v_mov_b32_e32 v6, s14
	v_mov_b32_e32 v7, s15
	;; [unrolled: 1-line block ×3, first 2 shown]
.LBB247_10:                             ; =>This Inner Loop Header: Depth=1
	v_sub_co_u32_e32 v9, vcc, v6, v4
	v_subb_co_u32_e32 v10, vcc, v7, v5, vcc
	v_lshrrev_b64 v[11:12], 1, v[9:10]
	v_lshrrev_b64 v[9:10], 6, v[9:10]
	v_add_co_u32_e32 v11, vcc, v11, v4
	v_addc_co_u32_e32 v12, vcc, v12, v5, vcc
	v_add_co_u32_e32 v9, vcc, v11, v9
	v_addc_co_u32_e32 v10, vcc, v12, v10, vcc
	v_lshlrev_b64 v[11:12], 3, v[9:10]
	v_add_co_u32_e32 v11, vcc, s10, v11
	v_addc_co_u32_e32 v12, vcc, v8, v12, vcc
	global_load_dwordx2 v[11:12], v[11:12], off
	s_waitcnt vmcnt(0) lgkmcnt(0)
	v_cmp_lt_f64_e32 vcc, v[11:12], v[2:3]
	v_add_co_u32_e64 v11, s[0:1], 1, v9
	v_addc_co_u32_e64 v12, s[0:1], 0, v10, s[0:1]
	v_cndmask_b32_e32 v7, v10, v7, vcc
	v_cndmask_b32_e32 v6, v9, v6, vcc
	;; [unrolled: 1-line block ×4, first 2 shown]
	v_cmp_ge_u64_e32 vcc, v[4:5], v[6:7]
	s_or_b64 s[18:19], vcc, s[18:19]
	s_andn2_b64 exec, exec, s[18:19]
	s_cbranch_execnz .LBB247_10
; %bb.11:
	s_or_b64 exec, exec, s[18:19]
.LBB247_12:
	v_cmp_eq_u64_e32 vcc, s[14:15], v[4:5]
	v_cmp_ne_u64_e64 s[0:1], s[14:15], v[4:5]
	s_andn2_b64 s[6:7], s[6:7], exec
	s_and_b64 s[14:15], vcc, exec
	s_or_b64 s[6:7], s[6:7], s[14:15]
	s_andn2_b64 s[14:15], s[16:17], exec
	s_and_b64 s[0:1], s[0:1], exec
	s_or_b64 s[16:17], s[14:15], s[0:1]
.LBB247_13:
	s_or_b64 exec, exec, s[4:5]
.LBB247_14:
	v_mov_b32_e32 v6, 0
	s_and_saveexec_b64 s[0:1], s[16:17]
	s_cbranch_execnz .LBB247_17
; %bb.15:
	s_or_b64 exec, exec, s[0:1]
	s_and_saveexec_b64 s[0:1], s[6:7]
	s_cbranch_execnz .LBB247_18
.LBB247_16:
	s_endpgm
.LBB247_17:
	v_lshlrev_b64 v[4:5], 3, v[4:5]
	v_mov_b32_e32 v6, s11
	v_add_co_u32_e32 v4, vcc, s10, v4
	v_addc_co_u32_e32 v5, vcc, v6, v5, vcc
	global_load_dwordx2 v[4:5], v[4:5], off
	s_or_b64 s[6:7], s[6:7], exec
	s_waitcnt vmcnt(0) lgkmcnt(0)
	v_cmp_nlt_f64_e32 vcc, v[2:3], v[4:5]
	v_cndmask_b32_e64 v6, 0, 1, vcc
	s_or_b64 exec, exec, s[0:1]
	s_and_saveexec_b64 s[0:1], s[6:7]
	s_cbranch_execz .LBB247_16
.LBB247_18:
	s_lshl_b64 s[0:1], s[2:3], 2
	s_add_u32 s2, s8, s0
	s_addc_u32 s3, s9, s1
	s_lshl_b64 s[0:1], s[12:13], 2
	s_add_u32 s0, s2, s0
	v_lshlrev_b64 v[0:1], 2, v[0:1]
	s_addc_u32 s1, s3, s1
	s_waitcnt vmcnt(0) lgkmcnt(0)
	v_mov_b32_e32 v2, s1
	v_add_co_u32_e32 v0, vcc, s0, v0
	v_addc_co_u32_e32 v1, vcc, v2, v1, vcc
	flat_store_dword v[0:1], v6
	s_endpgm
	.section	.rodata,"a",@progbits
	.p2align	6, 0x0
	.amdhsa_kernel _ZN7rocprim17ROCPRIM_400000_NS6detail17trampoline_kernelINS0_14default_configENS1_29binary_search_config_selectorIdiEEZNS1_14transform_implILb0ES3_S5_N6thrust23THRUST_200600_302600_NS6detail15normal_iteratorINS8_7pointerIdNS8_11hip_rocprim5par_tENS8_11use_defaultESE_EEEENSA_INSB_IiSD_SE_SE_EEEEZNS1_13binary_searchIS3_S5_PdSG_SI_NS1_16binary_search_opENS9_16wrapped_functionINS8_6system6detail7generic6detail18binary_search_lessEbEEEE10hipError_tPvRmT1_T2_T3_mmT4_T5_P12ihipStream_tbEUlRKdE_EEST_SX_SY_mSZ_S12_bEUlT_E_NS1_11comp_targetILNS1_3genE2ELNS1_11target_archE906ELNS1_3gpuE6ELNS1_3repE0EEENS1_30default_config_static_selectorELNS0_4arch9wavefront6targetE1EEEvSW_
		.amdhsa_group_segment_fixed_size 0
		.amdhsa_private_segment_fixed_size 0
		.amdhsa_kernarg_size 312
		.amdhsa_user_sgpr_count 6
		.amdhsa_user_sgpr_private_segment_buffer 1
		.amdhsa_user_sgpr_dispatch_ptr 0
		.amdhsa_user_sgpr_queue_ptr 0
		.amdhsa_user_sgpr_kernarg_segment_ptr 1
		.amdhsa_user_sgpr_dispatch_id 0
		.amdhsa_user_sgpr_flat_scratch_init 0
		.amdhsa_user_sgpr_private_segment_size 0
		.amdhsa_uses_dynamic_stack 0
		.amdhsa_system_sgpr_private_segment_wavefront_offset 0
		.amdhsa_system_sgpr_workgroup_id_x 1
		.amdhsa_system_sgpr_workgroup_id_y 0
		.amdhsa_system_sgpr_workgroup_id_z 0
		.amdhsa_system_sgpr_workgroup_info 0
		.amdhsa_system_vgpr_workitem_id 0
		.amdhsa_next_free_vgpr 13
		.amdhsa_next_free_sgpr 20
		.amdhsa_reserve_vcc 1
		.amdhsa_reserve_flat_scratch 0
		.amdhsa_float_round_mode_32 0
		.amdhsa_float_round_mode_16_64 0
		.amdhsa_float_denorm_mode_32 3
		.amdhsa_float_denorm_mode_16_64 3
		.amdhsa_dx10_clamp 1
		.amdhsa_ieee_mode 1
		.amdhsa_fp16_overflow 0
		.amdhsa_exception_fp_ieee_invalid_op 0
		.amdhsa_exception_fp_denorm_src 0
		.amdhsa_exception_fp_ieee_div_zero 0
		.amdhsa_exception_fp_ieee_overflow 0
		.amdhsa_exception_fp_ieee_underflow 0
		.amdhsa_exception_fp_ieee_inexact 0
		.amdhsa_exception_int_div_zero 0
	.end_amdhsa_kernel
	.section	.text._ZN7rocprim17ROCPRIM_400000_NS6detail17trampoline_kernelINS0_14default_configENS1_29binary_search_config_selectorIdiEEZNS1_14transform_implILb0ES3_S5_N6thrust23THRUST_200600_302600_NS6detail15normal_iteratorINS8_7pointerIdNS8_11hip_rocprim5par_tENS8_11use_defaultESE_EEEENSA_INSB_IiSD_SE_SE_EEEEZNS1_13binary_searchIS3_S5_PdSG_SI_NS1_16binary_search_opENS9_16wrapped_functionINS8_6system6detail7generic6detail18binary_search_lessEbEEEE10hipError_tPvRmT1_T2_T3_mmT4_T5_P12ihipStream_tbEUlRKdE_EEST_SX_SY_mSZ_S12_bEUlT_E_NS1_11comp_targetILNS1_3genE2ELNS1_11target_archE906ELNS1_3gpuE6ELNS1_3repE0EEENS1_30default_config_static_selectorELNS0_4arch9wavefront6targetE1EEEvSW_,"axG",@progbits,_ZN7rocprim17ROCPRIM_400000_NS6detail17trampoline_kernelINS0_14default_configENS1_29binary_search_config_selectorIdiEEZNS1_14transform_implILb0ES3_S5_N6thrust23THRUST_200600_302600_NS6detail15normal_iteratorINS8_7pointerIdNS8_11hip_rocprim5par_tENS8_11use_defaultESE_EEEENSA_INSB_IiSD_SE_SE_EEEEZNS1_13binary_searchIS3_S5_PdSG_SI_NS1_16binary_search_opENS9_16wrapped_functionINS8_6system6detail7generic6detail18binary_search_lessEbEEEE10hipError_tPvRmT1_T2_T3_mmT4_T5_P12ihipStream_tbEUlRKdE_EEST_SX_SY_mSZ_S12_bEUlT_E_NS1_11comp_targetILNS1_3genE2ELNS1_11target_archE906ELNS1_3gpuE6ELNS1_3repE0EEENS1_30default_config_static_selectorELNS0_4arch9wavefront6targetE1EEEvSW_,comdat
.Lfunc_end247:
	.size	_ZN7rocprim17ROCPRIM_400000_NS6detail17trampoline_kernelINS0_14default_configENS1_29binary_search_config_selectorIdiEEZNS1_14transform_implILb0ES3_S5_N6thrust23THRUST_200600_302600_NS6detail15normal_iteratorINS8_7pointerIdNS8_11hip_rocprim5par_tENS8_11use_defaultESE_EEEENSA_INSB_IiSD_SE_SE_EEEEZNS1_13binary_searchIS3_S5_PdSG_SI_NS1_16binary_search_opENS9_16wrapped_functionINS8_6system6detail7generic6detail18binary_search_lessEbEEEE10hipError_tPvRmT1_T2_T3_mmT4_T5_P12ihipStream_tbEUlRKdE_EEST_SX_SY_mSZ_S12_bEUlT_E_NS1_11comp_targetILNS1_3genE2ELNS1_11target_archE906ELNS1_3gpuE6ELNS1_3repE0EEENS1_30default_config_static_selectorELNS0_4arch9wavefront6targetE1EEEvSW_, .Lfunc_end247-_ZN7rocprim17ROCPRIM_400000_NS6detail17trampoline_kernelINS0_14default_configENS1_29binary_search_config_selectorIdiEEZNS1_14transform_implILb0ES3_S5_N6thrust23THRUST_200600_302600_NS6detail15normal_iteratorINS8_7pointerIdNS8_11hip_rocprim5par_tENS8_11use_defaultESE_EEEENSA_INSB_IiSD_SE_SE_EEEEZNS1_13binary_searchIS3_S5_PdSG_SI_NS1_16binary_search_opENS9_16wrapped_functionINS8_6system6detail7generic6detail18binary_search_lessEbEEEE10hipError_tPvRmT1_T2_T3_mmT4_T5_P12ihipStream_tbEUlRKdE_EEST_SX_SY_mSZ_S12_bEUlT_E_NS1_11comp_targetILNS1_3genE2ELNS1_11target_archE906ELNS1_3gpuE6ELNS1_3repE0EEENS1_30default_config_static_selectorELNS0_4arch9wavefront6targetE1EEEvSW_
                                        ; -- End function
	.set _ZN7rocprim17ROCPRIM_400000_NS6detail17trampoline_kernelINS0_14default_configENS1_29binary_search_config_selectorIdiEEZNS1_14transform_implILb0ES3_S5_N6thrust23THRUST_200600_302600_NS6detail15normal_iteratorINS8_7pointerIdNS8_11hip_rocprim5par_tENS8_11use_defaultESE_EEEENSA_INSB_IiSD_SE_SE_EEEEZNS1_13binary_searchIS3_S5_PdSG_SI_NS1_16binary_search_opENS9_16wrapped_functionINS8_6system6detail7generic6detail18binary_search_lessEbEEEE10hipError_tPvRmT1_T2_T3_mmT4_T5_P12ihipStream_tbEUlRKdE_EEST_SX_SY_mSZ_S12_bEUlT_E_NS1_11comp_targetILNS1_3genE2ELNS1_11target_archE906ELNS1_3gpuE6ELNS1_3repE0EEENS1_30default_config_static_selectorELNS0_4arch9wavefront6targetE1EEEvSW_.num_vgpr, 13
	.set _ZN7rocprim17ROCPRIM_400000_NS6detail17trampoline_kernelINS0_14default_configENS1_29binary_search_config_selectorIdiEEZNS1_14transform_implILb0ES3_S5_N6thrust23THRUST_200600_302600_NS6detail15normal_iteratorINS8_7pointerIdNS8_11hip_rocprim5par_tENS8_11use_defaultESE_EEEENSA_INSB_IiSD_SE_SE_EEEEZNS1_13binary_searchIS3_S5_PdSG_SI_NS1_16binary_search_opENS9_16wrapped_functionINS8_6system6detail7generic6detail18binary_search_lessEbEEEE10hipError_tPvRmT1_T2_T3_mmT4_T5_P12ihipStream_tbEUlRKdE_EEST_SX_SY_mSZ_S12_bEUlT_E_NS1_11comp_targetILNS1_3genE2ELNS1_11target_archE906ELNS1_3gpuE6ELNS1_3repE0EEENS1_30default_config_static_selectorELNS0_4arch9wavefront6targetE1EEEvSW_.num_agpr, 0
	.set _ZN7rocprim17ROCPRIM_400000_NS6detail17trampoline_kernelINS0_14default_configENS1_29binary_search_config_selectorIdiEEZNS1_14transform_implILb0ES3_S5_N6thrust23THRUST_200600_302600_NS6detail15normal_iteratorINS8_7pointerIdNS8_11hip_rocprim5par_tENS8_11use_defaultESE_EEEENSA_INSB_IiSD_SE_SE_EEEEZNS1_13binary_searchIS3_S5_PdSG_SI_NS1_16binary_search_opENS9_16wrapped_functionINS8_6system6detail7generic6detail18binary_search_lessEbEEEE10hipError_tPvRmT1_T2_T3_mmT4_T5_P12ihipStream_tbEUlRKdE_EEST_SX_SY_mSZ_S12_bEUlT_E_NS1_11comp_targetILNS1_3genE2ELNS1_11target_archE906ELNS1_3gpuE6ELNS1_3repE0EEENS1_30default_config_static_selectorELNS0_4arch9wavefront6targetE1EEEvSW_.numbered_sgpr, 20
	.set _ZN7rocprim17ROCPRIM_400000_NS6detail17trampoline_kernelINS0_14default_configENS1_29binary_search_config_selectorIdiEEZNS1_14transform_implILb0ES3_S5_N6thrust23THRUST_200600_302600_NS6detail15normal_iteratorINS8_7pointerIdNS8_11hip_rocprim5par_tENS8_11use_defaultESE_EEEENSA_INSB_IiSD_SE_SE_EEEEZNS1_13binary_searchIS3_S5_PdSG_SI_NS1_16binary_search_opENS9_16wrapped_functionINS8_6system6detail7generic6detail18binary_search_lessEbEEEE10hipError_tPvRmT1_T2_T3_mmT4_T5_P12ihipStream_tbEUlRKdE_EEST_SX_SY_mSZ_S12_bEUlT_E_NS1_11comp_targetILNS1_3genE2ELNS1_11target_archE906ELNS1_3gpuE6ELNS1_3repE0EEENS1_30default_config_static_selectorELNS0_4arch9wavefront6targetE1EEEvSW_.num_named_barrier, 0
	.set _ZN7rocprim17ROCPRIM_400000_NS6detail17trampoline_kernelINS0_14default_configENS1_29binary_search_config_selectorIdiEEZNS1_14transform_implILb0ES3_S5_N6thrust23THRUST_200600_302600_NS6detail15normal_iteratorINS8_7pointerIdNS8_11hip_rocprim5par_tENS8_11use_defaultESE_EEEENSA_INSB_IiSD_SE_SE_EEEEZNS1_13binary_searchIS3_S5_PdSG_SI_NS1_16binary_search_opENS9_16wrapped_functionINS8_6system6detail7generic6detail18binary_search_lessEbEEEE10hipError_tPvRmT1_T2_T3_mmT4_T5_P12ihipStream_tbEUlRKdE_EEST_SX_SY_mSZ_S12_bEUlT_E_NS1_11comp_targetILNS1_3genE2ELNS1_11target_archE906ELNS1_3gpuE6ELNS1_3repE0EEENS1_30default_config_static_selectorELNS0_4arch9wavefront6targetE1EEEvSW_.private_seg_size, 0
	.set _ZN7rocprim17ROCPRIM_400000_NS6detail17trampoline_kernelINS0_14default_configENS1_29binary_search_config_selectorIdiEEZNS1_14transform_implILb0ES3_S5_N6thrust23THRUST_200600_302600_NS6detail15normal_iteratorINS8_7pointerIdNS8_11hip_rocprim5par_tENS8_11use_defaultESE_EEEENSA_INSB_IiSD_SE_SE_EEEEZNS1_13binary_searchIS3_S5_PdSG_SI_NS1_16binary_search_opENS9_16wrapped_functionINS8_6system6detail7generic6detail18binary_search_lessEbEEEE10hipError_tPvRmT1_T2_T3_mmT4_T5_P12ihipStream_tbEUlRKdE_EEST_SX_SY_mSZ_S12_bEUlT_E_NS1_11comp_targetILNS1_3genE2ELNS1_11target_archE906ELNS1_3gpuE6ELNS1_3repE0EEENS1_30default_config_static_selectorELNS0_4arch9wavefront6targetE1EEEvSW_.uses_vcc, 1
	.set _ZN7rocprim17ROCPRIM_400000_NS6detail17trampoline_kernelINS0_14default_configENS1_29binary_search_config_selectorIdiEEZNS1_14transform_implILb0ES3_S5_N6thrust23THRUST_200600_302600_NS6detail15normal_iteratorINS8_7pointerIdNS8_11hip_rocprim5par_tENS8_11use_defaultESE_EEEENSA_INSB_IiSD_SE_SE_EEEEZNS1_13binary_searchIS3_S5_PdSG_SI_NS1_16binary_search_opENS9_16wrapped_functionINS8_6system6detail7generic6detail18binary_search_lessEbEEEE10hipError_tPvRmT1_T2_T3_mmT4_T5_P12ihipStream_tbEUlRKdE_EEST_SX_SY_mSZ_S12_bEUlT_E_NS1_11comp_targetILNS1_3genE2ELNS1_11target_archE906ELNS1_3gpuE6ELNS1_3repE0EEENS1_30default_config_static_selectorELNS0_4arch9wavefront6targetE1EEEvSW_.uses_flat_scratch, 0
	.set _ZN7rocprim17ROCPRIM_400000_NS6detail17trampoline_kernelINS0_14default_configENS1_29binary_search_config_selectorIdiEEZNS1_14transform_implILb0ES3_S5_N6thrust23THRUST_200600_302600_NS6detail15normal_iteratorINS8_7pointerIdNS8_11hip_rocprim5par_tENS8_11use_defaultESE_EEEENSA_INSB_IiSD_SE_SE_EEEEZNS1_13binary_searchIS3_S5_PdSG_SI_NS1_16binary_search_opENS9_16wrapped_functionINS8_6system6detail7generic6detail18binary_search_lessEbEEEE10hipError_tPvRmT1_T2_T3_mmT4_T5_P12ihipStream_tbEUlRKdE_EEST_SX_SY_mSZ_S12_bEUlT_E_NS1_11comp_targetILNS1_3genE2ELNS1_11target_archE906ELNS1_3gpuE6ELNS1_3repE0EEENS1_30default_config_static_selectorELNS0_4arch9wavefront6targetE1EEEvSW_.has_dyn_sized_stack, 0
	.set _ZN7rocprim17ROCPRIM_400000_NS6detail17trampoline_kernelINS0_14default_configENS1_29binary_search_config_selectorIdiEEZNS1_14transform_implILb0ES3_S5_N6thrust23THRUST_200600_302600_NS6detail15normal_iteratorINS8_7pointerIdNS8_11hip_rocprim5par_tENS8_11use_defaultESE_EEEENSA_INSB_IiSD_SE_SE_EEEEZNS1_13binary_searchIS3_S5_PdSG_SI_NS1_16binary_search_opENS9_16wrapped_functionINS8_6system6detail7generic6detail18binary_search_lessEbEEEE10hipError_tPvRmT1_T2_T3_mmT4_T5_P12ihipStream_tbEUlRKdE_EEST_SX_SY_mSZ_S12_bEUlT_E_NS1_11comp_targetILNS1_3genE2ELNS1_11target_archE906ELNS1_3gpuE6ELNS1_3repE0EEENS1_30default_config_static_selectorELNS0_4arch9wavefront6targetE1EEEvSW_.has_recursion, 0
	.set _ZN7rocprim17ROCPRIM_400000_NS6detail17trampoline_kernelINS0_14default_configENS1_29binary_search_config_selectorIdiEEZNS1_14transform_implILb0ES3_S5_N6thrust23THRUST_200600_302600_NS6detail15normal_iteratorINS8_7pointerIdNS8_11hip_rocprim5par_tENS8_11use_defaultESE_EEEENSA_INSB_IiSD_SE_SE_EEEEZNS1_13binary_searchIS3_S5_PdSG_SI_NS1_16binary_search_opENS9_16wrapped_functionINS8_6system6detail7generic6detail18binary_search_lessEbEEEE10hipError_tPvRmT1_T2_T3_mmT4_T5_P12ihipStream_tbEUlRKdE_EEST_SX_SY_mSZ_S12_bEUlT_E_NS1_11comp_targetILNS1_3genE2ELNS1_11target_archE906ELNS1_3gpuE6ELNS1_3repE0EEENS1_30default_config_static_selectorELNS0_4arch9wavefront6targetE1EEEvSW_.has_indirect_call, 0
	.section	.AMDGPU.csdata,"",@progbits
; Kernel info:
; codeLenInByte = 712
; TotalNumSgprs: 24
; NumVgprs: 13
; ScratchSize: 0
; MemoryBound: 0
; FloatMode: 240
; IeeeMode: 1
; LDSByteSize: 0 bytes/workgroup (compile time only)
; SGPRBlocks: 2
; VGPRBlocks: 3
; NumSGPRsForWavesPerEU: 24
; NumVGPRsForWavesPerEU: 13
; Occupancy: 10
; WaveLimiterHint : 0
; COMPUTE_PGM_RSRC2:SCRATCH_EN: 0
; COMPUTE_PGM_RSRC2:USER_SGPR: 6
; COMPUTE_PGM_RSRC2:TRAP_HANDLER: 0
; COMPUTE_PGM_RSRC2:TGID_X_EN: 1
; COMPUTE_PGM_RSRC2:TGID_Y_EN: 0
; COMPUTE_PGM_RSRC2:TGID_Z_EN: 0
; COMPUTE_PGM_RSRC2:TIDIG_COMP_CNT: 0
	.section	.text._ZN7rocprim17ROCPRIM_400000_NS6detail17trampoline_kernelINS0_14default_configENS1_29binary_search_config_selectorIdiEEZNS1_14transform_implILb0ES3_S5_N6thrust23THRUST_200600_302600_NS6detail15normal_iteratorINS8_7pointerIdNS8_11hip_rocprim5par_tENS8_11use_defaultESE_EEEENSA_INSB_IiSD_SE_SE_EEEEZNS1_13binary_searchIS3_S5_PdSG_SI_NS1_16binary_search_opENS9_16wrapped_functionINS8_6system6detail7generic6detail18binary_search_lessEbEEEE10hipError_tPvRmT1_T2_T3_mmT4_T5_P12ihipStream_tbEUlRKdE_EEST_SX_SY_mSZ_S12_bEUlT_E_NS1_11comp_targetILNS1_3genE10ELNS1_11target_archE1201ELNS1_3gpuE5ELNS1_3repE0EEENS1_30default_config_static_selectorELNS0_4arch9wavefront6targetE1EEEvSW_,"axG",@progbits,_ZN7rocprim17ROCPRIM_400000_NS6detail17trampoline_kernelINS0_14default_configENS1_29binary_search_config_selectorIdiEEZNS1_14transform_implILb0ES3_S5_N6thrust23THRUST_200600_302600_NS6detail15normal_iteratorINS8_7pointerIdNS8_11hip_rocprim5par_tENS8_11use_defaultESE_EEEENSA_INSB_IiSD_SE_SE_EEEEZNS1_13binary_searchIS3_S5_PdSG_SI_NS1_16binary_search_opENS9_16wrapped_functionINS8_6system6detail7generic6detail18binary_search_lessEbEEEE10hipError_tPvRmT1_T2_T3_mmT4_T5_P12ihipStream_tbEUlRKdE_EEST_SX_SY_mSZ_S12_bEUlT_E_NS1_11comp_targetILNS1_3genE10ELNS1_11target_archE1201ELNS1_3gpuE5ELNS1_3repE0EEENS1_30default_config_static_selectorELNS0_4arch9wavefront6targetE1EEEvSW_,comdat
	.protected	_ZN7rocprim17ROCPRIM_400000_NS6detail17trampoline_kernelINS0_14default_configENS1_29binary_search_config_selectorIdiEEZNS1_14transform_implILb0ES3_S5_N6thrust23THRUST_200600_302600_NS6detail15normal_iteratorINS8_7pointerIdNS8_11hip_rocprim5par_tENS8_11use_defaultESE_EEEENSA_INSB_IiSD_SE_SE_EEEEZNS1_13binary_searchIS3_S5_PdSG_SI_NS1_16binary_search_opENS9_16wrapped_functionINS8_6system6detail7generic6detail18binary_search_lessEbEEEE10hipError_tPvRmT1_T2_T3_mmT4_T5_P12ihipStream_tbEUlRKdE_EEST_SX_SY_mSZ_S12_bEUlT_E_NS1_11comp_targetILNS1_3genE10ELNS1_11target_archE1201ELNS1_3gpuE5ELNS1_3repE0EEENS1_30default_config_static_selectorELNS0_4arch9wavefront6targetE1EEEvSW_ ; -- Begin function _ZN7rocprim17ROCPRIM_400000_NS6detail17trampoline_kernelINS0_14default_configENS1_29binary_search_config_selectorIdiEEZNS1_14transform_implILb0ES3_S5_N6thrust23THRUST_200600_302600_NS6detail15normal_iteratorINS8_7pointerIdNS8_11hip_rocprim5par_tENS8_11use_defaultESE_EEEENSA_INSB_IiSD_SE_SE_EEEEZNS1_13binary_searchIS3_S5_PdSG_SI_NS1_16binary_search_opENS9_16wrapped_functionINS8_6system6detail7generic6detail18binary_search_lessEbEEEE10hipError_tPvRmT1_T2_T3_mmT4_T5_P12ihipStream_tbEUlRKdE_EEST_SX_SY_mSZ_S12_bEUlT_E_NS1_11comp_targetILNS1_3genE10ELNS1_11target_archE1201ELNS1_3gpuE5ELNS1_3repE0EEENS1_30default_config_static_selectorELNS0_4arch9wavefront6targetE1EEEvSW_
	.globl	_ZN7rocprim17ROCPRIM_400000_NS6detail17trampoline_kernelINS0_14default_configENS1_29binary_search_config_selectorIdiEEZNS1_14transform_implILb0ES3_S5_N6thrust23THRUST_200600_302600_NS6detail15normal_iteratorINS8_7pointerIdNS8_11hip_rocprim5par_tENS8_11use_defaultESE_EEEENSA_INSB_IiSD_SE_SE_EEEEZNS1_13binary_searchIS3_S5_PdSG_SI_NS1_16binary_search_opENS9_16wrapped_functionINS8_6system6detail7generic6detail18binary_search_lessEbEEEE10hipError_tPvRmT1_T2_T3_mmT4_T5_P12ihipStream_tbEUlRKdE_EEST_SX_SY_mSZ_S12_bEUlT_E_NS1_11comp_targetILNS1_3genE10ELNS1_11target_archE1201ELNS1_3gpuE5ELNS1_3repE0EEENS1_30default_config_static_selectorELNS0_4arch9wavefront6targetE1EEEvSW_
	.p2align	8
	.type	_ZN7rocprim17ROCPRIM_400000_NS6detail17trampoline_kernelINS0_14default_configENS1_29binary_search_config_selectorIdiEEZNS1_14transform_implILb0ES3_S5_N6thrust23THRUST_200600_302600_NS6detail15normal_iteratorINS8_7pointerIdNS8_11hip_rocprim5par_tENS8_11use_defaultESE_EEEENSA_INSB_IiSD_SE_SE_EEEEZNS1_13binary_searchIS3_S5_PdSG_SI_NS1_16binary_search_opENS9_16wrapped_functionINS8_6system6detail7generic6detail18binary_search_lessEbEEEE10hipError_tPvRmT1_T2_T3_mmT4_T5_P12ihipStream_tbEUlRKdE_EEST_SX_SY_mSZ_S12_bEUlT_E_NS1_11comp_targetILNS1_3genE10ELNS1_11target_archE1201ELNS1_3gpuE5ELNS1_3repE0EEENS1_30default_config_static_selectorELNS0_4arch9wavefront6targetE1EEEvSW_,@function
_ZN7rocprim17ROCPRIM_400000_NS6detail17trampoline_kernelINS0_14default_configENS1_29binary_search_config_selectorIdiEEZNS1_14transform_implILb0ES3_S5_N6thrust23THRUST_200600_302600_NS6detail15normal_iteratorINS8_7pointerIdNS8_11hip_rocprim5par_tENS8_11use_defaultESE_EEEENSA_INSB_IiSD_SE_SE_EEEEZNS1_13binary_searchIS3_S5_PdSG_SI_NS1_16binary_search_opENS9_16wrapped_functionINS8_6system6detail7generic6detail18binary_search_lessEbEEEE10hipError_tPvRmT1_T2_T3_mmT4_T5_P12ihipStream_tbEUlRKdE_EEST_SX_SY_mSZ_S12_bEUlT_E_NS1_11comp_targetILNS1_3genE10ELNS1_11target_archE1201ELNS1_3gpuE5ELNS1_3repE0EEENS1_30default_config_static_selectorELNS0_4arch9wavefront6targetE1EEEvSW_: ; @_ZN7rocprim17ROCPRIM_400000_NS6detail17trampoline_kernelINS0_14default_configENS1_29binary_search_config_selectorIdiEEZNS1_14transform_implILb0ES3_S5_N6thrust23THRUST_200600_302600_NS6detail15normal_iteratorINS8_7pointerIdNS8_11hip_rocprim5par_tENS8_11use_defaultESE_EEEENSA_INSB_IiSD_SE_SE_EEEEZNS1_13binary_searchIS3_S5_PdSG_SI_NS1_16binary_search_opENS9_16wrapped_functionINS8_6system6detail7generic6detail18binary_search_lessEbEEEE10hipError_tPvRmT1_T2_T3_mmT4_T5_P12ihipStream_tbEUlRKdE_EEST_SX_SY_mSZ_S12_bEUlT_E_NS1_11comp_targetILNS1_3genE10ELNS1_11target_archE1201ELNS1_3gpuE5ELNS1_3repE0EEENS1_30default_config_static_selectorELNS0_4arch9wavefront6targetE1EEEvSW_
; %bb.0:
	.section	.rodata,"a",@progbits
	.p2align	6, 0x0
	.amdhsa_kernel _ZN7rocprim17ROCPRIM_400000_NS6detail17trampoline_kernelINS0_14default_configENS1_29binary_search_config_selectorIdiEEZNS1_14transform_implILb0ES3_S5_N6thrust23THRUST_200600_302600_NS6detail15normal_iteratorINS8_7pointerIdNS8_11hip_rocprim5par_tENS8_11use_defaultESE_EEEENSA_INSB_IiSD_SE_SE_EEEEZNS1_13binary_searchIS3_S5_PdSG_SI_NS1_16binary_search_opENS9_16wrapped_functionINS8_6system6detail7generic6detail18binary_search_lessEbEEEE10hipError_tPvRmT1_T2_T3_mmT4_T5_P12ihipStream_tbEUlRKdE_EEST_SX_SY_mSZ_S12_bEUlT_E_NS1_11comp_targetILNS1_3genE10ELNS1_11target_archE1201ELNS1_3gpuE5ELNS1_3repE0EEENS1_30default_config_static_selectorELNS0_4arch9wavefront6targetE1EEEvSW_
		.amdhsa_group_segment_fixed_size 0
		.amdhsa_private_segment_fixed_size 0
		.amdhsa_kernarg_size 56
		.amdhsa_user_sgpr_count 6
		.amdhsa_user_sgpr_private_segment_buffer 1
		.amdhsa_user_sgpr_dispatch_ptr 0
		.amdhsa_user_sgpr_queue_ptr 0
		.amdhsa_user_sgpr_kernarg_segment_ptr 1
		.amdhsa_user_sgpr_dispatch_id 0
		.amdhsa_user_sgpr_flat_scratch_init 0
		.amdhsa_user_sgpr_private_segment_size 0
		.amdhsa_uses_dynamic_stack 0
		.amdhsa_system_sgpr_private_segment_wavefront_offset 0
		.amdhsa_system_sgpr_workgroup_id_x 1
		.amdhsa_system_sgpr_workgroup_id_y 0
		.amdhsa_system_sgpr_workgroup_id_z 0
		.amdhsa_system_sgpr_workgroup_info 0
		.amdhsa_system_vgpr_workitem_id 0
		.amdhsa_next_free_vgpr 1
		.amdhsa_next_free_sgpr 0
		.amdhsa_reserve_vcc 0
		.amdhsa_reserve_flat_scratch 0
		.amdhsa_float_round_mode_32 0
		.amdhsa_float_round_mode_16_64 0
		.amdhsa_float_denorm_mode_32 3
		.amdhsa_float_denorm_mode_16_64 3
		.amdhsa_dx10_clamp 1
		.amdhsa_ieee_mode 1
		.amdhsa_fp16_overflow 0
		.amdhsa_exception_fp_ieee_invalid_op 0
		.amdhsa_exception_fp_denorm_src 0
		.amdhsa_exception_fp_ieee_div_zero 0
		.amdhsa_exception_fp_ieee_overflow 0
		.amdhsa_exception_fp_ieee_underflow 0
		.amdhsa_exception_fp_ieee_inexact 0
		.amdhsa_exception_int_div_zero 0
	.end_amdhsa_kernel
	.section	.text._ZN7rocprim17ROCPRIM_400000_NS6detail17trampoline_kernelINS0_14default_configENS1_29binary_search_config_selectorIdiEEZNS1_14transform_implILb0ES3_S5_N6thrust23THRUST_200600_302600_NS6detail15normal_iteratorINS8_7pointerIdNS8_11hip_rocprim5par_tENS8_11use_defaultESE_EEEENSA_INSB_IiSD_SE_SE_EEEEZNS1_13binary_searchIS3_S5_PdSG_SI_NS1_16binary_search_opENS9_16wrapped_functionINS8_6system6detail7generic6detail18binary_search_lessEbEEEE10hipError_tPvRmT1_T2_T3_mmT4_T5_P12ihipStream_tbEUlRKdE_EEST_SX_SY_mSZ_S12_bEUlT_E_NS1_11comp_targetILNS1_3genE10ELNS1_11target_archE1201ELNS1_3gpuE5ELNS1_3repE0EEENS1_30default_config_static_selectorELNS0_4arch9wavefront6targetE1EEEvSW_,"axG",@progbits,_ZN7rocprim17ROCPRIM_400000_NS6detail17trampoline_kernelINS0_14default_configENS1_29binary_search_config_selectorIdiEEZNS1_14transform_implILb0ES3_S5_N6thrust23THRUST_200600_302600_NS6detail15normal_iteratorINS8_7pointerIdNS8_11hip_rocprim5par_tENS8_11use_defaultESE_EEEENSA_INSB_IiSD_SE_SE_EEEEZNS1_13binary_searchIS3_S5_PdSG_SI_NS1_16binary_search_opENS9_16wrapped_functionINS8_6system6detail7generic6detail18binary_search_lessEbEEEE10hipError_tPvRmT1_T2_T3_mmT4_T5_P12ihipStream_tbEUlRKdE_EEST_SX_SY_mSZ_S12_bEUlT_E_NS1_11comp_targetILNS1_3genE10ELNS1_11target_archE1201ELNS1_3gpuE5ELNS1_3repE0EEENS1_30default_config_static_selectorELNS0_4arch9wavefront6targetE1EEEvSW_,comdat
.Lfunc_end248:
	.size	_ZN7rocprim17ROCPRIM_400000_NS6detail17trampoline_kernelINS0_14default_configENS1_29binary_search_config_selectorIdiEEZNS1_14transform_implILb0ES3_S5_N6thrust23THRUST_200600_302600_NS6detail15normal_iteratorINS8_7pointerIdNS8_11hip_rocprim5par_tENS8_11use_defaultESE_EEEENSA_INSB_IiSD_SE_SE_EEEEZNS1_13binary_searchIS3_S5_PdSG_SI_NS1_16binary_search_opENS9_16wrapped_functionINS8_6system6detail7generic6detail18binary_search_lessEbEEEE10hipError_tPvRmT1_T2_T3_mmT4_T5_P12ihipStream_tbEUlRKdE_EEST_SX_SY_mSZ_S12_bEUlT_E_NS1_11comp_targetILNS1_3genE10ELNS1_11target_archE1201ELNS1_3gpuE5ELNS1_3repE0EEENS1_30default_config_static_selectorELNS0_4arch9wavefront6targetE1EEEvSW_, .Lfunc_end248-_ZN7rocprim17ROCPRIM_400000_NS6detail17trampoline_kernelINS0_14default_configENS1_29binary_search_config_selectorIdiEEZNS1_14transform_implILb0ES3_S5_N6thrust23THRUST_200600_302600_NS6detail15normal_iteratorINS8_7pointerIdNS8_11hip_rocprim5par_tENS8_11use_defaultESE_EEEENSA_INSB_IiSD_SE_SE_EEEEZNS1_13binary_searchIS3_S5_PdSG_SI_NS1_16binary_search_opENS9_16wrapped_functionINS8_6system6detail7generic6detail18binary_search_lessEbEEEE10hipError_tPvRmT1_T2_T3_mmT4_T5_P12ihipStream_tbEUlRKdE_EEST_SX_SY_mSZ_S12_bEUlT_E_NS1_11comp_targetILNS1_3genE10ELNS1_11target_archE1201ELNS1_3gpuE5ELNS1_3repE0EEENS1_30default_config_static_selectorELNS0_4arch9wavefront6targetE1EEEvSW_
                                        ; -- End function
	.set _ZN7rocprim17ROCPRIM_400000_NS6detail17trampoline_kernelINS0_14default_configENS1_29binary_search_config_selectorIdiEEZNS1_14transform_implILb0ES3_S5_N6thrust23THRUST_200600_302600_NS6detail15normal_iteratorINS8_7pointerIdNS8_11hip_rocprim5par_tENS8_11use_defaultESE_EEEENSA_INSB_IiSD_SE_SE_EEEEZNS1_13binary_searchIS3_S5_PdSG_SI_NS1_16binary_search_opENS9_16wrapped_functionINS8_6system6detail7generic6detail18binary_search_lessEbEEEE10hipError_tPvRmT1_T2_T3_mmT4_T5_P12ihipStream_tbEUlRKdE_EEST_SX_SY_mSZ_S12_bEUlT_E_NS1_11comp_targetILNS1_3genE10ELNS1_11target_archE1201ELNS1_3gpuE5ELNS1_3repE0EEENS1_30default_config_static_selectorELNS0_4arch9wavefront6targetE1EEEvSW_.num_vgpr, 0
	.set _ZN7rocprim17ROCPRIM_400000_NS6detail17trampoline_kernelINS0_14default_configENS1_29binary_search_config_selectorIdiEEZNS1_14transform_implILb0ES3_S5_N6thrust23THRUST_200600_302600_NS6detail15normal_iteratorINS8_7pointerIdNS8_11hip_rocprim5par_tENS8_11use_defaultESE_EEEENSA_INSB_IiSD_SE_SE_EEEEZNS1_13binary_searchIS3_S5_PdSG_SI_NS1_16binary_search_opENS9_16wrapped_functionINS8_6system6detail7generic6detail18binary_search_lessEbEEEE10hipError_tPvRmT1_T2_T3_mmT4_T5_P12ihipStream_tbEUlRKdE_EEST_SX_SY_mSZ_S12_bEUlT_E_NS1_11comp_targetILNS1_3genE10ELNS1_11target_archE1201ELNS1_3gpuE5ELNS1_3repE0EEENS1_30default_config_static_selectorELNS0_4arch9wavefront6targetE1EEEvSW_.num_agpr, 0
	.set _ZN7rocprim17ROCPRIM_400000_NS6detail17trampoline_kernelINS0_14default_configENS1_29binary_search_config_selectorIdiEEZNS1_14transform_implILb0ES3_S5_N6thrust23THRUST_200600_302600_NS6detail15normal_iteratorINS8_7pointerIdNS8_11hip_rocprim5par_tENS8_11use_defaultESE_EEEENSA_INSB_IiSD_SE_SE_EEEEZNS1_13binary_searchIS3_S5_PdSG_SI_NS1_16binary_search_opENS9_16wrapped_functionINS8_6system6detail7generic6detail18binary_search_lessEbEEEE10hipError_tPvRmT1_T2_T3_mmT4_T5_P12ihipStream_tbEUlRKdE_EEST_SX_SY_mSZ_S12_bEUlT_E_NS1_11comp_targetILNS1_3genE10ELNS1_11target_archE1201ELNS1_3gpuE5ELNS1_3repE0EEENS1_30default_config_static_selectorELNS0_4arch9wavefront6targetE1EEEvSW_.numbered_sgpr, 0
	.set _ZN7rocprim17ROCPRIM_400000_NS6detail17trampoline_kernelINS0_14default_configENS1_29binary_search_config_selectorIdiEEZNS1_14transform_implILb0ES3_S5_N6thrust23THRUST_200600_302600_NS6detail15normal_iteratorINS8_7pointerIdNS8_11hip_rocprim5par_tENS8_11use_defaultESE_EEEENSA_INSB_IiSD_SE_SE_EEEEZNS1_13binary_searchIS3_S5_PdSG_SI_NS1_16binary_search_opENS9_16wrapped_functionINS8_6system6detail7generic6detail18binary_search_lessEbEEEE10hipError_tPvRmT1_T2_T3_mmT4_T5_P12ihipStream_tbEUlRKdE_EEST_SX_SY_mSZ_S12_bEUlT_E_NS1_11comp_targetILNS1_3genE10ELNS1_11target_archE1201ELNS1_3gpuE5ELNS1_3repE0EEENS1_30default_config_static_selectorELNS0_4arch9wavefront6targetE1EEEvSW_.num_named_barrier, 0
	.set _ZN7rocprim17ROCPRIM_400000_NS6detail17trampoline_kernelINS0_14default_configENS1_29binary_search_config_selectorIdiEEZNS1_14transform_implILb0ES3_S5_N6thrust23THRUST_200600_302600_NS6detail15normal_iteratorINS8_7pointerIdNS8_11hip_rocprim5par_tENS8_11use_defaultESE_EEEENSA_INSB_IiSD_SE_SE_EEEEZNS1_13binary_searchIS3_S5_PdSG_SI_NS1_16binary_search_opENS9_16wrapped_functionINS8_6system6detail7generic6detail18binary_search_lessEbEEEE10hipError_tPvRmT1_T2_T3_mmT4_T5_P12ihipStream_tbEUlRKdE_EEST_SX_SY_mSZ_S12_bEUlT_E_NS1_11comp_targetILNS1_3genE10ELNS1_11target_archE1201ELNS1_3gpuE5ELNS1_3repE0EEENS1_30default_config_static_selectorELNS0_4arch9wavefront6targetE1EEEvSW_.private_seg_size, 0
	.set _ZN7rocprim17ROCPRIM_400000_NS6detail17trampoline_kernelINS0_14default_configENS1_29binary_search_config_selectorIdiEEZNS1_14transform_implILb0ES3_S5_N6thrust23THRUST_200600_302600_NS6detail15normal_iteratorINS8_7pointerIdNS8_11hip_rocprim5par_tENS8_11use_defaultESE_EEEENSA_INSB_IiSD_SE_SE_EEEEZNS1_13binary_searchIS3_S5_PdSG_SI_NS1_16binary_search_opENS9_16wrapped_functionINS8_6system6detail7generic6detail18binary_search_lessEbEEEE10hipError_tPvRmT1_T2_T3_mmT4_T5_P12ihipStream_tbEUlRKdE_EEST_SX_SY_mSZ_S12_bEUlT_E_NS1_11comp_targetILNS1_3genE10ELNS1_11target_archE1201ELNS1_3gpuE5ELNS1_3repE0EEENS1_30default_config_static_selectorELNS0_4arch9wavefront6targetE1EEEvSW_.uses_vcc, 0
	.set _ZN7rocprim17ROCPRIM_400000_NS6detail17trampoline_kernelINS0_14default_configENS1_29binary_search_config_selectorIdiEEZNS1_14transform_implILb0ES3_S5_N6thrust23THRUST_200600_302600_NS6detail15normal_iteratorINS8_7pointerIdNS8_11hip_rocprim5par_tENS8_11use_defaultESE_EEEENSA_INSB_IiSD_SE_SE_EEEEZNS1_13binary_searchIS3_S5_PdSG_SI_NS1_16binary_search_opENS9_16wrapped_functionINS8_6system6detail7generic6detail18binary_search_lessEbEEEE10hipError_tPvRmT1_T2_T3_mmT4_T5_P12ihipStream_tbEUlRKdE_EEST_SX_SY_mSZ_S12_bEUlT_E_NS1_11comp_targetILNS1_3genE10ELNS1_11target_archE1201ELNS1_3gpuE5ELNS1_3repE0EEENS1_30default_config_static_selectorELNS0_4arch9wavefront6targetE1EEEvSW_.uses_flat_scratch, 0
	.set _ZN7rocprim17ROCPRIM_400000_NS6detail17trampoline_kernelINS0_14default_configENS1_29binary_search_config_selectorIdiEEZNS1_14transform_implILb0ES3_S5_N6thrust23THRUST_200600_302600_NS6detail15normal_iteratorINS8_7pointerIdNS8_11hip_rocprim5par_tENS8_11use_defaultESE_EEEENSA_INSB_IiSD_SE_SE_EEEEZNS1_13binary_searchIS3_S5_PdSG_SI_NS1_16binary_search_opENS9_16wrapped_functionINS8_6system6detail7generic6detail18binary_search_lessEbEEEE10hipError_tPvRmT1_T2_T3_mmT4_T5_P12ihipStream_tbEUlRKdE_EEST_SX_SY_mSZ_S12_bEUlT_E_NS1_11comp_targetILNS1_3genE10ELNS1_11target_archE1201ELNS1_3gpuE5ELNS1_3repE0EEENS1_30default_config_static_selectorELNS0_4arch9wavefront6targetE1EEEvSW_.has_dyn_sized_stack, 0
	.set _ZN7rocprim17ROCPRIM_400000_NS6detail17trampoline_kernelINS0_14default_configENS1_29binary_search_config_selectorIdiEEZNS1_14transform_implILb0ES3_S5_N6thrust23THRUST_200600_302600_NS6detail15normal_iteratorINS8_7pointerIdNS8_11hip_rocprim5par_tENS8_11use_defaultESE_EEEENSA_INSB_IiSD_SE_SE_EEEEZNS1_13binary_searchIS3_S5_PdSG_SI_NS1_16binary_search_opENS9_16wrapped_functionINS8_6system6detail7generic6detail18binary_search_lessEbEEEE10hipError_tPvRmT1_T2_T3_mmT4_T5_P12ihipStream_tbEUlRKdE_EEST_SX_SY_mSZ_S12_bEUlT_E_NS1_11comp_targetILNS1_3genE10ELNS1_11target_archE1201ELNS1_3gpuE5ELNS1_3repE0EEENS1_30default_config_static_selectorELNS0_4arch9wavefront6targetE1EEEvSW_.has_recursion, 0
	.set _ZN7rocprim17ROCPRIM_400000_NS6detail17trampoline_kernelINS0_14default_configENS1_29binary_search_config_selectorIdiEEZNS1_14transform_implILb0ES3_S5_N6thrust23THRUST_200600_302600_NS6detail15normal_iteratorINS8_7pointerIdNS8_11hip_rocprim5par_tENS8_11use_defaultESE_EEEENSA_INSB_IiSD_SE_SE_EEEEZNS1_13binary_searchIS3_S5_PdSG_SI_NS1_16binary_search_opENS9_16wrapped_functionINS8_6system6detail7generic6detail18binary_search_lessEbEEEE10hipError_tPvRmT1_T2_T3_mmT4_T5_P12ihipStream_tbEUlRKdE_EEST_SX_SY_mSZ_S12_bEUlT_E_NS1_11comp_targetILNS1_3genE10ELNS1_11target_archE1201ELNS1_3gpuE5ELNS1_3repE0EEENS1_30default_config_static_selectorELNS0_4arch9wavefront6targetE1EEEvSW_.has_indirect_call, 0
	.section	.AMDGPU.csdata,"",@progbits
; Kernel info:
; codeLenInByte = 0
; TotalNumSgprs: 4
; NumVgprs: 0
; ScratchSize: 0
; MemoryBound: 0
; FloatMode: 240
; IeeeMode: 1
; LDSByteSize: 0 bytes/workgroup (compile time only)
; SGPRBlocks: 0
; VGPRBlocks: 0
; NumSGPRsForWavesPerEU: 4
; NumVGPRsForWavesPerEU: 1
; Occupancy: 10
; WaveLimiterHint : 0
; COMPUTE_PGM_RSRC2:SCRATCH_EN: 0
; COMPUTE_PGM_RSRC2:USER_SGPR: 6
; COMPUTE_PGM_RSRC2:TRAP_HANDLER: 0
; COMPUTE_PGM_RSRC2:TGID_X_EN: 1
; COMPUTE_PGM_RSRC2:TGID_Y_EN: 0
; COMPUTE_PGM_RSRC2:TGID_Z_EN: 0
; COMPUTE_PGM_RSRC2:TIDIG_COMP_CNT: 0
	.section	.text._ZN7rocprim17ROCPRIM_400000_NS6detail17trampoline_kernelINS0_14default_configENS1_29binary_search_config_selectorIdiEEZNS1_14transform_implILb0ES3_S5_N6thrust23THRUST_200600_302600_NS6detail15normal_iteratorINS8_7pointerIdNS8_11hip_rocprim5par_tENS8_11use_defaultESE_EEEENSA_INSB_IiSD_SE_SE_EEEEZNS1_13binary_searchIS3_S5_PdSG_SI_NS1_16binary_search_opENS9_16wrapped_functionINS8_6system6detail7generic6detail18binary_search_lessEbEEEE10hipError_tPvRmT1_T2_T3_mmT4_T5_P12ihipStream_tbEUlRKdE_EEST_SX_SY_mSZ_S12_bEUlT_E_NS1_11comp_targetILNS1_3genE10ELNS1_11target_archE1200ELNS1_3gpuE4ELNS1_3repE0EEENS1_30default_config_static_selectorELNS0_4arch9wavefront6targetE1EEEvSW_,"axG",@progbits,_ZN7rocprim17ROCPRIM_400000_NS6detail17trampoline_kernelINS0_14default_configENS1_29binary_search_config_selectorIdiEEZNS1_14transform_implILb0ES3_S5_N6thrust23THRUST_200600_302600_NS6detail15normal_iteratorINS8_7pointerIdNS8_11hip_rocprim5par_tENS8_11use_defaultESE_EEEENSA_INSB_IiSD_SE_SE_EEEEZNS1_13binary_searchIS3_S5_PdSG_SI_NS1_16binary_search_opENS9_16wrapped_functionINS8_6system6detail7generic6detail18binary_search_lessEbEEEE10hipError_tPvRmT1_T2_T3_mmT4_T5_P12ihipStream_tbEUlRKdE_EEST_SX_SY_mSZ_S12_bEUlT_E_NS1_11comp_targetILNS1_3genE10ELNS1_11target_archE1200ELNS1_3gpuE4ELNS1_3repE0EEENS1_30default_config_static_selectorELNS0_4arch9wavefront6targetE1EEEvSW_,comdat
	.protected	_ZN7rocprim17ROCPRIM_400000_NS6detail17trampoline_kernelINS0_14default_configENS1_29binary_search_config_selectorIdiEEZNS1_14transform_implILb0ES3_S5_N6thrust23THRUST_200600_302600_NS6detail15normal_iteratorINS8_7pointerIdNS8_11hip_rocprim5par_tENS8_11use_defaultESE_EEEENSA_INSB_IiSD_SE_SE_EEEEZNS1_13binary_searchIS3_S5_PdSG_SI_NS1_16binary_search_opENS9_16wrapped_functionINS8_6system6detail7generic6detail18binary_search_lessEbEEEE10hipError_tPvRmT1_T2_T3_mmT4_T5_P12ihipStream_tbEUlRKdE_EEST_SX_SY_mSZ_S12_bEUlT_E_NS1_11comp_targetILNS1_3genE10ELNS1_11target_archE1200ELNS1_3gpuE4ELNS1_3repE0EEENS1_30default_config_static_selectorELNS0_4arch9wavefront6targetE1EEEvSW_ ; -- Begin function _ZN7rocprim17ROCPRIM_400000_NS6detail17trampoline_kernelINS0_14default_configENS1_29binary_search_config_selectorIdiEEZNS1_14transform_implILb0ES3_S5_N6thrust23THRUST_200600_302600_NS6detail15normal_iteratorINS8_7pointerIdNS8_11hip_rocprim5par_tENS8_11use_defaultESE_EEEENSA_INSB_IiSD_SE_SE_EEEEZNS1_13binary_searchIS3_S5_PdSG_SI_NS1_16binary_search_opENS9_16wrapped_functionINS8_6system6detail7generic6detail18binary_search_lessEbEEEE10hipError_tPvRmT1_T2_T3_mmT4_T5_P12ihipStream_tbEUlRKdE_EEST_SX_SY_mSZ_S12_bEUlT_E_NS1_11comp_targetILNS1_3genE10ELNS1_11target_archE1200ELNS1_3gpuE4ELNS1_3repE0EEENS1_30default_config_static_selectorELNS0_4arch9wavefront6targetE1EEEvSW_
	.globl	_ZN7rocprim17ROCPRIM_400000_NS6detail17trampoline_kernelINS0_14default_configENS1_29binary_search_config_selectorIdiEEZNS1_14transform_implILb0ES3_S5_N6thrust23THRUST_200600_302600_NS6detail15normal_iteratorINS8_7pointerIdNS8_11hip_rocprim5par_tENS8_11use_defaultESE_EEEENSA_INSB_IiSD_SE_SE_EEEEZNS1_13binary_searchIS3_S5_PdSG_SI_NS1_16binary_search_opENS9_16wrapped_functionINS8_6system6detail7generic6detail18binary_search_lessEbEEEE10hipError_tPvRmT1_T2_T3_mmT4_T5_P12ihipStream_tbEUlRKdE_EEST_SX_SY_mSZ_S12_bEUlT_E_NS1_11comp_targetILNS1_3genE10ELNS1_11target_archE1200ELNS1_3gpuE4ELNS1_3repE0EEENS1_30default_config_static_selectorELNS0_4arch9wavefront6targetE1EEEvSW_
	.p2align	8
	.type	_ZN7rocprim17ROCPRIM_400000_NS6detail17trampoline_kernelINS0_14default_configENS1_29binary_search_config_selectorIdiEEZNS1_14transform_implILb0ES3_S5_N6thrust23THRUST_200600_302600_NS6detail15normal_iteratorINS8_7pointerIdNS8_11hip_rocprim5par_tENS8_11use_defaultESE_EEEENSA_INSB_IiSD_SE_SE_EEEEZNS1_13binary_searchIS3_S5_PdSG_SI_NS1_16binary_search_opENS9_16wrapped_functionINS8_6system6detail7generic6detail18binary_search_lessEbEEEE10hipError_tPvRmT1_T2_T3_mmT4_T5_P12ihipStream_tbEUlRKdE_EEST_SX_SY_mSZ_S12_bEUlT_E_NS1_11comp_targetILNS1_3genE10ELNS1_11target_archE1200ELNS1_3gpuE4ELNS1_3repE0EEENS1_30default_config_static_selectorELNS0_4arch9wavefront6targetE1EEEvSW_,@function
_ZN7rocprim17ROCPRIM_400000_NS6detail17trampoline_kernelINS0_14default_configENS1_29binary_search_config_selectorIdiEEZNS1_14transform_implILb0ES3_S5_N6thrust23THRUST_200600_302600_NS6detail15normal_iteratorINS8_7pointerIdNS8_11hip_rocprim5par_tENS8_11use_defaultESE_EEEENSA_INSB_IiSD_SE_SE_EEEEZNS1_13binary_searchIS3_S5_PdSG_SI_NS1_16binary_search_opENS9_16wrapped_functionINS8_6system6detail7generic6detail18binary_search_lessEbEEEE10hipError_tPvRmT1_T2_T3_mmT4_T5_P12ihipStream_tbEUlRKdE_EEST_SX_SY_mSZ_S12_bEUlT_E_NS1_11comp_targetILNS1_3genE10ELNS1_11target_archE1200ELNS1_3gpuE4ELNS1_3repE0EEENS1_30default_config_static_selectorELNS0_4arch9wavefront6targetE1EEEvSW_: ; @_ZN7rocprim17ROCPRIM_400000_NS6detail17trampoline_kernelINS0_14default_configENS1_29binary_search_config_selectorIdiEEZNS1_14transform_implILb0ES3_S5_N6thrust23THRUST_200600_302600_NS6detail15normal_iteratorINS8_7pointerIdNS8_11hip_rocprim5par_tENS8_11use_defaultESE_EEEENSA_INSB_IiSD_SE_SE_EEEEZNS1_13binary_searchIS3_S5_PdSG_SI_NS1_16binary_search_opENS9_16wrapped_functionINS8_6system6detail7generic6detail18binary_search_lessEbEEEE10hipError_tPvRmT1_T2_T3_mmT4_T5_P12ihipStream_tbEUlRKdE_EEST_SX_SY_mSZ_S12_bEUlT_E_NS1_11comp_targetILNS1_3genE10ELNS1_11target_archE1200ELNS1_3gpuE4ELNS1_3repE0EEENS1_30default_config_static_selectorELNS0_4arch9wavefront6targetE1EEEvSW_
; %bb.0:
	.section	.rodata,"a",@progbits
	.p2align	6, 0x0
	.amdhsa_kernel _ZN7rocprim17ROCPRIM_400000_NS6detail17trampoline_kernelINS0_14default_configENS1_29binary_search_config_selectorIdiEEZNS1_14transform_implILb0ES3_S5_N6thrust23THRUST_200600_302600_NS6detail15normal_iteratorINS8_7pointerIdNS8_11hip_rocprim5par_tENS8_11use_defaultESE_EEEENSA_INSB_IiSD_SE_SE_EEEEZNS1_13binary_searchIS3_S5_PdSG_SI_NS1_16binary_search_opENS9_16wrapped_functionINS8_6system6detail7generic6detail18binary_search_lessEbEEEE10hipError_tPvRmT1_T2_T3_mmT4_T5_P12ihipStream_tbEUlRKdE_EEST_SX_SY_mSZ_S12_bEUlT_E_NS1_11comp_targetILNS1_3genE10ELNS1_11target_archE1200ELNS1_3gpuE4ELNS1_3repE0EEENS1_30default_config_static_selectorELNS0_4arch9wavefront6targetE1EEEvSW_
		.amdhsa_group_segment_fixed_size 0
		.amdhsa_private_segment_fixed_size 0
		.amdhsa_kernarg_size 56
		.amdhsa_user_sgpr_count 6
		.amdhsa_user_sgpr_private_segment_buffer 1
		.amdhsa_user_sgpr_dispatch_ptr 0
		.amdhsa_user_sgpr_queue_ptr 0
		.amdhsa_user_sgpr_kernarg_segment_ptr 1
		.amdhsa_user_sgpr_dispatch_id 0
		.amdhsa_user_sgpr_flat_scratch_init 0
		.amdhsa_user_sgpr_private_segment_size 0
		.amdhsa_uses_dynamic_stack 0
		.amdhsa_system_sgpr_private_segment_wavefront_offset 0
		.amdhsa_system_sgpr_workgroup_id_x 1
		.amdhsa_system_sgpr_workgroup_id_y 0
		.amdhsa_system_sgpr_workgroup_id_z 0
		.amdhsa_system_sgpr_workgroup_info 0
		.amdhsa_system_vgpr_workitem_id 0
		.amdhsa_next_free_vgpr 1
		.amdhsa_next_free_sgpr 0
		.amdhsa_reserve_vcc 0
		.amdhsa_reserve_flat_scratch 0
		.amdhsa_float_round_mode_32 0
		.amdhsa_float_round_mode_16_64 0
		.amdhsa_float_denorm_mode_32 3
		.amdhsa_float_denorm_mode_16_64 3
		.amdhsa_dx10_clamp 1
		.amdhsa_ieee_mode 1
		.amdhsa_fp16_overflow 0
		.amdhsa_exception_fp_ieee_invalid_op 0
		.amdhsa_exception_fp_denorm_src 0
		.amdhsa_exception_fp_ieee_div_zero 0
		.amdhsa_exception_fp_ieee_overflow 0
		.amdhsa_exception_fp_ieee_underflow 0
		.amdhsa_exception_fp_ieee_inexact 0
		.amdhsa_exception_int_div_zero 0
	.end_amdhsa_kernel
	.section	.text._ZN7rocprim17ROCPRIM_400000_NS6detail17trampoline_kernelINS0_14default_configENS1_29binary_search_config_selectorIdiEEZNS1_14transform_implILb0ES3_S5_N6thrust23THRUST_200600_302600_NS6detail15normal_iteratorINS8_7pointerIdNS8_11hip_rocprim5par_tENS8_11use_defaultESE_EEEENSA_INSB_IiSD_SE_SE_EEEEZNS1_13binary_searchIS3_S5_PdSG_SI_NS1_16binary_search_opENS9_16wrapped_functionINS8_6system6detail7generic6detail18binary_search_lessEbEEEE10hipError_tPvRmT1_T2_T3_mmT4_T5_P12ihipStream_tbEUlRKdE_EEST_SX_SY_mSZ_S12_bEUlT_E_NS1_11comp_targetILNS1_3genE10ELNS1_11target_archE1200ELNS1_3gpuE4ELNS1_3repE0EEENS1_30default_config_static_selectorELNS0_4arch9wavefront6targetE1EEEvSW_,"axG",@progbits,_ZN7rocprim17ROCPRIM_400000_NS6detail17trampoline_kernelINS0_14default_configENS1_29binary_search_config_selectorIdiEEZNS1_14transform_implILb0ES3_S5_N6thrust23THRUST_200600_302600_NS6detail15normal_iteratorINS8_7pointerIdNS8_11hip_rocprim5par_tENS8_11use_defaultESE_EEEENSA_INSB_IiSD_SE_SE_EEEEZNS1_13binary_searchIS3_S5_PdSG_SI_NS1_16binary_search_opENS9_16wrapped_functionINS8_6system6detail7generic6detail18binary_search_lessEbEEEE10hipError_tPvRmT1_T2_T3_mmT4_T5_P12ihipStream_tbEUlRKdE_EEST_SX_SY_mSZ_S12_bEUlT_E_NS1_11comp_targetILNS1_3genE10ELNS1_11target_archE1200ELNS1_3gpuE4ELNS1_3repE0EEENS1_30default_config_static_selectorELNS0_4arch9wavefront6targetE1EEEvSW_,comdat
.Lfunc_end249:
	.size	_ZN7rocprim17ROCPRIM_400000_NS6detail17trampoline_kernelINS0_14default_configENS1_29binary_search_config_selectorIdiEEZNS1_14transform_implILb0ES3_S5_N6thrust23THRUST_200600_302600_NS6detail15normal_iteratorINS8_7pointerIdNS8_11hip_rocprim5par_tENS8_11use_defaultESE_EEEENSA_INSB_IiSD_SE_SE_EEEEZNS1_13binary_searchIS3_S5_PdSG_SI_NS1_16binary_search_opENS9_16wrapped_functionINS8_6system6detail7generic6detail18binary_search_lessEbEEEE10hipError_tPvRmT1_T2_T3_mmT4_T5_P12ihipStream_tbEUlRKdE_EEST_SX_SY_mSZ_S12_bEUlT_E_NS1_11comp_targetILNS1_3genE10ELNS1_11target_archE1200ELNS1_3gpuE4ELNS1_3repE0EEENS1_30default_config_static_selectorELNS0_4arch9wavefront6targetE1EEEvSW_, .Lfunc_end249-_ZN7rocprim17ROCPRIM_400000_NS6detail17trampoline_kernelINS0_14default_configENS1_29binary_search_config_selectorIdiEEZNS1_14transform_implILb0ES3_S5_N6thrust23THRUST_200600_302600_NS6detail15normal_iteratorINS8_7pointerIdNS8_11hip_rocprim5par_tENS8_11use_defaultESE_EEEENSA_INSB_IiSD_SE_SE_EEEEZNS1_13binary_searchIS3_S5_PdSG_SI_NS1_16binary_search_opENS9_16wrapped_functionINS8_6system6detail7generic6detail18binary_search_lessEbEEEE10hipError_tPvRmT1_T2_T3_mmT4_T5_P12ihipStream_tbEUlRKdE_EEST_SX_SY_mSZ_S12_bEUlT_E_NS1_11comp_targetILNS1_3genE10ELNS1_11target_archE1200ELNS1_3gpuE4ELNS1_3repE0EEENS1_30default_config_static_selectorELNS0_4arch9wavefront6targetE1EEEvSW_
                                        ; -- End function
	.set _ZN7rocprim17ROCPRIM_400000_NS6detail17trampoline_kernelINS0_14default_configENS1_29binary_search_config_selectorIdiEEZNS1_14transform_implILb0ES3_S5_N6thrust23THRUST_200600_302600_NS6detail15normal_iteratorINS8_7pointerIdNS8_11hip_rocprim5par_tENS8_11use_defaultESE_EEEENSA_INSB_IiSD_SE_SE_EEEEZNS1_13binary_searchIS3_S5_PdSG_SI_NS1_16binary_search_opENS9_16wrapped_functionINS8_6system6detail7generic6detail18binary_search_lessEbEEEE10hipError_tPvRmT1_T2_T3_mmT4_T5_P12ihipStream_tbEUlRKdE_EEST_SX_SY_mSZ_S12_bEUlT_E_NS1_11comp_targetILNS1_3genE10ELNS1_11target_archE1200ELNS1_3gpuE4ELNS1_3repE0EEENS1_30default_config_static_selectorELNS0_4arch9wavefront6targetE1EEEvSW_.num_vgpr, 0
	.set _ZN7rocprim17ROCPRIM_400000_NS6detail17trampoline_kernelINS0_14default_configENS1_29binary_search_config_selectorIdiEEZNS1_14transform_implILb0ES3_S5_N6thrust23THRUST_200600_302600_NS6detail15normal_iteratorINS8_7pointerIdNS8_11hip_rocprim5par_tENS8_11use_defaultESE_EEEENSA_INSB_IiSD_SE_SE_EEEEZNS1_13binary_searchIS3_S5_PdSG_SI_NS1_16binary_search_opENS9_16wrapped_functionINS8_6system6detail7generic6detail18binary_search_lessEbEEEE10hipError_tPvRmT1_T2_T3_mmT4_T5_P12ihipStream_tbEUlRKdE_EEST_SX_SY_mSZ_S12_bEUlT_E_NS1_11comp_targetILNS1_3genE10ELNS1_11target_archE1200ELNS1_3gpuE4ELNS1_3repE0EEENS1_30default_config_static_selectorELNS0_4arch9wavefront6targetE1EEEvSW_.num_agpr, 0
	.set _ZN7rocprim17ROCPRIM_400000_NS6detail17trampoline_kernelINS0_14default_configENS1_29binary_search_config_selectorIdiEEZNS1_14transform_implILb0ES3_S5_N6thrust23THRUST_200600_302600_NS6detail15normal_iteratorINS8_7pointerIdNS8_11hip_rocprim5par_tENS8_11use_defaultESE_EEEENSA_INSB_IiSD_SE_SE_EEEEZNS1_13binary_searchIS3_S5_PdSG_SI_NS1_16binary_search_opENS9_16wrapped_functionINS8_6system6detail7generic6detail18binary_search_lessEbEEEE10hipError_tPvRmT1_T2_T3_mmT4_T5_P12ihipStream_tbEUlRKdE_EEST_SX_SY_mSZ_S12_bEUlT_E_NS1_11comp_targetILNS1_3genE10ELNS1_11target_archE1200ELNS1_3gpuE4ELNS1_3repE0EEENS1_30default_config_static_selectorELNS0_4arch9wavefront6targetE1EEEvSW_.numbered_sgpr, 0
	.set _ZN7rocprim17ROCPRIM_400000_NS6detail17trampoline_kernelINS0_14default_configENS1_29binary_search_config_selectorIdiEEZNS1_14transform_implILb0ES3_S5_N6thrust23THRUST_200600_302600_NS6detail15normal_iteratorINS8_7pointerIdNS8_11hip_rocprim5par_tENS8_11use_defaultESE_EEEENSA_INSB_IiSD_SE_SE_EEEEZNS1_13binary_searchIS3_S5_PdSG_SI_NS1_16binary_search_opENS9_16wrapped_functionINS8_6system6detail7generic6detail18binary_search_lessEbEEEE10hipError_tPvRmT1_T2_T3_mmT4_T5_P12ihipStream_tbEUlRKdE_EEST_SX_SY_mSZ_S12_bEUlT_E_NS1_11comp_targetILNS1_3genE10ELNS1_11target_archE1200ELNS1_3gpuE4ELNS1_3repE0EEENS1_30default_config_static_selectorELNS0_4arch9wavefront6targetE1EEEvSW_.num_named_barrier, 0
	.set _ZN7rocprim17ROCPRIM_400000_NS6detail17trampoline_kernelINS0_14default_configENS1_29binary_search_config_selectorIdiEEZNS1_14transform_implILb0ES3_S5_N6thrust23THRUST_200600_302600_NS6detail15normal_iteratorINS8_7pointerIdNS8_11hip_rocprim5par_tENS8_11use_defaultESE_EEEENSA_INSB_IiSD_SE_SE_EEEEZNS1_13binary_searchIS3_S5_PdSG_SI_NS1_16binary_search_opENS9_16wrapped_functionINS8_6system6detail7generic6detail18binary_search_lessEbEEEE10hipError_tPvRmT1_T2_T3_mmT4_T5_P12ihipStream_tbEUlRKdE_EEST_SX_SY_mSZ_S12_bEUlT_E_NS1_11comp_targetILNS1_3genE10ELNS1_11target_archE1200ELNS1_3gpuE4ELNS1_3repE0EEENS1_30default_config_static_selectorELNS0_4arch9wavefront6targetE1EEEvSW_.private_seg_size, 0
	.set _ZN7rocprim17ROCPRIM_400000_NS6detail17trampoline_kernelINS0_14default_configENS1_29binary_search_config_selectorIdiEEZNS1_14transform_implILb0ES3_S5_N6thrust23THRUST_200600_302600_NS6detail15normal_iteratorINS8_7pointerIdNS8_11hip_rocprim5par_tENS8_11use_defaultESE_EEEENSA_INSB_IiSD_SE_SE_EEEEZNS1_13binary_searchIS3_S5_PdSG_SI_NS1_16binary_search_opENS9_16wrapped_functionINS8_6system6detail7generic6detail18binary_search_lessEbEEEE10hipError_tPvRmT1_T2_T3_mmT4_T5_P12ihipStream_tbEUlRKdE_EEST_SX_SY_mSZ_S12_bEUlT_E_NS1_11comp_targetILNS1_3genE10ELNS1_11target_archE1200ELNS1_3gpuE4ELNS1_3repE0EEENS1_30default_config_static_selectorELNS0_4arch9wavefront6targetE1EEEvSW_.uses_vcc, 0
	.set _ZN7rocprim17ROCPRIM_400000_NS6detail17trampoline_kernelINS0_14default_configENS1_29binary_search_config_selectorIdiEEZNS1_14transform_implILb0ES3_S5_N6thrust23THRUST_200600_302600_NS6detail15normal_iteratorINS8_7pointerIdNS8_11hip_rocprim5par_tENS8_11use_defaultESE_EEEENSA_INSB_IiSD_SE_SE_EEEEZNS1_13binary_searchIS3_S5_PdSG_SI_NS1_16binary_search_opENS9_16wrapped_functionINS8_6system6detail7generic6detail18binary_search_lessEbEEEE10hipError_tPvRmT1_T2_T3_mmT4_T5_P12ihipStream_tbEUlRKdE_EEST_SX_SY_mSZ_S12_bEUlT_E_NS1_11comp_targetILNS1_3genE10ELNS1_11target_archE1200ELNS1_3gpuE4ELNS1_3repE0EEENS1_30default_config_static_selectorELNS0_4arch9wavefront6targetE1EEEvSW_.uses_flat_scratch, 0
	.set _ZN7rocprim17ROCPRIM_400000_NS6detail17trampoline_kernelINS0_14default_configENS1_29binary_search_config_selectorIdiEEZNS1_14transform_implILb0ES3_S5_N6thrust23THRUST_200600_302600_NS6detail15normal_iteratorINS8_7pointerIdNS8_11hip_rocprim5par_tENS8_11use_defaultESE_EEEENSA_INSB_IiSD_SE_SE_EEEEZNS1_13binary_searchIS3_S5_PdSG_SI_NS1_16binary_search_opENS9_16wrapped_functionINS8_6system6detail7generic6detail18binary_search_lessEbEEEE10hipError_tPvRmT1_T2_T3_mmT4_T5_P12ihipStream_tbEUlRKdE_EEST_SX_SY_mSZ_S12_bEUlT_E_NS1_11comp_targetILNS1_3genE10ELNS1_11target_archE1200ELNS1_3gpuE4ELNS1_3repE0EEENS1_30default_config_static_selectorELNS0_4arch9wavefront6targetE1EEEvSW_.has_dyn_sized_stack, 0
	.set _ZN7rocprim17ROCPRIM_400000_NS6detail17trampoline_kernelINS0_14default_configENS1_29binary_search_config_selectorIdiEEZNS1_14transform_implILb0ES3_S5_N6thrust23THRUST_200600_302600_NS6detail15normal_iteratorINS8_7pointerIdNS8_11hip_rocprim5par_tENS8_11use_defaultESE_EEEENSA_INSB_IiSD_SE_SE_EEEEZNS1_13binary_searchIS3_S5_PdSG_SI_NS1_16binary_search_opENS9_16wrapped_functionINS8_6system6detail7generic6detail18binary_search_lessEbEEEE10hipError_tPvRmT1_T2_T3_mmT4_T5_P12ihipStream_tbEUlRKdE_EEST_SX_SY_mSZ_S12_bEUlT_E_NS1_11comp_targetILNS1_3genE10ELNS1_11target_archE1200ELNS1_3gpuE4ELNS1_3repE0EEENS1_30default_config_static_selectorELNS0_4arch9wavefront6targetE1EEEvSW_.has_recursion, 0
	.set _ZN7rocprim17ROCPRIM_400000_NS6detail17trampoline_kernelINS0_14default_configENS1_29binary_search_config_selectorIdiEEZNS1_14transform_implILb0ES3_S5_N6thrust23THRUST_200600_302600_NS6detail15normal_iteratorINS8_7pointerIdNS8_11hip_rocprim5par_tENS8_11use_defaultESE_EEEENSA_INSB_IiSD_SE_SE_EEEEZNS1_13binary_searchIS3_S5_PdSG_SI_NS1_16binary_search_opENS9_16wrapped_functionINS8_6system6detail7generic6detail18binary_search_lessEbEEEE10hipError_tPvRmT1_T2_T3_mmT4_T5_P12ihipStream_tbEUlRKdE_EEST_SX_SY_mSZ_S12_bEUlT_E_NS1_11comp_targetILNS1_3genE10ELNS1_11target_archE1200ELNS1_3gpuE4ELNS1_3repE0EEENS1_30default_config_static_selectorELNS0_4arch9wavefront6targetE1EEEvSW_.has_indirect_call, 0
	.section	.AMDGPU.csdata,"",@progbits
; Kernel info:
; codeLenInByte = 0
; TotalNumSgprs: 4
; NumVgprs: 0
; ScratchSize: 0
; MemoryBound: 0
; FloatMode: 240
; IeeeMode: 1
; LDSByteSize: 0 bytes/workgroup (compile time only)
; SGPRBlocks: 0
; VGPRBlocks: 0
; NumSGPRsForWavesPerEU: 4
; NumVGPRsForWavesPerEU: 1
; Occupancy: 10
; WaveLimiterHint : 0
; COMPUTE_PGM_RSRC2:SCRATCH_EN: 0
; COMPUTE_PGM_RSRC2:USER_SGPR: 6
; COMPUTE_PGM_RSRC2:TRAP_HANDLER: 0
; COMPUTE_PGM_RSRC2:TGID_X_EN: 1
; COMPUTE_PGM_RSRC2:TGID_Y_EN: 0
; COMPUTE_PGM_RSRC2:TGID_Z_EN: 0
; COMPUTE_PGM_RSRC2:TIDIG_COMP_CNT: 0
	.section	.text._ZN7rocprim17ROCPRIM_400000_NS6detail17trampoline_kernelINS0_14default_configENS1_29binary_search_config_selectorIdiEEZNS1_14transform_implILb0ES3_S5_N6thrust23THRUST_200600_302600_NS6detail15normal_iteratorINS8_7pointerIdNS8_11hip_rocprim5par_tENS8_11use_defaultESE_EEEENSA_INSB_IiSD_SE_SE_EEEEZNS1_13binary_searchIS3_S5_PdSG_SI_NS1_16binary_search_opENS9_16wrapped_functionINS8_6system6detail7generic6detail18binary_search_lessEbEEEE10hipError_tPvRmT1_T2_T3_mmT4_T5_P12ihipStream_tbEUlRKdE_EEST_SX_SY_mSZ_S12_bEUlT_E_NS1_11comp_targetILNS1_3genE9ELNS1_11target_archE1100ELNS1_3gpuE3ELNS1_3repE0EEENS1_30default_config_static_selectorELNS0_4arch9wavefront6targetE1EEEvSW_,"axG",@progbits,_ZN7rocprim17ROCPRIM_400000_NS6detail17trampoline_kernelINS0_14default_configENS1_29binary_search_config_selectorIdiEEZNS1_14transform_implILb0ES3_S5_N6thrust23THRUST_200600_302600_NS6detail15normal_iteratorINS8_7pointerIdNS8_11hip_rocprim5par_tENS8_11use_defaultESE_EEEENSA_INSB_IiSD_SE_SE_EEEEZNS1_13binary_searchIS3_S5_PdSG_SI_NS1_16binary_search_opENS9_16wrapped_functionINS8_6system6detail7generic6detail18binary_search_lessEbEEEE10hipError_tPvRmT1_T2_T3_mmT4_T5_P12ihipStream_tbEUlRKdE_EEST_SX_SY_mSZ_S12_bEUlT_E_NS1_11comp_targetILNS1_3genE9ELNS1_11target_archE1100ELNS1_3gpuE3ELNS1_3repE0EEENS1_30default_config_static_selectorELNS0_4arch9wavefront6targetE1EEEvSW_,comdat
	.protected	_ZN7rocprim17ROCPRIM_400000_NS6detail17trampoline_kernelINS0_14default_configENS1_29binary_search_config_selectorIdiEEZNS1_14transform_implILb0ES3_S5_N6thrust23THRUST_200600_302600_NS6detail15normal_iteratorINS8_7pointerIdNS8_11hip_rocprim5par_tENS8_11use_defaultESE_EEEENSA_INSB_IiSD_SE_SE_EEEEZNS1_13binary_searchIS3_S5_PdSG_SI_NS1_16binary_search_opENS9_16wrapped_functionINS8_6system6detail7generic6detail18binary_search_lessEbEEEE10hipError_tPvRmT1_T2_T3_mmT4_T5_P12ihipStream_tbEUlRKdE_EEST_SX_SY_mSZ_S12_bEUlT_E_NS1_11comp_targetILNS1_3genE9ELNS1_11target_archE1100ELNS1_3gpuE3ELNS1_3repE0EEENS1_30default_config_static_selectorELNS0_4arch9wavefront6targetE1EEEvSW_ ; -- Begin function _ZN7rocprim17ROCPRIM_400000_NS6detail17trampoline_kernelINS0_14default_configENS1_29binary_search_config_selectorIdiEEZNS1_14transform_implILb0ES3_S5_N6thrust23THRUST_200600_302600_NS6detail15normal_iteratorINS8_7pointerIdNS8_11hip_rocprim5par_tENS8_11use_defaultESE_EEEENSA_INSB_IiSD_SE_SE_EEEEZNS1_13binary_searchIS3_S5_PdSG_SI_NS1_16binary_search_opENS9_16wrapped_functionINS8_6system6detail7generic6detail18binary_search_lessEbEEEE10hipError_tPvRmT1_T2_T3_mmT4_T5_P12ihipStream_tbEUlRKdE_EEST_SX_SY_mSZ_S12_bEUlT_E_NS1_11comp_targetILNS1_3genE9ELNS1_11target_archE1100ELNS1_3gpuE3ELNS1_3repE0EEENS1_30default_config_static_selectorELNS0_4arch9wavefront6targetE1EEEvSW_
	.globl	_ZN7rocprim17ROCPRIM_400000_NS6detail17trampoline_kernelINS0_14default_configENS1_29binary_search_config_selectorIdiEEZNS1_14transform_implILb0ES3_S5_N6thrust23THRUST_200600_302600_NS6detail15normal_iteratorINS8_7pointerIdNS8_11hip_rocprim5par_tENS8_11use_defaultESE_EEEENSA_INSB_IiSD_SE_SE_EEEEZNS1_13binary_searchIS3_S5_PdSG_SI_NS1_16binary_search_opENS9_16wrapped_functionINS8_6system6detail7generic6detail18binary_search_lessEbEEEE10hipError_tPvRmT1_T2_T3_mmT4_T5_P12ihipStream_tbEUlRKdE_EEST_SX_SY_mSZ_S12_bEUlT_E_NS1_11comp_targetILNS1_3genE9ELNS1_11target_archE1100ELNS1_3gpuE3ELNS1_3repE0EEENS1_30default_config_static_selectorELNS0_4arch9wavefront6targetE1EEEvSW_
	.p2align	8
	.type	_ZN7rocprim17ROCPRIM_400000_NS6detail17trampoline_kernelINS0_14default_configENS1_29binary_search_config_selectorIdiEEZNS1_14transform_implILb0ES3_S5_N6thrust23THRUST_200600_302600_NS6detail15normal_iteratorINS8_7pointerIdNS8_11hip_rocprim5par_tENS8_11use_defaultESE_EEEENSA_INSB_IiSD_SE_SE_EEEEZNS1_13binary_searchIS3_S5_PdSG_SI_NS1_16binary_search_opENS9_16wrapped_functionINS8_6system6detail7generic6detail18binary_search_lessEbEEEE10hipError_tPvRmT1_T2_T3_mmT4_T5_P12ihipStream_tbEUlRKdE_EEST_SX_SY_mSZ_S12_bEUlT_E_NS1_11comp_targetILNS1_3genE9ELNS1_11target_archE1100ELNS1_3gpuE3ELNS1_3repE0EEENS1_30default_config_static_selectorELNS0_4arch9wavefront6targetE1EEEvSW_,@function
_ZN7rocprim17ROCPRIM_400000_NS6detail17trampoline_kernelINS0_14default_configENS1_29binary_search_config_selectorIdiEEZNS1_14transform_implILb0ES3_S5_N6thrust23THRUST_200600_302600_NS6detail15normal_iteratorINS8_7pointerIdNS8_11hip_rocprim5par_tENS8_11use_defaultESE_EEEENSA_INSB_IiSD_SE_SE_EEEEZNS1_13binary_searchIS3_S5_PdSG_SI_NS1_16binary_search_opENS9_16wrapped_functionINS8_6system6detail7generic6detail18binary_search_lessEbEEEE10hipError_tPvRmT1_T2_T3_mmT4_T5_P12ihipStream_tbEUlRKdE_EEST_SX_SY_mSZ_S12_bEUlT_E_NS1_11comp_targetILNS1_3genE9ELNS1_11target_archE1100ELNS1_3gpuE3ELNS1_3repE0EEENS1_30default_config_static_selectorELNS0_4arch9wavefront6targetE1EEEvSW_: ; @_ZN7rocprim17ROCPRIM_400000_NS6detail17trampoline_kernelINS0_14default_configENS1_29binary_search_config_selectorIdiEEZNS1_14transform_implILb0ES3_S5_N6thrust23THRUST_200600_302600_NS6detail15normal_iteratorINS8_7pointerIdNS8_11hip_rocprim5par_tENS8_11use_defaultESE_EEEENSA_INSB_IiSD_SE_SE_EEEEZNS1_13binary_searchIS3_S5_PdSG_SI_NS1_16binary_search_opENS9_16wrapped_functionINS8_6system6detail7generic6detail18binary_search_lessEbEEEE10hipError_tPvRmT1_T2_T3_mmT4_T5_P12ihipStream_tbEUlRKdE_EEST_SX_SY_mSZ_S12_bEUlT_E_NS1_11comp_targetILNS1_3genE9ELNS1_11target_archE1100ELNS1_3gpuE3ELNS1_3repE0EEENS1_30default_config_static_selectorELNS0_4arch9wavefront6targetE1EEEvSW_
; %bb.0:
	.section	.rodata,"a",@progbits
	.p2align	6, 0x0
	.amdhsa_kernel _ZN7rocprim17ROCPRIM_400000_NS6detail17trampoline_kernelINS0_14default_configENS1_29binary_search_config_selectorIdiEEZNS1_14transform_implILb0ES3_S5_N6thrust23THRUST_200600_302600_NS6detail15normal_iteratorINS8_7pointerIdNS8_11hip_rocprim5par_tENS8_11use_defaultESE_EEEENSA_INSB_IiSD_SE_SE_EEEEZNS1_13binary_searchIS3_S5_PdSG_SI_NS1_16binary_search_opENS9_16wrapped_functionINS8_6system6detail7generic6detail18binary_search_lessEbEEEE10hipError_tPvRmT1_T2_T3_mmT4_T5_P12ihipStream_tbEUlRKdE_EEST_SX_SY_mSZ_S12_bEUlT_E_NS1_11comp_targetILNS1_3genE9ELNS1_11target_archE1100ELNS1_3gpuE3ELNS1_3repE0EEENS1_30default_config_static_selectorELNS0_4arch9wavefront6targetE1EEEvSW_
		.amdhsa_group_segment_fixed_size 0
		.amdhsa_private_segment_fixed_size 0
		.amdhsa_kernarg_size 56
		.amdhsa_user_sgpr_count 6
		.amdhsa_user_sgpr_private_segment_buffer 1
		.amdhsa_user_sgpr_dispatch_ptr 0
		.amdhsa_user_sgpr_queue_ptr 0
		.amdhsa_user_sgpr_kernarg_segment_ptr 1
		.amdhsa_user_sgpr_dispatch_id 0
		.amdhsa_user_sgpr_flat_scratch_init 0
		.amdhsa_user_sgpr_private_segment_size 0
		.amdhsa_uses_dynamic_stack 0
		.amdhsa_system_sgpr_private_segment_wavefront_offset 0
		.amdhsa_system_sgpr_workgroup_id_x 1
		.amdhsa_system_sgpr_workgroup_id_y 0
		.amdhsa_system_sgpr_workgroup_id_z 0
		.amdhsa_system_sgpr_workgroup_info 0
		.amdhsa_system_vgpr_workitem_id 0
		.amdhsa_next_free_vgpr 1
		.amdhsa_next_free_sgpr 0
		.amdhsa_reserve_vcc 0
		.amdhsa_reserve_flat_scratch 0
		.amdhsa_float_round_mode_32 0
		.amdhsa_float_round_mode_16_64 0
		.amdhsa_float_denorm_mode_32 3
		.amdhsa_float_denorm_mode_16_64 3
		.amdhsa_dx10_clamp 1
		.amdhsa_ieee_mode 1
		.amdhsa_fp16_overflow 0
		.amdhsa_exception_fp_ieee_invalid_op 0
		.amdhsa_exception_fp_denorm_src 0
		.amdhsa_exception_fp_ieee_div_zero 0
		.amdhsa_exception_fp_ieee_overflow 0
		.amdhsa_exception_fp_ieee_underflow 0
		.amdhsa_exception_fp_ieee_inexact 0
		.amdhsa_exception_int_div_zero 0
	.end_amdhsa_kernel
	.section	.text._ZN7rocprim17ROCPRIM_400000_NS6detail17trampoline_kernelINS0_14default_configENS1_29binary_search_config_selectorIdiEEZNS1_14transform_implILb0ES3_S5_N6thrust23THRUST_200600_302600_NS6detail15normal_iteratorINS8_7pointerIdNS8_11hip_rocprim5par_tENS8_11use_defaultESE_EEEENSA_INSB_IiSD_SE_SE_EEEEZNS1_13binary_searchIS3_S5_PdSG_SI_NS1_16binary_search_opENS9_16wrapped_functionINS8_6system6detail7generic6detail18binary_search_lessEbEEEE10hipError_tPvRmT1_T2_T3_mmT4_T5_P12ihipStream_tbEUlRKdE_EEST_SX_SY_mSZ_S12_bEUlT_E_NS1_11comp_targetILNS1_3genE9ELNS1_11target_archE1100ELNS1_3gpuE3ELNS1_3repE0EEENS1_30default_config_static_selectorELNS0_4arch9wavefront6targetE1EEEvSW_,"axG",@progbits,_ZN7rocprim17ROCPRIM_400000_NS6detail17trampoline_kernelINS0_14default_configENS1_29binary_search_config_selectorIdiEEZNS1_14transform_implILb0ES3_S5_N6thrust23THRUST_200600_302600_NS6detail15normal_iteratorINS8_7pointerIdNS8_11hip_rocprim5par_tENS8_11use_defaultESE_EEEENSA_INSB_IiSD_SE_SE_EEEEZNS1_13binary_searchIS3_S5_PdSG_SI_NS1_16binary_search_opENS9_16wrapped_functionINS8_6system6detail7generic6detail18binary_search_lessEbEEEE10hipError_tPvRmT1_T2_T3_mmT4_T5_P12ihipStream_tbEUlRKdE_EEST_SX_SY_mSZ_S12_bEUlT_E_NS1_11comp_targetILNS1_3genE9ELNS1_11target_archE1100ELNS1_3gpuE3ELNS1_3repE0EEENS1_30default_config_static_selectorELNS0_4arch9wavefront6targetE1EEEvSW_,comdat
.Lfunc_end250:
	.size	_ZN7rocprim17ROCPRIM_400000_NS6detail17trampoline_kernelINS0_14default_configENS1_29binary_search_config_selectorIdiEEZNS1_14transform_implILb0ES3_S5_N6thrust23THRUST_200600_302600_NS6detail15normal_iteratorINS8_7pointerIdNS8_11hip_rocprim5par_tENS8_11use_defaultESE_EEEENSA_INSB_IiSD_SE_SE_EEEEZNS1_13binary_searchIS3_S5_PdSG_SI_NS1_16binary_search_opENS9_16wrapped_functionINS8_6system6detail7generic6detail18binary_search_lessEbEEEE10hipError_tPvRmT1_T2_T3_mmT4_T5_P12ihipStream_tbEUlRKdE_EEST_SX_SY_mSZ_S12_bEUlT_E_NS1_11comp_targetILNS1_3genE9ELNS1_11target_archE1100ELNS1_3gpuE3ELNS1_3repE0EEENS1_30default_config_static_selectorELNS0_4arch9wavefront6targetE1EEEvSW_, .Lfunc_end250-_ZN7rocprim17ROCPRIM_400000_NS6detail17trampoline_kernelINS0_14default_configENS1_29binary_search_config_selectorIdiEEZNS1_14transform_implILb0ES3_S5_N6thrust23THRUST_200600_302600_NS6detail15normal_iteratorINS8_7pointerIdNS8_11hip_rocprim5par_tENS8_11use_defaultESE_EEEENSA_INSB_IiSD_SE_SE_EEEEZNS1_13binary_searchIS3_S5_PdSG_SI_NS1_16binary_search_opENS9_16wrapped_functionINS8_6system6detail7generic6detail18binary_search_lessEbEEEE10hipError_tPvRmT1_T2_T3_mmT4_T5_P12ihipStream_tbEUlRKdE_EEST_SX_SY_mSZ_S12_bEUlT_E_NS1_11comp_targetILNS1_3genE9ELNS1_11target_archE1100ELNS1_3gpuE3ELNS1_3repE0EEENS1_30default_config_static_selectorELNS0_4arch9wavefront6targetE1EEEvSW_
                                        ; -- End function
	.set _ZN7rocprim17ROCPRIM_400000_NS6detail17trampoline_kernelINS0_14default_configENS1_29binary_search_config_selectorIdiEEZNS1_14transform_implILb0ES3_S5_N6thrust23THRUST_200600_302600_NS6detail15normal_iteratorINS8_7pointerIdNS8_11hip_rocprim5par_tENS8_11use_defaultESE_EEEENSA_INSB_IiSD_SE_SE_EEEEZNS1_13binary_searchIS3_S5_PdSG_SI_NS1_16binary_search_opENS9_16wrapped_functionINS8_6system6detail7generic6detail18binary_search_lessEbEEEE10hipError_tPvRmT1_T2_T3_mmT4_T5_P12ihipStream_tbEUlRKdE_EEST_SX_SY_mSZ_S12_bEUlT_E_NS1_11comp_targetILNS1_3genE9ELNS1_11target_archE1100ELNS1_3gpuE3ELNS1_3repE0EEENS1_30default_config_static_selectorELNS0_4arch9wavefront6targetE1EEEvSW_.num_vgpr, 0
	.set _ZN7rocprim17ROCPRIM_400000_NS6detail17trampoline_kernelINS0_14default_configENS1_29binary_search_config_selectorIdiEEZNS1_14transform_implILb0ES3_S5_N6thrust23THRUST_200600_302600_NS6detail15normal_iteratorINS8_7pointerIdNS8_11hip_rocprim5par_tENS8_11use_defaultESE_EEEENSA_INSB_IiSD_SE_SE_EEEEZNS1_13binary_searchIS3_S5_PdSG_SI_NS1_16binary_search_opENS9_16wrapped_functionINS8_6system6detail7generic6detail18binary_search_lessEbEEEE10hipError_tPvRmT1_T2_T3_mmT4_T5_P12ihipStream_tbEUlRKdE_EEST_SX_SY_mSZ_S12_bEUlT_E_NS1_11comp_targetILNS1_3genE9ELNS1_11target_archE1100ELNS1_3gpuE3ELNS1_3repE0EEENS1_30default_config_static_selectorELNS0_4arch9wavefront6targetE1EEEvSW_.num_agpr, 0
	.set _ZN7rocprim17ROCPRIM_400000_NS6detail17trampoline_kernelINS0_14default_configENS1_29binary_search_config_selectorIdiEEZNS1_14transform_implILb0ES3_S5_N6thrust23THRUST_200600_302600_NS6detail15normal_iteratorINS8_7pointerIdNS8_11hip_rocprim5par_tENS8_11use_defaultESE_EEEENSA_INSB_IiSD_SE_SE_EEEEZNS1_13binary_searchIS3_S5_PdSG_SI_NS1_16binary_search_opENS9_16wrapped_functionINS8_6system6detail7generic6detail18binary_search_lessEbEEEE10hipError_tPvRmT1_T2_T3_mmT4_T5_P12ihipStream_tbEUlRKdE_EEST_SX_SY_mSZ_S12_bEUlT_E_NS1_11comp_targetILNS1_3genE9ELNS1_11target_archE1100ELNS1_3gpuE3ELNS1_3repE0EEENS1_30default_config_static_selectorELNS0_4arch9wavefront6targetE1EEEvSW_.numbered_sgpr, 0
	.set _ZN7rocprim17ROCPRIM_400000_NS6detail17trampoline_kernelINS0_14default_configENS1_29binary_search_config_selectorIdiEEZNS1_14transform_implILb0ES3_S5_N6thrust23THRUST_200600_302600_NS6detail15normal_iteratorINS8_7pointerIdNS8_11hip_rocprim5par_tENS8_11use_defaultESE_EEEENSA_INSB_IiSD_SE_SE_EEEEZNS1_13binary_searchIS3_S5_PdSG_SI_NS1_16binary_search_opENS9_16wrapped_functionINS8_6system6detail7generic6detail18binary_search_lessEbEEEE10hipError_tPvRmT1_T2_T3_mmT4_T5_P12ihipStream_tbEUlRKdE_EEST_SX_SY_mSZ_S12_bEUlT_E_NS1_11comp_targetILNS1_3genE9ELNS1_11target_archE1100ELNS1_3gpuE3ELNS1_3repE0EEENS1_30default_config_static_selectorELNS0_4arch9wavefront6targetE1EEEvSW_.num_named_barrier, 0
	.set _ZN7rocprim17ROCPRIM_400000_NS6detail17trampoline_kernelINS0_14default_configENS1_29binary_search_config_selectorIdiEEZNS1_14transform_implILb0ES3_S5_N6thrust23THRUST_200600_302600_NS6detail15normal_iteratorINS8_7pointerIdNS8_11hip_rocprim5par_tENS8_11use_defaultESE_EEEENSA_INSB_IiSD_SE_SE_EEEEZNS1_13binary_searchIS3_S5_PdSG_SI_NS1_16binary_search_opENS9_16wrapped_functionINS8_6system6detail7generic6detail18binary_search_lessEbEEEE10hipError_tPvRmT1_T2_T3_mmT4_T5_P12ihipStream_tbEUlRKdE_EEST_SX_SY_mSZ_S12_bEUlT_E_NS1_11comp_targetILNS1_3genE9ELNS1_11target_archE1100ELNS1_3gpuE3ELNS1_3repE0EEENS1_30default_config_static_selectorELNS0_4arch9wavefront6targetE1EEEvSW_.private_seg_size, 0
	.set _ZN7rocprim17ROCPRIM_400000_NS6detail17trampoline_kernelINS0_14default_configENS1_29binary_search_config_selectorIdiEEZNS1_14transform_implILb0ES3_S5_N6thrust23THRUST_200600_302600_NS6detail15normal_iteratorINS8_7pointerIdNS8_11hip_rocprim5par_tENS8_11use_defaultESE_EEEENSA_INSB_IiSD_SE_SE_EEEEZNS1_13binary_searchIS3_S5_PdSG_SI_NS1_16binary_search_opENS9_16wrapped_functionINS8_6system6detail7generic6detail18binary_search_lessEbEEEE10hipError_tPvRmT1_T2_T3_mmT4_T5_P12ihipStream_tbEUlRKdE_EEST_SX_SY_mSZ_S12_bEUlT_E_NS1_11comp_targetILNS1_3genE9ELNS1_11target_archE1100ELNS1_3gpuE3ELNS1_3repE0EEENS1_30default_config_static_selectorELNS0_4arch9wavefront6targetE1EEEvSW_.uses_vcc, 0
	.set _ZN7rocprim17ROCPRIM_400000_NS6detail17trampoline_kernelINS0_14default_configENS1_29binary_search_config_selectorIdiEEZNS1_14transform_implILb0ES3_S5_N6thrust23THRUST_200600_302600_NS6detail15normal_iteratorINS8_7pointerIdNS8_11hip_rocprim5par_tENS8_11use_defaultESE_EEEENSA_INSB_IiSD_SE_SE_EEEEZNS1_13binary_searchIS3_S5_PdSG_SI_NS1_16binary_search_opENS9_16wrapped_functionINS8_6system6detail7generic6detail18binary_search_lessEbEEEE10hipError_tPvRmT1_T2_T3_mmT4_T5_P12ihipStream_tbEUlRKdE_EEST_SX_SY_mSZ_S12_bEUlT_E_NS1_11comp_targetILNS1_3genE9ELNS1_11target_archE1100ELNS1_3gpuE3ELNS1_3repE0EEENS1_30default_config_static_selectorELNS0_4arch9wavefront6targetE1EEEvSW_.uses_flat_scratch, 0
	.set _ZN7rocprim17ROCPRIM_400000_NS6detail17trampoline_kernelINS0_14default_configENS1_29binary_search_config_selectorIdiEEZNS1_14transform_implILb0ES3_S5_N6thrust23THRUST_200600_302600_NS6detail15normal_iteratorINS8_7pointerIdNS8_11hip_rocprim5par_tENS8_11use_defaultESE_EEEENSA_INSB_IiSD_SE_SE_EEEEZNS1_13binary_searchIS3_S5_PdSG_SI_NS1_16binary_search_opENS9_16wrapped_functionINS8_6system6detail7generic6detail18binary_search_lessEbEEEE10hipError_tPvRmT1_T2_T3_mmT4_T5_P12ihipStream_tbEUlRKdE_EEST_SX_SY_mSZ_S12_bEUlT_E_NS1_11comp_targetILNS1_3genE9ELNS1_11target_archE1100ELNS1_3gpuE3ELNS1_3repE0EEENS1_30default_config_static_selectorELNS0_4arch9wavefront6targetE1EEEvSW_.has_dyn_sized_stack, 0
	.set _ZN7rocprim17ROCPRIM_400000_NS6detail17trampoline_kernelINS0_14default_configENS1_29binary_search_config_selectorIdiEEZNS1_14transform_implILb0ES3_S5_N6thrust23THRUST_200600_302600_NS6detail15normal_iteratorINS8_7pointerIdNS8_11hip_rocprim5par_tENS8_11use_defaultESE_EEEENSA_INSB_IiSD_SE_SE_EEEEZNS1_13binary_searchIS3_S5_PdSG_SI_NS1_16binary_search_opENS9_16wrapped_functionINS8_6system6detail7generic6detail18binary_search_lessEbEEEE10hipError_tPvRmT1_T2_T3_mmT4_T5_P12ihipStream_tbEUlRKdE_EEST_SX_SY_mSZ_S12_bEUlT_E_NS1_11comp_targetILNS1_3genE9ELNS1_11target_archE1100ELNS1_3gpuE3ELNS1_3repE0EEENS1_30default_config_static_selectorELNS0_4arch9wavefront6targetE1EEEvSW_.has_recursion, 0
	.set _ZN7rocprim17ROCPRIM_400000_NS6detail17trampoline_kernelINS0_14default_configENS1_29binary_search_config_selectorIdiEEZNS1_14transform_implILb0ES3_S5_N6thrust23THRUST_200600_302600_NS6detail15normal_iteratorINS8_7pointerIdNS8_11hip_rocprim5par_tENS8_11use_defaultESE_EEEENSA_INSB_IiSD_SE_SE_EEEEZNS1_13binary_searchIS3_S5_PdSG_SI_NS1_16binary_search_opENS9_16wrapped_functionINS8_6system6detail7generic6detail18binary_search_lessEbEEEE10hipError_tPvRmT1_T2_T3_mmT4_T5_P12ihipStream_tbEUlRKdE_EEST_SX_SY_mSZ_S12_bEUlT_E_NS1_11comp_targetILNS1_3genE9ELNS1_11target_archE1100ELNS1_3gpuE3ELNS1_3repE0EEENS1_30default_config_static_selectorELNS0_4arch9wavefront6targetE1EEEvSW_.has_indirect_call, 0
	.section	.AMDGPU.csdata,"",@progbits
; Kernel info:
; codeLenInByte = 0
; TotalNumSgprs: 4
; NumVgprs: 0
; ScratchSize: 0
; MemoryBound: 0
; FloatMode: 240
; IeeeMode: 1
; LDSByteSize: 0 bytes/workgroup (compile time only)
; SGPRBlocks: 0
; VGPRBlocks: 0
; NumSGPRsForWavesPerEU: 4
; NumVGPRsForWavesPerEU: 1
; Occupancy: 10
; WaveLimiterHint : 0
; COMPUTE_PGM_RSRC2:SCRATCH_EN: 0
; COMPUTE_PGM_RSRC2:USER_SGPR: 6
; COMPUTE_PGM_RSRC2:TRAP_HANDLER: 0
; COMPUTE_PGM_RSRC2:TGID_X_EN: 1
; COMPUTE_PGM_RSRC2:TGID_Y_EN: 0
; COMPUTE_PGM_RSRC2:TGID_Z_EN: 0
; COMPUTE_PGM_RSRC2:TIDIG_COMP_CNT: 0
	.section	.text._ZN7rocprim17ROCPRIM_400000_NS6detail17trampoline_kernelINS0_14default_configENS1_29binary_search_config_selectorIdiEEZNS1_14transform_implILb0ES3_S5_N6thrust23THRUST_200600_302600_NS6detail15normal_iteratorINS8_7pointerIdNS8_11hip_rocprim5par_tENS8_11use_defaultESE_EEEENSA_INSB_IiSD_SE_SE_EEEEZNS1_13binary_searchIS3_S5_PdSG_SI_NS1_16binary_search_opENS9_16wrapped_functionINS8_6system6detail7generic6detail18binary_search_lessEbEEEE10hipError_tPvRmT1_T2_T3_mmT4_T5_P12ihipStream_tbEUlRKdE_EEST_SX_SY_mSZ_S12_bEUlT_E_NS1_11comp_targetILNS1_3genE8ELNS1_11target_archE1030ELNS1_3gpuE2ELNS1_3repE0EEENS1_30default_config_static_selectorELNS0_4arch9wavefront6targetE1EEEvSW_,"axG",@progbits,_ZN7rocprim17ROCPRIM_400000_NS6detail17trampoline_kernelINS0_14default_configENS1_29binary_search_config_selectorIdiEEZNS1_14transform_implILb0ES3_S5_N6thrust23THRUST_200600_302600_NS6detail15normal_iteratorINS8_7pointerIdNS8_11hip_rocprim5par_tENS8_11use_defaultESE_EEEENSA_INSB_IiSD_SE_SE_EEEEZNS1_13binary_searchIS3_S5_PdSG_SI_NS1_16binary_search_opENS9_16wrapped_functionINS8_6system6detail7generic6detail18binary_search_lessEbEEEE10hipError_tPvRmT1_T2_T3_mmT4_T5_P12ihipStream_tbEUlRKdE_EEST_SX_SY_mSZ_S12_bEUlT_E_NS1_11comp_targetILNS1_3genE8ELNS1_11target_archE1030ELNS1_3gpuE2ELNS1_3repE0EEENS1_30default_config_static_selectorELNS0_4arch9wavefront6targetE1EEEvSW_,comdat
	.protected	_ZN7rocprim17ROCPRIM_400000_NS6detail17trampoline_kernelINS0_14default_configENS1_29binary_search_config_selectorIdiEEZNS1_14transform_implILb0ES3_S5_N6thrust23THRUST_200600_302600_NS6detail15normal_iteratorINS8_7pointerIdNS8_11hip_rocprim5par_tENS8_11use_defaultESE_EEEENSA_INSB_IiSD_SE_SE_EEEEZNS1_13binary_searchIS3_S5_PdSG_SI_NS1_16binary_search_opENS9_16wrapped_functionINS8_6system6detail7generic6detail18binary_search_lessEbEEEE10hipError_tPvRmT1_T2_T3_mmT4_T5_P12ihipStream_tbEUlRKdE_EEST_SX_SY_mSZ_S12_bEUlT_E_NS1_11comp_targetILNS1_3genE8ELNS1_11target_archE1030ELNS1_3gpuE2ELNS1_3repE0EEENS1_30default_config_static_selectorELNS0_4arch9wavefront6targetE1EEEvSW_ ; -- Begin function _ZN7rocprim17ROCPRIM_400000_NS6detail17trampoline_kernelINS0_14default_configENS1_29binary_search_config_selectorIdiEEZNS1_14transform_implILb0ES3_S5_N6thrust23THRUST_200600_302600_NS6detail15normal_iteratorINS8_7pointerIdNS8_11hip_rocprim5par_tENS8_11use_defaultESE_EEEENSA_INSB_IiSD_SE_SE_EEEEZNS1_13binary_searchIS3_S5_PdSG_SI_NS1_16binary_search_opENS9_16wrapped_functionINS8_6system6detail7generic6detail18binary_search_lessEbEEEE10hipError_tPvRmT1_T2_T3_mmT4_T5_P12ihipStream_tbEUlRKdE_EEST_SX_SY_mSZ_S12_bEUlT_E_NS1_11comp_targetILNS1_3genE8ELNS1_11target_archE1030ELNS1_3gpuE2ELNS1_3repE0EEENS1_30default_config_static_selectorELNS0_4arch9wavefront6targetE1EEEvSW_
	.globl	_ZN7rocprim17ROCPRIM_400000_NS6detail17trampoline_kernelINS0_14default_configENS1_29binary_search_config_selectorIdiEEZNS1_14transform_implILb0ES3_S5_N6thrust23THRUST_200600_302600_NS6detail15normal_iteratorINS8_7pointerIdNS8_11hip_rocprim5par_tENS8_11use_defaultESE_EEEENSA_INSB_IiSD_SE_SE_EEEEZNS1_13binary_searchIS3_S5_PdSG_SI_NS1_16binary_search_opENS9_16wrapped_functionINS8_6system6detail7generic6detail18binary_search_lessEbEEEE10hipError_tPvRmT1_T2_T3_mmT4_T5_P12ihipStream_tbEUlRKdE_EEST_SX_SY_mSZ_S12_bEUlT_E_NS1_11comp_targetILNS1_3genE8ELNS1_11target_archE1030ELNS1_3gpuE2ELNS1_3repE0EEENS1_30default_config_static_selectorELNS0_4arch9wavefront6targetE1EEEvSW_
	.p2align	8
	.type	_ZN7rocprim17ROCPRIM_400000_NS6detail17trampoline_kernelINS0_14default_configENS1_29binary_search_config_selectorIdiEEZNS1_14transform_implILb0ES3_S5_N6thrust23THRUST_200600_302600_NS6detail15normal_iteratorINS8_7pointerIdNS8_11hip_rocprim5par_tENS8_11use_defaultESE_EEEENSA_INSB_IiSD_SE_SE_EEEEZNS1_13binary_searchIS3_S5_PdSG_SI_NS1_16binary_search_opENS9_16wrapped_functionINS8_6system6detail7generic6detail18binary_search_lessEbEEEE10hipError_tPvRmT1_T2_T3_mmT4_T5_P12ihipStream_tbEUlRKdE_EEST_SX_SY_mSZ_S12_bEUlT_E_NS1_11comp_targetILNS1_3genE8ELNS1_11target_archE1030ELNS1_3gpuE2ELNS1_3repE0EEENS1_30default_config_static_selectorELNS0_4arch9wavefront6targetE1EEEvSW_,@function
_ZN7rocprim17ROCPRIM_400000_NS6detail17trampoline_kernelINS0_14default_configENS1_29binary_search_config_selectorIdiEEZNS1_14transform_implILb0ES3_S5_N6thrust23THRUST_200600_302600_NS6detail15normal_iteratorINS8_7pointerIdNS8_11hip_rocprim5par_tENS8_11use_defaultESE_EEEENSA_INSB_IiSD_SE_SE_EEEEZNS1_13binary_searchIS3_S5_PdSG_SI_NS1_16binary_search_opENS9_16wrapped_functionINS8_6system6detail7generic6detail18binary_search_lessEbEEEE10hipError_tPvRmT1_T2_T3_mmT4_T5_P12ihipStream_tbEUlRKdE_EEST_SX_SY_mSZ_S12_bEUlT_E_NS1_11comp_targetILNS1_3genE8ELNS1_11target_archE1030ELNS1_3gpuE2ELNS1_3repE0EEENS1_30default_config_static_selectorELNS0_4arch9wavefront6targetE1EEEvSW_: ; @_ZN7rocprim17ROCPRIM_400000_NS6detail17trampoline_kernelINS0_14default_configENS1_29binary_search_config_selectorIdiEEZNS1_14transform_implILb0ES3_S5_N6thrust23THRUST_200600_302600_NS6detail15normal_iteratorINS8_7pointerIdNS8_11hip_rocprim5par_tENS8_11use_defaultESE_EEEENSA_INSB_IiSD_SE_SE_EEEEZNS1_13binary_searchIS3_S5_PdSG_SI_NS1_16binary_search_opENS9_16wrapped_functionINS8_6system6detail7generic6detail18binary_search_lessEbEEEE10hipError_tPvRmT1_T2_T3_mmT4_T5_P12ihipStream_tbEUlRKdE_EEST_SX_SY_mSZ_S12_bEUlT_E_NS1_11comp_targetILNS1_3genE8ELNS1_11target_archE1030ELNS1_3gpuE2ELNS1_3repE0EEENS1_30default_config_static_selectorELNS0_4arch9wavefront6targetE1EEEvSW_
; %bb.0:
	.section	.rodata,"a",@progbits
	.p2align	6, 0x0
	.amdhsa_kernel _ZN7rocprim17ROCPRIM_400000_NS6detail17trampoline_kernelINS0_14default_configENS1_29binary_search_config_selectorIdiEEZNS1_14transform_implILb0ES3_S5_N6thrust23THRUST_200600_302600_NS6detail15normal_iteratorINS8_7pointerIdNS8_11hip_rocprim5par_tENS8_11use_defaultESE_EEEENSA_INSB_IiSD_SE_SE_EEEEZNS1_13binary_searchIS3_S5_PdSG_SI_NS1_16binary_search_opENS9_16wrapped_functionINS8_6system6detail7generic6detail18binary_search_lessEbEEEE10hipError_tPvRmT1_T2_T3_mmT4_T5_P12ihipStream_tbEUlRKdE_EEST_SX_SY_mSZ_S12_bEUlT_E_NS1_11comp_targetILNS1_3genE8ELNS1_11target_archE1030ELNS1_3gpuE2ELNS1_3repE0EEENS1_30default_config_static_selectorELNS0_4arch9wavefront6targetE1EEEvSW_
		.amdhsa_group_segment_fixed_size 0
		.amdhsa_private_segment_fixed_size 0
		.amdhsa_kernarg_size 56
		.amdhsa_user_sgpr_count 6
		.amdhsa_user_sgpr_private_segment_buffer 1
		.amdhsa_user_sgpr_dispatch_ptr 0
		.amdhsa_user_sgpr_queue_ptr 0
		.amdhsa_user_sgpr_kernarg_segment_ptr 1
		.amdhsa_user_sgpr_dispatch_id 0
		.amdhsa_user_sgpr_flat_scratch_init 0
		.amdhsa_user_sgpr_private_segment_size 0
		.amdhsa_uses_dynamic_stack 0
		.amdhsa_system_sgpr_private_segment_wavefront_offset 0
		.amdhsa_system_sgpr_workgroup_id_x 1
		.amdhsa_system_sgpr_workgroup_id_y 0
		.amdhsa_system_sgpr_workgroup_id_z 0
		.amdhsa_system_sgpr_workgroup_info 0
		.amdhsa_system_vgpr_workitem_id 0
		.amdhsa_next_free_vgpr 1
		.amdhsa_next_free_sgpr 0
		.amdhsa_reserve_vcc 0
		.amdhsa_reserve_flat_scratch 0
		.amdhsa_float_round_mode_32 0
		.amdhsa_float_round_mode_16_64 0
		.amdhsa_float_denorm_mode_32 3
		.amdhsa_float_denorm_mode_16_64 3
		.amdhsa_dx10_clamp 1
		.amdhsa_ieee_mode 1
		.amdhsa_fp16_overflow 0
		.amdhsa_exception_fp_ieee_invalid_op 0
		.amdhsa_exception_fp_denorm_src 0
		.amdhsa_exception_fp_ieee_div_zero 0
		.amdhsa_exception_fp_ieee_overflow 0
		.amdhsa_exception_fp_ieee_underflow 0
		.amdhsa_exception_fp_ieee_inexact 0
		.amdhsa_exception_int_div_zero 0
	.end_amdhsa_kernel
	.section	.text._ZN7rocprim17ROCPRIM_400000_NS6detail17trampoline_kernelINS0_14default_configENS1_29binary_search_config_selectorIdiEEZNS1_14transform_implILb0ES3_S5_N6thrust23THRUST_200600_302600_NS6detail15normal_iteratorINS8_7pointerIdNS8_11hip_rocprim5par_tENS8_11use_defaultESE_EEEENSA_INSB_IiSD_SE_SE_EEEEZNS1_13binary_searchIS3_S5_PdSG_SI_NS1_16binary_search_opENS9_16wrapped_functionINS8_6system6detail7generic6detail18binary_search_lessEbEEEE10hipError_tPvRmT1_T2_T3_mmT4_T5_P12ihipStream_tbEUlRKdE_EEST_SX_SY_mSZ_S12_bEUlT_E_NS1_11comp_targetILNS1_3genE8ELNS1_11target_archE1030ELNS1_3gpuE2ELNS1_3repE0EEENS1_30default_config_static_selectorELNS0_4arch9wavefront6targetE1EEEvSW_,"axG",@progbits,_ZN7rocprim17ROCPRIM_400000_NS6detail17trampoline_kernelINS0_14default_configENS1_29binary_search_config_selectorIdiEEZNS1_14transform_implILb0ES3_S5_N6thrust23THRUST_200600_302600_NS6detail15normal_iteratorINS8_7pointerIdNS8_11hip_rocprim5par_tENS8_11use_defaultESE_EEEENSA_INSB_IiSD_SE_SE_EEEEZNS1_13binary_searchIS3_S5_PdSG_SI_NS1_16binary_search_opENS9_16wrapped_functionINS8_6system6detail7generic6detail18binary_search_lessEbEEEE10hipError_tPvRmT1_T2_T3_mmT4_T5_P12ihipStream_tbEUlRKdE_EEST_SX_SY_mSZ_S12_bEUlT_E_NS1_11comp_targetILNS1_3genE8ELNS1_11target_archE1030ELNS1_3gpuE2ELNS1_3repE0EEENS1_30default_config_static_selectorELNS0_4arch9wavefront6targetE1EEEvSW_,comdat
.Lfunc_end251:
	.size	_ZN7rocprim17ROCPRIM_400000_NS6detail17trampoline_kernelINS0_14default_configENS1_29binary_search_config_selectorIdiEEZNS1_14transform_implILb0ES3_S5_N6thrust23THRUST_200600_302600_NS6detail15normal_iteratorINS8_7pointerIdNS8_11hip_rocprim5par_tENS8_11use_defaultESE_EEEENSA_INSB_IiSD_SE_SE_EEEEZNS1_13binary_searchIS3_S5_PdSG_SI_NS1_16binary_search_opENS9_16wrapped_functionINS8_6system6detail7generic6detail18binary_search_lessEbEEEE10hipError_tPvRmT1_T2_T3_mmT4_T5_P12ihipStream_tbEUlRKdE_EEST_SX_SY_mSZ_S12_bEUlT_E_NS1_11comp_targetILNS1_3genE8ELNS1_11target_archE1030ELNS1_3gpuE2ELNS1_3repE0EEENS1_30default_config_static_selectorELNS0_4arch9wavefront6targetE1EEEvSW_, .Lfunc_end251-_ZN7rocprim17ROCPRIM_400000_NS6detail17trampoline_kernelINS0_14default_configENS1_29binary_search_config_selectorIdiEEZNS1_14transform_implILb0ES3_S5_N6thrust23THRUST_200600_302600_NS6detail15normal_iteratorINS8_7pointerIdNS8_11hip_rocprim5par_tENS8_11use_defaultESE_EEEENSA_INSB_IiSD_SE_SE_EEEEZNS1_13binary_searchIS3_S5_PdSG_SI_NS1_16binary_search_opENS9_16wrapped_functionINS8_6system6detail7generic6detail18binary_search_lessEbEEEE10hipError_tPvRmT1_T2_T3_mmT4_T5_P12ihipStream_tbEUlRKdE_EEST_SX_SY_mSZ_S12_bEUlT_E_NS1_11comp_targetILNS1_3genE8ELNS1_11target_archE1030ELNS1_3gpuE2ELNS1_3repE0EEENS1_30default_config_static_selectorELNS0_4arch9wavefront6targetE1EEEvSW_
                                        ; -- End function
	.set _ZN7rocprim17ROCPRIM_400000_NS6detail17trampoline_kernelINS0_14default_configENS1_29binary_search_config_selectorIdiEEZNS1_14transform_implILb0ES3_S5_N6thrust23THRUST_200600_302600_NS6detail15normal_iteratorINS8_7pointerIdNS8_11hip_rocprim5par_tENS8_11use_defaultESE_EEEENSA_INSB_IiSD_SE_SE_EEEEZNS1_13binary_searchIS3_S5_PdSG_SI_NS1_16binary_search_opENS9_16wrapped_functionINS8_6system6detail7generic6detail18binary_search_lessEbEEEE10hipError_tPvRmT1_T2_T3_mmT4_T5_P12ihipStream_tbEUlRKdE_EEST_SX_SY_mSZ_S12_bEUlT_E_NS1_11comp_targetILNS1_3genE8ELNS1_11target_archE1030ELNS1_3gpuE2ELNS1_3repE0EEENS1_30default_config_static_selectorELNS0_4arch9wavefront6targetE1EEEvSW_.num_vgpr, 0
	.set _ZN7rocprim17ROCPRIM_400000_NS6detail17trampoline_kernelINS0_14default_configENS1_29binary_search_config_selectorIdiEEZNS1_14transform_implILb0ES3_S5_N6thrust23THRUST_200600_302600_NS6detail15normal_iteratorINS8_7pointerIdNS8_11hip_rocprim5par_tENS8_11use_defaultESE_EEEENSA_INSB_IiSD_SE_SE_EEEEZNS1_13binary_searchIS3_S5_PdSG_SI_NS1_16binary_search_opENS9_16wrapped_functionINS8_6system6detail7generic6detail18binary_search_lessEbEEEE10hipError_tPvRmT1_T2_T3_mmT4_T5_P12ihipStream_tbEUlRKdE_EEST_SX_SY_mSZ_S12_bEUlT_E_NS1_11comp_targetILNS1_3genE8ELNS1_11target_archE1030ELNS1_3gpuE2ELNS1_3repE0EEENS1_30default_config_static_selectorELNS0_4arch9wavefront6targetE1EEEvSW_.num_agpr, 0
	.set _ZN7rocprim17ROCPRIM_400000_NS6detail17trampoline_kernelINS0_14default_configENS1_29binary_search_config_selectorIdiEEZNS1_14transform_implILb0ES3_S5_N6thrust23THRUST_200600_302600_NS6detail15normal_iteratorINS8_7pointerIdNS8_11hip_rocprim5par_tENS8_11use_defaultESE_EEEENSA_INSB_IiSD_SE_SE_EEEEZNS1_13binary_searchIS3_S5_PdSG_SI_NS1_16binary_search_opENS9_16wrapped_functionINS8_6system6detail7generic6detail18binary_search_lessEbEEEE10hipError_tPvRmT1_T2_T3_mmT4_T5_P12ihipStream_tbEUlRKdE_EEST_SX_SY_mSZ_S12_bEUlT_E_NS1_11comp_targetILNS1_3genE8ELNS1_11target_archE1030ELNS1_3gpuE2ELNS1_3repE0EEENS1_30default_config_static_selectorELNS0_4arch9wavefront6targetE1EEEvSW_.numbered_sgpr, 0
	.set _ZN7rocprim17ROCPRIM_400000_NS6detail17trampoline_kernelINS0_14default_configENS1_29binary_search_config_selectorIdiEEZNS1_14transform_implILb0ES3_S5_N6thrust23THRUST_200600_302600_NS6detail15normal_iteratorINS8_7pointerIdNS8_11hip_rocprim5par_tENS8_11use_defaultESE_EEEENSA_INSB_IiSD_SE_SE_EEEEZNS1_13binary_searchIS3_S5_PdSG_SI_NS1_16binary_search_opENS9_16wrapped_functionINS8_6system6detail7generic6detail18binary_search_lessEbEEEE10hipError_tPvRmT1_T2_T3_mmT4_T5_P12ihipStream_tbEUlRKdE_EEST_SX_SY_mSZ_S12_bEUlT_E_NS1_11comp_targetILNS1_3genE8ELNS1_11target_archE1030ELNS1_3gpuE2ELNS1_3repE0EEENS1_30default_config_static_selectorELNS0_4arch9wavefront6targetE1EEEvSW_.num_named_barrier, 0
	.set _ZN7rocprim17ROCPRIM_400000_NS6detail17trampoline_kernelINS0_14default_configENS1_29binary_search_config_selectorIdiEEZNS1_14transform_implILb0ES3_S5_N6thrust23THRUST_200600_302600_NS6detail15normal_iteratorINS8_7pointerIdNS8_11hip_rocprim5par_tENS8_11use_defaultESE_EEEENSA_INSB_IiSD_SE_SE_EEEEZNS1_13binary_searchIS3_S5_PdSG_SI_NS1_16binary_search_opENS9_16wrapped_functionINS8_6system6detail7generic6detail18binary_search_lessEbEEEE10hipError_tPvRmT1_T2_T3_mmT4_T5_P12ihipStream_tbEUlRKdE_EEST_SX_SY_mSZ_S12_bEUlT_E_NS1_11comp_targetILNS1_3genE8ELNS1_11target_archE1030ELNS1_3gpuE2ELNS1_3repE0EEENS1_30default_config_static_selectorELNS0_4arch9wavefront6targetE1EEEvSW_.private_seg_size, 0
	.set _ZN7rocprim17ROCPRIM_400000_NS6detail17trampoline_kernelINS0_14default_configENS1_29binary_search_config_selectorIdiEEZNS1_14transform_implILb0ES3_S5_N6thrust23THRUST_200600_302600_NS6detail15normal_iteratorINS8_7pointerIdNS8_11hip_rocprim5par_tENS8_11use_defaultESE_EEEENSA_INSB_IiSD_SE_SE_EEEEZNS1_13binary_searchIS3_S5_PdSG_SI_NS1_16binary_search_opENS9_16wrapped_functionINS8_6system6detail7generic6detail18binary_search_lessEbEEEE10hipError_tPvRmT1_T2_T3_mmT4_T5_P12ihipStream_tbEUlRKdE_EEST_SX_SY_mSZ_S12_bEUlT_E_NS1_11comp_targetILNS1_3genE8ELNS1_11target_archE1030ELNS1_3gpuE2ELNS1_3repE0EEENS1_30default_config_static_selectorELNS0_4arch9wavefront6targetE1EEEvSW_.uses_vcc, 0
	.set _ZN7rocprim17ROCPRIM_400000_NS6detail17trampoline_kernelINS0_14default_configENS1_29binary_search_config_selectorIdiEEZNS1_14transform_implILb0ES3_S5_N6thrust23THRUST_200600_302600_NS6detail15normal_iteratorINS8_7pointerIdNS8_11hip_rocprim5par_tENS8_11use_defaultESE_EEEENSA_INSB_IiSD_SE_SE_EEEEZNS1_13binary_searchIS3_S5_PdSG_SI_NS1_16binary_search_opENS9_16wrapped_functionINS8_6system6detail7generic6detail18binary_search_lessEbEEEE10hipError_tPvRmT1_T2_T3_mmT4_T5_P12ihipStream_tbEUlRKdE_EEST_SX_SY_mSZ_S12_bEUlT_E_NS1_11comp_targetILNS1_3genE8ELNS1_11target_archE1030ELNS1_3gpuE2ELNS1_3repE0EEENS1_30default_config_static_selectorELNS0_4arch9wavefront6targetE1EEEvSW_.uses_flat_scratch, 0
	.set _ZN7rocprim17ROCPRIM_400000_NS6detail17trampoline_kernelINS0_14default_configENS1_29binary_search_config_selectorIdiEEZNS1_14transform_implILb0ES3_S5_N6thrust23THRUST_200600_302600_NS6detail15normal_iteratorINS8_7pointerIdNS8_11hip_rocprim5par_tENS8_11use_defaultESE_EEEENSA_INSB_IiSD_SE_SE_EEEEZNS1_13binary_searchIS3_S5_PdSG_SI_NS1_16binary_search_opENS9_16wrapped_functionINS8_6system6detail7generic6detail18binary_search_lessEbEEEE10hipError_tPvRmT1_T2_T3_mmT4_T5_P12ihipStream_tbEUlRKdE_EEST_SX_SY_mSZ_S12_bEUlT_E_NS1_11comp_targetILNS1_3genE8ELNS1_11target_archE1030ELNS1_3gpuE2ELNS1_3repE0EEENS1_30default_config_static_selectorELNS0_4arch9wavefront6targetE1EEEvSW_.has_dyn_sized_stack, 0
	.set _ZN7rocprim17ROCPRIM_400000_NS6detail17trampoline_kernelINS0_14default_configENS1_29binary_search_config_selectorIdiEEZNS1_14transform_implILb0ES3_S5_N6thrust23THRUST_200600_302600_NS6detail15normal_iteratorINS8_7pointerIdNS8_11hip_rocprim5par_tENS8_11use_defaultESE_EEEENSA_INSB_IiSD_SE_SE_EEEEZNS1_13binary_searchIS3_S5_PdSG_SI_NS1_16binary_search_opENS9_16wrapped_functionINS8_6system6detail7generic6detail18binary_search_lessEbEEEE10hipError_tPvRmT1_T2_T3_mmT4_T5_P12ihipStream_tbEUlRKdE_EEST_SX_SY_mSZ_S12_bEUlT_E_NS1_11comp_targetILNS1_3genE8ELNS1_11target_archE1030ELNS1_3gpuE2ELNS1_3repE0EEENS1_30default_config_static_selectorELNS0_4arch9wavefront6targetE1EEEvSW_.has_recursion, 0
	.set _ZN7rocprim17ROCPRIM_400000_NS6detail17trampoline_kernelINS0_14default_configENS1_29binary_search_config_selectorIdiEEZNS1_14transform_implILb0ES3_S5_N6thrust23THRUST_200600_302600_NS6detail15normal_iteratorINS8_7pointerIdNS8_11hip_rocprim5par_tENS8_11use_defaultESE_EEEENSA_INSB_IiSD_SE_SE_EEEEZNS1_13binary_searchIS3_S5_PdSG_SI_NS1_16binary_search_opENS9_16wrapped_functionINS8_6system6detail7generic6detail18binary_search_lessEbEEEE10hipError_tPvRmT1_T2_T3_mmT4_T5_P12ihipStream_tbEUlRKdE_EEST_SX_SY_mSZ_S12_bEUlT_E_NS1_11comp_targetILNS1_3genE8ELNS1_11target_archE1030ELNS1_3gpuE2ELNS1_3repE0EEENS1_30default_config_static_selectorELNS0_4arch9wavefront6targetE1EEEvSW_.has_indirect_call, 0
	.section	.AMDGPU.csdata,"",@progbits
; Kernel info:
; codeLenInByte = 0
; TotalNumSgprs: 4
; NumVgprs: 0
; ScratchSize: 0
; MemoryBound: 0
; FloatMode: 240
; IeeeMode: 1
; LDSByteSize: 0 bytes/workgroup (compile time only)
; SGPRBlocks: 0
; VGPRBlocks: 0
; NumSGPRsForWavesPerEU: 4
; NumVGPRsForWavesPerEU: 1
; Occupancy: 10
; WaveLimiterHint : 0
; COMPUTE_PGM_RSRC2:SCRATCH_EN: 0
; COMPUTE_PGM_RSRC2:USER_SGPR: 6
; COMPUTE_PGM_RSRC2:TRAP_HANDLER: 0
; COMPUTE_PGM_RSRC2:TGID_X_EN: 1
; COMPUTE_PGM_RSRC2:TGID_Y_EN: 0
; COMPUTE_PGM_RSRC2:TGID_Z_EN: 0
; COMPUTE_PGM_RSRC2:TIDIG_COMP_CNT: 0
	.section	.text._Z20binary_search_kernelIfEvmPT_Pb,"axG",@progbits,_Z20binary_search_kernelIfEvmPT_Pb,comdat
	.protected	_Z20binary_search_kernelIfEvmPT_Pb ; -- Begin function _Z20binary_search_kernelIfEvmPT_Pb
	.globl	_Z20binary_search_kernelIfEvmPT_Pb
	.p2align	8
	.type	_Z20binary_search_kernelIfEvmPT_Pb,@function
_Z20binary_search_kernelIfEvmPT_Pb:     ; @_Z20binary_search_kernelIfEvmPT_Pb
; %bb.0:
	s_load_dwordx4 s[8:11], s[4:5], 0x0
	s_load_dwordx2 s[2:3], s[4:5], 0x10
	s_waitcnt lgkmcnt(0)
	s_lshl_b64 s[0:1], s[8:9], 2
	s_add_u32 s0, s10, s0
	s_addc_u32 s1, s11, s1
	s_sub_u32 s0, s0, s10
	s_subb_u32 s1, s1, s11
	s_ashr_i64 s[4:5], s[0:1], 2
	v_cmp_lt_i64_e64 s[6:7], s[4:5], 1
	s_mov_b64 s[0:1], 0
	s_and_b64 vcc, exec, s[6:7]
	s_cbranch_vccnz .LBB252_3
; %bb.1:
	s_mov_b64 s[6:7], s[4:5]
.LBB252_2:                              ; =>This Inner Loop Header: Depth=1
	s_sub_u32 s12, s6, s0
	s_subb_u32 s13, s7, s1
	s_lshr_b64 s[12:13], s[12:13], 1
	s_add_u32 s12, s12, s0
	s_addc_u32 s13, s13, s1
	s_lshl_b64 s[14:15], s[12:13], 2
	s_add_u32 s14, s10, s14
	s_addc_u32 s15, s11, s15
	s_load_dword s14, s[14:15], 0x0
	s_add_u32 s16, s12, 1
	s_addc_u32 s17, s13, 0
	s_waitcnt lgkmcnt(0)
	v_cmp_lt_f32_e64 s[14:15], s14, 0
	s_and_b64 s[14:15], s[14:15], exec
	s_cselect_b32 s6, s6, s12
	s_cselect_b32 s7, s7, s13
	v_mov_b32_e32 v0, s6
	s_cselect_b32 s1, s17, s1
	s_cselect_b32 s0, s16, s0
	v_mov_b32_e32 v1, s7
	v_cmp_lt_i64_e32 vcc, s[0:1], v[0:1]
	s_cbranch_vccnz .LBB252_2
.LBB252_3:
	v_cmp_gt_i64_e64 s[12:13], s[4:5], 0
	s_mov_b64 s[6:7], 0
	s_cmp_eq_u64 s[0:1], s[8:9]
	s_mov_b64 s[14:15], 0
	s_cbranch_scc1 .LBB252_5
; %bb.4:
	s_lshl_b64 s[0:1], s[0:1], 2
	s_add_u32 s0, s10, s0
	s_addc_u32 s1, s11, s1
	s_load_dword s0, s[0:1], 0x0
	s_waitcnt lgkmcnt(0)
	v_cmp_ngt_f32_e64 s[14:15], s0, 0
.LBB252_5:
	v_cndmask_b32_e64 v2, 0, 1, s[12:13]
	v_mov_b32_e32 v0, 0
	v_cndmask_b32_e64 v1, 0, 1, s[14:15]
	v_cmp_ne_u32_e64 s[0:1], 1, v2
	s_andn2_b64 vcc, exec, s[12:13]
	global_store_byte v0, v1, s[2:3]
	s_cbranch_vccnz .LBB252_8
; %bb.6:
	s_mov_b64 s[12:13], s[4:5]
.LBB252_7:                              ; =>This Inner Loop Header: Depth=1
	s_sub_u32 s14, s12, s6
	s_subb_u32 s15, s13, s7
	s_lshr_b64 s[14:15], s[14:15], 1
	s_add_u32 s14, s14, s6
	s_addc_u32 s15, s15, s7
	s_lshl_b64 s[16:17], s[14:15], 2
	s_add_u32 s16, s10, s16
	s_addc_u32 s17, s11, s17
	s_load_dword s16, s[16:17], 0x0
	s_add_u32 s18, s14, 1
	s_addc_u32 s19, s15, 0
	s_waitcnt lgkmcnt(0)
	v_cmp_lt_f32_e64 s[16:17], s16, 1.0
	s_and_b64 s[16:17], s[16:17], exec
	s_cselect_b32 s12, s12, s14
	s_cselect_b32 s13, s13, s15
	v_mov_b32_e32 v0, s12
	s_cselect_b32 s7, s19, s7
	s_cselect_b32 s6, s18, s6
	v_mov_b32_e32 v1, s13
	v_cmp_lt_i64_e32 vcc, s[6:7], v[0:1]
	s_cbranch_vccnz .LBB252_7
.LBB252_8:
	s_mov_b64 s[12:13], 0
	s_cmp_eq_u64 s[6:7], s[8:9]
	s_mov_b64 s[14:15], 0
	s_cbranch_scc1 .LBB252_10
; %bb.9:
	s_lshl_b64 s[6:7], s[6:7], 2
	s_add_u32 s6, s10, s6
	s_addc_u32 s7, s11, s7
	s_load_dword s6, s[6:7], 0x0
	s_waitcnt lgkmcnt(0)
	v_cmp_ngt_f32_e64 s[14:15], s6, 1.0
.LBB252_10:
	v_mov_b32_e32 v0, 0
	v_cndmask_b32_e64 v1, 0, 1, s[14:15]
	s_and_b64 vcc, exec, s[0:1]
	global_store_byte v0, v1, s[2:3] offset:1
	s_cbranch_vccnz .LBB252_13
; %bb.11:
	s_mov_b64 s[6:7], s[4:5]
.LBB252_12:                             ; =>This Inner Loop Header: Depth=1
	s_sub_u32 s14, s6, s12
	s_subb_u32 s15, s7, s13
	s_lshr_b64 s[14:15], s[14:15], 1
	s_add_u32 s14, s14, s12
	s_addc_u32 s15, s15, s13
	s_lshl_b64 s[16:17], s[14:15], 2
	s_add_u32 s16, s10, s16
	s_addc_u32 s17, s11, s17
	s_load_dword s16, s[16:17], 0x0
	s_add_u32 s18, s14, 1
	s_addc_u32 s19, s15, 0
	s_waitcnt lgkmcnt(0)
	v_cmp_lt_f32_e64 s[16:17], s16, 2.0
	s_and_b64 s[16:17], s[16:17], exec
	s_cselect_b32 s6, s6, s14
	s_cselect_b32 s7, s7, s15
	v_mov_b32_e32 v0, s6
	s_cselect_b32 s13, s19, s13
	s_cselect_b32 s12, s18, s12
	v_mov_b32_e32 v1, s7
	v_cmp_lt_i64_e32 vcc, s[12:13], v[0:1]
	s_cbranch_vccnz .LBB252_12
.LBB252_13:
	s_mov_b64 s[6:7], 0
	s_cmp_eq_u64 s[12:13], s[8:9]
	s_mov_b64 s[14:15], 0
	s_cbranch_scc1 .LBB252_15
; %bb.14:
	s_lshl_b64 s[12:13], s[12:13], 2
	s_add_u32 s12, s10, s12
	s_addc_u32 s13, s11, s13
	s_load_dword s12, s[12:13], 0x0
	s_waitcnt lgkmcnt(0)
	v_cmp_ngt_f32_e64 s[14:15], s12, 2.0
.LBB252_15:
	v_mov_b32_e32 v0, 0
	v_cndmask_b32_e64 v1, 0, 1, s[14:15]
	s_and_b64 vcc, exec, s[0:1]
	global_store_byte v0, v1, s[2:3] offset:2
	s_cbranch_vccnz .LBB252_18
; %bb.16:
	v_mov_b32_e32 v0, 0x40400000
	s_mov_b64 s[12:13], s[4:5]
.LBB252_17:                             ; =>This Inner Loop Header: Depth=1
	s_sub_u32 s14, s12, s6
	s_subb_u32 s15, s13, s7
	s_lshr_b64 s[14:15], s[14:15], 1
	s_add_u32 s14, s14, s6
	s_addc_u32 s15, s15, s7
	s_lshl_b64 s[16:17], s[14:15], 2
	s_add_u32 s16, s10, s16
	s_addc_u32 s17, s11, s17
	s_load_dword s16, s[16:17], 0x0
	s_add_u32 s18, s14, 1
	s_addc_u32 s19, s15, 0
	s_waitcnt lgkmcnt(0)
	v_cmp_lt_f32_e32 vcc, s16, v0
	s_and_b64 s[16:17], vcc, exec
	s_cselect_b32 s12, s12, s14
	s_cselect_b32 s13, s13, s15
	v_mov_b32_e32 v1, s12
	s_cselect_b32 s7, s19, s7
	s_cselect_b32 s6, s18, s6
	v_mov_b32_e32 v2, s13
	v_cmp_lt_i64_e32 vcc, s[6:7], v[1:2]
	s_cbranch_vccnz .LBB252_17
.LBB252_18:
	s_mov_b64 s[12:13], 0
	s_cmp_eq_u64 s[6:7], s[8:9]
	s_mov_b64 s[14:15], 0
	s_cbranch_scc1 .LBB252_20
; %bb.19:
	s_lshl_b64 s[6:7], s[6:7], 2
	s_add_u32 s6, s10, s6
	s_addc_u32 s7, s11, s7
	s_load_dword s6, s[6:7], 0x0
	v_mov_b32_e32 v0, 0x40400000
	s_waitcnt lgkmcnt(0)
	v_cmp_ngt_f32_e64 s[14:15], s6, v0
.LBB252_20:
	v_mov_b32_e32 v0, 0
	v_cndmask_b32_e64 v1, 0, 1, s[14:15]
	s_and_b64 vcc, exec, s[0:1]
	global_store_byte v0, v1, s[2:3] offset:3
	s_cbranch_vccnz .LBB252_23
; %bb.21:
	s_mov_b64 s[6:7], s[4:5]
.LBB252_22:                             ; =>This Inner Loop Header: Depth=1
	s_sub_u32 s14, s6, s12
	s_subb_u32 s15, s7, s13
	s_lshr_b64 s[14:15], s[14:15], 1
	s_add_u32 s14, s14, s12
	s_addc_u32 s15, s15, s13
	s_lshl_b64 s[16:17], s[14:15], 2
	s_add_u32 s16, s10, s16
	s_addc_u32 s17, s11, s17
	s_load_dword s16, s[16:17], 0x0
	s_add_u32 s18, s14, 1
	s_addc_u32 s19, s15, 0
	s_waitcnt lgkmcnt(0)
	v_cmp_lt_f32_e64 s[16:17], s16, 4.0
	s_and_b64 s[16:17], s[16:17], exec
	s_cselect_b32 s6, s6, s14
	s_cselect_b32 s7, s7, s15
	v_mov_b32_e32 v0, s6
	s_cselect_b32 s13, s19, s13
	s_cselect_b32 s12, s18, s12
	v_mov_b32_e32 v1, s7
	v_cmp_lt_i64_e32 vcc, s[12:13], v[0:1]
	s_cbranch_vccnz .LBB252_22
.LBB252_23:
	s_mov_b64 s[14:15], 0
	s_cmp_eq_u64 s[12:13], s[8:9]
	s_mov_b64 s[6:7], 0
	s_cbranch_scc1 .LBB252_25
; %bb.24:
	s_lshl_b64 s[6:7], s[12:13], 2
	s_add_u32 s6, s10, s6
	s_addc_u32 s7, s11, s7
	s_load_dword s6, s[6:7], 0x0
	s_waitcnt lgkmcnt(0)
	v_cmp_ngt_f32_e64 s[6:7], s6, 4.0
.LBB252_25:
	v_mov_b32_e32 v0, 0
	v_cndmask_b32_e64 v1, 0, 1, s[6:7]
	s_and_b64 vcc, exec, s[0:1]
	global_store_byte v0, v1, s[2:3] offset:4
	s_cbranch_vccnz .LBB252_28
; %bb.26:
	v_mov_b32_e32 v0, 0x40a00000
	s_mov_b64 s[6:7], s[4:5]
.LBB252_27:                             ; =>This Inner Loop Header: Depth=1
	s_sub_u32 s12, s6, s14
	s_subb_u32 s13, s7, s15
	s_lshr_b64 s[12:13], s[12:13], 1
	s_add_u32 s12, s12, s14
	s_addc_u32 s13, s13, s15
	s_lshl_b64 s[16:17], s[12:13], 2
	s_add_u32 s16, s10, s16
	s_addc_u32 s17, s11, s17
	s_load_dword s16, s[16:17], 0x0
	s_add_u32 s18, s12, 1
	s_addc_u32 s19, s13, 0
	s_waitcnt lgkmcnt(0)
	v_cmp_lt_f32_e32 vcc, s16, v0
	s_and_b64 s[16:17], vcc, exec
	s_cselect_b32 s6, s6, s12
	s_cselect_b32 s7, s7, s13
	v_mov_b32_e32 v1, s6
	s_cselect_b32 s15, s19, s15
	s_cselect_b32 s14, s18, s14
	v_mov_b32_e32 v2, s7
	v_cmp_lt_i64_e32 vcc, s[14:15], v[1:2]
	s_cbranch_vccnz .LBB252_27
.LBB252_28:
	s_mov_b64 s[6:7], 0
	s_cmp_eq_u64 s[14:15], s[8:9]
	s_mov_b64 s[12:13], 0
	s_cbranch_scc1 .LBB252_30
; %bb.29:
	s_lshl_b64 s[12:13], s[14:15], 2
	s_add_u32 s12, s10, s12
	s_addc_u32 s13, s11, s13
	s_load_dword s12, s[12:13], 0x0
	v_mov_b32_e32 v0, 0x40a00000
	s_waitcnt lgkmcnt(0)
	v_cmp_ngt_f32_e64 s[12:13], s12, v0
.LBB252_30:
	v_mov_b32_e32 v0, 0
	v_cndmask_b32_e64 v1, 0, 1, s[12:13]
	s_and_b64 vcc, exec, s[0:1]
	global_store_byte v0, v1, s[2:3] offset:5
	s_cbranch_vccnz .LBB252_33
; %bb.31:
	v_mov_b32_e32 v0, 0x40c00000
	s_mov_b64 s[12:13], s[4:5]
.LBB252_32:                             ; =>This Inner Loop Header: Depth=1
	s_sub_u32 s14, s12, s6
	s_subb_u32 s15, s13, s7
	s_lshr_b64 s[14:15], s[14:15], 1
	s_add_u32 s14, s14, s6
	s_addc_u32 s15, s15, s7
	s_lshl_b64 s[16:17], s[14:15], 2
	s_add_u32 s16, s10, s16
	s_addc_u32 s17, s11, s17
	s_load_dword s16, s[16:17], 0x0
	s_add_u32 s18, s14, 1
	s_addc_u32 s19, s15, 0
	s_waitcnt lgkmcnt(0)
	v_cmp_lt_f32_e32 vcc, s16, v0
	s_and_b64 s[16:17], vcc, exec
	s_cselect_b32 s12, s12, s14
	s_cselect_b32 s13, s13, s15
	v_mov_b32_e32 v1, s12
	s_cselect_b32 s7, s19, s7
	s_cselect_b32 s6, s18, s6
	v_mov_b32_e32 v2, s13
	v_cmp_lt_i64_e32 vcc, s[6:7], v[1:2]
	s_cbranch_vccnz .LBB252_32
.LBB252_33:
	s_mov_b64 s[12:13], 0
	s_cmp_eq_u64 s[6:7], s[8:9]
	s_mov_b64 s[14:15], 0
	s_cbranch_scc1 .LBB252_35
; %bb.34:
	s_lshl_b64 s[6:7], s[6:7], 2
	s_add_u32 s6, s10, s6
	s_addc_u32 s7, s11, s7
	s_load_dword s6, s[6:7], 0x0
	v_mov_b32_e32 v0, 0x40c00000
	s_waitcnt lgkmcnt(0)
	v_cmp_ngt_f32_e64 s[14:15], s6, v0
.LBB252_35:
	;; [unrolled: 45-line block ×4, first 2 shown]
	v_mov_b32_e32 v0, 0
	v_cndmask_b32_e64 v1, 0, 1, s[12:13]
	s_and_b64 vcc, exec, s[0:1]
	global_store_byte v0, v1, s[2:3] offset:8
	s_cbranch_vccnz .LBB252_48
; %bb.46:
	v_mov_b32_e32 v0, 0x41100000
.LBB252_47:                             ; =>This Inner Loop Header: Depth=1
	s_sub_u32 s0, s4, s6
	s_subb_u32 s1, s5, s7
	s_lshr_b64 s[0:1], s[0:1], 1
	s_add_u32 s0, s0, s6
	s_addc_u32 s1, s1, s7
	s_lshl_b64 s[12:13], s[0:1], 2
	s_add_u32 s12, s10, s12
	s_addc_u32 s13, s11, s13
	s_load_dword s12, s[12:13], 0x0
	s_add_u32 s14, s0, 1
	s_addc_u32 s15, s1, 0
	s_waitcnt lgkmcnt(0)
	v_cmp_lt_f32_e32 vcc, s12, v0
	s_and_b64 s[12:13], vcc, exec
	s_cselect_b32 s4, s4, s0
	s_cselect_b32 s5, s5, s1
	v_mov_b32_e32 v1, s4
	s_cselect_b32 s7, s15, s7
	s_cselect_b32 s6, s14, s6
	v_mov_b32_e32 v2, s5
	v_cmp_lt_i64_e32 vcc, s[6:7], v[1:2]
	s_cbranch_vccnz .LBB252_47
.LBB252_48:
	s_cmp_eq_u64 s[6:7], s[8:9]
	s_mov_b64 s[0:1], 0
	s_cbranch_scc1 .LBB252_50
; %bb.49:
	s_lshl_b64 s[0:1], s[6:7], 2
	s_add_u32 s0, s10, s0
	s_addc_u32 s1, s11, s1
	s_load_dword s0, s[0:1], 0x0
	v_mov_b32_e32 v0, 0x41100000
	s_waitcnt lgkmcnt(0)
	v_cmp_ngt_f32_e64 s[0:1], s0, v0
.LBB252_50:
	v_mov_b32_e32 v0, 0
	v_cndmask_b32_e64 v1, 0, 1, s[0:1]
	global_store_byte v0, v1, s[2:3] offset:9
	s_endpgm
	.section	.rodata,"a",@progbits
	.p2align	6, 0x0
	.amdhsa_kernel _Z20binary_search_kernelIfEvmPT_Pb
		.amdhsa_group_segment_fixed_size 0
		.amdhsa_private_segment_fixed_size 0
		.amdhsa_kernarg_size 24
		.amdhsa_user_sgpr_count 6
		.amdhsa_user_sgpr_private_segment_buffer 1
		.amdhsa_user_sgpr_dispatch_ptr 0
		.amdhsa_user_sgpr_queue_ptr 0
		.amdhsa_user_sgpr_kernarg_segment_ptr 1
		.amdhsa_user_sgpr_dispatch_id 0
		.amdhsa_user_sgpr_flat_scratch_init 0
		.amdhsa_user_sgpr_private_segment_size 0
		.amdhsa_uses_dynamic_stack 0
		.amdhsa_system_sgpr_private_segment_wavefront_offset 0
		.amdhsa_system_sgpr_workgroup_id_x 1
		.amdhsa_system_sgpr_workgroup_id_y 0
		.amdhsa_system_sgpr_workgroup_id_z 0
		.amdhsa_system_sgpr_workgroup_info 0
		.amdhsa_system_vgpr_workitem_id 0
		.amdhsa_next_free_vgpr 3
		.amdhsa_next_free_sgpr 20
		.amdhsa_reserve_vcc 1
		.amdhsa_reserve_flat_scratch 0
		.amdhsa_float_round_mode_32 0
		.amdhsa_float_round_mode_16_64 0
		.amdhsa_float_denorm_mode_32 3
		.amdhsa_float_denorm_mode_16_64 3
		.amdhsa_dx10_clamp 1
		.amdhsa_ieee_mode 1
		.amdhsa_fp16_overflow 0
		.amdhsa_exception_fp_ieee_invalid_op 0
		.amdhsa_exception_fp_denorm_src 0
		.amdhsa_exception_fp_ieee_div_zero 0
		.amdhsa_exception_fp_ieee_overflow 0
		.amdhsa_exception_fp_ieee_underflow 0
		.amdhsa_exception_fp_ieee_inexact 0
		.amdhsa_exception_int_div_zero 0
	.end_amdhsa_kernel
	.section	.text._Z20binary_search_kernelIfEvmPT_Pb,"axG",@progbits,_Z20binary_search_kernelIfEvmPT_Pb,comdat
.Lfunc_end252:
	.size	_Z20binary_search_kernelIfEvmPT_Pb, .Lfunc_end252-_Z20binary_search_kernelIfEvmPT_Pb
                                        ; -- End function
	.set _Z20binary_search_kernelIfEvmPT_Pb.num_vgpr, 3
	.set _Z20binary_search_kernelIfEvmPT_Pb.num_agpr, 0
	.set _Z20binary_search_kernelIfEvmPT_Pb.numbered_sgpr, 20
	.set _Z20binary_search_kernelIfEvmPT_Pb.num_named_barrier, 0
	.set _Z20binary_search_kernelIfEvmPT_Pb.private_seg_size, 0
	.set _Z20binary_search_kernelIfEvmPT_Pb.uses_vcc, 1
	.set _Z20binary_search_kernelIfEvmPT_Pb.uses_flat_scratch, 0
	.set _Z20binary_search_kernelIfEvmPT_Pb.has_dyn_sized_stack, 0
	.set _Z20binary_search_kernelIfEvmPT_Pb.has_recursion, 0
	.set _Z20binary_search_kernelIfEvmPT_Pb.has_indirect_call, 0
	.section	.AMDGPU.csdata,"",@progbits
; Kernel info:
; codeLenInByte = 1908
; TotalNumSgprs: 24
; NumVgprs: 3
; ScratchSize: 0
; MemoryBound: 0
; FloatMode: 240
; IeeeMode: 1
; LDSByteSize: 0 bytes/workgroup (compile time only)
; SGPRBlocks: 2
; VGPRBlocks: 0
; NumSGPRsForWavesPerEU: 24
; NumVGPRsForWavesPerEU: 3
; Occupancy: 10
; WaveLimiterHint : 0
; COMPUTE_PGM_RSRC2:SCRATCH_EN: 0
; COMPUTE_PGM_RSRC2:USER_SGPR: 6
; COMPUTE_PGM_RSRC2:TRAP_HANDLER: 0
; COMPUTE_PGM_RSRC2:TGID_X_EN: 1
; COMPUTE_PGM_RSRC2:TGID_Y_EN: 0
; COMPUTE_PGM_RSRC2:TGID_Z_EN: 0
; COMPUTE_PGM_RSRC2:TIDIG_COMP_CNT: 0
	.section	.text._ZN7rocprim17ROCPRIM_400000_NS6detail17trampoline_kernelINS0_14default_configENS1_29binary_search_config_selectorIfiEEZNS1_14transform_implILb0ES3_S5_N6thrust23THRUST_200600_302600_NS6detail15normal_iteratorINS8_7pointerIfNS8_11hip_rocprim5par_tENS8_11use_defaultESE_EEEENSA_INSB_IiSD_SE_SE_EEEEZNS1_13binary_searchIS3_S5_PfSG_SI_NS1_16binary_search_opENS9_16wrapped_functionINS8_6system6detail7generic6detail18binary_search_lessEbEEEE10hipError_tPvRmT1_T2_T3_mmT4_T5_P12ihipStream_tbEUlRKfE_EEST_SX_SY_mSZ_S12_bEUlT_E_NS1_11comp_targetILNS1_3genE0ELNS1_11target_archE4294967295ELNS1_3gpuE0ELNS1_3repE0EEENS1_30default_config_static_selectorELNS0_4arch9wavefront6targetE1EEEvSW_,"axG",@progbits,_ZN7rocprim17ROCPRIM_400000_NS6detail17trampoline_kernelINS0_14default_configENS1_29binary_search_config_selectorIfiEEZNS1_14transform_implILb0ES3_S5_N6thrust23THRUST_200600_302600_NS6detail15normal_iteratorINS8_7pointerIfNS8_11hip_rocprim5par_tENS8_11use_defaultESE_EEEENSA_INSB_IiSD_SE_SE_EEEEZNS1_13binary_searchIS3_S5_PfSG_SI_NS1_16binary_search_opENS9_16wrapped_functionINS8_6system6detail7generic6detail18binary_search_lessEbEEEE10hipError_tPvRmT1_T2_T3_mmT4_T5_P12ihipStream_tbEUlRKfE_EEST_SX_SY_mSZ_S12_bEUlT_E_NS1_11comp_targetILNS1_3genE0ELNS1_11target_archE4294967295ELNS1_3gpuE0ELNS1_3repE0EEENS1_30default_config_static_selectorELNS0_4arch9wavefront6targetE1EEEvSW_,comdat
	.protected	_ZN7rocprim17ROCPRIM_400000_NS6detail17trampoline_kernelINS0_14default_configENS1_29binary_search_config_selectorIfiEEZNS1_14transform_implILb0ES3_S5_N6thrust23THRUST_200600_302600_NS6detail15normal_iteratorINS8_7pointerIfNS8_11hip_rocprim5par_tENS8_11use_defaultESE_EEEENSA_INSB_IiSD_SE_SE_EEEEZNS1_13binary_searchIS3_S5_PfSG_SI_NS1_16binary_search_opENS9_16wrapped_functionINS8_6system6detail7generic6detail18binary_search_lessEbEEEE10hipError_tPvRmT1_T2_T3_mmT4_T5_P12ihipStream_tbEUlRKfE_EEST_SX_SY_mSZ_S12_bEUlT_E_NS1_11comp_targetILNS1_3genE0ELNS1_11target_archE4294967295ELNS1_3gpuE0ELNS1_3repE0EEENS1_30default_config_static_selectorELNS0_4arch9wavefront6targetE1EEEvSW_ ; -- Begin function _ZN7rocprim17ROCPRIM_400000_NS6detail17trampoline_kernelINS0_14default_configENS1_29binary_search_config_selectorIfiEEZNS1_14transform_implILb0ES3_S5_N6thrust23THRUST_200600_302600_NS6detail15normal_iteratorINS8_7pointerIfNS8_11hip_rocprim5par_tENS8_11use_defaultESE_EEEENSA_INSB_IiSD_SE_SE_EEEEZNS1_13binary_searchIS3_S5_PfSG_SI_NS1_16binary_search_opENS9_16wrapped_functionINS8_6system6detail7generic6detail18binary_search_lessEbEEEE10hipError_tPvRmT1_T2_T3_mmT4_T5_P12ihipStream_tbEUlRKfE_EEST_SX_SY_mSZ_S12_bEUlT_E_NS1_11comp_targetILNS1_3genE0ELNS1_11target_archE4294967295ELNS1_3gpuE0ELNS1_3repE0EEENS1_30default_config_static_selectorELNS0_4arch9wavefront6targetE1EEEvSW_
	.globl	_ZN7rocprim17ROCPRIM_400000_NS6detail17trampoline_kernelINS0_14default_configENS1_29binary_search_config_selectorIfiEEZNS1_14transform_implILb0ES3_S5_N6thrust23THRUST_200600_302600_NS6detail15normal_iteratorINS8_7pointerIfNS8_11hip_rocprim5par_tENS8_11use_defaultESE_EEEENSA_INSB_IiSD_SE_SE_EEEEZNS1_13binary_searchIS3_S5_PfSG_SI_NS1_16binary_search_opENS9_16wrapped_functionINS8_6system6detail7generic6detail18binary_search_lessEbEEEE10hipError_tPvRmT1_T2_T3_mmT4_T5_P12ihipStream_tbEUlRKfE_EEST_SX_SY_mSZ_S12_bEUlT_E_NS1_11comp_targetILNS1_3genE0ELNS1_11target_archE4294967295ELNS1_3gpuE0ELNS1_3repE0EEENS1_30default_config_static_selectorELNS0_4arch9wavefront6targetE1EEEvSW_
	.p2align	8
	.type	_ZN7rocprim17ROCPRIM_400000_NS6detail17trampoline_kernelINS0_14default_configENS1_29binary_search_config_selectorIfiEEZNS1_14transform_implILb0ES3_S5_N6thrust23THRUST_200600_302600_NS6detail15normal_iteratorINS8_7pointerIfNS8_11hip_rocprim5par_tENS8_11use_defaultESE_EEEENSA_INSB_IiSD_SE_SE_EEEEZNS1_13binary_searchIS3_S5_PfSG_SI_NS1_16binary_search_opENS9_16wrapped_functionINS8_6system6detail7generic6detail18binary_search_lessEbEEEE10hipError_tPvRmT1_T2_T3_mmT4_T5_P12ihipStream_tbEUlRKfE_EEST_SX_SY_mSZ_S12_bEUlT_E_NS1_11comp_targetILNS1_3genE0ELNS1_11target_archE4294967295ELNS1_3gpuE0ELNS1_3repE0EEENS1_30default_config_static_selectorELNS0_4arch9wavefront6targetE1EEEvSW_,@function
_ZN7rocprim17ROCPRIM_400000_NS6detail17trampoline_kernelINS0_14default_configENS1_29binary_search_config_selectorIfiEEZNS1_14transform_implILb0ES3_S5_N6thrust23THRUST_200600_302600_NS6detail15normal_iteratorINS8_7pointerIfNS8_11hip_rocprim5par_tENS8_11use_defaultESE_EEEENSA_INSB_IiSD_SE_SE_EEEEZNS1_13binary_searchIS3_S5_PfSG_SI_NS1_16binary_search_opENS9_16wrapped_functionINS8_6system6detail7generic6detail18binary_search_lessEbEEEE10hipError_tPvRmT1_T2_T3_mmT4_T5_P12ihipStream_tbEUlRKfE_EEST_SX_SY_mSZ_S12_bEUlT_E_NS1_11comp_targetILNS1_3genE0ELNS1_11target_archE4294967295ELNS1_3gpuE0ELNS1_3repE0EEENS1_30default_config_static_selectorELNS0_4arch9wavefront6targetE1EEEvSW_: ; @_ZN7rocprim17ROCPRIM_400000_NS6detail17trampoline_kernelINS0_14default_configENS1_29binary_search_config_selectorIfiEEZNS1_14transform_implILb0ES3_S5_N6thrust23THRUST_200600_302600_NS6detail15normal_iteratorINS8_7pointerIfNS8_11hip_rocprim5par_tENS8_11use_defaultESE_EEEENSA_INSB_IiSD_SE_SE_EEEEZNS1_13binary_searchIS3_S5_PfSG_SI_NS1_16binary_search_opENS9_16wrapped_functionINS8_6system6detail7generic6detail18binary_search_lessEbEEEE10hipError_tPvRmT1_T2_T3_mmT4_T5_P12ihipStream_tbEUlRKfE_EEST_SX_SY_mSZ_S12_bEUlT_E_NS1_11comp_targetILNS1_3genE0ELNS1_11target_archE4294967295ELNS1_3gpuE0ELNS1_3repE0EEENS1_30default_config_static_selectorELNS0_4arch9wavefront6targetE1EEEvSW_
; %bb.0:
	.section	.rodata,"a",@progbits
	.p2align	6, 0x0
	.amdhsa_kernel _ZN7rocprim17ROCPRIM_400000_NS6detail17trampoline_kernelINS0_14default_configENS1_29binary_search_config_selectorIfiEEZNS1_14transform_implILb0ES3_S5_N6thrust23THRUST_200600_302600_NS6detail15normal_iteratorINS8_7pointerIfNS8_11hip_rocprim5par_tENS8_11use_defaultESE_EEEENSA_INSB_IiSD_SE_SE_EEEEZNS1_13binary_searchIS3_S5_PfSG_SI_NS1_16binary_search_opENS9_16wrapped_functionINS8_6system6detail7generic6detail18binary_search_lessEbEEEE10hipError_tPvRmT1_T2_T3_mmT4_T5_P12ihipStream_tbEUlRKfE_EEST_SX_SY_mSZ_S12_bEUlT_E_NS1_11comp_targetILNS1_3genE0ELNS1_11target_archE4294967295ELNS1_3gpuE0ELNS1_3repE0EEENS1_30default_config_static_selectorELNS0_4arch9wavefront6targetE1EEEvSW_
		.amdhsa_group_segment_fixed_size 0
		.amdhsa_private_segment_fixed_size 0
		.amdhsa_kernarg_size 56
		.amdhsa_user_sgpr_count 6
		.amdhsa_user_sgpr_private_segment_buffer 1
		.amdhsa_user_sgpr_dispatch_ptr 0
		.amdhsa_user_sgpr_queue_ptr 0
		.amdhsa_user_sgpr_kernarg_segment_ptr 1
		.amdhsa_user_sgpr_dispatch_id 0
		.amdhsa_user_sgpr_flat_scratch_init 0
		.amdhsa_user_sgpr_private_segment_size 0
		.amdhsa_uses_dynamic_stack 0
		.amdhsa_system_sgpr_private_segment_wavefront_offset 0
		.amdhsa_system_sgpr_workgroup_id_x 1
		.amdhsa_system_sgpr_workgroup_id_y 0
		.amdhsa_system_sgpr_workgroup_id_z 0
		.amdhsa_system_sgpr_workgroup_info 0
		.amdhsa_system_vgpr_workitem_id 0
		.amdhsa_next_free_vgpr 1
		.amdhsa_next_free_sgpr 0
		.amdhsa_reserve_vcc 0
		.amdhsa_reserve_flat_scratch 0
		.amdhsa_float_round_mode_32 0
		.amdhsa_float_round_mode_16_64 0
		.amdhsa_float_denorm_mode_32 3
		.amdhsa_float_denorm_mode_16_64 3
		.amdhsa_dx10_clamp 1
		.amdhsa_ieee_mode 1
		.amdhsa_fp16_overflow 0
		.amdhsa_exception_fp_ieee_invalid_op 0
		.amdhsa_exception_fp_denorm_src 0
		.amdhsa_exception_fp_ieee_div_zero 0
		.amdhsa_exception_fp_ieee_overflow 0
		.amdhsa_exception_fp_ieee_underflow 0
		.amdhsa_exception_fp_ieee_inexact 0
		.amdhsa_exception_int_div_zero 0
	.end_amdhsa_kernel
	.section	.text._ZN7rocprim17ROCPRIM_400000_NS6detail17trampoline_kernelINS0_14default_configENS1_29binary_search_config_selectorIfiEEZNS1_14transform_implILb0ES3_S5_N6thrust23THRUST_200600_302600_NS6detail15normal_iteratorINS8_7pointerIfNS8_11hip_rocprim5par_tENS8_11use_defaultESE_EEEENSA_INSB_IiSD_SE_SE_EEEEZNS1_13binary_searchIS3_S5_PfSG_SI_NS1_16binary_search_opENS9_16wrapped_functionINS8_6system6detail7generic6detail18binary_search_lessEbEEEE10hipError_tPvRmT1_T2_T3_mmT4_T5_P12ihipStream_tbEUlRKfE_EEST_SX_SY_mSZ_S12_bEUlT_E_NS1_11comp_targetILNS1_3genE0ELNS1_11target_archE4294967295ELNS1_3gpuE0ELNS1_3repE0EEENS1_30default_config_static_selectorELNS0_4arch9wavefront6targetE1EEEvSW_,"axG",@progbits,_ZN7rocprim17ROCPRIM_400000_NS6detail17trampoline_kernelINS0_14default_configENS1_29binary_search_config_selectorIfiEEZNS1_14transform_implILb0ES3_S5_N6thrust23THRUST_200600_302600_NS6detail15normal_iteratorINS8_7pointerIfNS8_11hip_rocprim5par_tENS8_11use_defaultESE_EEEENSA_INSB_IiSD_SE_SE_EEEEZNS1_13binary_searchIS3_S5_PfSG_SI_NS1_16binary_search_opENS9_16wrapped_functionINS8_6system6detail7generic6detail18binary_search_lessEbEEEE10hipError_tPvRmT1_T2_T3_mmT4_T5_P12ihipStream_tbEUlRKfE_EEST_SX_SY_mSZ_S12_bEUlT_E_NS1_11comp_targetILNS1_3genE0ELNS1_11target_archE4294967295ELNS1_3gpuE0ELNS1_3repE0EEENS1_30default_config_static_selectorELNS0_4arch9wavefront6targetE1EEEvSW_,comdat
.Lfunc_end253:
	.size	_ZN7rocprim17ROCPRIM_400000_NS6detail17trampoline_kernelINS0_14default_configENS1_29binary_search_config_selectorIfiEEZNS1_14transform_implILb0ES3_S5_N6thrust23THRUST_200600_302600_NS6detail15normal_iteratorINS8_7pointerIfNS8_11hip_rocprim5par_tENS8_11use_defaultESE_EEEENSA_INSB_IiSD_SE_SE_EEEEZNS1_13binary_searchIS3_S5_PfSG_SI_NS1_16binary_search_opENS9_16wrapped_functionINS8_6system6detail7generic6detail18binary_search_lessEbEEEE10hipError_tPvRmT1_T2_T3_mmT4_T5_P12ihipStream_tbEUlRKfE_EEST_SX_SY_mSZ_S12_bEUlT_E_NS1_11comp_targetILNS1_3genE0ELNS1_11target_archE4294967295ELNS1_3gpuE0ELNS1_3repE0EEENS1_30default_config_static_selectorELNS0_4arch9wavefront6targetE1EEEvSW_, .Lfunc_end253-_ZN7rocprim17ROCPRIM_400000_NS6detail17trampoline_kernelINS0_14default_configENS1_29binary_search_config_selectorIfiEEZNS1_14transform_implILb0ES3_S5_N6thrust23THRUST_200600_302600_NS6detail15normal_iteratorINS8_7pointerIfNS8_11hip_rocprim5par_tENS8_11use_defaultESE_EEEENSA_INSB_IiSD_SE_SE_EEEEZNS1_13binary_searchIS3_S5_PfSG_SI_NS1_16binary_search_opENS9_16wrapped_functionINS8_6system6detail7generic6detail18binary_search_lessEbEEEE10hipError_tPvRmT1_T2_T3_mmT4_T5_P12ihipStream_tbEUlRKfE_EEST_SX_SY_mSZ_S12_bEUlT_E_NS1_11comp_targetILNS1_3genE0ELNS1_11target_archE4294967295ELNS1_3gpuE0ELNS1_3repE0EEENS1_30default_config_static_selectorELNS0_4arch9wavefront6targetE1EEEvSW_
                                        ; -- End function
	.set _ZN7rocprim17ROCPRIM_400000_NS6detail17trampoline_kernelINS0_14default_configENS1_29binary_search_config_selectorIfiEEZNS1_14transform_implILb0ES3_S5_N6thrust23THRUST_200600_302600_NS6detail15normal_iteratorINS8_7pointerIfNS8_11hip_rocprim5par_tENS8_11use_defaultESE_EEEENSA_INSB_IiSD_SE_SE_EEEEZNS1_13binary_searchIS3_S5_PfSG_SI_NS1_16binary_search_opENS9_16wrapped_functionINS8_6system6detail7generic6detail18binary_search_lessEbEEEE10hipError_tPvRmT1_T2_T3_mmT4_T5_P12ihipStream_tbEUlRKfE_EEST_SX_SY_mSZ_S12_bEUlT_E_NS1_11comp_targetILNS1_3genE0ELNS1_11target_archE4294967295ELNS1_3gpuE0ELNS1_3repE0EEENS1_30default_config_static_selectorELNS0_4arch9wavefront6targetE1EEEvSW_.num_vgpr, 0
	.set _ZN7rocprim17ROCPRIM_400000_NS6detail17trampoline_kernelINS0_14default_configENS1_29binary_search_config_selectorIfiEEZNS1_14transform_implILb0ES3_S5_N6thrust23THRUST_200600_302600_NS6detail15normal_iteratorINS8_7pointerIfNS8_11hip_rocprim5par_tENS8_11use_defaultESE_EEEENSA_INSB_IiSD_SE_SE_EEEEZNS1_13binary_searchIS3_S5_PfSG_SI_NS1_16binary_search_opENS9_16wrapped_functionINS8_6system6detail7generic6detail18binary_search_lessEbEEEE10hipError_tPvRmT1_T2_T3_mmT4_T5_P12ihipStream_tbEUlRKfE_EEST_SX_SY_mSZ_S12_bEUlT_E_NS1_11comp_targetILNS1_3genE0ELNS1_11target_archE4294967295ELNS1_3gpuE0ELNS1_3repE0EEENS1_30default_config_static_selectorELNS0_4arch9wavefront6targetE1EEEvSW_.num_agpr, 0
	.set _ZN7rocprim17ROCPRIM_400000_NS6detail17trampoline_kernelINS0_14default_configENS1_29binary_search_config_selectorIfiEEZNS1_14transform_implILb0ES3_S5_N6thrust23THRUST_200600_302600_NS6detail15normal_iteratorINS8_7pointerIfNS8_11hip_rocprim5par_tENS8_11use_defaultESE_EEEENSA_INSB_IiSD_SE_SE_EEEEZNS1_13binary_searchIS3_S5_PfSG_SI_NS1_16binary_search_opENS9_16wrapped_functionINS8_6system6detail7generic6detail18binary_search_lessEbEEEE10hipError_tPvRmT1_T2_T3_mmT4_T5_P12ihipStream_tbEUlRKfE_EEST_SX_SY_mSZ_S12_bEUlT_E_NS1_11comp_targetILNS1_3genE0ELNS1_11target_archE4294967295ELNS1_3gpuE0ELNS1_3repE0EEENS1_30default_config_static_selectorELNS0_4arch9wavefront6targetE1EEEvSW_.numbered_sgpr, 0
	.set _ZN7rocprim17ROCPRIM_400000_NS6detail17trampoline_kernelINS0_14default_configENS1_29binary_search_config_selectorIfiEEZNS1_14transform_implILb0ES3_S5_N6thrust23THRUST_200600_302600_NS6detail15normal_iteratorINS8_7pointerIfNS8_11hip_rocprim5par_tENS8_11use_defaultESE_EEEENSA_INSB_IiSD_SE_SE_EEEEZNS1_13binary_searchIS3_S5_PfSG_SI_NS1_16binary_search_opENS9_16wrapped_functionINS8_6system6detail7generic6detail18binary_search_lessEbEEEE10hipError_tPvRmT1_T2_T3_mmT4_T5_P12ihipStream_tbEUlRKfE_EEST_SX_SY_mSZ_S12_bEUlT_E_NS1_11comp_targetILNS1_3genE0ELNS1_11target_archE4294967295ELNS1_3gpuE0ELNS1_3repE0EEENS1_30default_config_static_selectorELNS0_4arch9wavefront6targetE1EEEvSW_.num_named_barrier, 0
	.set _ZN7rocprim17ROCPRIM_400000_NS6detail17trampoline_kernelINS0_14default_configENS1_29binary_search_config_selectorIfiEEZNS1_14transform_implILb0ES3_S5_N6thrust23THRUST_200600_302600_NS6detail15normal_iteratorINS8_7pointerIfNS8_11hip_rocprim5par_tENS8_11use_defaultESE_EEEENSA_INSB_IiSD_SE_SE_EEEEZNS1_13binary_searchIS3_S5_PfSG_SI_NS1_16binary_search_opENS9_16wrapped_functionINS8_6system6detail7generic6detail18binary_search_lessEbEEEE10hipError_tPvRmT1_T2_T3_mmT4_T5_P12ihipStream_tbEUlRKfE_EEST_SX_SY_mSZ_S12_bEUlT_E_NS1_11comp_targetILNS1_3genE0ELNS1_11target_archE4294967295ELNS1_3gpuE0ELNS1_3repE0EEENS1_30default_config_static_selectorELNS0_4arch9wavefront6targetE1EEEvSW_.private_seg_size, 0
	.set _ZN7rocprim17ROCPRIM_400000_NS6detail17trampoline_kernelINS0_14default_configENS1_29binary_search_config_selectorIfiEEZNS1_14transform_implILb0ES3_S5_N6thrust23THRUST_200600_302600_NS6detail15normal_iteratorINS8_7pointerIfNS8_11hip_rocprim5par_tENS8_11use_defaultESE_EEEENSA_INSB_IiSD_SE_SE_EEEEZNS1_13binary_searchIS3_S5_PfSG_SI_NS1_16binary_search_opENS9_16wrapped_functionINS8_6system6detail7generic6detail18binary_search_lessEbEEEE10hipError_tPvRmT1_T2_T3_mmT4_T5_P12ihipStream_tbEUlRKfE_EEST_SX_SY_mSZ_S12_bEUlT_E_NS1_11comp_targetILNS1_3genE0ELNS1_11target_archE4294967295ELNS1_3gpuE0ELNS1_3repE0EEENS1_30default_config_static_selectorELNS0_4arch9wavefront6targetE1EEEvSW_.uses_vcc, 0
	.set _ZN7rocprim17ROCPRIM_400000_NS6detail17trampoline_kernelINS0_14default_configENS1_29binary_search_config_selectorIfiEEZNS1_14transform_implILb0ES3_S5_N6thrust23THRUST_200600_302600_NS6detail15normal_iteratorINS8_7pointerIfNS8_11hip_rocprim5par_tENS8_11use_defaultESE_EEEENSA_INSB_IiSD_SE_SE_EEEEZNS1_13binary_searchIS3_S5_PfSG_SI_NS1_16binary_search_opENS9_16wrapped_functionINS8_6system6detail7generic6detail18binary_search_lessEbEEEE10hipError_tPvRmT1_T2_T3_mmT4_T5_P12ihipStream_tbEUlRKfE_EEST_SX_SY_mSZ_S12_bEUlT_E_NS1_11comp_targetILNS1_3genE0ELNS1_11target_archE4294967295ELNS1_3gpuE0ELNS1_3repE0EEENS1_30default_config_static_selectorELNS0_4arch9wavefront6targetE1EEEvSW_.uses_flat_scratch, 0
	.set _ZN7rocprim17ROCPRIM_400000_NS6detail17trampoline_kernelINS0_14default_configENS1_29binary_search_config_selectorIfiEEZNS1_14transform_implILb0ES3_S5_N6thrust23THRUST_200600_302600_NS6detail15normal_iteratorINS8_7pointerIfNS8_11hip_rocprim5par_tENS8_11use_defaultESE_EEEENSA_INSB_IiSD_SE_SE_EEEEZNS1_13binary_searchIS3_S5_PfSG_SI_NS1_16binary_search_opENS9_16wrapped_functionINS8_6system6detail7generic6detail18binary_search_lessEbEEEE10hipError_tPvRmT1_T2_T3_mmT4_T5_P12ihipStream_tbEUlRKfE_EEST_SX_SY_mSZ_S12_bEUlT_E_NS1_11comp_targetILNS1_3genE0ELNS1_11target_archE4294967295ELNS1_3gpuE0ELNS1_3repE0EEENS1_30default_config_static_selectorELNS0_4arch9wavefront6targetE1EEEvSW_.has_dyn_sized_stack, 0
	.set _ZN7rocprim17ROCPRIM_400000_NS6detail17trampoline_kernelINS0_14default_configENS1_29binary_search_config_selectorIfiEEZNS1_14transform_implILb0ES3_S5_N6thrust23THRUST_200600_302600_NS6detail15normal_iteratorINS8_7pointerIfNS8_11hip_rocprim5par_tENS8_11use_defaultESE_EEEENSA_INSB_IiSD_SE_SE_EEEEZNS1_13binary_searchIS3_S5_PfSG_SI_NS1_16binary_search_opENS9_16wrapped_functionINS8_6system6detail7generic6detail18binary_search_lessEbEEEE10hipError_tPvRmT1_T2_T3_mmT4_T5_P12ihipStream_tbEUlRKfE_EEST_SX_SY_mSZ_S12_bEUlT_E_NS1_11comp_targetILNS1_3genE0ELNS1_11target_archE4294967295ELNS1_3gpuE0ELNS1_3repE0EEENS1_30default_config_static_selectorELNS0_4arch9wavefront6targetE1EEEvSW_.has_recursion, 0
	.set _ZN7rocprim17ROCPRIM_400000_NS6detail17trampoline_kernelINS0_14default_configENS1_29binary_search_config_selectorIfiEEZNS1_14transform_implILb0ES3_S5_N6thrust23THRUST_200600_302600_NS6detail15normal_iteratorINS8_7pointerIfNS8_11hip_rocprim5par_tENS8_11use_defaultESE_EEEENSA_INSB_IiSD_SE_SE_EEEEZNS1_13binary_searchIS3_S5_PfSG_SI_NS1_16binary_search_opENS9_16wrapped_functionINS8_6system6detail7generic6detail18binary_search_lessEbEEEE10hipError_tPvRmT1_T2_T3_mmT4_T5_P12ihipStream_tbEUlRKfE_EEST_SX_SY_mSZ_S12_bEUlT_E_NS1_11comp_targetILNS1_3genE0ELNS1_11target_archE4294967295ELNS1_3gpuE0ELNS1_3repE0EEENS1_30default_config_static_selectorELNS0_4arch9wavefront6targetE1EEEvSW_.has_indirect_call, 0
	.section	.AMDGPU.csdata,"",@progbits
; Kernel info:
; codeLenInByte = 0
; TotalNumSgprs: 4
; NumVgprs: 0
; ScratchSize: 0
; MemoryBound: 0
; FloatMode: 240
; IeeeMode: 1
; LDSByteSize: 0 bytes/workgroup (compile time only)
; SGPRBlocks: 0
; VGPRBlocks: 0
; NumSGPRsForWavesPerEU: 4
; NumVGPRsForWavesPerEU: 1
; Occupancy: 10
; WaveLimiterHint : 0
; COMPUTE_PGM_RSRC2:SCRATCH_EN: 0
; COMPUTE_PGM_RSRC2:USER_SGPR: 6
; COMPUTE_PGM_RSRC2:TRAP_HANDLER: 0
; COMPUTE_PGM_RSRC2:TGID_X_EN: 1
; COMPUTE_PGM_RSRC2:TGID_Y_EN: 0
; COMPUTE_PGM_RSRC2:TGID_Z_EN: 0
; COMPUTE_PGM_RSRC2:TIDIG_COMP_CNT: 0
	.section	.text._ZN7rocprim17ROCPRIM_400000_NS6detail17trampoline_kernelINS0_14default_configENS1_29binary_search_config_selectorIfiEEZNS1_14transform_implILb0ES3_S5_N6thrust23THRUST_200600_302600_NS6detail15normal_iteratorINS8_7pointerIfNS8_11hip_rocprim5par_tENS8_11use_defaultESE_EEEENSA_INSB_IiSD_SE_SE_EEEEZNS1_13binary_searchIS3_S5_PfSG_SI_NS1_16binary_search_opENS9_16wrapped_functionINS8_6system6detail7generic6detail18binary_search_lessEbEEEE10hipError_tPvRmT1_T2_T3_mmT4_T5_P12ihipStream_tbEUlRKfE_EEST_SX_SY_mSZ_S12_bEUlT_E_NS1_11comp_targetILNS1_3genE5ELNS1_11target_archE942ELNS1_3gpuE9ELNS1_3repE0EEENS1_30default_config_static_selectorELNS0_4arch9wavefront6targetE1EEEvSW_,"axG",@progbits,_ZN7rocprim17ROCPRIM_400000_NS6detail17trampoline_kernelINS0_14default_configENS1_29binary_search_config_selectorIfiEEZNS1_14transform_implILb0ES3_S5_N6thrust23THRUST_200600_302600_NS6detail15normal_iteratorINS8_7pointerIfNS8_11hip_rocprim5par_tENS8_11use_defaultESE_EEEENSA_INSB_IiSD_SE_SE_EEEEZNS1_13binary_searchIS3_S5_PfSG_SI_NS1_16binary_search_opENS9_16wrapped_functionINS8_6system6detail7generic6detail18binary_search_lessEbEEEE10hipError_tPvRmT1_T2_T3_mmT4_T5_P12ihipStream_tbEUlRKfE_EEST_SX_SY_mSZ_S12_bEUlT_E_NS1_11comp_targetILNS1_3genE5ELNS1_11target_archE942ELNS1_3gpuE9ELNS1_3repE0EEENS1_30default_config_static_selectorELNS0_4arch9wavefront6targetE1EEEvSW_,comdat
	.protected	_ZN7rocprim17ROCPRIM_400000_NS6detail17trampoline_kernelINS0_14default_configENS1_29binary_search_config_selectorIfiEEZNS1_14transform_implILb0ES3_S5_N6thrust23THRUST_200600_302600_NS6detail15normal_iteratorINS8_7pointerIfNS8_11hip_rocprim5par_tENS8_11use_defaultESE_EEEENSA_INSB_IiSD_SE_SE_EEEEZNS1_13binary_searchIS3_S5_PfSG_SI_NS1_16binary_search_opENS9_16wrapped_functionINS8_6system6detail7generic6detail18binary_search_lessEbEEEE10hipError_tPvRmT1_T2_T3_mmT4_T5_P12ihipStream_tbEUlRKfE_EEST_SX_SY_mSZ_S12_bEUlT_E_NS1_11comp_targetILNS1_3genE5ELNS1_11target_archE942ELNS1_3gpuE9ELNS1_3repE0EEENS1_30default_config_static_selectorELNS0_4arch9wavefront6targetE1EEEvSW_ ; -- Begin function _ZN7rocprim17ROCPRIM_400000_NS6detail17trampoline_kernelINS0_14default_configENS1_29binary_search_config_selectorIfiEEZNS1_14transform_implILb0ES3_S5_N6thrust23THRUST_200600_302600_NS6detail15normal_iteratorINS8_7pointerIfNS8_11hip_rocprim5par_tENS8_11use_defaultESE_EEEENSA_INSB_IiSD_SE_SE_EEEEZNS1_13binary_searchIS3_S5_PfSG_SI_NS1_16binary_search_opENS9_16wrapped_functionINS8_6system6detail7generic6detail18binary_search_lessEbEEEE10hipError_tPvRmT1_T2_T3_mmT4_T5_P12ihipStream_tbEUlRKfE_EEST_SX_SY_mSZ_S12_bEUlT_E_NS1_11comp_targetILNS1_3genE5ELNS1_11target_archE942ELNS1_3gpuE9ELNS1_3repE0EEENS1_30default_config_static_selectorELNS0_4arch9wavefront6targetE1EEEvSW_
	.globl	_ZN7rocprim17ROCPRIM_400000_NS6detail17trampoline_kernelINS0_14default_configENS1_29binary_search_config_selectorIfiEEZNS1_14transform_implILb0ES3_S5_N6thrust23THRUST_200600_302600_NS6detail15normal_iteratorINS8_7pointerIfNS8_11hip_rocprim5par_tENS8_11use_defaultESE_EEEENSA_INSB_IiSD_SE_SE_EEEEZNS1_13binary_searchIS3_S5_PfSG_SI_NS1_16binary_search_opENS9_16wrapped_functionINS8_6system6detail7generic6detail18binary_search_lessEbEEEE10hipError_tPvRmT1_T2_T3_mmT4_T5_P12ihipStream_tbEUlRKfE_EEST_SX_SY_mSZ_S12_bEUlT_E_NS1_11comp_targetILNS1_3genE5ELNS1_11target_archE942ELNS1_3gpuE9ELNS1_3repE0EEENS1_30default_config_static_selectorELNS0_4arch9wavefront6targetE1EEEvSW_
	.p2align	8
	.type	_ZN7rocprim17ROCPRIM_400000_NS6detail17trampoline_kernelINS0_14default_configENS1_29binary_search_config_selectorIfiEEZNS1_14transform_implILb0ES3_S5_N6thrust23THRUST_200600_302600_NS6detail15normal_iteratorINS8_7pointerIfNS8_11hip_rocprim5par_tENS8_11use_defaultESE_EEEENSA_INSB_IiSD_SE_SE_EEEEZNS1_13binary_searchIS3_S5_PfSG_SI_NS1_16binary_search_opENS9_16wrapped_functionINS8_6system6detail7generic6detail18binary_search_lessEbEEEE10hipError_tPvRmT1_T2_T3_mmT4_T5_P12ihipStream_tbEUlRKfE_EEST_SX_SY_mSZ_S12_bEUlT_E_NS1_11comp_targetILNS1_3genE5ELNS1_11target_archE942ELNS1_3gpuE9ELNS1_3repE0EEENS1_30default_config_static_selectorELNS0_4arch9wavefront6targetE1EEEvSW_,@function
_ZN7rocprim17ROCPRIM_400000_NS6detail17trampoline_kernelINS0_14default_configENS1_29binary_search_config_selectorIfiEEZNS1_14transform_implILb0ES3_S5_N6thrust23THRUST_200600_302600_NS6detail15normal_iteratorINS8_7pointerIfNS8_11hip_rocprim5par_tENS8_11use_defaultESE_EEEENSA_INSB_IiSD_SE_SE_EEEEZNS1_13binary_searchIS3_S5_PfSG_SI_NS1_16binary_search_opENS9_16wrapped_functionINS8_6system6detail7generic6detail18binary_search_lessEbEEEE10hipError_tPvRmT1_T2_T3_mmT4_T5_P12ihipStream_tbEUlRKfE_EEST_SX_SY_mSZ_S12_bEUlT_E_NS1_11comp_targetILNS1_3genE5ELNS1_11target_archE942ELNS1_3gpuE9ELNS1_3repE0EEENS1_30default_config_static_selectorELNS0_4arch9wavefront6targetE1EEEvSW_: ; @_ZN7rocprim17ROCPRIM_400000_NS6detail17trampoline_kernelINS0_14default_configENS1_29binary_search_config_selectorIfiEEZNS1_14transform_implILb0ES3_S5_N6thrust23THRUST_200600_302600_NS6detail15normal_iteratorINS8_7pointerIfNS8_11hip_rocprim5par_tENS8_11use_defaultESE_EEEENSA_INSB_IiSD_SE_SE_EEEEZNS1_13binary_searchIS3_S5_PfSG_SI_NS1_16binary_search_opENS9_16wrapped_functionINS8_6system6detail7generic6detail18binary_search_lessEbEEEE10hipError_tPvRmT1_T2_T3_mmT4_T5_P12ihipStream_tbEUlRKfE_EEST_SX_SY_mSZ_S12_bEUlT_E_NS1_11comp_targetILNS1_3genE5ELNS1_11target_archE942ELNS1_3gpuE9ELNS1_3repE0EEENS1_30default_config_static_selectorELNS0_4arch9wavefront6targetE1EEEvSW_
; %bb.0:
	.section	.rodata,"a",@progbits
	.p2align	6, 0x0
	.amdhsa_kernel _ZN7rocprim17ROCPRIM_400000_NS6detail17trampoline_kernelINS0_14default_configENS1_29binary_search_config_selectorIfiEEZNS1_14transform_implILb0ES3_S5_N6thrust23THRUST_200600_302600_NS6detail15normal_iteratorINS8_7pointerIfNS8_11hip_rocprim5par_tENS8_11use_defaultESE_EEEENSA_INSB_IiSD_SE_SE_EEEEZNS1_13binary_searchIS3_S5_PfSG_SI_NS1_16binary_search_opENS9_16wrapped_functionINS8_6system6detail7generic6detail18binary_search_lessEbEEEE10hipError_tPvRmT1_T2_T3_mmT4_T5_P12ihipStream_tbEUlRKfE_EEST_SX_SY_mSZ_S12_bEUlT_E_NS1_11comp_targetILNS1_3genE5ELNS1_11target_archE942ELNS1_3gpuE9ELNS1_3repE0EEENS1_30default_config_static_selectorELNS0_4arch9wavefront6targetE1EEEvSW_
		.amdhsa_group_segment_fixed_size 0
		.amdhsa_private_segment_fixed_size 0
		.amdhsa_kernarg_size 56
		.amdhsa_user_sgpr_count 6
		.amdhsa_user_sgpr_private_segment_buffer 1
		.amdhsa_user_sgpr_dispatch_ptr 0
		.amdhsa_user_sgpr_queue_ptr 0
		.amdhsa_user_sgpr_kernarg_segment_ptr 1
		.amdhsa_user_sgpr_dispatch_id 0
		.amdhsa_user_sgpr_flat_scratch_init 0
		.amdhsa_user_sgpr_private_segment_size 0
		.amdhsa_uses_dynamic_stack 0
		.amdhsa_system_sgpr_private_segment_wavefront_offset 0
		.amdhsa_system_sgpr_workgroup_id_x 1
		.amdhsa_system_sgpr_workgroup_id_y 0
		.amdhsa_system_sgpr_workgroup_id_z 0
		.amdhsa_system_sgpr_workgroup_info 0
		.amdhsa_system_vgpr_workitem_id 0
		.amdhsa_next_free_vgpr 1
		.amdhsa_next_free_sgpr 0
		.amdhsa_reserve_vcc 0
		.amdhsa_reserve_flat_scratch 0
		.amdhsa_float_round_mode_32 0
		.amdhsa_float_round_mode_16_64 0
		.amdhsa_float_denorm_mode_32 3
		.amdhsa_float_denorm_mode_16_64 3
		.amdhsa_dx10_clamp 1
		.amdhsa_ieee_mode 1
		.amdhsa_fp16_overflow 0
		.amdhsa_exception_fp_ieee_invalid_op 0
		.amdhsa_exception_fp_denorm_src 0
		.amdhsa_exception_fp_ieee_div_zero 0
		.amdhsa_exception_fp_ieee_overflow 0
		.amdhsa_exception_fp_ieee_underflow 0
		.amdhsa_exception_fp_ieee_inexact 0
		.amdhsa_exception_int_div_zero 0
	.end_amdhsa_kernel
	.section	.text._ZN7rocprim17ROCPRIM_400000_NS6detail17trampoline_kernelINS0_14default_configENS1_29binary_search_config_selectorIfiEEZNS1_14transform_implILb0ES3_S5_N6thrust23THRUST_200600_302600_NS6detail15normal_iteratorINS8_7pointerIfNS8_11hip_rocprim5par_tENS8_11use_defaultESE_EEEENSA_INSB_IiSD_SE_SE_EEEEZNS1_13binary_searchIS3_S5_PfSG_SI_NS1_16binary_search_opENS9_16wrapped_functionINS8_6system6detail7generic6detail18binary_search_lessEbEEEE10hipError_tPvRmT1_T2_T3_mmT4_T5_P12ihipStream_tbEUlRKfE_EEST_SX_SY_mSZ_S12_bEUlT_E_NS1_11comp_targetILNS1_3genE5ELNS1_11target_archE942ELNS1_3gpuE9ELNS1_3repE0EEENS1_30default_config_static_selectorELNS0_4arch9wavefront6targetE1EEEvSW_,"axG",@progbits,_ZN7rocprim17ROCPRIM_400000_NS6detail17trampoline_kernelINS0_14default_configENS1_29binary_search_config_selectorIfiEEZNS1_14transform_implILb0ES3_S5_N6thrust23THRUST_200600_302600_NS6detail15normal_iteratorINS8_7pointerIfNS8_11hip_rocprim5par_tENS8_11use_defaultESE_EEEENSA_INSB_IiSD_SE_SE_EEEEZNS1_13binary_searchIS3_S5_PfSG_SI_NS1_16binary_search_opENS9_16wrapped_functionINS8_6system6detail7generic6detail18binary_search_lessEbEEEE10hipError_tPvRmT1_T2_T3_mmT4_T5_P12ihipStream_tbEUlRKfE_EEST_SX_SY_mSZ_S12_bEUlT_E_NS1_11comp_targetILNS1_3genE5ELNS1_11target_archE942ELNS1_3gpuE9ELNS1_3repE0EEENS1_30default_config_static_selectorELNS0_4arch9wavefront6targetE1EEEvSW_,comdat
.Lfunc_end254:
	.size	_ZN7rocprim17ROCPRIM_400000_NS6detail17trampoline_kernelINS0_14default_configENS1_29binary_search_config_selectorIfiEEZNS1_14transform_implILb0ES3_S5_N6thrust23THRUST_200600_302600_NS6detail15normal_iteratorINS8_7pointerIfNS8_11hip_rocprim5par_tENS8_11use_defaultESE_EEEENSA_INSB_IiSD_SE_SE_EEEEZNS1_13binary_searchIS3_S5_PfSG_SI_NS1_16binary_search_opENS9_16wrapped_functionINS8_6system6detail7generic6detail18binary_search_lessEbEEEE10hipError_tPvRmT1_T2_T3_mmT4_T5_P12ihipStream_tbEUlRKfE_EEST_SX_SY_mSZ_S12_bEUlT_E_NS1_11comp_targetILNS1_3genE5ELNS1_11target_archE942ELNS1_3gpuE9ELNS1_3repE0EEENS1_30default_config_static_selectorELNS0_4arch9wavefront6targetE1EEEvSW_, .Lfunc_end254-_ZN7rocprim17ROCPRIM_400000_NS6detail17trampoline_kernelINS0_14default_configENS1_29binary_search_config_selectorIfiEEZNS1_14transform_implILb0ES3_S5_N6thrust23THRUST_200600_302600_NS6detail15normal_iteratorINS8_7pointerIfNS8_11hip_rocprim5par_tENS8_11use_defaultESE_EEEENSA_INSB_IiSD_SE_SE_EEEEZNS1_13binary_searchIS3_S5_PfSG_SI_NS1_16binary_search_opENS9_16wrapped_functionINS8_6system6detail7generic6detail18binary_search_lessEbEEEE10hipError_tPvRmT1_T2_T3_mmT4_T5_P12ihipStream_tbEUlRKfE_EEST_SX_SY_mSZ_S12_bEUlT_E_NS1_11comp_targetILNS1_3genE5ELNS1_11target_archE942ELNS1_3gpuE9ELNS1_3repE0EEENS1_30default_config_static_selectorELNS0_4arch9wavefront6targetE1EEEvSW_
                                        ; -- End function
	.set _ZN7rocprim17ROCPRIM_400000_NS6detail17trampoline_kernelINS0_14default_configENS1_29binary_search_config_selectorIfiEEZNS1_14transform_implILb0ES3_S5_N6thrust23THRUST_200600_302600_NS6detail15normal_iteratorINS8_7pointerIfNS8_11hip_rocprim5par_tENS8_11use_defaultESE_EEEENSA_INSB_IiSD_SE_SE_EEEEZNS1_13binary_searchIS3_S5_PfSG_SI_NS1_16binary_search_opENS9_16wrapped_functionINS8_6system6detail7generic6detail18binary_search_lessEbEEEE10hipError_tPvRmT1_T2_T3_mmT4_T5_P12ihipStream_tbEUlRKfE_EEST_SX_SY_mSZ_S12_bEUlT_E_NS1_11comp_targetILNS1_3genE5ELNS1_11target_archE942ELNS1_3gpuE9ELNS1_3repE0EEENS1_30default_config_static_selectorELNS0_4arch9wavefront6targetE1EEEvSW_.num_vgpr, 0
	.set _ZN7rocprim17ROCPRIM_400000_NS6detail17trampoline_kernelINS0_14default_configENS1_29binary_search_config_selectorIfiEEZNS1_14transform_implILb0ES3_S5_N6thrust23THRUST_200600_302600_NS6detail15normal_iteratorINS8_7pointerIfNS8_11hip_rocprim5par_tENS8_11use_defaultESE_EEEENSA_INSB_IiSD_SE_SE_EEEEZNS1_13binary_searchIS3_S5_PfSG_SI_NS1_16binary_search_opENS9_16wrapped_functionINS8_6system6detail7generic6detail18binary_search_lessEbEEEE10hipError_tPvRmT1_T2_T3_mmT4_T5_P12ihipStream_tbEUlRKfE_EEST_SX_SY_mSZ_S12_bEUlT_E_NS1_11comp_targetILNS1_3genE5ELNS1_11target_archE942ELNS1_3gpuE9ELNS1_3repE0EEENS1_30default_config_static_selectorELNS0_4arch9wavefront6targetE1EEEvSW_.num_agpr, 0
	.set _ZN7rocprim17ROCPRIM_400000_NS6detail17trampoline_kernelINS0_14default_configENS1_29binary_search_config_selectorIfiEEZNS1_14transform_implILb0ES3_S5_N6thrust23THRUST_200600_302600_NS6detail15normal_iteratorINS8_7pointerIfNS8_11hip_rocprim5par_tENS8_11use_defaultESE_EEEENSA_INSB_IiSD_SE_SE_EEEEZNS1_13binary_searchIS3_S5_PfSG_SI_NS1_16binary_search_opENS9_16wrapped_functionINS8_6system6detail7generic6detail18binary_search_lessEbEEEE10hipError_tPvRmT1_T2_T3_mmT4_T5_P12ihipStream_tbEUlRKfE_EEST_SX_SY_mSZ_S12_bEUlT_E_NS1_11comp_targetILNS1_3genE5ELNS1_11target_archE942ELNS1_3gpuE9ELNS1_3repE0EEENS1_30default_config_static_selectorELNS0_4arch9wavefront6targetE1EEEvSW_.numbered_sgpr, 0
	.set _ZN7rocprim17ROCPRIM_400000_NS6detail17trampoline_kernelINS0_14default_configENS1_29binary_search_config_selectorIfiEEZNS1_14transform_implILb0ES3_S5_N6thrust23THRUST_200600_302600_NS6detail15normal_iteratorINS8_7pointerIfNS8_11hip_rocprim5par_tENS8_11use_defaultESE_EEEENSA_INSB_IiSD_SE_SE_EEEEZNS1_13binary_searchIS3_S5_PfSG_SI_NS1_16binary_search_opENS9_16wrapped_functionINS8_6system6detail7generic6detail18binary_search_lessEbEEEE10hipError_tPvRmT1_T2_T3_mmT4_T5_P12ihipStream_tbEUlRKfE_EEST_SX_SY_mSZ_S12_bEUlT_E_NS1_11comp_targetILNS1_3genE5ELNS1_11target_archE942ELNS1_3gpuE9ELNS1_3repE0EEENS1_30default_config_static_selectorELNS0_4arch9wavefront6targetE1EEEvSW_.num_named_barrier, 0
	.set _ZN7rocprim17ROCPRIM_400000_NS6detail17trampoline_kernelINS0_14default_configENS1_29binary_search_config_selectorIfiEEZNS1_14transform_implILb0ES3_S5_N6thrust23THRUST_200600_302600_NS6detail15normal_iteratorINS8_7pointerIfNS8_11hip_rocprim5par_tENS8_11use_defaultESE_EEEENSA_INSB_IiSD_SE_SE_EEEEZNS1_13binary_searchIS3_S5_PfSG_SI_NS1_16binary_search_opENS9_16wrapped_functionINS8_6system6detail7generic6detail18binary_search_lessEbEEEE10hipError_tPvRmT1_T2_T3_mmT4_T5_P12ihipStream_tbEUlRKfE_EEST_SX_SY_mSZ_S12_bEUlT_E_NS1_11comp_targetILNS1_3genE5ELNS1_11target_archE942ELNS1_3gpuE9ELNS1_3repE0EEENS1_30default_config_static_selectorELNS0_4arch9wavefront6targetE1EEEvSW_.private_seg_size, 0
	.set _ZN7rocprim17ROCPRIM_400000_NS6detail17trampoline_kernelINS0_14default_configENS1_29binary_search_config_selectorIfiEEZNS1_14transform_implILb0ES3_S5_N6thrust23THRUST_200600_302600_NS6detail15normal_iteratorINS8_7pointerIfNS8_11hip_rocprim5par_tENS8_11use_defaultESE_EEEENSA_INSB_IiSD_SE_SE_EEEEZNS1_13binary_searchIS3_S5_PfSG_SI_NS1_16binary_search_opENS9_16wrapped_functionINS8_6system6detail7generic6detail18binary_search_lessEbEEEE10hipError_tPvRmT1_T2_T3_mmT4_T5_P12ihipStream_tbEUlRKfE_EEST_SX_SY_mSZ_S12_bEUlT_E_NS1_11comp_targetILNS1_3genE5ELNS1_11target_archE942ELNS1_3gpuE9ELNS1_3repE0EEENS1_30default_config_static_selectorELNS0_4arch9wavefront6targetE1EEEvSW_.uses_vcc, 0
	.set _ZN7rocprim17ROCPRIM_400000_NS6detail17trampoline_kernelINS0_14default_configENS1_29binary_search_config_selectorIfiEEZNS1_14transform_implILb0ES3_S5_N6thrust23THRUST_200600_302600_NS6detail15normal_iteratorINS8_7pointerIfNS8_11hip_rocprim5par_tENS8_11use_defaultESE_EEEENSA_INSB_IiSD_SE_SE_EEEEZNS1_13binary_searchIS3_S5_PfSG_SI_NS1_16binary_search_opENS9_16wrapped_functionINS8_6system6detail7generic6detail18binary_search_lessEbEEEE10hipError_tPvRmT1_T2_T3_mmT4_T5_P12ihipStream_tbEUlRKfE_EEST_SX_SY_mSZ_S12_bEUlT_E_NS1_11comp_targetILNS1_3genE5ELNS1_11target_archE942ELNS1_3gpuE9ELNS1_3repE0EEENS1_30default_config_static_selectorELNS0_4arch9wavefront6targetE1EEEvSW_.uses_flat_scratch, 0
	.set _ZN7rocprim17ROCPRIM_400000_NS6detail17trampoline_kernelINS0_14default_configENS1_29binary_search_config_selectorIfiEEZNS1_14transform_implILb0ES3_S5_N6thrust23THRUST_200600_302600_NS6detail15normal_iteratorINS8_7pointerIfNS8_11hip_rocprim5par_tENS8_11use_defaultESE_EEEENSA_INSB_IiSD_SE_SE_EEEEZNS1_13binary_searchIS3_S5_PfSG_SI_NS1_16binary_search_opENS9_16wrapped_functionINS8_6system6detail7generic6detail18binary_search_lessEbEEEE10hipError_tPvRmT1_T2_T3_mmT4_T5_P12ihipStream_tbEUlRKfE_EEST_SX_SY_mSZ_S12_bEUlT_E_NS1_11comp_targetILNS1_3genE5ELNS1_11target_archE942ELNS1_3gpuE9ELNS1_3repE0EEENS1_30default_config_static_selectorELNS0_4arch9wavefront6targetE1EEEvSW_.has_dyn_sized_stack, 0
	.set _ZN7rocprim17ROCPRIM_400000_NS6detail17trampoline_kernelINS0_14default_configENS1_29binary_search_config_selectorIfiEEZNS1_14transform_implILb0ES3_S5_N6thrust23THRUST_200600_302600_NS6detail15normal_iteratorINS8_7pointerIfNS8_11hip_rocprim5par_tENS8_11use_defaultESE_EEEENSA_INSB_IiSD_SE_SE_EEEEZNS1_13binary_searchIS3_S5_PfSG_SI_NS1_16binary_search_opENS9_16wrapped_functionINS8_6system6detail7generic6detail18binary_search_lessEbEEEE10hipError_tPvRmT1_T2_T3_mmT4_T5_P12ihipStream_tbEUlRKfE_EEST_SX_SY_mSZ_S12_bEUlT_E_NS1_11comp_targetILNS1_3genE5ELNS1_11target_archE942ELNS1_3gpuE9ELNS1_3repE0EEENS1_30default_config_static_selectorELNS0_4arch9wavefront6targetE1EEEvSW_.has_recursion, 0
	.set _ZN7rocprim17ROCPRIM_400000_NS6detail17trampoline_kernelINS0_14default_configENS1_29binary_search_config_selectorIfiEEZNS1_14transform_implILb0ES3_S5_N6thrust23THRUST_200600_302600_NS6detail15normal_iteratorINS8_7pointerIfNS8_11hip_rocprim5par_tENS8_11use_defaultESE_EEEENSA_INSB_IiSD_SE_SE_EEEEZNS1_13binary_searchIS3_S5_PfSG_SI_NS1_16binary_search_opENS9_16wrapped_functionINS8_6system6detail7generic6detail18binary_search_lessEbEEEE10hipError_tPvRmT1_T2_T3_mmT4_T5_P12ihipStream_tbEUlRKfE_EEST_SX_SY_mSZ_S12_bEUlT_E_NS1_11comp_targetILNS1_3genE5ELNS1_11target_archE942ELNS1_3gpuE9ELNS1_3repE0EEENS1_30default_config_static_selectorELNS0_4arch9wavefront6targetE1EEEvSW_.has_indirect_call, 0
	.section	.AMDGPU.csdata,"",@progbits
; Kernel info:
; codeLenInByte = 0
; TotalNumSgprs: 4
; NumVgprs: 0
; ScratchSize: 0
; MemoryBound: 0
; FloatMode: 240
; IeeeMode: 1
; LDSByteSize: 0 bytes/workgroup (compile time only)
; SGPRBlocks: 0
; VGPRBlocks: 0
; NumSGPRsForWavesPerEU: 4
; NumVGPRsForWavesPerEU: 1
; Occupancy: 10
; WaveLimiterHint : 0
; COMPUTE_PGM_RSRC2:SCRATCH_EN: 0
; COMPUTE_PGM_RSRC2:USER_SGPR: 6
; COMPUTE_PGM_RSRC2:TRAP_HANDLER: 0
; COMPUTE_PGM_RSRC2:TGID_X_EN: 1
; COMPUTE_PGM_RSRC2:TGID_Y_EN: 0
; COMPUTE_PGM_RSRC2:TGID_Z_EN: 0
; COMPUTE_PGM_RSRC2:TIDIG_COMP_CNT: 0
	.section	.text._ZN7rocprim17ROCPRIM_400000_NS6detail17trampoline_kernelINS0_14default_configENS1_29binary_search_config_selectorIfiEEZNS1_14transform_implILb0ES3_S5_N6thrust23THRUST_200600_302600_NS6detail15normal_iteratorINS8_7pointerIfNS8_11hip_rocprim5par_tENS8_11use_defaultESE_EEEENSA_INSB_IiSD_SE_SE_EEEEZNS1_13binary_searchIS3_S5_PfSG_SI_NS1_16binary_search_opENS9_16wrapped_functionINS8_6system6detail7generic6detail18binary_search_lessEbEEEE10hipError_tPvRmT1_T2_T3_mmT4_T5_P12ihipStream_tbEUlRKfE_EEST_SX_SY_mSZ_S12_bEUlT_E_NS1_11comp_targetILNS1_3genE4ELNS1_11target_archE910ELNS1_3gpuE8ELNS1_3repE0EEENS1_30default_config_static_selectorELNS0_4arch9wavefront6targetE1EEEvSW_,"axG",@progbits,_ZN7rocprim17ROCPRIM_400000_NS6detail17trampoline_kernelINS0_14default_configENS1_29binary_search_config_selectorIfiEEZNS1_14transform_implILb0ES3_S5_N6thrust23THRUST_200600_302600_NS6detail15normal_iteratorINS8_7pointerIfNS8_11hip_rocprim5par_tENS8_11use_defaultESE_EEEENSA_INSB_IiSD_SE_SE_EEEEZNS1_13binary_searchIS3_S5_PfSG_SI_NS1_16binary_search_opENS9_16wrapped_functionINS8_6system6detail7generic6detail18binary_search_lessEbEEEE10hipError_tPvRmT1_T2_T3_mmT4_T5_P12ihipStream_tbEUlRKfE_EEST_SX_SY_mSZ_S12_bEUlT_E_NS1_11comp_targetILNS1_3genE4ELNS1_11target_archE910ELNS1_3gpuE8ELNS1_3repE0EEENS1_30default_config_static_selectorELNS0_4arch9wavefront6targetE1EEEvSW_,comdat
	.protected	_ZN7rocprim17ROCPRIM_400000_NS6detail17trampoline_kernelINS0_14default_configENS1_29binary_search_config_selectorIfiEEZNS1_14transform_implILb0ES3_S5_N6thrust23THRUST_200600_302600_NS6detail15normal_iteratorINS8_7pointerIfNS8_11hip_rocprim5par_tENS8_11use_defaultESE_EEEENSA_INSB_IiSD_SE_SE_EEEEZNS1_13binary_searchIS3_S5_PfSG_SI_NS1_16binary_search_opENS9_16wrapped_functionINS8_6system6detail7generic6detail18binary_search_lessEbEEEE10hipError_tPvRmT1_T2_T3_mmT4_T5_P12ihipStream_tbEUlRKfE_EEST_SX_SY_mSZ_S12_bEUlT_E_NS1_11comp_targetILNS1_3genE4ELNS1_11target_archE910ELNS1_3gpuE8ELNS1_3repE0EEENS1_30default_config_static_selectorELNS0_4arch9wavefront6targetE1EEEvSW_ ; -- Begin function _ZN7rocprim17ROCPRIM_400000_NS6detail17trampoline_kernelINS0_14default_configENS1_29binary_search_config_selectorIfiEEZNS1_14transform_implILb0ES3_S5_N6thrust23THRUST_200600_302600_NS6detail15normal_iteratorINS8_7pointerIfNS8_11hip_rocprim5par_tENS8_11use_defaultESE_EEEENSA_INSB_IiSD_SE_SE_EEEEZNS1_13binary_searchIS3_S5_PfSG_SI_NS1_16binary_search_opENS9_16wrapped_functionINS8_6system6detail7generic6detail18binary_search_lessEbEEEE10hipError_tPvRmT1_T2_T3_mmT4_T5_P12ihipStream_tbEUlRKfE_EEST_SX_SY_mSZ_S12_bEUlT_E_NS1_11comp_targetILNS1_3genE4ELNS1_11target_archE910ELNS1_3gpuE8ELNS1_3repE0EEENS1_30default_config_static_selectorELNS0_4arch9wavefront6targetE1EEEvSW_
	.globl	_ZN7rocprim17ROCPRIM_400000_NS6detail17trampoline_kernelINS0_14default_configENS1_29binary_search_config_selectorIfiEEZNS1_14transform_implILb0ES3_S5_N6thrust23THRUST_200600_302600_NS6detail15normal_iteratorINS8_7pointerIfNS8_11hip_rocprim5par_tENS8_11use_defaultESE_EEEENSA_INSB_IiSD_SE_SE_EEEEZNS1_13binary_searchIS3_S5_PfSG_SI_NS1_16binary_search_opENS9_16wrapped_functionINS8_6system6detail7generic6detail18binary_search_lessEbEEEE10hipError_tPvRmT1_T2_T3_mmT4_T5_P12ihipStream_tbEUlRKfE_EEST_SX_SY_mSZ_S12_bEUlT_E_NS1_11comp_targetILNS1_3genE4ELNS1_11target_archE910ELNS1_3gpuE8ELNS1_3repE0EEENS1_30default_config_static_selectorELNS0_4arch9wavefront6targetE1EEEvSW_
	.p2align	8
	.type	_ZN7rocprim17ROCPRIM_400000_NS6detail17trampoline_kernelINS0_14default_configENS1_29binary_search_config_selectorIfiEEZNS1_14transform_implILb0ES3_S5_N6thrust23THRUST_200600_302600_NS6detail15normal_iteratorINS8_7pointerIfNS8_11hip_rocprim5par_tENS8_11use_defaultESE_EEEENSA_INSB_IiSD_SE_SE_EEEEZNS1_13binary_searchIS3_S5_PfSG_SI_NS1_16binary_search_opENS9_16wrapped_functionINS8_6system6detail7generic6detail18binary_search_lessEbEEEE10hipError_tPvRmT1_T2_T3_mmT4_T5_P12ihipStream_tbEUlRKfE_EEST_SX_SY_mSZ_S12_bEUlT_E_NS1_11comp_targetILNS1_3genE4ELNS1_11target_archE910ELNS1_3gpuE8ELNS1_3repE0EEENS1_30default_config_static_selectorELNS0_4arch9wavefront6targetE1EEEvSW_,@function
_ZN7rocprim17ROCPRIM_400000_NS6detail17trampoline_kernelINS0_14default_configENS1_29binary_search_config_selectorIfiEEZNS1_14transform_implILb0ES3_S5_N6thrust23THRUST_200600_302600_NS6detail15normal_iteratorINS8_7pointerIfNS8_11hip_rocprim5par_tENS8_11use_defaultESE_EEEENSA_INSB_IiSD_SE_SE_EEEEZNS1_13binary_searchIS3_S5_PfSG_SI_NS1_16binary_search_opENS9_16wrapped_functionINS8_6system6detail7generic6detail18binary_search_lessEbEEEE10hipError_tPvRmT1_T2_T3_mmT4_T5_P12ihipStream_tbEUlRKfE_EEST_SX_SY_mSZ_S12_bEUlT_E_NS1_11comp_targetILNS1_3genE4ELNS1_11target_archE910ELNS1_3gpuE8ELNS1_3repE0EEENS1_30default_config_static_selectorELNS0_4arch9wavefront6targetE1EEEvSW_: ; @_ZN7rocprim17ROCPRIM_400000_NS6detail17trampoline_kernelINS0_14default_configENS1_29binary_search_config_selectorIfiEEZNS1_14transform_implILb0ES3_S5_N6thrust23THRUST_200600_302600_NS6detail15normal_iteratorINS8_7pointerIfNS8_11hip_rocprim5par_tENS8_11use_defaultESE_EEEENSA_INSB_IiSD_SE_SE_EEEEZNS1_13binary_searchIS3_S5_PfSG_SI_NS1_16binary_search_opENS9_16wrapped_functionINS8_6system6detail7generic6detail18binary_search_lessEbEEEE10hipError_tPvRmT1_T2_T3_mmT4_T5_P12ihipStream_tbEUlRKfE_EEST_SX_SY_mSZ_S12_bEUlT_E_NS1_11comp_targetILNS1_3genE4ELNS1_11target_archE910ELNS1_3gpuE8ELNS1_3repE0EEENS1_30default_config_static_selectorELNS0_4arch9wavefront6targetE1EEEvSW_
; %bb.0:
	.section	.rodata,"a",@progbits
	.p2align	6, 0x0
	.amdhsa_kernel _ZN7rocprim17ROCPRIM_400000_NS6detail17trampoline_kernelINS0_14default_configENS1_29binary_search_config_selectorIfiEEZNS1_14transform_implILb0ES3_S5_N6thrust23THRUST_200600_302600_NS6detail15normal_iteratorINS8_7pointerIfNS8_11hip_rocprim5par_tENS8_11use_defaultESE_EEEENSA_INSB_IiSD_SE_SE_EEEEZNS1_13binary_searchIS3_S5_PfSG_SI_NS1_16binary_search_opENS9_16wrapped_functionINS8_6system6detail7generic6detail18binary_search_lessEbEEEE10hipError_tPvRmT1_T2_T3_mmT4_T5_P12ihipStream_tbEUlRKfE_EEST_SX_SY_mSZ_S12_bEUlT_E_NS1_11comp_targetILNS1_3genE4ELNS1_11target_archE910ELNS1_3gpuE8ELNS1_3repE0EEENS1_30default_config_static_selectorELNS0_4arch9wavefront6targetE1EEEvSW_
		.amdhsa_group_segment_fixed_size 0
		.amdhsa_private_segment_fixed_size 0
		.amdhsa_kernarg_size 56
		.amdhsa_user_sgpr_count 6
		.amdhsa_user_sgpr_private_segment_buffer 1
		.amdhsa_user_sgpr_dispatch_ptr 0
		.amdhsa_user_sgpr_queue_ptr 0
		.amdhsa_user_sgpr_kernarg_segment_ptr 1
		.amdhsa_user_sgpr_dispatch_id 0
		.amdhsa_user_sgpr_flat_scratch_init 0
		.amdhsa_user_sgpr_private_segment_size 0
		.amdhsa_uses_dynamic_stack 0
		.amdhsa_system_sgpr_private_segment_wavefront_offset 0
		.amdhsa_system_sgpr_workgroup_id_x 1
		.amdhsa_system_sgpr_workgroup_id_y 0
		.amdhsa_system_sgpr_workgroup_id_z 0
		.amdhsa_system_sgpr_workgroup_info 0
		.amdhsa_system_vgpr_workitem_id 0
		.amdhsa_next_free_vgpr 1
		.amdhsa_next_free_sgpr 0
		.amdhsa_reserve_vcc 0
		.amdhsa_reserve_flat_scratch 0
		.amdhsa_float_round_mode_32 0
		.amdhsa_float_round_mode_16_64 0
		.amdhsa_float_denorm_mode_32 3
		.amdhsa_float_denorm_mode_16_64 3
		.amdhsa_dx10_clamp 1
		.amdhsa_ieee_mode 1
		.amdhsa_fp16_overflow 0
		.amdhsa_exception_fp_ieee_invalid_op 0
		.amdhsa_exception_fp_denorm_src 0
		.amdhsa_exception_fp_ieee_div_zero 0
		.amdhsa_exception_fp_ieee_overflow 0
		.amdhsa_exception_fp_ieee_underflow 0
		.amdhsa_exception_fp_ieee_inexact 0
		.amdhsa_exception_int_div_zero 0
	.end_amdhsa_kernel
	.section	.text._ZN7rocprim17ROCPRIM_400000_NS6detail17trampoline_kernelINS0_14default_configENS1_29binary_search_config_selectorIfiEEZNS1_14transform_implILb0ES3_S5_N6thrust23THRUST_200600_302600_NS6detail15normal_iteratorINS8_7pointerIfNS8_11hip_rocprim5par_tENS8_11use_defaultESE_EEEENSA_INSB_IiSD_SE_SE_EEEEZNS1_13binary_searchIS3_S5_PfSG_SI_NS1_16binary_search_opENS9_16wrapped_functionINS8_6system6detail7generic6detail18binary_search_lessEbEEEE10hipError_tPvRmT1_T2_T3_mmT4_T5_P12ihipStream_tbEUlRKfE_EEST_SX_SY_mSZ_S12_bEUlT_E_NS1_11comp_targetILNS1_3genE4ELNS1_11target_archE910ELNS1_3gpuE8ELNS1_3repE0EEENS1_30default_config_static_selectorELNS0_4arch9wavefront6targetE1EEEvSW_,"axG",@progbits,_ZN7rocprim17ROCPRIM_400000_NS6detail17trampoline_kernelINS0_14default_configENS1_29binary_search_config_selectorIfiEEZNS1_14transform_implILb0ES3_S5_N6thrust23THRUST_200600_302600_NS6detail15normal_iteratorINS8_7pointerIfNS8_11hip_rocprim5par_tENS8_11use_defaultESE_EEEENSA_INSB_IiSD_SE_SE_EEEEZNS1_13binary_searchIS3_S5_PfSG_SI_NS1_16binary_search_opENS9_16wrapped_functionINS8_6system6detail7generic6detail18binary_search_lessEbEEEE10hipError_tPvRmT1_T2_T3_mmT4_T5_P12ihipStream_tbEUlRKfE_EEST_SX_SY_mSZ_S12_bEUlT_E_NS1_11comp_targetILNS1_3genE4ELNS1_11target_archE910ELNS1_3gpuE8ELNS1_3repE0EEENS1_30default_config_static_selectorELNS0_4arch9wavefront6targetE1EEEvSW_,comdat
.Lfunc_end255:
	.size	_ZN7rocprim17ROCPRIM_400000_NS6detail17trampoline_kernelINS0_14default_configENS1_29binary_search_config_selectorIfiEEZNS1_14transform_implILb0ES3_S5_N6thrust23THRUST_200600_302600_NS6detail15normal_iteratorINS8_7pointerIfNS8_11hip_rocprim5par_tENS8_11use_defaultESE_EEEENSA_INSB_IiSD_SE_SE_EEEEZNS1_13binary_searchIS3_S5_PfSG_SI_NS1_16binary_search_opENS9_16wrapped_functionINS8_6system6detail7generic6detail18binary_search_lessEbEEEE10hipError_tPvRmT1_T2_T3_mmT4_T5_P12ihipStream_tbEUlRKfE_EEST_SX_SY_mSZ_S12_bEUlT_E_NS1_11comp_targetILNS1_3genE4ELNS1_11target_archE910ELNS1_3gpuE8ELNS1_3repE0EEENS1_30default_config_static_selectorELNS0_4arch9wavefront6targetE1EEEvSW_, .Lfunc_end255-_ZN7rocprim17ROCPRIM_400000_NS6detail17trampoline_kernelINS0_14default_configENS1_29binary_search_config_selectorIfiEEZNS1_14transform_implILb0ES3_S5_N6thrust23THRUST_200600_302600_NS6detail15normal_iteratorINS8_7pointerIfNS8_11hip_rocprim5par_tENS8_11use_defaultESE_EEEENSA_INSB_IiSD_SE_SE_EEEEZNS1_13binary_searchIS3_S5_PfSG_SI_NS1_16binary_search_opENS9_16wrapped_functionINS8_6system6detail7generic6detail18binary_search_lessEbEEEE10hipError_tPvRmT1_T2_T3_mmT4_T5_P12ihipStream_tbEUlRKfE_EEST_SX_SY_mSZ_S12_bEUlT_E_NS1_11comp_targetILNS1_3genE4ELNS1_11target_archE910ELNS1_3gpuE8ELNS1_3repE0EEENS1_30default_config_static_selectorELNS0_4arch9wavefront6targetE1EEEvSW_
                                        ; -- End function
	.set _ZN7rocprim17ROCPRIM_400000_NS6detail17trampoline_kernelINS0_14default_configENS1_29binary_search_config_selectorIfiEEZNS1_14transform_implILb0ES3_S5_N6thrust23THRUST_200600_302600_NS6detail15normal_iteratorINS8_7pointerIfNS8_11hip_rocprim5par_tENS8_11use_defaultESE_EEEENSA_INSB_IiSD_SE_SE_EEEEZNS1_13binary_searchIS3_S5_PfSG_SI_NS1_16binary_search_opENS9_16wrapped_functionINS8_6system6detail7generic6detail18binary_search_lessEbEEEE10hipError_tPvRmT1_T2_T3_mmT4_T5_P12ihipStream_tbEUlRKfE_EEST_SX_SY_mSZ_S12_bEUlT_E_NS1_11comp_targetILNS1_3genE4ELNS1_11target_archE910ELNS1_3gpuE8ELNS1_3repE0EEENS1_30default_config_static_selectorELNS0_4arch9wavefront6targetE1EEEvSW_.num_vgpr, 0
	.set _ZN7rocprim17ROCPRIM_400000_NS6detail17trampoline_kernelINS0_14default_configENS1_29binary_search_config_selectorIfiEEZNS1_14transform_implILb0ES3_S5_N6thrust23THRUST_200600_302600_NS6detail15normal_iteratorINS8_7pointerIfNS8_11hip_rocprim5par_tENS8_11use_defaultESE_EEEENSA_INSB_IiSD_SE_SE_EEEEZNS1_13binary_searchIS3_S5_PfSG_SI_NS1_16binary_search_opENS9_16wrapped_functionINS8_6system6detail7generic6detail18binary_search_lessEbEEEE10hipError_tPvRmT1_T2_T3_mmT4_T5_P12ihipStream_tbEUlRKfE_EEST_SX_SY_mSZ_S12_bEUlT_E_NS1_11comp_targetILNS1_3genE4ELNS1_11target_archE910ELNS1_3gpuE8ELNS1_3repE0EEENS1_30default_config_static_selectorELNS0_4arch9wavefront6targetE1EEEvSW_.num_agpr, 0
	.set _ZN7rocprim17ROCPRIM_400000_NS6detail17trampoline_kernelINS0_14default_configENS1_29binary_search_config_selectorIfiEEZNS1_14transform_implILb0ES3_S5_N6thrust23THRUST_200600_302600_NS6detail15normal_iteratorINS8_7pointerIfNS8_11hip_rocprim5par_tENS8_11use_defaultESE_EEEENSA_INSB_IiSD_SE_SE_EEEEZNS1_13binary_searchIS3_S5_PfSG_SI_NS1_16binary_search_opENS9_16wrapped_functionINS8_6system6detail7generic6detail18binary_search_lessEbEEEE10hipError_tPvRmT1_T2_T3_mmT4_T5_P12ihipStream_tbEUlRKfE_EEST_SX_SY_mSZ_S12_bEUlT_E_NS1_11comp_targetILNS1_3genE4ELNS1_11target_archE910ELNS1_3gpuE8ELNS1_3repE0EEENS1_30default_config_static_selectorELNS0_4arch9wavefront6targetE1EEEvSW_.numbered_sgpr, 0
	.set _ZN7rocprim17ROCPRIM_400000_NS6detail17trampoline_kernelINS0_14default_configENS1_29binary_search_config_selectorIfiEEZNS1_14transform_implILb0ES3_S5_N6thrust23THRUST_200600_302600_NS6detail15normal_iteratorINS8_7pointerIfNS8_11hip_rocprim5par_tENS8_11use_defaultESE_EEEENSA_INSB_IiSD_SE_SE_EEEEZNS1_13binary_searchIS3_S5_PfSG_SI_NS1_16binary_search_opENS9_16wrapped_functionINS8_6system6detail7generic6detail18binary_search_lessEbEEEE10hipError_tPvRmT1_T2_T3_mmT4_T5_P12ihipStream_tbEUlRKfE_EEST_SX_SY_mSZ_S12_bEUlT_E_NS1_11comp_targetILNS1_3genE4ELNS1_11target_archE910ELNS1_3gpuE8ELNS1_3repE0EEENS1_30default_config_static_selectorELNS0_4arch9wavefront6targetE1EEEvSW_.num_named_barrier, 0
	.set _ZN7rocprim17ROCPRIM_400000_NS6detail17trampoline_kernelINS0_14default_configENS1_29binary_search_config_selectorIfiEEZNS1_14transform_implILb0ES3_S5_N6thrust23THRUST_200600_302600_NS6detail15normal_iteratorINS8_7pointerIfNS8_11hip_rocprim5par_tENS8_11use_defaultESE_EEEENSA_INSB_IiSD_SE_SE_EEEEZNS1_13binary_searchIS3_S5_PfSG_SI_NS1_16binary_search_opENS9_16wrapped_functionINS8_6system6detail7generic6detail18binary_search_lessEbEEEE10hipError_tPvRmT1_T2_T3_mmT4_T5_P12ihipStream_tbEUlRKfE_EEST_SX_SY_mSZ_S12_bEUlT_E_NS1_11comp_targetILNS1_3genE4ELNS1_11target_archE910ELNS1_3gpuE8ELNS1_3repE0EEENS1_30default_config_static_selectorELNS0_4arch9wavefront6targetE1EEEvSW_.private_seg_size, 0
	.set _ZN7rocprim17ROCPRIM_400000_NS6detail17trampoline_kernelINS0_14default_configENS1_29binary_search_config_selectorIfiEEZNS1_14transform_implILb0ES3_S5_N6thrust23THRUST_200600_302600_NS6detail15normal_iteratorINS8_7pointerIfNS8_11hip_rocprim5par_tENS8_11use_defaultESE_EEEENSA_INSB_IiSD_SE_SE_EEEEZNS1_13binary_searchIS3_S5_PfSG_SI_NS1_16binary_search_opENS9_16wrapped_functionINS8_6system6detail7generic6detail18binary_search_lessEbEEEE10hipError_tPvRmT1_T2_T3_mmT4_T5_P12ihipStream_tbEUlRKfE_EEST_SX_SY_mSZ_S12_bEUlT_E_NS1_11comp_targetILNS1_3genE4ELNS1_11target_archE910ELNS1_3gpuE8ELNS1_3repE0EEENS1_30default_config_static_selectorELNS0_4arch9wavefront6targetE1EEEvSW_.uses_vcc, 0
	.set _ZN7rocprim17ROCPRIM_400000_NS6detail17trampoline_kernelINS0_14default_configENS1_29binary_search_config_selectorIfiEEZNS1_14transform_implILb0ES3_S5_N6thrust23THRUST_200600_302600_NS6detail15normal_iteratorINS8_7pointerIfNS8_11hip_rocprim5par_tENS8_11use_defaultESE_EEEENSA_INSB_IiSD_SE_SE_EEEEZNS1_13binary_searchIS3_S5_PfSG_SI_NS1_16binary_search_opENS9_16wrapped_functionINS8_6system6detail7generic6detail18binary_search_lessEbEEEE10hipError_tPvRmT1_T2_T3_mmT4_T5_P12ihipStream_tbEUlRKfE_EEST_SX_SY_mSZ_S12_bEUlT_E_NS1_11comp_targetILNS1_3genE4ELNS1_11target_archE910ELNS1_3gpuE8ELNS1_3repE0EEENS1_30default_config_static_selectorELNS0_4arch9wavefront6targetE1EEEvSW_.uses_flat_scratch, 0
	.set _ZN7rocprim17ROCPRIM_400000_NS6detail17trampoline_kernelINS0_14default_configENS1_29binary_search_config_selectorIfiEEZNS1_14transform_implILb0ES3_S5_N6thrust23THRUST_200600_302600_NS6detail15normal_iteratorINS8_7pointerIfNS8_11hip_rocprim5par_tENS8_11use_defaultESE_EEEENSA_INSB_IiSD_SE_SE_EEEEZNS1_13binary_searchIS3_S5_PfSG_SI_NS1_16binary_search_opENS9_16wrapped_functionINS8_6system6detail7generic6detail18binary_search_lessEbEEEE10hipError_tPvRmT1_T2_T3_mmT4_T5_P12ihipStream_tbEUlRKfE_EEST_SX_SY_mSZ_S12_bEUlT_E_NS1_11comp_targetILNS1_3genE4ELNS1_11target_archE910ELNS1_3gpuE8ELNS1_3repE0EEENS1_30default_config_static_selectorELNS0_4arch9wavefront6targetE1EEEvSW_.has_dyn_sized_stack, 0
	.set _ZN7rocprim17ROCPRIM_400000_NS6detail17trampoline_kernelINS0_14default_configENS1_29binary_search_config_selectorIfiEEZNS1_14transform_implILb0ES3_S5_N6thrust23THRUST_200600_302600_NS6detail15normal_iteratorINS8_7pointerIfNS8_11hip_rocprim5par_tENS8_11use_defaultESE_EEEENSA_INSB_IiSD_SE_SE_EEEEZNS1_13binary_searchIS3_S5_PfSG_SI_NS1_16binary_search_opENS9_16wrapped_functionINS8_6system6detail7generic6detail18binary_search_lessEbEEEE10hipError_tPvRmT1_T2_T3_mmT4_T5_P12ihipStream_tbEUlRKfE_EEST_SX_SY_mSZ_S12_bEUlT_E_NS1_11comp_targetILNS1_3genE4ELNS1_11target_archE910ELNS1_3gpuE8ELNS1_3repE0EEENS1_30default_config_static_selectorELNS0_4arch9wavefront6targetE1EEEvSW_.has_recursion, 0
	.set _ZN7rocprim17ROCPRIM_400000_NS6detail17trampoline_kernelINS0_14default_configENS1_29binary_search_config_selectorIfiEEZNS1_14transform_implILb0ES3_S5_N6thrust23THRUST_200600_302600_NS6detail15normal_iteratorINS8_7pointerIfNS8_11hip_rocprim5par_tENS8_11use_defaultESE_EEEENSA_INSB_IiSD_SE_SE_EEEEZNS1_13binary_searchIS3_S5_PfSG_SI_NS1_16binary_search_opENS9_16wrapped_functionINS8_6system6detail7generic6detail18binary_search_lessEbEEEE10hipError_tPvRmT1_T2_T3_mmT4_T5_P12ihipStream_tbEUlRKfE_EEST_SX_SY_mSZ_S12_bEUlT_E_NS1_11comp_targetILNS1_3genE4ELNS1_11target_archE910ELNS1_3gpuE8ELNS1_3repE0EEENS1_30default_config_static_selectorELNS0_4arch9wavefront6targetE1EEEvSW_.has_indirect_call, 0
	.section	.AMDGPU.csdata,"",@progbits
; Kernel info:
; codeLenInByte = 0
; TotalNumSgprs: 4
; NumVgprs: 0
; ScratchSize: 0
; MemoryBound: 0
; FloatMode: 240
; IeeeMode: 1
; LDSByteSize: 0 bytes/workgroup (compile time only)
; SGPRBlocks: 0
; VGPRBlocks: 0
; NumSGPRsForWavesPerEU: 4
; NumVGPRsForWavesPerEU: 1
; Occupancy: 10
; WaveLimiterHint : 0
; COMPUTE_PGM_RSRC2:SCRATCH_EN: 0
; COMPUTE_PGM_RSRC2:USER_SGPR: 6
; COMPUTE_PGM_RSRC2:TRAP_HANDLER: 0
; COMPUTE_PGM_RSRC2:TGID_X_EN: 1
; COMPUTE_PGM_RSRC2:TGID_Y_EN: 0
; COMPUTE_PGM_RSRC2:TGID_Z_EN: 0
; COMPUTE_PGM_RSRC2:TIDIG_COMP_CNT: 0
	.section	.text._ZN7rocprim17ROCPRIM_400000_NS6detail17trampoline_kernelINS0_14default_configENS1_29binary_search_config_selectorIfiEEZNS1_14transform_implILb0ES3_S5_N6thrust23THRUST_200600_302600_NS6detail15normal_iteratorINS8_7pointerIfNS8_11hip_rocprim5par_tENS8_11use_defaultESE_EEEENSA_INSB_IiSD_SE_SE_EEEEZNS1_13binary_searchIS3_S5_PfSG_SI_NS1_16binary_search_opENS9_16wrapped_functionINS8_6system6detail7generic6detail18binary_search_lessEbEEEE10hipError_tPvRmT1_T2_T3_mmT4_T5_P12ihipStream_tbEUlRKfE_EEST_SX_SY_mSZ_S12_bEUlT_E_NS1_11comp_targetILNS1_3genE3ELNS1_11target_archE908ELNS1_3gpuE7ELNS1_3repE0EEENS1_30default_config_static_selectorELNS0_4arch9wavefront6targetE1EEEvSW_,"axG",@progbits,_ZN7rocprim17ROCPRIM_400000_NS6detail17trampoline_kernelINS0_14default_configENS1_29binary_search_config_selectorIfiEEZNS1_14transform_implILb0ES3_S5_N6thrust23THRUST_200600_302600_NS6detail15normal_iteratorINS8_7pointerIfNS8_11hip_rocprim5par_tENS8_11use_defaultESE_EEEENSA_INSB_IiSD_SE_SE_EEEEZNS1_13binary_searchIS3_S5_PfSG_SI_NS1_16binary_search_opENS9_16wrapped_functionINS8_6system6detail7generic6detail18binary_search_lessEbEEEE10hipError_tPvRmT1_T2_T3_mmT4_T5_P12ihipStream_tbEUlRKfE_EEST_SX_SY_mSZ_S12_bEUlT_E_NS1_11comp_targetILNS1_3genE3ELNS1_11target_archE908ELNS1_3gpuE7ELNS1_3repE0EEENS1_30default_config_static_selectorELNS0_4arch9wavefront6targetE1EEEvSW_,comdat
	.protected	_ZN7rocprim17ROCPRIM_400000_NS6detail17trampoline_kernelINS0_14default_configENS1_29binary_search_config_selectorIfiEEZNS1_14transform_implILb0ES3_S5_N6thrust23THRUST_200600_302600_NS6detail15normal_iteratorINS8_7pointerIfNS8_11hip_rocprim5par_tENS8_11use_defaultESE_EEEENSA_INSB_IiSD_SE_SE_EEEEZNS1_13binary_searchIS3_S5_PfSG_SI_NS1_16binary_search_opENS9_16wrapped_functionINS8_6system6detail7generic6detail18binary_search_lessEbEEEE10hipError_tPvRmT1_T2_T3_mmT4_T5_P12ihipStream_tbEUlRKfE_EEST_SX_SY_mSZ_S12_bEUlT_E_NS1_11comp_targetILNS1_3genE3ELNS1_11target_archE908ELNS1_3gpuE7ELNS1_3repE0EEENS1_30default_config_static_selectorELNS0_4arch9wavefront6targetE1EEEvSW_ ; -- Begin function _ZN7rocprim17ROCPRIM_400000_NS6detail17trampoline_kernelINS0_14default_configENS1_29binary_search_config_selectorIfiEEZNS1_14transform_implILb0ES3_S5_N6thrust23THRUST_200600_302600_NS6detail15normal_iteratorINS8_7pointerIfNS8_11hip_rocprim5par_tENS8_11use_defaultESE_EEEENSA_INSB_IiSD_SE_SE_EEEEZNS1_13binary_searchIS3_S5_PfSG_SI_NS1_16binary_search_opENS9_16wrapped_functionINS8_6system6detail7generic6detail18binary_search_lessEbEEEE10hipError_tPvRmT1_T2_T3_mmT4_T5_P12ihipStream_tbEUlRKfE_EEST_SX_SY_mSZ_S12_bEUlT_E_NS1_11comp_targetILNS1_3genE3ELNS1_11target_archE908ELNS1_3gpuE7ELNS1_3repE0EEENS1_30default_config_static_selectorELNS0_4arch9wavefront6targetE1EEEvSW_
	.globl	_ZN7rocprim17ROCPRIM_400000_NS6detail17trampoline_kernelINS0_14default_configENS1_29binary_search_config_selectorIfiEEZNS1_14transform_implILb0ES3_S5_N6thrust23THRUST_200600_302600_NS6detail15normal_iteratorINS8_7pointerIfNS8_11hip_rocprim5par_tENS8_11use_defaultESE_EEEENSA_INSB_IiSD_SE_SE_EEEEZNS1_13binary_searchIS3_S5_PfSG_SI_NS1_16binary_search_opENS9_16wrapped_functionINS8_6system6detail7generic6detail18binary_search_lessEbEEEE10hipError_tPvRmT1_T2_T3_mmT4_T5_P12ihipStream_tbEUlRKfE_EEST_SX_SY_mSZ_S12_bEUlT_E_NS1_11comp_targetILNS1_3genE3ELNS1_11target_archE908ELNS1_3gpuE7ELNS1_3repE0EEENS1_30default_config_static_selectorELNS0_4arch9wavefront6targetE1EEEvSW_
	.p2align	8
	.type	_ZN7rocprim17ROCPRIM_400000_NS6detail17trampoline_kernelINS0_14default_configENS1_29binary_search_config_selectorIfiEEZNS1_14transform_implILb0ES3_S5_N6thrust23THRUST_200600_302600_NS6detail15normal_iteratorINS8_7pointerIfNS8_11hip_rocprim5par_tENS8_11use_defaultESE_EEEENSA_INSB_IiSD_SE_SE_EEEEZNS1_13binary_searchIS3_S5_PfSG_SI_NS1_16binary_search_opENS9_16wrapped_functionINS8_6system6detail7generic6detail18binary_search_lessEbEEEE10hipError_tPvRmT1_T2_T3_mmT4_T5_P12ihipStream_tbEUlRKfE_EEST_SX_SY_mSZ_S12_bEUlT_E_NS1_11comp_targetILNS1_3genE3ELNS1_11target_archE908ELNS1_3gpuE7ELNS1_3repE0EEENS1_30default_config_static_selectorELNS0_4arch9wavefront6targetE1EEEvSW_,@function
_ZN7rocprim17ROCPRIM_400000_NS6detail17trampoline_kernelINS0_14default_configENS1_29binary_search_config_selectorIfiEEZNS1_14transform_implILb0ES3_S5_N6thrust23THRUST_200600_302600_NS6detail15normal_iteratorINS8_7pointerIfNS8_11hip_rocprim5par_tENS8_11use_defaultESE_EEEENSA_INSB_IiSD_SE_SE_EEEEZNS1_13binary_searchIS3_S5_PfSG_SI_NS1_16binary_search_opENS9_16wrapped_functionINS8_6system6detail7generic6detail18binary_search_lessEbEEEE10hipError_tPvRmT1_T2_T3_mmT4_T5_P12ihipStream_tbEUlRKfE_EEST_SX_SY_mSZ_S12_bEUlT_E_NS1_11comp_targetILNS1_3genE3ELNS1_11target_archE908ELNS1_3gpuE7ELNS1_3repE0EEENS1_30default_config_static_selectorELNS0_4arch9wavefront6targetE1EEEvSW_: ; @_ZN7rocprim17ROCPRIM_400000_NS6detail17trampoline_kernelINS0_14default_configENS1_29binary_search_config_selectorIfiEEZNS1_14transform_implILb0ES3_S5_N6thrust23THRUST_200600_302600_NS6detail15normal_iteratorINS8_7pointerIfNS8_11hip_rocprim5par_tENS8_11use_defaultESE_EEEENSA_INSB_IiSD_SE_SE_EEEEZNS1_13binary_searchIS3_S5_PfSG_SI_NS1_16binary_search_opENS9_16wrapped_functionINS8_6system6detail7generic6detail18binary_search_lessEbEEEE10hipError_tPvRmT1_T2_T3_mmT4_T5_P12ihipStream_tbEUlRKfE_EEST_SX_SY_mSZ_S12_bEUlT_E_NS1_11comp_targetILNS1_3genE3ELNS1_11target_archE908ELNS1_3gpuE7ELNS1_3repE0EEENS1_30default_config_static_selectorELNS0_4arch9wavefront6targetE1EEEvSW_
; %bb.0:
	.section	.rodata,"a",@progbits
	.p2align	6, 0x0
	.amdhsa_kernel _ZN7rocprim17ROCPRIM_400000_NS6detail17trampoline_kernelINS0_14default_configENS1_29binary_search_config_selectorIfiEEZNS1_14transform_implILb0ES3_S5_N6thrust23THRUST_200600_302600_NS6detail15normal_iteratorINS8_7pointerIfNS8_11hip_rocprim5par_tENS8_11use_defaultESE_EEEENSA_INSB_IiSD_SE_SE_EEEEZNS1_13binary_searchIS3_S5_PfSG_SI_NS1_16binary_search_opENS9_16wrapped_functionINS8_6system6detail7generic6detail18binary_search_lessEbEEEE10hipError_tPvRmT1_T2_T3_mmT4_T5_P12ihipStream_tbEUlRKfE_EEST_SX_SY_mSZ_S12_bEUlT_E_NS1_11comp_targetILNS1_3genE3ELNS1_11target_archE908ELNS1_3gpuE7ELNS1_3repE0EEENS1_30default_config_static_selectorELNS0_4arch9wavefront6targetE1EEEvSW_
		.amdhsa_group_segment_fixed_size 0
		.amdhsa_private_segment_fixed_size 0
		.amdhsa_kernarg_size 56
		.amdhsa_user_sgpr_count 6
		.amdhsa_user_sgpr_private_segment_buffer 1
		.amdhsa_user_sgpr_dispatch_ptr 0
		.amdhsa_user_sgpr_queue_ptr 0
		.amdhsa_user_sgpr_kernarg_segment_ptr 1
		.amdhsa_user_sgpr_dispatch_id 0
		.amdhsa_user_sgpr_flat_scratch_init 0
		.amdhsa_user_sgpr_private_segment_size 0
		.amdhsa_uses_dynamic_stack 0
		.amdhsa_system_sgpr_private_segment_wavefront_offset 0
		.amdhsa_system_sgpr_workgroup_id_x 1
		.amdhsa_system_sgpr_workgroup_id_y 0
		.amdhsa_system_sgpr_workgroup_id_z 0
		.amdhsa_system_sgpr_workgroup_info 0
		.amdhsa_system_vgpr_workitem_id 0
		.amdhsa_next_free_vgpr 1
		.amdhsa_next_free_sgpr 0
		.amdhsa_reserve_vcc 0
		.amdhsa_reserve_flat_scratch 0
		.amdhsa_float_round_mode_32 0
		.amdhsa_float_round_mode_16_64 0
		.amdhsa_float_denorm_mode_32 3
		.amdhsa_float_denorm_mode_16_64 3
		.amdhsa_dx10_clamp 1
		.amdhsa_ieee_mode 1
		.amdhsa_fp16_overflow 0
		.amdhsa_exception_fp_ieee_invalid_op 0
		.amdhsa_exception_fp_denorm_src 0
		.amdhsa_exception_fp_ieee_div_zero 0
		.amdhsa_exception_fp_ieee_overflow 0
		.amdhsa_exception_fp_ieee_underflow 0
		.amdhsa_exception_fp_ieee_inexact 0
		.amdhsa_exception_int_div_zero 0
	.end_amdhsa_kernel
	.section	.text._ZN7rocprim17ROCPRIM_400000_NS6detail17trampoline_kernelINS0_14default_configENS1_29binary_search_config_selectorIfiEEZNS1_14transform_implILb0ES3_S5_N6thrust23THRUST_200600_302600_NS6detail15normal_iteratorINS8_7pointerIfNS8_11hip_rocprim5par_tENS8_11use_defaultESE_EEEENSA_INSB_IiSD_SE_SE_EEEEZNS1_13binary_searchIS3_S5_PfSG_SI_NS1_16binary_search_opENS9_16wrapped_functionINS8_6system6detail7generic6detail18binary_search_lessEbEEEE10hipError_tPvRmT1_T2_T3_mmT4_T5_P12ihipStream_tbEUlRKfE_EEST_SX_SY_mSZ_S12_bEUlT_E_NS1_11comp_targetILNS1_3genE3ELNS1_11target_archE908ELNS1_3gpuE7ELNS1_3repE0EEENS1_30default_config_static_selectorELNS0_4arch9wavefront6targetE1EEEvSW_,"axG",@progbits,_ZN7rocprim17ROCPRIM_400000_NS6detail17trampoline_kernelINS0_14default_configENS1_29binary_search_config_selectorIfiEEZNS1_14transform_implILb0ES3_S5_N6thrust23THRUST_200600_302600_NS6detail15normal_iteratorINS8_7pointerIfNS8_11hip_rocprim5par_tENS8_11use_defaultESE_EEEENSA_INSB_IiSD_SE_SE_EEEEZNS1_13binary_searchIS3_S5_PfSG_SI_NS1_16binary_search_opENS9_16wrapped_functionINS8_6system6detail7generic6detail18binary_search_lessEbEEEE10hipError_tPvRmT1_T2_T3_mmT4_T5_P12ihipStream_tbEUlRKfE_EEST_SX_SY_mSZ_S12_bEUlT_E_NS1_11comp_targetILNS1_3genE3ELNS1_11target_archE908ELNS1_3gpuE7ELNS1_3repE0EEENS1_30default_config_static_selectorELNS0_4arch9wavefront6targetE1EEEvSW_,comdat
.Lfunc_end256:
	.size	_ZN7rocprim17ROCPRIM_400000_NS6detail17trampoline_kernelINS0_14default_configENS1_29binary_search_config_selectorIfiEEZNS1_14transform_implILb0ES3_S5_N6thrust23THRUST_200600_302600_NS6detail15normal_iteratorINS8_7pointerIfNS8_11hip_rocprim5par_tENS8_11use_defaultESE_EEEENSA_INSB_IiSD_SE_SE_EEEEZNS1_13binary_searchIS3_S5_PfSG_SI_NS1_16binary_search_opENS9_16wrapped_functionINS8_6system6detail7generic6detail18binary_search_lessEbEEEE10hipError_tPvRmT1_T2_T3_mmT4_T5_P12ihipStream_tbEUlRKfE_EEST_SX_SY_mSZ_S12_bEUlT_E_NS1_11comp_targetILNS1_3genE3ELNS1_11target_archE908ELNS1_3gpuE7ELNS1_3repE0EEENS1_30default_config_static_selectorELNS0_4arch9wavefront6targetE1EEEvSW_, .Lfunc_end256-_ZN7rocprim17ROCPRIM_400000_NS6detail17trampoline_kernelINS0_14default_configENS1_29binary_search_config_selectorIfiEEZNS1_14transform_implILb0ES3_S5_N6thrust23THRUST_200600_302600_NS6detail15normal_iteratorINS8_7pointerIfNS8_11hip_rocprim5par_tENS8_11use_defaultESE_EEEENSA_INSB_IiSD_SE_SE_EEEEZNS1_13binary_searchIS3_S5_PfSG_SI_NS1_16binary_search_opENS9_16wrapped_functionINS8_6system6detail7generic6detail18binary_search_lessEbEEEE10hipError_tPvRmT1_T2_T3_mmT4_T5_P12ihipStream_tbEUlRKfE_EEST_SX_SY_mSZ_S12_bEUlT_E_NS1_11comp_targetILNS1_3genE3ELNS1_11target_archE908ELNS1_3gpuE7ELNS1_3repE0EEENS1_30default_config_static_selectorELNS0_4arch9wavefront6targetE1EEEvSW_
                                        ; -- End function
	.set _ZN7rocprim17ROCPRIM_400000_NS6detail17trampoline_kernelINS0_14default_configENS1_29binary_search_config_selectorIfiEEZNS1_14transform_implILb0ES3_S5_N6thrust23THRUST_200600_302600_NS6detail15normal_iteratorINS8_7pointerIfNS8_11hip_rocprim5par_tENS8_11use_defaultESE_EEEENSA_INSB_IiSD_SE_SE_EEEEZNS1_13binary_searchIS3_S5_PfSG_SI_NS1_16binary_search_opENS9_16wrapped_functionINS8_6system6detail7generic6detail18binary_search_lessEbEEEE10hipError_tPvRmT1_T2_T3_mmT4_T5_P12ihipStream_tbEUlRKfE_EEST_SX_SY_mSZ_S12_bEUlT_E_NS1_11comp_targetILNS1_3genE3ELNS1_11target_archE908ELNS1_3gpuE7ELNS1_3repE0EEENS1_30default_config_static_selectorELNS0_4arch9wavefront6targetE1EEEvSW_.num_vgpr, 0
	.set _ZN7rocprim17ROCPRIM_400000_NS6detail17trampoline_kernelINS0_14default_configENS1_29binary_search_config_selectorIfiEEZNS1_14transform_implILb0ES3_S5_N6thrust23THRUST_200600_302600_NS6detail15normal_iteratorINS8_7pointerIfNS8_11hip_rocprim5par_tENS8_11use_defaultESE_EEEENSA_INSB_IiSD_SE_SE_EEEEZNS1_13binary_searchIS3_S5_PfSG_SI_NS1_16binary_search_opENS9_16wrapped_functionINS8_6system6detail7generic6detail18binary_search_lessEbEEEE10hipError_tPvRmT1_T2_T3_mmT4_T5_P12ihipStream_tbEUlRKfE_EEST_SX_SY_mSZ_S12_bEUlT_E_NS1_11comp_targetILNS1_3genE3ELNS1_11target_archE908ELNS1_3gpuE7ELNS1_3repE0EEENS1_30default_config_static_selectorELNS0_4arch9wavefront6targetE1EEEvSW_.num_agpr, 0
	.set _ZN7rocprim17ROCPRIM_400000_NS6detail17trampoline_kernelINS0_14default_configENS1_29binary_search_config_selectorIfiEEZNS1_14transform_implILb0ES3_S5_N6thrust23THRUST_200600_302600_NS6detail15normal_iteratorINS8_7pointerIfNS8_11hip_rocprim5par_tENS8_11use_defaultESE_EEEENSA_INSB_IiSD_SE_SE_EEEEZNS1_13binary_searchIS3_S5_PfSG_SI_NS1_16binary_search_opENS9_16wrapped_functionINS8_6system6detail7generic6detail18binary_search_lessEbEEEE10hipError_tPvRmT1_T2_T3_mmT4_T5_P12ihipStream_tbEUlRKfE_EEST_SX_SY_mSZ_S12_bEUlT_E_NS1_11comp_targetILNS1_3genE3ELNS1_11target_archE908ELNS1_3gpuE7ELNS1_3repE0EEENS1_30default_config_static_selectorELNS0_4arch9wavefront6targetE1EEEvSW_.numbered_sgpr, 0
	.set _ZN7rocprim17ROCPRIM_400000_NS6detail17trampoline_kernelINS0_14default_configENS1_29binary_search_config_selectorIfiEEZNS1_14transform_implILb0ES3_S5_N6thrust23THRUST_200600_302600_NS6detail15normal_iteratorINS8_7pointerIfNS8_11hip_rocprim5par_tENS8_11use_defaultESE_EEEENSA_INSB_IiSD_SE_SE_EEEEZNS1_13binary_searchIS3_S5_PfSG_SI_NS1_16binary_search_opENS9_16wrapped_functionINS8_6system6detail7generic6detail18binary_search_lessEbEEEE10hipError_tPvRmT1_T2_T3_mmT4_T5_P12ihipStream_tbEUlRKfE_EEST_SX_SY_mSZ_S12_bEUlT_E_NS1_11comp_targetILNS1_3genE3ELNS1_11target_archE908ELNS1_3gpuE7ELNS1_3repE0EEENS1_30default_config_static_selectorELNS0_4arch9wavefront6targetE1EEEvSW_.num_named_barrier, 0
	.set _ZN7rocprim17ROCPRIM_400000_NS6detail17trampoline_kernelINS0_14default_configENS1_29binary_search_config_selectorIfiEEZNS1_14transform_implILb0ES3_S5_N6thrust23THRUST_200600_302600_NS6detail15normal_iteratorINS8_7pointerIfNS8_11hip_rocprim5par_tENS8_11use_defaultESE_EEEENSA_INSB_IiSD_SE_SE_EEEEZNS1_13binary_searchIS3_S5_PfSG_SI_NS1_16binary_search_opENS9_16wrapped_functionINS8_6system6detail7generic6detail18binary_search_lessEbEEEE10hipError_tPvRmT1_T2_T3_mmT4_T5_P12ihipStream_tbEUlRKfE_EEST_SX_SY_mSZ_S12_bEUlT_E_NS1_11comp_targetILNS1_3genE3ELNS1_11target_archE908ELNS1_3gpuE7ELNS1_3repE0EEENS1_30default_config_static_selectorELNS0_4arch9wavefront6targetE1EEEvSW_.private_seg_size, 0
	.set _ZN7rocprim17ROCPRIM_400000_NS6detail17trampoline_kernelINS0_14default_configENS1_29binary_search_config_selectorIfiEEZNS1_14transform_implILb0ES3_S5_N6thrust23THRUST_200600_302600_NS6detail15normal_iteratorINS8_7pointerIfNS8_11hip_rocprim5par_tENS8_11use_defaultESE_EEEENSA_INSB_IiSD_SE_SE_EEEEZNS1_13binary_searchIS3_S5_PfSG_SI_NS1_16binary_search_opENS9_16wrapped_functionINS8_6system6detail7generic6detail18binary_search_lessEbEEEE10hipError_tPvRmT1_T2_T3_mmT4_T5_P12ihipStream_tbEUlRKfE_EEST_SX_SY_mSZ_S12_bEUlT_E_NS1_11comp_targetILNS1_3genE3ELNS1_11target_archE908ELNS1_3gpuE7ELNS1_3repE0EEENS1_30default_config_static_selectorELNS0_4arch9wavefront6targetE1EEEvSW_.uses_vcc, 0
	.set _ZN7rocprim17ROCPRIM_400000_NS6detail17trampoline_kernelINS0_14default_configENS1_29binary_search_config_selectorIfiEEZNS1_14transform_implILb0ES3_S5_N6thrust23THRUST_200600_302600_NS6detail15normal_iteratorINS8_7pointerIfNS8_11hip_rocprim5par_tENS8_11use_defaultESE_EEEENSA_INSB_IiSD_SE_SE_EEEEZNS1_13binary_searchIS3_S5_PfSG_SI_NS1_16binary_search_opENS9_16wrapped_functionINS8_6system6detail7generic6detail18binary_search_lessEbEEEE10hipError_tPvRmT1_T2_T3_mmT4_T5_P12ihipStream_tbEUlRKfE_EEST_SX_SY_mSZ_S12_bEUlT_E_NS1_11comp_targetILNS1_3genE3ELNS1_11target_archE908ELNS1_3gpuE7ELNS1_3repE0EEENS1_30default_config_static_selectorELNS0_4arch9wavefront6targetE1EEEvSW_.uses_flat_scratch, 0
	.set _ZN7rocprim17ROCPRIM_400000_NS6detail17trampoline_kernelINS0_14default_configENS1_29binary_search_config_selectorIfiEEZNS1_14transform_implILb0ES3_S5_N6thrust23THRUST_200600_302600_NS6detail15normal_iteratorINS8_7pointerIfNS8_11hip_rocprim5par_tENS8_11use_defaultESE_EEEENSA_INSB_IiSD_SE_SE_EEEEZNS1_13binary_searchIS3_S5_PfSG_SI_NS1_16binary_search_opENS9_16wrapped_functionINS8_6system6detail7generic6detail18binary_search_lessEbEEEE10hipError_tPvRmT1_T2_T3_mmT4_T5_P12ihipStream_tbEUlRKfE_EEST_SX_SY_mSZ_S12_bEUlT_E_NS1_11comp_targetILNS1_3genE3ELNS1_11target_archE908ELNS1_3gpuE7ELNS1_3repE0EEENS1_30default_config_static_selectorELNS0_4arch9wavefront6targetE1EEEvSW_.has_dyn_sized_stack, 0
	.set _ZN7rocprim17ROCPRIM_400000_NS6detail17trampoline_kernelINS0_14default_configENS1_29binary_search_config_selectorIfiEEZNS1_14transform_implILb0ES3_S5_N6thrust23THRUST_200600_302600_NS6detail15normal_iteratorINS8_7pointerIfNS8_11hip_rocprim5par_tENS8_11use_defaultESE_EEEENSA_INSB_IiSD_SE_SE_EEEEZNS1_13binary_searchIS3_S5_PfSG_SI_NS1_16binary_search_opENS9_16wrapped_functionINS8_6system6detail7generic6detail18binary_search_lessEbEEEE10hipError_tPvRmT1_T2_T3_mmT4_T5_P12ihipStream_tbEUlRKfE_EEST_SX_SY_mSZ_S12_bEUlT_E_NS1_11comp_targetILNS1_3genE3ELNS1_11target_archE908ELNS1_3gpuE7ELNS1_3repE0EEENS1_30default_config_static_selectorELNS0_4arch9wavefront6targetE1EEEvSW_.has_recursion, 0
	.set _ZN7rocprim17ROCPRIM_400000_NS6detail17trampoline_kernelINS0_14default_configENS1_29binary_search_config_selectorIfiEEZNS1_14transform_implILb0ES3_S5_N6thrust23THRUST_200600_302600_NS6detail15normal_iteratorINS8_7pointerIfNS8_11hip_rocprim5par_tENS8_11use_defaultESE_EEEENSA_INSB_IiSD_SE_SE_EEEEZNS1_13binary_searchIS3_S5_PfSG_SI_NS1_16binary_search_opENS9_16wrapped_functionINS8_6system6detail7generic6detail18binary_search_lessEbEEEE10hipError_tPvRmT1_T2_T3_mmT4_T5_P12ihipStream_tbEUlRKfE_EEST_SX_SY_mSZ_S12_bEUlT_E_NS1_11comp_targetILNS1_3genE3ELNS1_11target_archE908ELNS1_3gpuE7ELNS1_3repE0EEENS1_30default_config_static_selectorELNS0_4arch9wavefront6targetE1EEEvSW_.has_indirect_call, 0
	.section	.AMDGPU.csdata,"",@progbits
; Kernel info:
; codeLenInByte = 0
; TotalNumSgprs: 4
; NumVgprs: 0
; ScratchSize: 0
; MemoryBound: 0
; FloatMode: 240
; IeeeMode: 1
; LDSByteSize: 0 bytes/workgroup (compile time only)
; SGPRBlocks: 0
; VGPRBlocks: 0
; NumSGPRsForWavesPerEU: 4
; NumVGPRsForWavesPerEU: 1
; Occupancy: 10
; WaveLimiterHint : 0
; COMPUTE_PGM_RSRC2:SCRATCH_EN: 0
; COMPUTE_PGM_RSRC2:USER_SGPR: 6
; COMPUTE_PGM_RSRC2:TRAP_HANDLER: 0
; COMPUTE_PGM_RSRC2:TGID_X_EN: 1
; COMPUTE_PGM_RSRC2:TGID_Y_EN: 0
; COMPUTE_PGM_RSRC2:TGID_Z_EN: 0
; COMPUTE_PGM_RSRC2:TIDIG_COMP_CNT: 0
	.section	.text._ZN7rocprim17ROCPRIM_400000_NS6detail17trampoline_kernelINS0_14default_configENS1_29binary_search_config_selectorIfiEEZNS1_14transform_implILb0ES3_S5_N6thrust23THRUST_200600_302600_NS6detail15normal_iteratorINS8_7pointerIfNS8_11hip_rocprim5par_tENS8_11use_defaultESE_EEEENSA_INSB_IiSD_SE_SE_EEEEZNS1_13binary_searchIS3_S5_PfSG_SI_NS1_16binary_search_opENS9_16wrapped_functionINS8_6system6detail7generic6detail18binary_search_lessEbEEEE10hipError_tPvRmT1_T2_T3_mmT4_T5_P12ihipStream_tbEUlRKfE_EEST_SX_SY_mSZ_S12_bEUlT_E_NS1_11comp_targetILNS1_3genE2ELNS1_11target_archE906ELNS1_3gpuE6ELNS1_3repE0EEENS1_30default_config_static_selectorELNS0_4arch9wavefront6targetE1EEEvSW_,"axG",@progbits,_ZN7rocprim17ROCPRIM_400000_NS6detail17trampoline_kernelINS0_14default_configENS1_29binary_search_config_selectorIfiEEZNS1_14transform_implILb0ES3_S5_N6thrust23THRUST_200600_302600_NS6detail15normal_iteratorINS8_7pointerIfNS8_11hip_rocprim5par_tENS8_11use_defaultESE_EEEENSA_INSB_IiSD_SE_SE_EEEEZNS1_13binary_searchIS3_S5_PfSG_SI_NS1_16binary_search_opENS9_16wrapped_functionINS8_6system6detail7generic6detail18binary_search_lessEbEEEE10hipError_tPvRmT1_T2_T3_mmT4_T5_P12ihipStream_tbEUlRKfE_EEST_SX_SY_mSZ_S12_bEUlT_E_NS1_11comp_targetILNS1_3genE2ELNS1_11target_archE906ELNS1_3gpuE6ELNS1_3repE0EEENS1_30default_config_static_selectorELNS0_4arch9wavefront6targetE1EEEvSW_,comdat
	.protected	_ZN7rocprim17ROCPRIM_400000_NS6detail17trampoline_kernelINS0_14default_configENS1_29binary_search_config_selectorIfiEEZNS1_14transform_implILb0ES3_S5_N6thrust23THRUST_200600_302600_NS6detail15normal_iteratorINS8_7pointerIfNS8_11hip_rocprim5par_tENS8_11use_defaultESE_EEEENSA_INSB_IiSD_SE_SE_EEEEZNS1_13binary_searchIS3_S5_PfSG_SI_NS1_16binary_search_opENS9_16wrapped_functionINS8_6system6detail7generic6detail18binary_search_lessEbEEEE10hipError_tPvRmT1_T2_T3_mmT4_T5_P12ihipStream_tbEUlRKfE_EEST_SX_SY_mSZ_S12_bEUlT_E_NS1_11comp_targetILNS1_3genE2ELNS1_11target_archE906ELNS1_3gpuE6ELNS1_3repE0EEENS1_30default_config_static_selectorELNS0_4arch9wavefront6targetE1EEEvSW_ ; -- Begin function _ZN7rocprim17ROCPRIM_400000_NS6detail17trampoline_kernelINS0_14default_configENS1_29binary_search_config_selectorIfiEEZNS1_14transform_implILb0ES3_S5_N6thrust23THRUST_200600_302600_NS6detail15normal_iteratorINS8_7pointerIfNS8_11hip_rocprim5par_tENS8_11use_defaultESE_EEEENSA_INSB_IiSD_SE_SE_EEEEZNS1_13binary_searchIS3_S5_PfSG_SI_NS1_16binary_search_opENS9_16wrapped_functionINS8_6system6detail7generic6detail18binary_search_lessEbEEEE10hipError_tPvRmT1_T2_T3_mmT4_T5_P12ihipStream_tbEUlRKfE_EEST_SX_SY_mSZ_S12_bEUlT_E_NS1_11comp_targetILNS1_3genE2ELNS1_11target_archE906ELNS1_3gpuE6ELNS1_3repE0EEENS1_30default_config_static_selectorELNS0_4arch9wavefront6targetE1EEEvSW_
	.globl	_ZN7rocprim17ROCPRIM_400000_NS6detail17trampoline_kernelINS0_14default_configENS1_29binary_search_config_selectorIfiEEZNS1_14transform_implILb0ES3_S5_N6thrust23THRUST_200600_302600_NS6detail15normal_iteratorINS8_7pointerIfNS8_11hip_rocprim5par_tENS8_11use_defaultESE_EEEENSA_INSB_IiSD_SE_SE_EEEEZNS1_13binary_searchIS3_S5_PfSG_SI_NS1_16binary_search_opENS9_16wrapped_functionINS8_6system6detail7generic6detail18binary_search_lessEbEEEE10hipError_tPvRmT1_T2_T3_mmT4_T5_P12ihipStream_tbEUlRKfE_EEST_SX_SY_mSZ_S12_bEUlT_E_NS1_11comp_targetILNS1_3genE2ELNS1_11target_archE906ELNS1_3gpuE6ELNS1_3repE0EEENS1_30default_config_static_selectorELNS0_4arch9wavefront6targetE1EEEvSW_
	.p2align	8
	.type	_ZN7rocprim17ROCPRIM_400000_NS6detail17trampoline_kernelINS0_14default_configENS1_29binary_search_config_selectorIfiEEZNS1_14transform_implILb0ES3_S5_N6thrust23THRUST_200600_302600_NS6detail15normal_iteratorINS8_7pointerIfNS8_11hip_rocprim5par_tENS8_11use_defaultESE_EEEENSA_INSB_IiSD_SE_SE_EEEEZNS1_13binary_searchIS3_S5_PfSG_SI_NS1_16binary_search_opENS9_16wrapped_functionINS8_6system6detail7generic6detail18binary_search_lessEbEEEE10hipError_tPvRmT1_T2_T3_mmT4_T5_P12ihipStream_tbEUlRKfE_EEST_SX_SY_mSZ_S12_bEUlT_E_NS1_11comp_targetILNS1_3genE2ELNS1_11target_archE906ELNS1_3gpuE6ELNS1_3repE0EEENS1_30default_config_static_selectorELNS0_4arch9wavefront6targetE1EEEvSW_,@function
_ZN7rocprim17ROCPRIM_400000_NS6detail17trampoline_kernelINS0_14default_configENS1_29binary_search_config_selectorIfiEEZNS1_14transform_implILb0ES3_S5_N6thrust23THRUST_200600_302600_NS6detail15normal_iteratorINS8_7pointerIfNS8_11hip_rocprim5par_tENS8_11use_defaultESE_EEEENSA_INSB_IiSD_SE_SE_EEEEZNS1_13binary_searchIS3_S5_PfSG_SI_NS1_16binary_search_opENS9_16wrapped_functionINS8_6system6detail7generic6detail18binary_search_lessEbEEEE10hipError_tPvRmT1_T2_T3_mmT4_T5_P12ihipStream_tbEUlRKfE_EEST_SX_SY_mSZ_S12_bEUlT_E_NS1_11comp_targetILNS1_3genE2ELNS1_11target_archE906ELNS1_3gpuE6ELNS1_3repE0EEENS1_30default_config_static_selectorELNS0_4arch9wavefront6targetE1EEEvSW_: ; @_ZN7rocprim17ROCPRIM_400000_NS6detail17trampoline_kernelINS0_14default_configENS1_29binary_search_config_selectorIfiEEZNS1_14transform_implILb0ES3_S5_N6thrust23THRUST_200600_302600_NS6detail15normal_iteratorINS8_7pointerIfNS8_11hip_rocprim5par_tENS8_11use_defaultESE_EEEENSA_INSB_IiSD_SE_SE_EEEEZNS1_13binary_searchIS3_S5_PfSG_SI_NS1_16binary_search_opENS9_16wrapped_functionINS8_6system6detail7generic6detail18binary_search_lessEbEEEE10hipError_tPvRmT1_T2_T3_mmT4_T5_P12ihipStream_tbEUlRKfE_EEST_SX_SY_mSZ_S12_bEUlT_E_NS1_11comp_targetILNS1_3genE2ELNS1_11target_archE906ELNS1_3gpuE6ELNS1_3repE0EEENS1_30default_config_static_selectorELNS0_4arch9wavefront6targetE1EEEvSW_
; %bb.0:
	s_load_dwordx4 s[12:15], s[4:5], 0x0
	s_load_dwordx4 s[8:11], s[4:5], 0x18
	s_load_dwordx2 s[0:1], s[4:5], 0x28
	s_load_dword s7, s[4:5], 0x38
	s_waitcnt lgkmcnt(0)
	s_lshl_b64 s[2:3], s[14:15], 2
	s_add_u32 s18, s12, s2
	s_addc_u32 s19, s13, s3
	s_lshl_b32 s12, s6, 8
	s_add_i32 s7, s7, -1
	s_cmp_lg_u32 s6, s7
	s_mov_b32 s13, 0
	s_cbranch_scc0 .LBB257_6
; %bb.1:
	s_lshl_b64 s[6:7], s[12:13], 2
	s_add_u32 s6, s18, s6
	s_addc_u32 s7, s19, s7
	v_lshlrev_b32_e32 v1, 2, v0
	v_mov_b32_e32 v2, s7
	v_add_co_u32_e32 v1, vcc, s6, v1
	v_addc_co_u32_e32 v2, vcc, 0, v2, vcc
	flat_load_dword v6, v[1:2]
	v_mov_b32_e32 v2, 0
	v_mov_b32_e32 v1, 0
	s_cmp_eq_u64 s[0:1], 0
	s_mov_b64 s[6:7], 0
	v_mov_b32_e32 v3, 0
	s_cbranch_scc1 .LBB257_5
; %bb.2:
	v_mov_b32_e32 v5, s1
	v_mov_b32_e32 v4, s0
	;; [unrolled: 1-line block ×3, first 2 shown]
.LBB257_3:                              ; =>This Inner Loop Header: Depth=1
	v_sub_co_u32_e32 v8, vcc, v4, v2
	v_subb_co_u32_e32 v9, vcc, v5, v3, vcc
	v_lshrrev_b64 v[10:11], 1, v[8:9]
	v_lshrrev_b64 v[8:9], 6, v[8:9]
	v_add_co_u32_e32 v10, vcc, v10, v2
	v_addc_co_u32_e32 v11, vcc, v11, v3, vcc
	v_add_co_u32_e32 v8, vcc, v10, v8
	v_addc_co_u32_e32 v9, vcc, v11, v9, vcc
	v_lshlrev_b64 v[10:11], 2, v[8:9]
	v_add_co_u32_e32 v10, vcc, s10, v10
	v_addc_co_u32_e32 v11, vcc, v7, v11, vcc
	global_load_dword v10, v[10:11], off
	v_add_co_u32_e32 v11, vcc, 1, v8
	v_addc_co_u32_e32 v12, vcc, 0, v9, vcc
	s_waitcnt vmcnt(0) lgkmcnt(0)
	v_cmp_lt_f32_e32 vcc, v10, v6
	v_cndmask_b32_e32 v5, v9, v5, vcc
	v_cndmask_b32_e32 v4, v8, v4, vcc
	;; [unrolled: 1-line block ×4, first 2 shown]
	v_cmp_ge_u64_e32 vcc, v[2:3], v[4:5]
	s_or_b64 s[6:7], vcc, s[6:7]
	s_andn2_b64 exec, exec, s[6:7]
	s_cbranch_execnz .LBB257_3
; %bb.4:
	s_or_b64 exec, exec, s[6:7]
.LBB257_5:
	v_cmp_eq_u64_e64 s[6:7], s[0:1], v[2:3]
	v_cmp_ne_u64_e64 s[14:15], s[0:1], v[2:3]
	s_branch .LBB257_14
.LBB257_6:
	s_mov_b64 s[14:15], 0
	s_mov_b64 s[6:7], 0
                                        ; implicit-def: $vgpr6
                                        ; implicit-def: $vgpr2_vgpr3
	s_cbranch_execz .LBB257_14
; %bb.7:
	s_load_dword s4, s[4:5], 0x10
                                        ; implicit-def: $vgpr6
                                        ; implicit-def: $vgpr2_vgpr3
	s_waitcnt lgkmcnt(0)
	s_sub_i32 s4, s4, s12
	v_cmp_gt_u32_e32 vcc, s4, v0
	s_and_saveexec_b64 s[4:5], vcc
	s_cbranch_execz .LBB257_13
; %bb.8:
	s_lshl_b64 s[16:17], s[12:13], 2
	s_add_u32 s16, s18, s16
	s_addc_u32 s17, s19, s17
	v_lshlrev_b32_e32 v1, 2, v0
	v_mov_b32_e32 v2, s17
	v_add_co_u32_e32 v1, vcc, s16, v1
	v_addc_co_u32_e32 v2, vcc, 0, v2, vcc
	s_waitcnt vmcnt(0)
	flat_load_dword v6, v[1:2]
	v_mov_b32_e32 v2, 0
	v_mov_b32_e32 v1, 0
	s_cmp_eq_u64 s[0:1], 0
	s_mov_b64 s[16:17], 0
	v_mov_b32_e32 v3, 0
	s_cbranch_scc1 .LBB257_12
; %bb.9:
	v_mov_b32_e32 v5, s1
	v_mov_b32_e32 v4, s0
	;; [unrolled: 1-line block ×3, first 2 shown]
.LBB257_10:                             ; =>This Inner Loop Header: Depth=1
	v_sub_co_u32_e32 v8, vcc, v4, v2
	v_subb_co_u32_e32 v9, vcc, v5, v3, vcc
	v_lshrrev_b64 v[10:11], 1, v[8:9]
	v_lshrrev_b64 v[8:9], 6, v[8:9]
	v_add_co_u32_e32 v10, vcc, v10, v2
	v_addc_co_u32_e32 v11, vcc, v11, v3, vcc
	v_add_co_u32_e32 v8, vcc, v10, v8
	v_addc_co_u32_e32 v9, vcc, v11, v9, vcc
	v_lshlrev_b64 v[10:11], 2, v[8:9]
	v_add_co_u32_e32 v10, vcc, s10, v10
	v_addc_co_u32_e32 v11, vcc, v7, v11, vcc
	global_load_dword v10, v[10:11], off
	v_add_co_u32_e32 v11, vcc, 1, v8
	v_addc_co_u32_e32 v12, vcc, 0, v9, vcc
	s_waitcnt vmcnt(0) lgkmcnt(0)
	v_cmp_lt_f32_e32 vcc, v10, v6
	v_cndmask_b32_e32 v5, v9, v5, vcc
	v_cndmask_b32_e32 v4, v8, v4, vcc
	;; [unrolled: 1-line block ×4, first 2 shown]
	v_cmp_ge_u64_e32 vcc, v[2:3], v[4:5]
	s_or_b64 s[16:17], vcc, s[16:17]
	s_andn2_b64 exec, exec, s[16:17]
	s_cbranch_execnz .LBB257_10
; %bb.11:
	s_or_b64 exec, exec, s[16:17]
.LBB257_12:
	v_cmp_eq_u64_e32 vcc, s[0:1], v[2:3]
	v_cmp_ne_u64_e64 s[0:1], s[0:1], v[2:3]
	s_andn2_b64 s[6:7], s[6:7], exec
	s_and_b64 s[16:17], vcc, exec
	s_andn2_b64 s[14:15], s[14:15], exec
	s_and_b64 s[0:1], s[0:1], exec
	s_or_b64 s[6:7], s[6:7], s[16:17]
	s_or_b64 s[14:15], s[14:15], s[0:1]
.LBB257_13:
	s_or_b64 exec, exec, s[4:5]
.LBB257_14:
	v_mov_b32_e32 v4, 0
	s_and_saveexec_b64 s[0:1], s[14:15]
	s_cbranch_execnz .LBB257_17
; %bb.15:
	s_or_b64 exec, exec, s[0:1]
	s_and_saveexec_b64 s[0:1], s[6:7]
	s_cbranch_execnz .LBB257_18
.LBB257_16:
	s_endpgm
.LBB257_17:
	v_lshlrev_b64 v[2:3], 2, v[2:3]
	v_mov_b32_e32 v4, s11
	v_add_co_u32_e32 v2, vcc, s10, v2
	v_addc_co_u32_e32 v3, vcc, v4, v3, vcc
	global_load_dword v2, v[2:3], off
	s_or_b64 s[6:7], s[6:7], exec
	s_waitcnt vmcnt(0) lgkmcnt(0)
	v_cmp_nlt_f32_e32 vcc, v6, v2
	v_cndmask_b32_e64 v4, 0, 1, vcc
	s_or_b64 exec, exec, s[0:1]
	s_and_saveexec_b64 s[0:1], s[6:7]
	s_cbranch_execz .LBB257_16
.LBB257_18:
	s_add_u32 s2, s8, s2
	s_addc_u32 s3, s9, s3
	s_lshl_b64 s[0:1], s[12:13], 2
	s_add_u32 s0, s2, s0
	v_lshlrev_b64 v[0:1], 2, v[0:1]
	s_addc_u32 s1, s3, s1
	v_mov_b32_e32 v2, s1
	v_add_co_u32_e32 v0, vcc, s0, v0
	v_addc_co_u32_e32 v1, vcc, v2, v1, vcc
	flat_store_dword v[0:1], v4
	s_endpgm
	.section	.rodata,"a",@progbits
	.p2align	6, 0x0
	.amdhsa_kernel _ZN7rocprim17ROCPRIM_400000_NS6detail17trampoline_kernelINS0_14default_configENS1_29binary_search_config_selectorIfiEEZNS1_14transform_implILb0ES3_S5_N6thrust23THRUST_200600_302600_NS6detail15normal_iteratorINS8_7pointerIfNS8_11hip_rocprim5par_tENS8_11use_defaultESE_EEEENSA_INSB_IiSD_SE_SE_EEEEZNS1_13binary_searchIS3_S5_PfSG_SI_NS1_16binary_search_opENS9_16wrapped_functionINS8_6system6detail7generic6detail18binary_search_lessEbEEEE10hipError_tPvRmT1_T2_T3_mmT4_T5_P12ihipStream_tbEUlRKfE_EEST_SX_SY_mSZ_S12_bEUlT_E_NS1_11comp_targetILNS1_3genE2ELNS1_11target_archE906ELNS1_3gpuE6ELNS1_3repE0EEENS1_30default_config_static_selectorELNS0_4arch9wavefront6targetE1EEEvSW_
		.amdhsa_group_segment_fixed_size 0
		.amdhsa_private_segment_fixed_size 0
		.amdhsa_kernarg_size 312
		.amdhsa_user_sgpr_count 6
		.amdhsa_user_sgpr_private_segment_buffer 1
		.amdhsa_user_sgpr_dispatch_ptr 0
		.amdhsa_user_sgpr_queue_ptr 0
		.amdhsa_user_sgpr_kernarg_segment_ptr 1
		.amdhsa_user_sgpr_dispatch_id 0
		.amdhsa_user_sgpr_flat_scratch_init 0
		.amdhsa_user_sgpr_private_segment_size 0
		.amdhsa_uses_dynamic_stack 0
		.amdhsa_system_sgpr_private_segment_wavefront_offset 0
		.amdhsa_system_sgpr_workgroup_id_x 1
		.amdhsa_system_sgpr_workgroup_id_y 0
		.amdhsa_system_sgpr_workgroup_id_z 0
		.amdhsa_system_sgpr_workgroup_info 0
		.amdhsa_system_vgpr_workitem_id 0
		.amdhsa_next_free_vgpr 13
		.amdhsa_next_free_sgpr 20
		.amdhsa_reserve_vcc 1
		.amdhsa_reserve_flat_scratch 0
		.amdhsa_float_round_mode_32 0
		.amdhsa_float_round_mode_16_64 0
		.amdhsa_float_denorm_mode_32 3
		.amdhsa_float_denorm_mode_16_64 3
		.amdhsa_dx10_clamp 1
		.amdhsa_ieee_mode 1
		.amdhsa_fp16_overflow 0
		.amdhsa_exception_fp_ieee_invalid_op 0
		.amdhsa_exception_fp_denorm_src 0
		.amdhsa_exception_fp_ieee_div_zero 0
		.amdhsa_exception_fp_ieee_overflow 0
		.amdhsa_exception_fp_ieee_underflow 0
		.amdhsa_exception_fp_ieee_inexact 0
		.amdhsa_exception_int_div_zero 0
	.end_amdhsa_kernel
	.section	.text._ZN7rocprim17ROCPRIM_400000_NS6detail17trampoline_kernelINS0_14default_configENS1_29binary_search_config_selectorIfiEEZNS1_14transform_implILb0ES3_S5_N6thrust23THRUST_200600_302600_NS6detail15normal_iteratorINS8_7pointerIfNS8_11hip_rocprim5par_tENS8_11use_defaultESE_EEEENSA_INSB_IiSD_SE_SE_EEEEZNS1_13binary_searchIS3_S5_PfSG_SI_NS1_16binary_search_opENS9_16wrapped_functionINS8_6system6detail7generic6detail18binary_search_lessEbEEEE10hipError_tPvRmT1_T2_T3_mmT4_T5_P12ihipStream_tbEUlRKfE_EEST_SX_SY_mSZ_S12_bEUlT_E_NS1_11comp_targetILNS1_3genE2ELNS1_11target_archE906ELNS1_3gpuE6ELNS1_3repE0EEENS1_30default_config_static_selectorELNS0_4arch9wavefront6targetE1EEEvSW_,"axG",@progbits,_ZN7rocprim17ROCPRIM_400000_NS6detail17trampoline_kernelINS0_14default_configENS1_29binary_search_config_selectorIfiEEZNS1_14transform_implILb0ES3_S5_N6thrust23THRUST_200600_302600_NS6detail15normal_iteratorINS8_7pointerIfNS8_11hip_rocprim5par_tENS8_11use_defaultESE_EEEENSA_INSB_IiSD_SE_SE_EEEEZNS1_13binary_searchIS3_S5_PfSG_SI_NS1_16binary_search_opENS9_16wrapped_functionINS8_6system6detail7generic6detail18binary_search_lessEbEEEE10hipError_tPvRmT1_T2_T3_mmT4_T5_P12ihipStream_tbEUlRKfE_EEST_SX_SY_mSZ_S12_bEUlT_E_NS1_11comp_targetILNS1_3genE2ELNS1_11target_archE906ELNS1_3gpuE6ELNS1_3repE0EEENS1_30default_config_static_selectorELNS0_4arch9wavefront6targetE1EEEvSW_,comdat
.Lfunc_end257:
	.size	_ZN7rocprim17ROCPRIM_400000_NS6detail17trampoline_kernelINS0_14default_configENS1_29binary_search_config_selectorIfiEEZNS1_14transform_implILb0ES3_S5_N6thrust23THRUST_200600_302600_NS6detail15normal_iteratorINS8_7pointerIfNS8_11hip_rocprim5par_tENS8_11use_defaultESE_EEEENSA_INSB_IiSD_SE_SE_EEEEZNS1_13binary_searchIS3_S5_PfSG_SI_NS1_16binary_search_opENS9_16wrapped_functionINS8_6system6detail7generic6detail18binary_search_lessEbEEEE10hipError_tPvRmT1_T2_T3_mmT4_T5_P12ihipStream_tbEUlRKfE_EEST_SX_SY_mSZ_S12_bEUlT_E_NS1_11comp_targetILNS1_3genE2ELNS1_11target_archE906ELNS1_3gpuE6ELNS1_3repE0EEENS1_30default_config_static_selectorELNS0_4arch9wavefront6targetE1EEEvSW_, .Lfunc_end257-_ZN7rocprim17ROCPRIM_400000_NS6detail17trampoline_kernelINS0_14default_configENS1_29binary_search_config_selectorIfiEEZNS1_14transform_implILb0ES3_S5_N6thrust23THRUST_200600_302600_NS6detail15normal_iteratorINS8_7pointerIfNS8_11hip_rocprim5par_tENS8_11use_defaultESE_EEEENSA_INSB_IiSD_SE_SE_EEEEZNS1_13binary_searchIS3_S5_PfSG_SI_NS1_16binary_search_opENS9_16wrapped_functionINS8_6system6detail7generic6detail18binary_search_lessEbEEEE10hipError_tPvRmT1_T2_T3_mmT4_T5_P12ihipStream_tbEUlRKfE_EEST_SX_SY_mSZ_S12_bEUlT_E_NS1_11comp_targetILNS1_3genE2ELNS1_11target_archE906ELNS1_3gpuE6ELNS1_3repE0EEENS1_30default_config_static_selectorELNS0_4arch9wavefront6targetE1EEEvSW_
                                        ; -- End function
	.set _ZN7rocprim17ROCPRIM_400000_NS6detail17trampoline_kernelINS0_14default_configENS1_29binary_search_config_selectorIfiEEZNS1_14transform_implILb0ES3_S5_N6thrust23THRUST_200600_302600_NS6detail15normal_iteratorINS8_7pointerIfNS8_11hip_rocprim5par_tENS8_11use_defaultESE_EEEENSA_INSB_IiSD_SE_SE_EEEEZNS1_13binary_searchIS3_S5_PfSG_SI_NS1_16binary_search_opENS9_16wrapped_functionINS8_6system6detail7generic6detail18binary_search_lessEbEEEE10hipError_tPvRmT1_T2_T3_mmT4_T5_P12ihipStream_tbEUlRKfE_EEST_SX_SY_mSZ_S12_bEUlT_E_NS1_11comp_targetILNS1_3genE2ELNS1_11target_archE906ELNS1_3gpuE6ELNS1_3repE0EEENS1_30default_config_static_selectorELNS0_4arch9wavefront6targetE1EEEvSW_.num_vgpr, 13
	.set _ZN7rocprim17ROCPRIM_400000_NS6detail17trampoline_kernelINS0_14default_configENS1_29binary_search_config_selectorIfiEEZNS1_14transform_implILb0ES3_S5_N6thrust23THRUST_200600_302600_NS6detail15normal_iteratorINS8_7pointerIfNS8_11hip_rocprim5par_tENS8_11use_defaultESE_EEEENSA_INSB_IiSD_SE_SE_EEEEZNS1_13binary_searchIS3_S5_PfSG_SI_NS1_16binary_search_opENS9_16wrapped_functionINS8_6system6detail7generic6detail18binary_search_lessEbEEEE10hipError_tPvRmT1_T2_T3_mmT4_T5_P12ihipStream_tbEUlRKfE_EEST_SX_SY_mSZ_S12_bEUlT_E_NS1_11comp_targetILNS1_3genE2ELNS1_11target_archE906ELNS1_3gpuE6ELNS1_3repE0EEENS1_30default_config_static_selectorELNS0_4arch9wavefront6targetE1EEEvSW_.num_agpr, 0
	.set _ZN7rocprim17ROCPRIM_400000_NS6detail17trampoline_kernelINS0_14default_configENS1_29binary_search_config_selectorIfiEEZNS1_14transform_implILb0ES3_S5_N6thrust23THRUST_200600_302600_NS6detail15normal_iteratorINS8_7pointerIfNS8_11hip_rocprim5par_tENS8_11use_defaultESE_EEEENSA_INSB_IiSD_SE_SE_EEEEZNS1_13binary_searchIS3_S5_PfSG_SI_NS1_16binary_search_opENS9_16wrapped_functionINS8_6system6detail7generic6detail18binary_search_lessEbEEEE10hipError_tPvRmT1_T2_T3_mmT4_T5_P12ihipStream_tbEUlRKfE_EEST_SX_SY_mSZ_S12_bEUlT_E_NS1_11comp_targetILNS1_3genE2ELNS1_11target_archE906ELNS1_3gpuE6ELNS1_3repE0EEENS1_30default_config_static_selectorELNS0_4arch9wavefront6targetE1EEEvSW_.numbered_sgpr, 20
	.set _ZN7rocprim17ROCPRIM_400000_NS6detail17trampoline_kernelINS0_14default_configENS1_29binary_search_config_selectorIfiEEZNS1_14transform_implILb0ES3_S5_N6thrust23THRUST_200600_302600_NS6detail15normal_iteratorINS8_7pointerIfNS8_11hip_rocprim5par_tENS8_11use_defaultESE_EEEENSA_INSB_IiSD_SE_SE_EEEEZNS1_13binary_searchIS3_S5_PfSG_SI_NS1_16binary_search_opENS9_16wrapped_functionINS8_6system6detail7generic6detail18binary_search_lessEbEEEE10hipError_tPvRmT1_T2_T3_mmT4_T5_P12ihipStream_tbEUlRKfE_EEST_SX_SY_mSZ_S12_bEUlT_E_NS1_11comp_targetILNS1_3genE2ELNS1_11target_archE906ELNS1_3gpuE6ELNS1_3repE0EEENS1_30default_config_static_selectorELNS0_4arch9wavefront6targetE1EEEvSW_.num_named_barrier, 0
	.set _ZN7rocprim17ROCPRIM_400000_NS6detail17trampoline_kernelINS0_14default_configENS1_29binary_search_config_selectorIfiEEZNS1_14transform_implILb0ES3_S5_N6thrust23THRUST_200600_302600_NS6detail15normal_iteratorINS8_7pointerIfNS8_11hip_rocprim5par_tENS8_11use_defaultESE_EEEENSA_INSB_IiSD_SE_SE_EEEEZNS1_13binary_searchIS3_S5_PfSG_SI_NS1_16binary_search_opENS9_16wrapped_functionINS8_6system6detail7generic6detail18binary_search_lessEbEEEE10hipError_tPvRmT1_T2_T3_mmT4_T5_P12ihipStream_tbEUlRKfE_EEST_SX_SY_mSZ_S12_bEUlT_E_NS1_11comp_targetILNS1_3genE2ELNS1_11target_archE906ELNS1_3gpuE6ELNS1_3repE0EEENS1_30default_config_static_selectorELNS0_4arch9wavefront6targetE1EEEvSW_.private_seg_size, 0
	.set _ZN7rocprim17ROCPRIM_400000_NS6detail17trampoline_kernelINS0_14default_configENS1_29binary_search_config_selectorIfiEEZNS1_14transform_implILb0ES3_S5_N6thrust23THRUST_200600_302600_NS6detail15normal_iteratorINS8_7pointerIfNS8_11hip_rocprim5par_tENS8_11use_defaultESE_EEEENSA_INSB_IiSD_SE_SE_EEEEZNS1_13binary_searchIS3_S5_PfSG_SI_NS1_16binary_search_opENS9_16wrapped_functionINS8_6system6detail7generic6detail18binary_search_lessEbEEEE10hipError_tPvRmT1_T2_T3_mmT4_T5_P12ihipStream_tbEUlRKfE_EEST_SX_SY_mSZ_S12_bEUlT_E_NS1_11comp_targetILNS1_3genE2ELNS1_11target_archE906ELNS1_3gpuE6ELNS1_3repE0EEENS1_30default_config_static_selectorELNS0_4arch9wavefront6targetE1EEEvSW_.uses_vcc, 1
	.set _ZN7rocprim17ROCPRIM_400000_NS6detail17trampoline_kernelINS0_14default_configENS1_29binary_search_config_selectorIfiEEZNS1_14transform_implILb0ES3_S5_N6thrust23THRUST_200600_302600_NS6detail15normal_iteratorINS8_7pointerIfNS8_11hip_rocprim5par_tENS8_11use_defaultESE_EEEENSA_INSB_IiSD_SE_SE_EEEEZNS1_13binary_searchIS3_S5_PfSG_SI_NS1_16binary_search_opENS9_16wrapped_functionINS8_6system6detail7generic6detail18binary_search_lessEbEEEE10hipError_tPvRmT1_T2_T3_mmT4_T5_P12ihipStream_tbEUlRKfE_EEST_SX_SY_mSZ_S12_bEUlT_E_NS1_11comp_targetILNS1_3genE2ELNS1_11target_archE906ELNS1_3gpuE6ELNS1_3repE0EEENS1_30default_config_static_selectorELNS0_4arch9wavefront6targetE1EEEvSW_.uses_flat_scratch, 0
	.set _ZN7rocprim17ROCPRIM_400000_NS6detail17trampoline_kernelINS0_14default_configENS1_29binary_search_config_selectorIfiEEZNS1_14transform_implILb0ES3_S5_N6thrust23THRUST_200600_302600_NS6detail15normal_iteratorINS8_7pointerIfNS8_11hip_rocprim5par_tENS8_11use_defaultESE_EEEENSA_INSB_IiSD_SE_SE_EEEEZNS1_13binary_searchIS3_S5_PfSG_SI_NS1_16binary_search_opENS9_16wrapped_functionINS8_6system6detail7generic6detail18binary_search_lessEbEEEE10hipError_tPvRmT1_T2_T3_mmT4_T5_P12ihipStream_tbEUlRKfE_EEST_SX_SY_mSZ_S12_bEUlT_E_NS1_11comp_targetILNS1_3genE2ELNS1_11target_archE906ELNS1_3gpuE6ELNS1_3repE0EEENS1_30default_config_static_selectorELNS0_4arch9wavefront6targetE1EEEvSW_.has_dyn_sized_stack, 0
	.set _ZN7rocprim17ROCPRIM_400000_NS6detail17trampoline_kernelINS0_14default_configENS1_29binary_search_config_selectorIfiEEZNS1_14transform_implILb0ES3_S5_N6thrust23THRUST_200600_302600_NS6detail15normal_iteratorINS8_7pointerIfNS8_11hip_rocprim5par_tENS8_11use_defaultESE_EEEENSA_INSB_IiSD_SE_SE_EEEEZNS1_13binary_searchIS3_S5_PfSG_SI_NS1_16binary_search_opENS9_16wrapped_functionINS8_6system6detail7generic6detail18binary_search_lessEbEEEE10hipError_tPvRmT1_T2_T3_mmT4_T5_P12ihipStream_tbEUlRKfE_EEST_SX_SY_mSZ_S12_bEUlT_E_NS1_11comp_targetILNS1_3genE2ELNS1_11target_archE906ELNS1_3gpuE6ELNS1_3repE0EEENS1_30default_config_static_selectorELNS0_4arch9wavefront6targetE1EEEvSW_.has_recursion, 0
	.set _ZN7rocprim17ROCPRIM_400000_NS6detail17trampoline_kernelINS0_14default_configENS1_29binary_search_config_selectorIfiEEZNS1_14transform_implILb0ES3_S5_N6thrust23THRUST_200600_302600_NS6detail15normal_iteratorINS8_7pointerIfNS8_11hip_rocprim5par_tENS8_11use_defaultESE_EEEENSA_INSB_IiSD_SE_SE_EEEEZNS1_13binary_searchIS3_S5_PfSG_SI_NS1_16binary_search_opENS9_16wrapped_functionINS8_6system6detail7generic6detail18binary_search_lessEbEEEE10hipError_tPvRmT1_T2_T3_mmT4_T5_P12ihipStream_tbEUlRKfE_EEST_SX_SY_mSZ_S12_bEUlT_E_NS1_11comp_targetILNS1_3genE2ELNS1_11target_archE906ELNS1_3gpuE6ELNS1_3repE0EEENS1_30default_config_static_selectorELNS0_4arch9wavefront6targetE1EEEvSW_.has_indirect_call, 0
	.section	.AMDGPU.csdata,"",@progbits
; Kernel info:
; codeLenInByte = 688
; TotalNumSgprs: 24
; NumVgprs: 13
; ScratchSize: 0
; MemoryBound: 0
; FloatMode: 240
; IeeeMode: 1
; LDSByteSize: 0 bytes/workgroup (compile time only)
; SGPRBlocks: 2
; VGPRBlocks: 3
; NumSGPRsForWavesPerEU: 24
; NumVGPRsForWavesPerEU: 13
; Occupancy: 10
; WaveLimiterHint : 0
; COMPUTE_PGM_RSRC2:SCRATCH_EN: 0
; COMPUTE_PGM_RSRC2:USER_SGPR: 6
; COMPUTE_PGM_RSRC2:TRAP_HANDLER: 0
; COMPUTE_PGM_RSRC2:TGID_X_EN: 1
; COMPUTE_PGM_RSRC2:TGID_Y_EN: 0
; COMPUTE_PGM_RSRC2:TGID_Z_EN: 0
; COMPUTE_PGM_RSRC2:TIDIG_COMP_CNT: 0
	.section	.text._ZN7rocprim17ROCPRIM_400000_NS6detail17trampoline_kernelINS0_14default_configENS1_29binary_search_config_selectorIfiEEZNS1_14transform_implILb0ES3_S5_N6thrust23THRUST_200600_302600_NS6detail15normal_iteratorINS8_7pointerIfNS8_11hip_rocprim5par_tENS8_11use_defaultESE_EEEENSA_INSB_IiSD_SE_SE_EEEEZNS1_13binary_searchIS3_S5_PfSG_SI_NS1_16binary_search_opENS9_16wrapped_functionINS8_6system6detail7generic6detail18binary_search_lessEbEEEE10hipError_tPvRmT1_T2_T3_mmT4_T5_P12ihipStream_tbEUlRKfE_EEST_SX_SY_mSZ_S12_bEUlT_E_NS1_11comp_targetILNS1_3genE10ELNS1_11target_archE1201ELNS1_3gpuE5ELNS1_3repE0EEENS1_30default_config_static_selectorELNS0_4arch9wavefront6targetE1EEEvSW_,"axG",@progbits,_ZN7rocprim17ROCPRIM_400000_NS6detail17trampoline_kernelINS0_14default_configENS1_29binary_search_config_selectorIfiEEZNS1_14transform_implILb0ES3_S5_N6thrust23THRUST_200600_302600_NS6detail15normal_iteratorINS8_7pointerIfNS8_11hip_rocprim5par_tENS8_11use_defaultESE_EEEENSA_INSB_IiSD_SE_SE_EEEEZNS1_13binary_searchIS3_S5_PfSG_SI_NS1_16binary_search_opENS9_16wrapped_functionINS8_6system6detail7generic6detail18binary_search_lessEbEEEE10hipError_tPvRmT1_T2_T3_mmT4_T5_P12ihipStream_tbEUlRKfE_EEST_SX_SY_mSZ_S12_bEUlT_E_NS1_11comp_targetILNS1_3genE10ELNS1_11target_archE1201ELNS1_3gpuE5ELNS1_3repE0EEENS1_30default_config_static_selectorELNS0_4arch9wavefront6targetE1EEEvSW_,comdat
	.protected	_ZN7rocprim17ROCPRIM_400000_NS6detail17trampoline_kernelINS0_14default_configENS1_29binary_search_config_selectorIfiEEZNS1_14transform_implILb0ES3_S5_N6thrust23THRUST_200600_302600_NS6detail15normal_iteratorINS8_7pointerIfNS8_11hip_rocprim5par_tENS8_11use_defaultESE_EEEENSA_INSB_IiSD_SE_SE_EEEEZNS1_13binary_searchIS3_S5_PfSG_SI_NS1_16binary_search_opENS9_16wrapped_functionINS8_6system6detail7generic6detail18binary_search_lessEbEEEE10hipError_tPvRmT1_T2_T3_mmT4_T5_P12ihipStream_tbEUlRKfE_EEST_SX_SY_mSZ_S12_bEUlT_E_NS1_11comp_targetILNS1_3genE10ELNS1_11target_archE1201ELNS1_3gpuE5ELNS1_3repE0EEENS1_30default_config_static_selectorELNS0_4arch9wavefront6targetE1EEEvSW_ ; -- Begin function _ZN7rocprim17ROCPRIM_400000_NS6detail17trampoline_kernelINS0_14default_configENS1_29binary_search_config_selectorIfiEEZNS1_14transform_implILb0ES3_S5_N6thrust23THRUST_200600_302600_NS6detail15normal_iteratorINS8_7pointerIfNS8_11hip_rocprim5par_tENS8_11use_defaultESE_EEEENSA_INSB_IiSD_SE_SE_EEEEZNS1_13binary_searchIS3_S5_PfSG_SI_NS1_16binary_search_opENS9_16wrapped_functionINS8_6system6detail7generic6detail18binary_search_lessEbEEEE10hipError_tPvRmT1_T2_T3_mmT4_T5_P12ihipStream_tbEUlRKfE_EEST_SX_SY_mSZ_S12_bEUlT_E_NS1_11comp_targetILNS1_3genE10ELNS1_11target_archE1201ELNS1_3gpuE5ELNS1_3repE0EEENS1_30default_config_static_selectorELNS0_4arch9wavefront6targetE1EEEvSW_
	.globl	_ZN7rocprim17ROCPRIM_400000_NS6detail17trampoline_kernelINS0_14default_configENS1_29binary_search_config_selectorIfiEEZNS1_14transform_implILb0ES3_S5_N6thrust23THRUST_200600_302600_NS6detail15normal_iteratorINS8_7pointerIfNS8_11hip_rocprim5par_tENS8_11use_defaultESE_EEEENSA_INSB_IiSD_SE_SE_EEEEZNS1_13binary_searchIS3_S5_PfSG_SI_NS1_16binary_search_opENS9_16wrapped_functionINS8_6system6detail7generic6detail18binary_search_lessEbEEEE10hipError_tPvRmT1_T2_T3_mmT4_T5_P12ihipStream_tbEUlRKfE_EEST_SX_SY_mSZ_S12_bEUlT_E_NS1_11comp_targetILNS1_3genE10ELNS1_11target_archE1201ELNS1_3gpuE5ELNS1_3repE0EEENS1_30default_config_static_selectorELNS0_4arch9wavefront6targetE1EEEvSW_
	.p2align	8
	.type	_ZN7rocprim17ROCPRIM_400000_NS6detail17trampoline_kernelINS0_14default_configENS1_29binary_search_config_selectorIfiEEZNS1_14transform_implILb0ES3_S5_N6thrust23THRUST_200600_302600_NS6detail15normal_iteratorINS8_7pointerIfNS8_11hip_rocprim5par_tENS8_11use_defaultESE_EEEENSA_INSB_IiSD_SE_SE_EEEEZNS1_13binary_searchIS3_S5_PfSG_SI_NS1_16binary_search_opENS9_16wrapped_functionINS8_6system6detail7generic6detail18binary_search_lessEbEEEE10hipError_tPvRmT1_T2_T3_mmT4_T5_P12ihipStream_tbEUlRKfE_EEST_SX_SY_mSZ_S12_bEUlT_E_NS1_11comp_targetILNS1_3genE10ELNS1_11target_archE1201ELNS1_3gpuE5ELNS1_3repE0EEENS1_30default_config_static_selectorELNS0_4arch9wavefront6targetE1EEEvSW_,@function
_ZN7rocprim17ROCPRIM_400000_NS6detail17trampoline_kernelINS0_14default_configENS1_29binary_search_config_selectorIfiEEZNS1_14transform_implILb0ES3_S5_N6thrust23THRUST_200600_302600_NS6detail15normal_iteratorINS8_7pointerIfNS8_11hip_rocprim5par_tENS8_11use_defaultESE_EEEENSA_INSB_IiSD_SE_SE_EEEEZNS1_13binary_searchIS3_S5_PfSG_SI_NS1_16binary_search_opENS9_16wrapped_functionINS8_6system6detail7generic6detail18binary_search_lessEbEEEE10hipError_tPvRmT1_T2_T3_mmT4_T5_P12ihipStream_tbEUlRKfE_EEST_SX_SY_mSZ_S12_bEUlT_E_NS1_11comp_targetILNS1_3genE10ELNS1_11target_archE1201ELNS1_3gpuE5ELNS1_3repE0EEENS1_30default_config_static_selectorELNS0_4arch9wavefront6targetE1EEEvSW_: ; @_ZN7rocprim17ROCPRIM_400000_NS6detail17trampoline_kernelINS0_14default_configENS1_29binary_search_config_selectorIfiEEZNS1_14transform_implILb0ES3_S5_N6thrust23THRUST_200600_302600_NS6detail15normal_iteratorINS8_7pointerIfNS8_11hip_rocprim5par_tENS8_11use_defaultESE_EEEENSA_INSB_IiSD_SE_SE_EEEEZNS1_13binary_searchIS3_S5_PfSG_SI_NS1_16binary_search_opENS9_16wrapped_functionINS8_6system6detail7generic6detail18binary_search_lessEbEEEE10hipError_tPvRmT1_T2_T3_mmT4_T5_P12ihipStream_tbEUlRKfE_EEST_SX_SY_mSZ_S12_bEUlT_E_NS1_11comp_targetILNS1_3genE10ELNS1_11target_archE1201ELNS1_3gpuE5ELNS1_3repE0EEENS1_30default_config_static_selectorELNS0_4arch9wavefront6targetE1EEEvSW_
; %bb.0:
	.section	.rodata,"a",@progbits
	.p2align	6, 0x0
	.amdhsa_kernel _ZN7rocprim17ROCPRIM_400000_NS6detail17trampoline_kernelINS0_14default_configENS1_29binary_search_config_selectorIfiEEZNS1_14transform_implILb0ES3_S5_N6thrust23THRUST_200600_302600_NS6detail15normal_iteratorINS8_7pointerIfNS8_11hip_rocprim5par_tENS8_11use_defaultESE_EEEENSA_INSB_IiSD_SE_SE_EEEEZNS1_13binary_searchIS3_S5_PfSG_SI_NS1_16binary_search_opENS9_16wrapped_functionINS8_6system6detail7generic6detail18binary_search_lessEbEEEE10hipError_tPvRmT1_T2_T3_mmT4_T5_P12ihipStream_tbEUlRKfE_EEST_SX_SY_mSZ_S12_bEUlT_E_NS1_11comp_targetILNS1_3genE10ELNS1_11target_archE1201ELNS1_3gpuE5ELNS1_3repE0EEENS1_30default_config_static_selectorELNS0_4arch9wavefront6targetE1EEEvSW_
		.amdhsa_group_segment_fixed_size 0
		.amdhsa_private_segment_fixed_size 0
		.amdhsa_kernarg_size 56
		.amdhsa_user_sgpr_count 6
		.amdhsa_user_sgpr_private_segment_buffer 1
		.amdhsa_user_sgpr_dispatch_ptr 0
		.amdhsa_user_sgpr_queue_ptr 0
		.amdhsa_user_sgpr_kernarg_segment_ptr 1
		.amdhsa_user_sgpr_dispatch_id 0
		.amdhsa_user_sgpr_flat_scratch_init 0
		.amdhsa_user_sgpr_private_segment_size 0
		.amdhsa_uses_dynamic_stack 0
		.amdhsa_system_sgpr_private_segment_wavefront_offset 0
		.amdhsa_system_sgpr_workgroup_id_x 1
		.amdhsa_system_sgpr_workgroup_id_y 0
		.amdhsa_system_sgpr_workgroup_id_z 0
		.amdhsa_system_sgpr_workgroup_info 0
		.amdhsa_system_vgpr_workitem_id 0
		.amdhsa_next_free_vgpr 1
		.amdhsa_next_free_sgpr 0
		.amdhsa_reserve_vcc 0
		.amdhsa_reserve_flat_scratch 0
		.amdhsa_float_round_mode_32 0
		.amdhsa_float_round_mode_16_64 0
		.amdhsa_float_denorm_mode_32 3
		.amdhsa_float_denorm_mode_16_64 3
		.amdhsa_dx10_clamp 1
		.amdhsa_ieee_mode 1
		.amdhsa_fp16_overflow 0
		.amdhsa_exception_fp_ieee_invalid_op 0
		.amdhsa_exception_fp_denorm_src 0
		.amdhsa_exception_fp_ieee_div_zero 0
		.amdhsa_exception_fp_ieee_overflow 0
		.amdhsa_exception_fp_ieee_underflow 0
		.amdhsa_exception_fp_ieee_inexact 0
		.amdhsa_exception_int_div_zero 0
	.end_amdhsa_kernel
	.section	.text._ZN7rocprim17ROCPRIM_400000_NS6detail17trampoline_kernelINS0_14default_configENS1_29binary_search_config_selectorIfiEEZNS1_14transform_implILb0ES3_S5_N6thrust23THRUST_200600_302600_NS6detail15normal_iteratorINS8_7pointerIfNS8_11hip_rocprim5par_tENS8_11use_defaultESE_EEEENSA_INSB_IiSD_SE_SE_EEEEZNS1_13binary_searchIS3_S5_PfSG_SI_NS1_16binary_search_opENS9_16wrapped_functionINS8_6system6detail7generic6detail18binary_search_lessEbEEEE10hipError_tPvRmT1_T2_T3_mmT4_T5_P12ihipStream_tbEUlRKfE_EEST_SX_SY_mSZ_S12_bEUlT_E_NS1_11comp_targetILNS1_3genE10ELNS1_11target_archE1201ELNS1_3gpuE5ELNS1_3repE0EEENS1_30default_config_static_selectorELNS0_4arch9wavefront6targetE1EEEvSW_,"axG",@progbits,_ZN7rocprim17ROCPRIM_400000_NS6detail17trampoline_kernelINS0_14default_configENS1_29binary_search_config_selectorIfiEEZNS1_14transform_implILb0ES3_S5_N6thrust23THRUST_200600_302600_NS6detail15normal_iteratorINS8_7pointerIfNS8_11hip_rocprim5par_tENS8_11use_defaultESE_EEEENSA_INSB_IiSD_SE_SE_EEEEZNS1_13binary_searchIS3_S5_PfSG_SI_NS1_16binary_search_opENS9_16wrapped_functionINS8_6system6detail7generic6detail18binary_search_lessEbEEEE10hipError_tPvRmT1_T2_T3_mmT4_T5_P12ihipStream_tbEUlRKfE_EEST_SX_SY_mSZ_S12_bEUlT_E_NS1_11comp_targetILNS1_3genE10ELNS1_11target_archE1201ELNS1_3gpuE5ELNS1_3repE0EEENS1_30default_config_static_selectorELNS0_4arch9wavefront6targetE1EEEvSW_,comdat
.Lfunc_end258:
	.size	_ZN7rocprim17ROCPRIM_400000_NS6detail17trampoline_kernelINS0_14default_configENS1_29binary_search_config_selectorIfiEEZNS1_14transform_implILb0ES3_S5_N6thrust23THRUST_200600_302600_NS6detail15normal_iteratorINS8_7pointerIfNS8_11hip_rocprim5par_tENS8_11use_defaultESE_EEEENSA_INSB_IiSD_SE_SE_EEEEZNS1_13binary_searchIS3_S5_PfSG_SI_NS1_16binary_search_opENS9_16wrapped_functionINS8_6system6detail7generic6detail18binary_search_lessEbEEEE10hipError_tPvRmT1_T2_T3_mmT4_T5_P12ihipStream_tbEUlRKfE_EEST_SX_SY_mSZ_S12_bEUlT_E_NS1_11comp_targetILNS1_3genE10ELNS1_11target_archE1201ELNS1_3gpuE5ELNS1_3repE0EEENS1_30default_config_static_selectorELNS0_4arch9wavefront6targetE1EEEvSW_, .Lfunc_end258-_ZN7rocprim17ROCPRIM_400000_NS6detail17trampoline_kernelINS0_14default_configENS1_29binary_search_config_selectorIfiEEZNS1_14transform_implILb0ES3_S5_N6thrust23THRUST_200600_302600_NS6detail15normal_iteratorINS8_7pointerIfNS8_11hip_rocprim5par_tENS8_11use_defaultESE_EEEENSA_INSB_IiSD_SE_SE_EEEEZNS1_13binary_searchIS3_S5_PfSG_SI_NS1_16binary_search_opENS9_16wrapped_functionINS8_6system6detail7generic6detail18binary_search_lessEbEEEE10hipError_tPvRmT1_T2_T3_mmT4_T5_P12ihipStream_tbEUlRKfE_EEST_SX_SY_mSZ_S12_bEUlT_E_NS1_11comp_targetILNS1_3genE10ELNS1_11target_archE1201ELNS1_3gpuE5ELNS1_3repE0EEENS1_30default_config_static_selectorELNS0_4arch9wavefront6targetE1EEEvSW_
                                        ; -- End function
	.set _ZN7rocprim17ROCPRIM_400000_NS6detail17trampoline_kernelINS0_14default_configENS1_29binary_search_config_selectorIfiEEZNS1_14transform_implILb0ES3_S5_N6thrust23THRUST_200600_302600_NS6detail15normal_iteratorINS8_7pointerIfNS8_11hip_rocprim5par_tENS8_11use_defaultESE_EEEENSA_INSB_IiSD_SE_SE_EEEEZNS1_13binary_searchIS3_S5_PfSG_SI_NS1_16binary_search_opENS9_16wrapped_functionINS8_6system6detail7generic6detail18binary_search_lessEbEEEE10hipError_tPvRmT1_T2_T3_mmT4_T5_P12ihipStream_tbEUlRKfE_EEST_SX_SY_mSZ_S12_bEUlT_E_NS1_11comp_targetILNS1_3genE10ELNS1_11target_archE1201ELNS1_3gpuE5ELNS1_3repE0EEENS1_30default_config_static_selectorELNS0_4arch9wavefront6targetE1EEEvSW_.num_vgpr, 0
	.set _ZN7rocprim17ROCPRIM_400000_NS6detail17trampoline_kernelINS0_14default_configENS1_29binary_search_config_selectorIfiEEZNS1_14transform_implILb0ES3_S5_N6thrust23THRUST_200600_302600_NS6detail15normal_iteratorINS8_7pointerIfNS8_11hip_rocprim5par_tENS8_11use_defaultESE_EEEENSA_INSB_IiSD_SE_SE_EEEEZNS1_13binary_searchIS3_S5_PfSG_SI_NS1_16binary_search_opENS9_16wrapped_functionINS8_6system6detail7generic6detail18binary_search_lessEbEEEE10hipError_tPvRmT1_T2_T3_mmT4_T5_P12ihipStream_tbEUlRKfE_EEST_SX_SY_mSZ_S12_bEUlT_E_NS1_11comp_targetILNS1_3genE10ELNS1_11target_archE1201ELNS1_3gpuE5ELNS1_3repE0EEENS1_30default_config_static_selectorELNS0_4arch9wavefront6targetE1EEEvSW_.num_agpr, 0
	.set _ZN7rocprim17ROCPRIM_400000_NS6detail17trampoline_kernelINS0_14default_configENS1_29binary_search_config_selectorIfiEEZNS1_14transform_implILb0ES3_S5_N6thrust23THRUST_200600_302600_NS6detail15normal_iteratorINS8_7pointerIfNS8_11hip_rocprim5par_tENS8_11use_defaultESE_EEEENSA_INSB_IiSD_SE_SE_EEEEZNS1_13binary_searchIS3_S5_PfSG_SI_NS1_16binary_search_opENS9_16wrapped_functionINS8_6system6detail7generic6detail18binary_search_lessEbEEEE10hipError_tPvRmT1_T2_T3_mmT4_T5_P12ihipStream_tbEUlRKfE_EEST_SX_SY_mSZ_S12_bEUlT_E_NS1_11comp_targetILNS1_3genE10ELNS1_11target_archE1201ELNS1_3gpuE5ELNS1_3repE0EEENS1_30default_config_static_selectorELNS0_4arch9wavefront6targetE1EEEvSW_.numbered_sgpr, 0
	.set _ZN7rocprim17ROCPRIM_400000_NS6detail17trampoline_kernelINS0_14default_configENS1_29binary_search_config_selectorIfiEEZNS1_14transform_implILb0ES3_S5_N6thrust23THRUST_200600_302600_NS6detail15normal_iteratorINS8_7pointerIfNS8_11hip_rocprim5par_tENS8_11use_defaultESE_EEEENSA_INSB_IiSD_SE_SE_EEEEZNS1_13binary_searchIS3_S5_PfSG_SI_NS1_16binary_search_opENS9_16wrapped_functionINS8_6system6detail7generic6detail18binary_search_lessEbEEEE10hipError_tPvRmT1_T2_T3_mmT4_T5_P12ihipStream_tbEUlRKfE_EEST_SX_SY_mSZ_S12_bEUlT_E_NS1_11comp_targetILNS1_3genE10ELNS1_11target_archE1201ELNS1_3gpuE5ELNS1_3repE0EEENS1_30default_config_static_selectorELNS0_4arch9wavefront6targetE1EEEvSW_.num_named_barrier, 0
	.set _ZN7rocprim17ROCPRIM_400000_NS6detail17trampoline_kernelINS0_14default_configENS1_29binary_search_config_selectorIfiEEZNS1_14transform_implILb0ES3_S5_N6thrust23THRUST_200600_302600_NS6detail15normal_iteratorINS8_7pointerIfNS8_11hip_rocprim5par_tENS8_11use_defaultESE_EEEENSA_INSB_IiSD_SE_SE_EEEEZNS1_13binary_searchIS3_S5_PfSG_SI_NS1_16binary_search_opENS9_16wrapped_functionINS8_6system6detail7generic6detail18binary_search_lessEbEEEE10hipError_tPvRmT1_T2_T3_mmT4_T5_P12ihipStream_tbEUlRKfE_EEST_SX_SY_mSZ_S12_bEUlT_E_NS1_11comp_targetILNS1_3genE10ELNS1_11target_archE1201ELNS1_3gpuE5ELNS1_3repE0EEENS1_30default_config_static_selectorELNS0_4arch9wavefront6targetE1EEEvSW_.private_seg_size, 0
	.set _ZN7rocprim17ROCPRIM_400000_NS6detail17trampoline_kernelINS0_14default_configENS1_29binary_search_config_selectorIfiEEZNS1_14transform_implILb0ES3_S5_N6thrust23THRUST_200600_302600_NS6detail15normal_iteratorINS8_7pointerIfNS8_11hip_rocprim5par_tENS8_11use_defaultESE_EEEENSA_INSB_IiSD_SE_SE_EEEEZNS1_13binary_searchIS3_S5_PfSG_SI_NS1_16binary_search_opENS9_16wrapped_functionINS8_6system6detail7generic6detail18binary_search_lessEbEEEE10hipError_tPvRmT1_T2_T3_mmT4_T5_P12ihipStream_tbEUlRKfE_EEST_SX_SY_mSZ_S12_bEUlT_E_NS1_11comp_targetILNS1_3genE10ELNS1_11target_archE1201ELNS1_3gpuE5ELNS1_3repE0EEENS1_30default_config_static_selectorELNS0_4arch9wavefront6targetE1EEEvSW_.uses_vcc, 0
	.set _ZN7rocprim17ROCPRIM_400000_NS6detail17trampoline_kernelINS0_14default_configENS1_29binary_search_config_selectorIfiEEZNS1_14transform_implILb0ES3_S5_N6thrust23THRUST_200600_302600_NS6detail15normal_iteratorINS8_7pointerIfNS8_11hip_rocprim5par_tENS8_11use_defaultESE_EEEENSA_INSB_IiSD_SE_SE_EEEEZNS1_13binary_searchIS3_S5_PfSG_SI_NS1_16binary_search_opENS9_16wrapped_functionINS8_6system6detail7generic6detail18binary_search_lessEbEEEE10hipError_tPvRmT1_T2_T3_mmT4_T5_P12ihipStream_tbEUlRKfE_EEST_SX_SY_mSZ_S12_bEUlT_E_NS1_11comp_targetILNS1_3genE10ELNS1_11target_archE1201ELNS1_3gpuE5ELNS1_3repE0EEENS1_30default_config_static_selectorELNS0_4arch9wavefront6targetE1EEEvSW_.uses_flat_scratch, 0
	.set _ZN7rocprim17ROCPRIM_400000_NS6detail17trampoline_kernelINS0_14default_configENS1_29binary_search_config_selectorIfiEEZNS1_14transform_implILb0ES3_S5_N6thrust23THRUST_200600_302600_NS6detail15normal_iteratorINS8_7pointerIfNS8_11hip_rocprim5par_tENS8_11use_defaultESE_EEEENSA_INSB_IiSD_SE_SE_EEEEZNS1_13binary_searchIS3_S5_PfSG_SI_NS1_16binary_search_opENS9_16wrapped_functionINS8_6system6detail7generic6detail18binary_search_lessEbEEEE10hipError_tPvRmT1_T2_T3_mmT4_T5_P12ihipStream_tbEUlRKfE_EEST_SX_SY_mSZ_S12_bEUlT_E_NS1_11comp_targetILNS1_3genE10ELNS1_11target_archE1201ELNS1_3gpuE5ELNS1_3repE0EEENS1_30default_config_static_selectorELNS0_4arch9wavefront6targetE1EEEvSW_.has_dyn_sized_stack, 0
	.set _ZN7rocprim17ROCPRIM_400000_NS6detail17trampoline_kernelINS0_14default_configENS1_29binary_search_config_selectorIfiEEZNS1_14transform_implILb0ES3_S5_N6thrust23THRUST_200600_302600_NS6detail15normal_iteratorINS8_7pointerIfNS8_11hip_rocprim5par_tENS8_11use_defaultESE_EEEENSA_INSB_IiSD_SE_SE_EEEEZNS1_13binary_searchIS3_S5_PfSG_SI_NS1_16binary_search_opENS9_16wrapped_functionINS8_6system6detail7generic6detail18binary_search_lessEbEEEE10hipError_tPvRmT1_T2_T3_mmT4_T5_P12ihipStream_tbEUlRKfE_EEST_SX_SY_mSZ_S12_bEUlT_E_NS1_11comp_targetILNS1_3genE10ELNS1_11target_archE1201ELNS1_3gpuE5ELNS1_3repE0EEENS1_30default_config_static_selectorELNS0_4arch9wavefront6targetE1EEEvSW_.has_recursion, 0
	.set _ZN7rocprim17ROCPRIM_400000_NS6detail17trampoline_kernelINS0_14default_configENS1_29binary_search_config_selectorIfiEEZNS1_14transform_implILb0ES3_S5_N6thrust23THRUST_200600_302600_NS6detail15normal_iteratorINS8_7pointerIfNS8_11hip_rocprim5par_tENS8_11use_defaultESE_EEEENSA_INSB_IiSD_SE_SE_EEEEZNS1_13binary_searchIS3_S5_PfSG_SI_NS1_16binary_search_opENS9_16wrapped_functionINS8_6system6detail7generic6detail18binary_search_lessEbEEEE10hipError_tPvRmT1_T2_T3_mmT4_T5_P12ihipStream_tbEUlRKfE_EEST_SX_SY_mSZ_S12_bEUlT_E_NS1_11comp_targetILNS1_3genE10ELNS1_11target_archE1201ELNS1_3gpuE5ELNS1_3repE0EEENS1_30default_config_static_selectorELNS0_4arch9wavefront6targetE1EEEvSW_.has_indirect_call, 0
	.section	.AMDGPU.csdata,"",@progbits
; Kernel info:
; codeLenInByte = 0
; TotalNumSgprs: 4
; NumVgprs: 0
; ScratchSize: 0
; MemoryBound: 0
; FloatMode: 240
; IeeeMode: 1
; LDSByteSize: 0 bytes/workgroup (compile time only)
; SGPRBlocks: 0
; VGPRBlocks: 0
; NumSGPRsForWavesPerEU: 4
; NumVGPRsForWavesPerEU: 1
; Occupancy: 10
; WaveLimiterHint : 0
; COMPUTE_PGM_RSRC2:SCRATCH_EN: 0
; COMPUTE_PGM_RSRC2:USER_SGPR: 6
; COMPUTE_PGM_RSRC2:TRAP_HANDLER: 0
; COMPUTE_PGM_RSRC2:TGID_X_EN: 1
; COMPUTE_PGM_RSRC2:TGID_Y_EN: 0
; COMPUTE_PGM_RSRC2:TGID_Z_EN: 0
; COMPUTE_PGM_RSRC2:TIDIG_COMP_CNT: 0
	.section	.text._ZN7rocprim17ROCPRIM_400000_NS6detail17trampoline_kernelINS0_14default_configENS1_29binary_search_config_selectorIfiEEZNS1_14transform_implILb0ES3_S5_N6thrust23THRUST_200600_302600_NS6detail15normal_iteratorINS8_7pointerIfNS8_11hip_rocprim5par_tENS8_11use_defaultESE_EEEENSA_INSB_IiSD_SE_SE_EEEEZNS1_13binary_searchIS3_S5_PfSG_SI_NS1_16binary_search_opENS9_16wrapped_functionINS8_6system6detail7generic6detail18binary_search_lessEbEEEE10hipError_tPvRmT1_T2_T3_mmT4_T5_P12ihipStream_tbEUlRKfE_EEST_SX_SY_mSZ_S12_bEUlT_E_NS1_11comp_targetILNS1_3genE10ELNS1_11target_archE1200ELNS1_3gpuE4ELNS1_3repE0EEENS1_30default_config_static_selectorELNS0_4arch9wavefront6targetE1EEEvSW_,"axG",@progbits,_ZN7rocprim17ROCPRIM_400000_NS6detail17trampoline_kernelINS0_14default_configENS1_29binary_search_config_selectorIfiEEZNS1_14transform_implILb0ES3_S5_N6thrust23THRUST_200600_302600_NS6detail15normal_iteratorINS8_7pointerIfNS8_11hip_rocprim5par_tENS8_11use_defaultESE_EEEENSA_INSB_IiSD_SE_SE_EEEEZNS1_13binary_searchIS3_S5_PfSG_SI_NS1_16binary_search_opENS9_16wrapped_functionINS8_6system6detail7generic6detail18binary_search_lessEbEEEE10hipError_tPvRmT1_T2_T3_mmT4_T5_P12ihipStream_tbEUlRKfE_EEST_SX_SY_mSZ_S12_bEUlT_E_NS1_11comp_targetILNS1_3genE10ELNS1_11target_archE1200ELNS1_3gpuE4ELNS1_3repE0EEENS1_30default_config_static_selectorELNS0_4arch9wavefront6targetE1EEEvSW_,comdat
	.protected	_ZN7rocprim17ROCPRIM_400000_NS6detail17trampoline_kernelINS0_14default_configENS1_29binary_search_config_selectorIfiEEZNS1_14transform_implILb0ES3_S5_N6thrust23THRUST_200600_302600_NS6detail15normal_iteratorINS8_7pointerIfNS8_11hip_rocprim5par_tENS8_11use_defaultESE_EEEENSA_INSB_IiSD_SE_SE_EEEEZNS1_13binary_searchIS3_S5_PfSG_SI_NS1_16binary_search_opENS9_16wrapped_functionINS8_6system6detail7generic6detail18binary_search_lessEbEEEE10hipError_tPvRmT1_T2_T3_mmT4_T5_P12ihipStream_tbEUlRKfE_EEST_SX_SY_mSZ_S12_bEUlT_E_NS1_11comp_targetILNS1_3genE10ELNS1_11target_archE1200ELNS1_3gpuE4ELNS1_3repE0EEENS1_30default_config_static_selectorELNS0_4arch9wavefront6targetE1EEEvSW_ ; -- Begin function _ZN7rocprim17ROCPRIM_400000_NS6detail17trampoline_kernelINS0_14default_configENS1_29binary_search_config_selectorIfiEEZNS1_14transform_implILb0ES3_S5_N6thrust23THRUST_200600_302600_NS6detail15normal_iteratorINS8_7pointerIfNS8_11hip_rocprim5par_tENS8_11use_defaultESE_EEEENSA_INSB_IiSD_SE_SE_EEEEZNS1_13binary_searchIS3_S5_PfSG_SI_NS1_16binary_search_opENS9_16wrapped_functionINS8_6system6detail7generic6detail18binary_search_lessEbEEEE10hipError_tPvRmT1_T2_T3_mmT4_T5_P12ihipStream_tbEUlRKfE_EEST_SX_SY_mSZ_S12_bEUlT_E_NS1_11comp_targetILNS1_3genE10ELNS1_11target_archE1200ELNS1_3gpuE4ELNS1_3repE0EEENS1_30default_config_static_selectorELNS0_4arch9wavefront6targetE1EEEvSW_
	.globl	_ZN7rocprim17ROCPRIM_400000_NS6detail17trampoline_kernelINS0_14default_configENS1_29binary_search_config_selectorIfiEEZNS1_14transform_implILb0ES3_S5_N6thrust23THRUST_200600_302600_NS6detail15normal_iteratorINS8_7pointerIfNS8_11hip_rocprim5par_tENS8_11use_defaultESE_EEEENSA_INSB_IiSD_SE_SE_EEEEZNS1_13binary_searchIS3_S5_PfSG_SI_NS1_16binary_search_opENS9_16wrapped_functionINS8_6system6detail7generic6detail18binary_search_lessEbEEEE10hipError_tPvRmT1_T2_T3_mmT4_T5_P12ihipStream_tbEUlRKfE_EEST_SX_SY_mSZ_S12_bEUlT_E_NS1_11comp_targetILNS1_3genE10ELNS1_11target_archE1200ELNS1_3gpuE4ELNS1_3repE0EEENS1_30default_config_static_selectorELNS0_4arch9wavefront6targetE1EEEvSW_
	.p2align	8
	.type	_ZN7rocprim17ROCPRIM_400000_NS6detail17trampoline_kernelINS0_14default_configENS1_29binary_search_config_selectorIfiEEZNS1_14transform_implILb0ES3_S5_N6thrust23THRUST_200600_302600_NS6detail15normal_iteratorINS8_7pointerIfNS8_11hip_rocprim5par_tENS8_11use_defaultESE_EEEENSA_INSB_IiSD_SE_SE_EEEEZNS1_13binary_searchIS3_S5_PfSG_SI_NS1_16binary_search_opENS9_16wrapped_functionINS8_6system6detail7generic6detail18binary_search_lessEbEEEE10hipError_tPvRmT1_T2_T3_mmT4_T5_P12ihipStream_tbEUlRKfE_EEST_SX_SY_mSZ_S12_bEUlT_E_NS1_11comp_targetILNS1_3genE10ELNS1_11target_archE1200ELNS1_3gpuE4ELNS1_3repE0EEENS1_30default_config_static_selectorELNS0_4arch9wavefront6targetE1EEEvSW_,@function
_ZN7rocprim17ROCPRIM_400000_NS6detail17trampoline_kernelINS0_14default_configENS1_29binary_search_config_selectorIfiEEZNS1_14transform_implILb0ES3_S5_N6thrust23THRUST_200600_302600_NS6detail15normal_iteratorINS8_7pointerIfNS8_11hip_rocprim5par_tENS8_11use_defaultESE_EEEENSA_INSB_IiSD_SE_SE_EEEEZNS1_13binary_searchIS3_S5_PfSG_SI_NS1_16binary_search_opENS9_16wrapped_functionINS8_6system6detail7generic6detail18binary_search_lessEbEEEE10hipError_tPvRmT1_T2_T3_mmT4_T5_P12ihipStream_tbEUlRKfE_EEST_SX_SY_mSZ_S12_bEUlT_E_NS1_11comp_targetILNS1_3genE10ELNS1_11target_archE1200ELNS1_3gpuE4ELNS1_3repE0EEENS1_30default_config_static_selectorELNS0_4arch9wavefront6targetE1EEEvSW_: ; @_ZN7rocprim17ROCPRIM_400000_NS6detail17trampoline_kernelINS0_14default_configENS1_29binary_search_config_selectorIfiEEZNS1_14transform_implILb0ES3_S5_N6thrust23THRUST_200600_302600_NS6detail15normal_iteratorINS8_7pointerIfNS8_11hip_rocprim5par_tENS8_11use_defaultESE_EEEENSA_INSB_IiSD_SE_SE_EEEEZNS1_13binary_searchIS3_S5_PfSG_SI_NS1_16binary_search_opENS9_16wrapped_functionINS8_6system6detail7generic6detail18binary_search_lessEbEEEE10hipError_tPvRmT1_T2_T3_mmT4_T5_P12ihipStream_tbEUlRKfE_EEST_SX_SY_mSZ_S12_bEUlT_E_NS1_11comp_targetILNS1_3genE10ELNS1_11target_archE1200ELNS1_3gpuE4ELNS1_3repE0EEENS1_30default_config_static_selectorELNS0_4arch9wavefront6targetE1EEEvSW_
; %bb.0:
	.section	.rodata,"a",@progbits
	.p2align	6, 0x0
	.amdhsa_kernel _ZN7rocprim17ROCPRIM_400000_NS6detail17trampoline_kernelINS0_14default_configENS1_29binary_search_config_selectorIfiEEZNS1_14transform_implILb0ES3_S5_N6thrust23THRUST_200600_302600_NS6detail15normal_iteratorINS8_7pointerIfNS8_11hip_rocprim5par_tENS8_11use_defaultESE_EEEENSA_INSB_IiSD_SE_SE_EEEEZNS1_13binary_searchIS3_S5_PfSG_SI_NS1_16binary_search_opENS9_16wrapped_functionINS8_6system6detail7generic6detail18binary_search_lessEbEEEE10hipError_tPvRmT1_T2_T3_mmT4_T5_P12ihipStream_tbEUlRKfE_EEST_SX_SY_mSZ_S12_bEUlT_E_NS1_11comp_targetILNS1_3genE10ELNS1_11target_archE1200ELNS1_3gpuE4ELNS1_3repE0EEENS1_30default_config_static_selectorELNS0_4arch9wavefront6targetE1EEEvSW_
		.amdhsa_group_segment_fixed_size 0
		.amdhsa_private_segment_fixed_size 0
		.amdhsa_kernarg_size 56
		.amdhsa_user_sgpr_count 6
		.amdhsa_user_sgpr_private_segment_buffer 1
		.amdhsa_user_sgpr_dispatch_ptr 0
		.amdhsa_user_sgpr_queue_ptr 0
		.amdhsa_user_sgpr_kernarg_segment_ptr 1
		.amdhsa_user_sgpr_dispatch_id 0
		.amdhsa_user_sgpr_flat_scratch_init 0
		.amdhsa_user_sgpr_private_segment_size 0
		.amdhsa_uses_dynamic_stack 0
		.amdhsa_system_sgpr_private_segment_wavefront_offset 0
		.amdhsa_system_sgpr_workgroup_id_x 1
		.amdhsa_system_sgpr_workgroup_id_y 0
		.amdhsa_system_sgpr_workgroup_id_z 0
		.amdhsa_system_sgpr_workgroup_info 0
		.amdhsa_system_vgpr_workitem_id 0
		.amdhsa_next_free_vgpr 1
		.amdhsa_next_free_sgpr 0
		.amdhsa_reserve_vcc 0
		.amdhsa_reserve_flat_scratch 0
		.amdhsa_float_round_mode_32 0
		.amdhsa_float_round_mode_16_64 0
		.amdhsa_float_denorm_mode_32 3
		.amdhsa_float_denorm_mode_16_64 3
		.amdhsa_dx10_clamp 1
		.amdhsa_ieee_mode 1
		.amdhsa_fp16_overflow 0
		.amdhsa_exception_fp_ieee_invalid_op 0
		.amdhsa_exception_fp_denorm_src 0
		.amdhsa_exception_fp_ieee_div_zero 0
		.amdhsa_exception_fp_ieee_overflow 0
		.amdhsa_exception_fp_ieee_underflow 0
		.amdhsa_exception_fp_ieee_inexact 0
		.amdhsa_exception_int_div_zero 0
	.end_amdhsa_kernel
	.section	.text._ZN7rocprim17ROCPRIM_400000_NS6detail17trampoline_kernelINS0_14default_configENS1_29binary_search_config_selectorIfiEEZNS1_14transform_implILb0ES3_S5_N6thrust23THRUST_200600_302600_NS6detail15normal_iteratorINS8_7pointerIfNS8_11hip_rocprim5par_tENS8_11use_defaultESE_EEEENSA_INSB_IiSD_SE_SE_EEEEZNS1_13binary_searchIS3_S5_PfSG_SI_NS1_16binary_search_opENS9_16wrapped_functionINS8_6system6detail7generic6detail18binary_search_lessEbEEEE10hipError_tPvRmT1_T2_T3_mmT4_T5_P12ihipStream_tbEUlRKfE_EEST_SX_SY_mSZ_S12_bEUlT_E_NS1_11comp_targetILNS1_3genE10ELNS1_11target_archE1200ELNS1_3gpuE4ELNS1_3repE0EEENS1_30default_config_static_selectorELNS0_4arch9wavefront6targetE1EEEvSW_,"axG",@progbits,_ZN7rocprim17ROCPRIM_400000_NS6detail17trampoline_kernelINS0_14default_configENS1_29binary_search_config_selectorIfiEEZNS1_14transform_implILb0ES3_S5_N6thrust23THRUST_200600_302600_NS6detail15normal_iteratorINS8_7pointerIfNS8_11hip_rocprim5par_tENS8_11use_defaultESE_EEEENSA_INSB_IiSD_SE_SE_EEEEZNS1_13binary_searchIS3_S5_PfSG_SI_NS1_16binary_search_opENS9_16wrapped_functionINS8_6system6detail7generic6detail18binary_search_lessEbEEEE10hipError_tPvRmT1_T2_T3_mmT4_T5_P12ihipStream_tbEUlRKfE_EEST_SX_SY_mSZ_S12_bEUlT_E_NS1_11comp_targetILNS1_3genE10ELNS1_11target_archE1200ELNS1_3gpuE4ELNS1_3repE0EEENS1_30default_config_static_selectorELNS0_4arch9wavefront6targetE1EEEvSW_,comdat
.Lfunc_end259:
	.size	_ZN7rocprim17ROCPRIM_400000_NS6detail17trampoline_kernelINS0_14default_configENS1_29binary_search_config_selectorIfiEEZNS1_14transform_implILb0ES3_S5_N6thrust23THRUST_200600_302600_NS6detail15normal_iteratorINS8_7pointerIfNS8_11hip_rocprim5par_tENS8_11use_defaultESE_EEEENSA_INSB_IiSD_SE_SE_EEEEZNS1_13binary_searchIS3_S5_PfSG_SI_NS1_16binary_search_opENS9_16wrapped_functionINS8_6system6detail7generic6detail18binary_search_lessEbEEEE10hipError_tPvRmT1_T2_T3_mmT4_T5_P12ihipStream_tbEUlRKfE_EEST_SX_SY_mSZ_S12_bEUlT_E_NS1_11comp_targetILNS1_3genE10ELNS1_11target_archE1200ELNS1_3gpuE4ELNS1_3repE0EEENS1_30default_config_static_selectorELNS0_4arch9wavefront6targetE1EEEvSW_, .Lfunc_end259-_ZN7rocprim17ROCPRIM_400000_NS6detail17trampoline_kernelINS0_14default_configENS1_29binary_search_config_selectorIfiEEZNS1_14transform_implILb0ES3_S5_N6thrust23THRUST_200600_302600_NS6detail15normal_iteratorINS8_7pointerIfNS8_11hip_rocprim5par_tENS8_11use_defaultESE_EEEENSA_INSB_IiSD_SE_SE_EEEEZNS1_13binary_searchIS3_S5_PfSG_SI_NS1_16binary_search_opENS9_16wrapped_functionINS8_6system6detail7generic6detail18binary_search_lessEbEEEE10hipError_tPvRmT1_T2_T3_mmT4_T5_P12ihipStream_tbEUlRKfE_EEST_SX_SY_mSZ_S12_bEUlT_E_NS1_11comp_targetILNS1_3genE10ELNS1_11target_archE1200ELNS1_3gpuE4ELNS1_3repE0EEENS1_30default_config_static_selectorELNS0_4arch9wavefront6targetE1EEEvSW_
                                        ; -- End function
	.set _ZN7rocprim17ROCPRIM_400000_NS6detail17trampoline_kernelINS0_14default_configENS1_29binary_search_config_selectorIfiEEZNS1_14transform_implILb0ES3_S5_N6thrust23THRUST_200600_302600_NS6detail15normal_iteratorINS8_7pointerIfNS8_11hip_rocprim5par_tENS8_11use_defaultESE_EEEENSA_INSB_IiSD_SE_SE_EEEEZNS1_13binary_searchIS3_S5_PfSG_SI_NS1_16binary_search_opENS9_16wrapped_functionINS8_6system6detail7generic6detail18binary_search_lessEbEEEE10hipError_tPvRmT1_T2_T3_mmT4_T5_P12ihipStream_tbEUlRKfE_EEST_SX_SY_mSZ_S12_bEUlT_E_NS1_11comp_targetILNS1_3genE10ELNS1_11target_archE1200ELNS1_3gpuE4ELNS1_3repE0EEENS1_30default_config_static_selectorELNS0_4arch9wavefront6targetE1EEEvSW_.num_vgpr, 0
	.set _ZN7rocprim17ROCPRIM_400000_NS6detail17trampoline_kernelINS0_14default_configENS1_29binary_search_config_selectorIfiEEZNS1_14transform_implILb0ES3_S5_N6thrust23THRUST_200600_302600_NS6detail15normal_iteratorINS8_7pointerIfNS8_11hip_rocprim5par_tENS8_11use_defaultESE_EEEENSA_INSB_IiSD_SE_SE_EEEEZNS1_13binary_searchIS3_S5_PfSG_SI_NS1_16binary_search_opENS9_16wrapped_functionINS8_6system6detail7generic6detail18binary_search_lessEbEEEE10hipError_tPvRmT1_T2_T3_mmT4_T5_P12ihipStream_tbEUlRKfE_EEST_SX_SY_mSZ_S12_bEUlT_E_NS1_11comp_targetILNS1_3genE10ELNS1_11target_archE1200ELNS1_3gpuE4ELNS1_3repE0EEENS1_30default_config_static_selectorELNS0_4arch9wavefront6targetE1EEEvSW_.num_agpr, 0
	.set _ZN7rocprim17ROCPRIM_400000_NS6detail17trampoline_kernelINS0_14default_configENS1_29binary_search_config_selectorIfiEEZNS1_14transform_implILb0ES3_S5_N6thrust23THRUST_200600_302600_NS6detail15normal_iteratorINS8_7pointerIfNS8_11hip_rocprim5par_tENS8_11use_defaultESE_EEEENSA_INSB_IiSD_SE_SE_EEEEZNS1_13binary_searchIS3_S5_PfSG_SI_NS1_16binary_search_opENS9_16wrapped_functionINS8_6system6detail7generic6detail18binary_search_lessEbEEEE10hipError_tPvRmT1_T2_T3_mmT4_T5_P12ihipStream_tbEUlRKfE_EEST_SX_SY_mSZ_S12_bEUlT_E_NS1_11comp_targetILNS1_3genE10ELNS1_11target_archE1200ELNS1_3gpuE4ELNS1_3repE0EEENS1_30default_config_static_selectorELNS0_4arch9wavefront6targetE1EEEvSW_.numbered_sgpr, 0
	.set _ZN7rocprim17ROCPRIM_400000_NS6detail17trampoline_kernelINS0_14default_configENS1_29binary_search_config_selectorIfiEEZNS1_14transform_implILb0ES3_S5_N6thrust23THRUST_200600_302600_NS6detail15normal_iteratorINS8_7pointerIfNS8_11hip_rocprim5par_tENS8_11use_defaultESE_EEEENSA_INSB_IiSD_SE_SE_EEEEZNS1_13binary_searchIS3_S5_PfSG_SI_NS1_16binary_search_opENS9_16wrapped_functionINS8_6system6detail7generic6detail18binary_search_lessEbEEEE10hipError_tPvRmT1_T2_T3_mmT4_T5_P12ihipStream_tbEUlRKfE_EEST_SX_SY_mSZ_S12_bEUlT_E_NS1_11comp_targetILNS1_3genE10ELNS1_11target_archE1200ELNS1_3gpuE4ELNS1_3repE0EEENS1_30default_config_static_selectorELNS0_4arch9wavefront6targetE1EEEvSW_.num_named_barrier, 0
	.set _ZN7rocprim17ROCPRIM_400000_NS6detail17trampoline_kernelINS0_14default_configENS1_29binary_search_config_selectorIfiEEZNS1_14transform_implILb0ES3_S5_N6thrust23THRUST_200600_302600_NS6detail15normal_iteratorINS8_7pointerIfNS8_11hip_rocprim5par_tENS8_11use_defaultESE_EEEENSA_INSB_IiSD_SE_SE_EEEEZNS1_13binary_searchIS3_S5_PfSG_SI_NS1_16binary_search_opENS9_16wrapped_functionINS8_6system6detail7generic6detail18binary_search_lessEbEEEE10hipError_tPvRmT1_T2_T3_mmT4_T5_P12ihipStream_tbEUlRKfE_EEST_SX_SY_mSZ_S12_bEUlT_E_NS1_11comp_targetILNS1_3genE10ELNS1_11target_archE1200ELNS1_3gpuE4ELNS1_3repE0EEENS1_30default_config_static_selectorELNS0_4arch9wavefront6targetE1EEEvSW_.private_seg_size, 0
	.set _ZN7rocprim17ROCPRIM_400000_NS6detail17trampoline_kernelINS0_14default_configENS1_29binary_search_config_selectorIfiEEZNS1_14transform_implILb0ES3_S5_N6thrust23THRUST_200600_302600_NS6detail15normal_iteratorINS8_7pointerIfNS8_11hip_rocprim5par_tENS8_11use_defaultESE_EEEENSA_INSB_IiSD_SE_SE_EEEEZNS1_13binary_searchIS3_S5_PfSG_SI_NS1_16binary_search_opENS9_16wrapped_functionINS8_6system6detail7generic6detail18binary_search_lessEbEEEE10hipError_tPvRmT1_T2_T3_mmT4_T5_P12ihipStream_tbEUlRKfE_EEST_SX_SY_mSZ_S12_bEUlT_E_NS1_11comp_targetILNS1_3genE10ELNS1_11target_archE1200ELNS1_3gpuE4ELNS1_3repE0EEENS1_30default_config_static_selectorELNS0_4arch9wavefront6targetE1EEEvSW_.uses_vcc, 0
	.set _ZN7rocprim17ROCPRIM_400000_NS6detail17trampoline_kernelINS0_14default_configENS1_29binary_search_config_selectorIfiEEZNS1_14transform_implILb0ES3_S5_N6thrust23THRUST_200600_302600_NS6detail15normal_iteratorINS8_7pointerIfNS8_11hip_rocprim5par_tENS8_11use_defaultESE_EEEENSA_INSB_IiSD_SE_SE_EEEEZNS1_13binary_searchIS3_S5_PfSG_SI_NS1_16binary_search_opENS9_16wrapped_functionINS8_6system6detail7generic6detail18binary_search_lessEbEEEE10hipError_tPvRmT1_T2_T3_mmT4_T5_P12ihipStream_tbEUlRKfE_EEST_SX_SY_mSZ_S12_bEUlT_E_NS1_11comp_targetILNS1_3genE10ELNS1_11target_archE1200ELNS1_3gpuE4ELNS1_3repE0EEENS1_30default_config_static_selectorELNS0_4arch9wavefront6targetE1EEEvSW_.uses_flat_scratch, 0
	.set _ZN7rocprim17ROCPRIM_400000_NS6detail17trampoline_kernelINS0_14default_configENS1_29binary_search_config_selectorIfiEEZNS1_14transform_implILb0ES3_S5_N6thrust23THRUST_200600_302600_NS6detail15normal_iteratorINS8_7pointerIfNS8_11hip_rocprim5par_tENS8_11use_defaultESE_EEEENSA_INSB_IiSD_SE_SE_EEEEZNS1_13binary_searchIS3_S5_PfSG_SI_NS1_16binary_search_opENS9_16wrapped_functionINS8_6system6detail7generic6detail18binary_search_lessEbEEEE10hipError_tPvRmT1_T2_T3_mmT4_T5_P12ihipStream_tbEUlRKfE_EEST_SX_SY_mSZ_S12_bEUlT_E_NS1_11comp_targetILNS1_3genE10ELNS1_11target_archE1200ELNS1_3gpuE4ELNS1_3repE0EEENS1_30default_config_static_selectorELNS0_4arch9wavefront6targetE1EEEvSW_.has_dyn_sized_stack, 0
	.set _ZN7rocprim17ROCPRIM_400000_NS6detail17trampoline_kernelINS0_14default_configENS1_29binary_search_config_selectorIfiEEZNS1_14transform_implILb0ES3_S5_N6thrust23THRUST_200600_302600_NS6detail15normal_iteratorINS8_7pointerIfNS8_11hip_rocprim5par_tENS8_11use_defaultESE_EEEENSA_INSB_IiSD_SE_SE_EEEEZNS1_13binary_searchIS3_S5_PfSG_SI_NS1_16binary_search_opENS9_16wrapped_functionINS8_6system6detail7generic6detail18binary_search_lessEbEEEE10hipError_tPvRmT1_T2_T3_mmT4_T5_P12ihipStream_tbEUlRKfE_EEST_SX_SY_mSZ_S12_bEUlT_E_NS1_11comp_targetILNS1_3genE10ELNS1_11target_archE1200ELNS1_3gpuE4ELNS1_3repE0EEENS1_30default_config_static_selectorELNS0_4arch9wavefront6targetE1EEEvSW_.has_recursion, 0
	.set _ZN7rocprim17ROCPRIM_400000_NS6detail17trampoline_kernelINS0_14default_configENS1_29binary_search_config_selectorIfiEEZNS1_14transform_implILb0ES3_S5_N6thrust23THRUST_200600_302600_NS6detail15normal_iteratorINS8_7pointerIfNS8_11hip_rocprim5par_tENS8_11use_defaultESE_EEEENSA_INSB_IiSD_SE_SE_EEEEZNS1_13binary_searchIS3_S5_PfSG_SI_NS1_16binary_search_opENS9_16wrapped_functionINS8_6system6detail7generic6detail18binary_search_lessEbEEEE10hipError_tPvRmT1_T2_T3_mmT4_T5_P12ihipStream_tbEUlRKfE_EEST_SX_SY_mSZ_S12_bEUlT_E_NS1_11comp_targetILNS1_3genE10ELNS1_11target_archE1200ELNS1_3gpuE4ELNS1_3repE0EEENS1_30default_config_static_selectorELNS0_4arch9wavefront6targetE1EEEvSW_.has_indirect_call, 0
	.section	.AMDGPU.csdata,"",@progbits
; Kernel info:
; codeLenInByte = 0
; TotalNumSgprs: 4
; NumVgprs: 0
; ScratchSize: 0
; MemoryBound: 0
; FloatMode: 240
; IeeeMode: 1
; LDSByteSize: 0 bytes/workgroup (compile time only)
; SGPRBlocks: 0
; VGPRBlocks: 0
; NumSGPRsForWavesPerEU: 4
; NumVGPRsForWavesPerEU: 1
; Occupancy: 10
; WaveLimiterHint : 0
; COMPUTE_PGM_RSRC2:SCRATCH_EN: 0
; COMPUTE_PGM_RSRC2:USER_SGPR: 6
; COMPUTE_PGM_RSRC2:TRAP_HANDLER: 0
; COMPUTE_PGM_RSRC2:TGID_X_EN: 1
; COMPUTE_PGM_RSRC2:TGID_Y_EN: 0
; COMPUTE_PGM_RSRC2:TGID_Z_EN: 0
; COMPUTE_PGM_RSRC2:TIDIG_COMP_CNT: 0
	.section	.text._ZN7rocprim17ROCPRIM_400000_NS6detail17trampoline_kernelINS0_14default_configENS1_29binary_search_config_selectorIfiEEZNS1_14transform_implILb0ES3_S5_N6thrust23THRUST_200600_302600_NS6detail15normal_iteratorINS8_7pointerIfNS8_11hip_rocprim5par_tENS8_11use_defaultESE_EEEENSA_INSB_IiSD_SE_SE_EEEEZNS1_13binary_searchIS3_S5_PfSG_SI_NS1_16binary_search_opENS9_16wrapped_functionINS8_6system6detail7generic6detail18binary_search_lessEbEEEE10hipError_tPvRmT1_T2_T3_mmT4_T5_P12ihipStream_tbEUlRKfE_EEST_SX_SY_mSZ_S12_bEUlT_E_NS1_11comp_targetILNS1_3genE9ELNS1_11target_archE1100ELNS1_3gpuE3ELNS1_3repE0EEENS1_30default_config_static_selectorELNS0_4arch9wavefront6targetE1EEEvSW_,"axG",@progbits,_ZN7rocprim17ROCPRIM_400000_NS6detail17trampoline_kernelINS0_14default_configENS1_29binary_search_config_selectorIfiEEZNS1_14transform_implILb0ES3_S5_N6thrust23THRUST_200600_302600_NS6detail15normal_iteratorINS8_7pointerIfNS8_11hip_rocprim5par_tENS8_11use_defaultESE_EEEENSA_INSB_IiSD_SE_SE_EEEEZNS1_13binary_searchIS3_S5_PfSG_SI_NS1_16binary_search_opENS9_16wrapped_functionINS8_6system6detail7generic6detail18binary_search_lessEbEEEE10hipError_tPvRmT1_T2_T3_mmT4_T5_P12ihipStream_tbEUlRKfE_EEST_SX_SY_mSZ_S12_bEUlT_E_NS1_11comp_targetILNS1_3genE9ELNS1_11target_archE1100ELNS1_3gpuE3ELNS1_3repE0EEENS1_30default_config_static_selectorELNS0_4arch9wavefront6targetE1EEEvSW_,comdat
	.protected	_ZN7rocprim17ROCPRIM_400000_NS6detail17trampoline_kernelINS0_14default_configENS1_29binary_search_config_selectorIfiEEZNS1_14transform_implILb0ES3_S5_N6thrust23THRUST_200600_302600_NS6detail15normal_iteratorINS8_7pointerIfNS8_11hip_rocprim5par_tENS8_11use_defaultESE_EEEENSA_INSB_IiSD_SE_SE_EEEEZNS1_13binary_searchIS3_S5_PfSG_SI_NS1_16binary_search_opENS9_16wrapped_functionINS8_6system6detail7generic6detail18binary_search_lessEbEEEE10hipError_tPvRmT1_T2_T3_mmT4_T5_P12ihipStream_tbEUlRKfE_EEST_SX_SY_mSZ_S12_bEUlT_E_NS1_11comp_targetILNS1_3genE9ELNS1_11target_archE1100ELNS1_3gpuE3ELNS1_3repE0EEENS1_30default_config_static_selectorELNS0_4arch9wavefront6targetE1EEEvSW_ ; -- Begin function _ZN7rocprim17ROCPRIM_400000_NS6detail17trampoline_kernelINS0_14default_configENS1_29binary_search_config_selectorIfiEEZNS1_14transform_implILb0ES3_S5_N6thrust23THRUST_200600_302600_NS6detail15normal_iteratorINS8_7pointerIfNS8_11hip_rocprim5par_tENS8_11use_defaultESE_EEEENSA_INSB_IiSD_SE_SE_EEEEZNS1_13binary_searchIS3_S5_PfSG_SI_NS1_16binary_search_opENS9_16wrapped_functionINS8_6system6detail7generic6detail18binary_search_lessEbEEEE10hipError_tPvRmT1_T2_T3_mmT4_T5_P12ihipStream_tbEUlRKfE_EEST_SX_SY_mSZ_S12_bEUlT_E_NS1_11comp_targetILNS1_3genE9ELNS1_11target_archE1100ELNS1_3gpuE3ELNS1_3repE0EEENS1_30default_config_static_selectorELNS0_4arch9wavefront6targetE1EEEvSW_
	.globl	_ZN7rocprim17ROCPRIM_400000_NS6detail17trampoline_kernelINS0_14default_configENS1_29binary_search_config_selectorIfiEEZNS1_14transform_implILb0ES3_S5_N6thrust23THRUST_200600_302600_NS6detail15normal_iteratorINS8_7pointerIfNS8_11hip_rocprim5par_tENS8_11use_defaultESE_EEEENSA_INSB_IiSD_SE_SE_EEEEZNS1_13binary_searchIS3_S5_PfSG_SI_NS1_16binary_search_opENS9_16wrapped_functionINS8_6system6detail7generic6detail18binary_search_lessEbEEEE10hipError_tPvRmT1_T2_T3_mmT4_T5_P12ihipStream_tbEUlRKfE_EEST_SX_SY_mSZ_S12_bEUlT_E_NS1_11comp_targetILNS1_3genE9ELNS1_11target_archE1100ELNS1_3gpuE3ELNS1_3repE0EEENS1_30default_config_static_selectorELNS0_4arch9wavefront6targetE1EEEvSW_
	.p2align	8
	.type	_ZN7rocprim17ROCPRIM_400000_NS6detail17trampoline_kernelINS0_14default_configENS1_29binary_search_config_selectorIfiEEZNS1_14transform_implILb0ES3_S5_N6thrust23THRUST_200600_302600_NS6detail15normal_iteratorINS8_7pointerIfNS8_11hip_rocprim5par_tENS8_11use_defaultESE_EEEENSA_INSB_IiSD_SE_SE_EEEEZNS1_13binary_searchIS3_S5_PfSG_SI_NS1_16binary_search_opENS9_16wrapped_functionINS8_6system6detail7generic6detail18binary_search_lessEbEEEE10hipError_tPvRmT1_T2_T3_mmT4_T5_P12ihipStream_tbEUlRKfE_EEST_SX_SY_mSZ_S12_bEUlT_E_NS1_11comp_targetILNS1_3genE9ELNS1_11target_archE1100ELNS1_3gpuE3ELNS1_3repE0EEENS1_30default_config_static_selectorELNS0_4arch9wavefront6targetE1EEEvSW_,@function
_ZN7rocprim17ROCPRIM_400000_NS6detail17trampoline_kernelINS0_14default_configENS1_29binary_search_config_selectorIfiEEZNS1_14transform_implILb0ES3_S5_N6thrust23THRUST_200600_302600_NS6detail15normal_iteratorINS8_7pointerIfNS8_11hip_rocprim5par_tENS8_11use_defaultESE_EEEENSA_INSB_IiSD_SE_SE_EEEEZNS1_13binary_searchIS3_S5_PfSG_SI_NS1_16binary_search_opENS9_16wrapped_functionINS8_6system6detail7generic6detail18binary_search_lessEbEEEE10hipError_tPvRmT1_T2_T3_mmT4_T5_P12ihipStream_tbEUlRKfE_EEST_SX_SY_mSZ_S12_bEUlT_E_NS1_11comp_targetILNS1_3genE9ELNS1_11target_archE1100ELNS1_3gpuE3ELNS1_3repE0EEENS1_30default_config_static_selectorELNS0_4arch9wavefront6targetE1EEEvSW_: ; @_ZN7rocprim17ROCPRIM_400000_NS6detail17trampoline_kernelINS0_14default_configENS1_29binary_search_config_selectorIfiEEZNS1_14transform_implILb0ES3_S5_N6thrust23THRUST_200600_302600_NS6detail15normal_iteratorINS8_7pointerIfNS8_11hip_rocprim5par_tENS8_11use_defaultESE_EEEENSA_INSB_IiSD_SE_SE_EEEEZNS1_13binary_searchIS3_S5_PfSG_SI_NS1_16binary_search_opENS9_16wrapped_functionINS8_6system6detail7generic6detail18binary_search_lessEbEEEE10hipError_tPvRmT1_T2_T3_mmT4_T5_P12ihipStream_tbEUlRKfE_EEST_SX_SY_mSZ_S12_bEUlT_E_NS1_11comp_targetILNS1_3genE9ELNS1_11target_archE1100ELNS1_3gpuE3ELNS1_3repE0EEENS1_30default_config_static_selectorELNS0_4arch9wavefront6targetE1EEEvSW_
; %bb.0:
	.section	.rodata,"a",@progbits
	.p2align	6, 0x0
	.amdhsa_kernel _ZN7rocprim17ROCPRIM_400000_NS6detail17trampoline_kernelINS0_14default_configENS1_29binary_search_config_selectorIfiEEZNS1_14transform_implILb0ES3_S5_N6thrust23THRUST_200600_302600_NS6detail15normal_iteratorINS8_7pointerIfNS8_11hip_rocprim5par_tENS8_11use_defaultESE_EEEENSA_INSB_IiSD_SE_SE_EEEEZNS1_13binary_searchIS3_S5_PfSG_SI_NS1_16binary_search_opENS9_16wrapped_functionINS8_6system6detail7generic6detail18binary_search_lessEbEEEE10hipError_tPvRmT1_T2_T3_mmT4_T5_P12ihipStream_tbEUlRKfE_EEST_SX_SY_mSZ_S12_bEUlT_E_NS1_11comp_targetILNS1_3genE9ELNS1_11target_archE1100ELNS1_3gpuE3ELNS1_3repE0EEENS1_30default_config_static_selectorELNS0_4arch9wavefront6targetE1EEEvSW_
		.amdhsa_group_segment_fixed_size 0
		.amdhsa_private_segment_fixed_size 0
		.amdhsa_kernarg_size 56
		.amdhsa_user_sgpr_count 6
		.amdhsa_user_sgpr_private_segment_buffer 1
		.amdhsa_user_sgpr_dispatch_ptr 0
		.amdhsa_user_sgpr_queue_ptr 0
		.amdhsa_user_sgpr_kernarg_segment_ptr 1
		.amdhsa_user_sgpr_dispatch_id 0
		.amdhsa_user_sgpr_flat_scratch_init 0
		.amdhsa_user_sgpr_private_segment_size 0
		.amdhsa_uses_dynamic_stack 0
		.amdhsa_system_sgpr_private_segment_wavefront_offset 0
		.amdhsa_system_sgpr_workgroup_id_x 1
		.amdhsa_system_sgpr_workgroup_id_y 0
		.amdhsa_system_sgpr_workgroup_id_z 0
		.amdhsa_system_sgpr_workgroup_info 0
		.amdhsa_system_vgpr_workitem_id 0
		.amdhsa_next_free_vgpr 1
		.amdhsa_next_free_sgpr 0
		.amdhsa_reserve_vcc 0
		.amdhsa_reserve_flat_scratch 0
		.amdhsa_float_round_mode_32 0
		.amdhsa_float_round_mode_16_64 0
		.amdhsa_float_denorm_mode_32 3
		.amdhsa_float_denorm_mode_16_64 3
		.amdhsa_dx10_clamp 1
		.amdhsa_ieee_mode 1
		.amdhsa_fp16_overflow 0
		.amdhsa_exception_fp_ieee_invalid_op 0
		.amdhsa_exception_fp_denorm_src 0
		.amdhsa_exception_fp_ieee_div_zero 0
		.amdhsa_exception_fp_ieee_overflow 0
		.amdhsa_exception_fp_ieee_underflow 0
		.amdhsa_exception_fp_ieee_inexact 0
		.amdhsa_exception_int_div_zero 0
	.end_amdhsa_kernel
	.section	.text._ZN7rocprim17ROCPRIM_400000_NS6detail17trampoline_kernelINS0_14default_configENS1_29binary_search_config_selectorIfiEEZNS1_14transform_implILb0ES3_S5_N6thrust23THRUST_200600_302600_NS6detail15normal_iteratorINS8_7pointerIfNS8_11hip_rocprim5par_tENS8_11use_defaultESE_EEEENSA_INSB_IiSD_SE_SE_EEEEZNS1_13binary_searchIS3_S5_PfSG_SI_NS1_16binary_search_opENS9_16wrapped_functionINS8_6system6detail7generic6detail18binary_search_lessEbEEEE10hipError_tPvRmT1_T2_T3_mmT4_T5_P12ihipStream_tbEUlRKfE_EEST_SX_SY_mSZ_S12_bEUlT_E_NS1_11comp_targetILNS1_3genE9ELNS1_11target_archE1100ELNS1_3gpuE3ELNS1_3repE0EEENS1_30default_config_static_selectorELNS0_4arch9wavefront6targetE1EEEvSW_,"axG",@progbits,_ZN7rocprim17ROCPRIM_400000_NS6detail17trampoline_kernelINS0_14default_configENS1_29binary_search_config_selectorIfiEEZNS1_14transform_implILb0ES3_S5_N6thrust23THRUST_200600_302600_NS6detail15normal_iteratorINS8_7pointerIfNS8_11hip_rocprim5par_tENS8_11use_defaultESE_EEEENSA_INSB_IiSD_SE_SE_EEEEZNS1_13binary_searchIS3_S5_PfSG_SI_NS1_16binary_search_opENS9_16wrapped_functionINS8_6system6detail7generic6detail18binary_search_lessEbEEEE10hipError_tPvRmT1_T2_T3_mmT4_T5_P12ihipStream_tbEUlRKfE_EEST_SX_SY_mSZ_S12_bEUlT_E_NS1_11comp_targetILNS1_3genE9ELNS1_11target_archE1100ELNS1_3gpuE3ELNS1_3repE0EEENS1_30default_config_static_selectorELNS0_4arch9wavefront6targetE1EEEvSW_,comdat
.Lfunc_end260:
	.size	_ZN7rocprim17ROCPRIM_400000_NS6detail17trampoline_kernelINS0_14default_configENS1_29binary_search_config_selectorIfiEEZNS1_14transform_implILb0ES3_S5_N6thrust23THRUST_200600_302600_NS6detail15normal_iteratorINS8_7pointerIfNS8_11hip_rocprim5par_tENS8_11use_defaultESE_EEEENSA_INSB_IiSD_SE_SE_EEEEZNS1_13binary_searchIS3_S5_PfSG_SI_NS1_16binary_search_opENS9_16wrapped_functionINS8_6system6detail7generic6detail18binary_search_lessEbEEEE10hipError_tPvRmT1_T2_T3_mmT4_T5_P12ihipStream_tbEUlRKfE_EEST_SX_SY_mSZ_S12_bEUlT_E_NS1_11comp_targetILNS1_3genE9ELNS1_11target_archE1100ELNS1_3gpuE3ELNS1_3repE0EEENS1_30default_config_static_selectorELNS0_4arch9wavefront6targetE1EEEvSW_, .Lfunc_end260-_ZN7rocprim17ROCPRIM_400000_NS6detail17trampoline_kernelINS0_14default_configENS1_29binary_search_config_selectorIfiEEZNS1_14transform_implILb0ES3_S5_N6thrust23THRUST_200600_302600_NS6detail15normal_iteratorINS8_7pointerIfNS8_11hip_rocprim5par_tENS8_11use_defaultESE_EEEENSA_INSB_IiSD_SE_SE_EEEEZNS1_13binary_searchIS3_S5_PfSG_SI_NS1_16binary_search_opENS9_16wrapped_functionINS8_6system6detail7generic6detail18binary_search_lessEbEEEE10hipError_tPvRmT1_T2_T3_mmT4_T5_P12ihipStream_tbEUlRKfE_EEST_SX_SY_mSZ_S12_bEUlT_E_NS1_11comp_targetILNS1_3genE9ELNS1_11target_archE1100ELNS1_3gpuE3ELNS1_3repE0EEENS1_30default_config_static_selectorELNS0_4arch9wavefront6targetE1EEEvSW_
                                        ; -- End function
	.set _ZN7rocprim17ROCPRIM_400000_NS6detail17trampoline_kernelINS0_14default_configENS1_29binary_search_config_selectorIfiEEZNS1_14transform_implILb0ES3_S5_N6thrust23THRUST_200600_302600_NS6detail15normal_iteratorINS8_7pointerIfNS8_11hip_rocprim5par_tENS8_11use_defaultESE_EEEENSA_INSB_IiSD_SE_SE_EEEEZNS1_13binary_searchIS3_S5_PfSG_SI_NS1_16binary_search_opENS9_16wrapped_functionINS8_6system6detail7generic6detail18binary_search_lessEbEEEE10hipError_tPvRmT1_T2_T3_mmT4_T5_P12ihipStream_tbEUlRKfE_EEST_SX_SY_mSZ_S12_bEUlT_E_NS1_11comp_targetILNS1_3genE9ELNS1_11target_archE1100ELNS1_3gpuE3ELNS1_3repE0EEENS1_30default_config_static_selectorELNS0_4arch9wavefront6targetE1EEEvSW_.num_vgpr, 0
	.set _ZN7rocprim17ROCPRIM_400000_NS6detail17trampoline_kernelINS0_14default_configENS1_29binary_search_config_selectorIfiEEZNS1_14transform_implILb0ES3_S5_N6thrust23THRUST_200600_302600_NS6detail15normal_iteratorINS8_7pointerIfNS8_11hip_rocprim5par_tENS8_11use_defaultESE_EEEENSA_INSB_IiSD_SE_SE_EEEEZNS1_13binary_searchIS3_S5_PfSG_SI_NS1_16binary_search_opENS9_16wrapped_functionINS8_6system6detail7generic6detail18binary_search_lessEbEEEE10hipError_tPvRmT1_T2_T3_mmT4_T5_P12ihipStream_tbEUlRKfE_EEST_SX_SY_mSZ_S12_bEUlT_E_NS1_11comp_targetILNS1_3genE9ELNS1_11target_archE1100ELNS1_3gpuE3ELNS1_3repE0EEENS1_30default_config_static_selectorELNS0_4arch9wavefront6targetE1EEEvSW_.num_agpr, 0
	.set _ZN7rocprim17ROCPRIM_400000_NS6detail17trampoline_kernelINS0_14default_configENS1_29binary_search_config_selectorIfiEEZNS1_14transform_implILb0ES3_S5_N6thrust23THRUST_200600_302600_NS6detail15normal_iteratorINS8_7pointerIfNS8_11hip_rocprim5par_tENS8_11use_defaultESE_EEEENSA_INSB_IiSD_SE_SE_EEEEZNS1_13binary_searchIS3_S5_PfSG_SI_NS1_16binary_search_opENS9_16wrapped_functionINS8_6system6detail7generic6detail18binary_search_lessEbEEEE10hipError_tPvRmT1_T2_T3_mmT4_T5_P12ihipStream_tbEUlRKfE_EEST_SX_SY_mSZ_S12_bEUlT_E_NS1_11comp_targetILNS1_3genE9ELNS1_11target_archE1100ELNS1_3gpuE3ELNS1_3repE0EEENS1_30default_config_static_selectorELNS0_4arch9wavefront6targetE1EEEvSW_.numbered_sgpr, 0
	.set _ZN7rocprim17ROCPRIM_400000_NS6detail17trampoline_kernelINS0_14default_configENS1_29binary_search_config_selectorIfiEEZNS1_14transform_implILb0ES3_S5_N6thrust23THRUST_200600_302600_NS6detail15normal_iteratorINS8_7pointerIfNS8_11hip_rocprim5par_tENS8_11use_defaultESE_EEEENSA_INSB_IiSD_SE_SE_EEEEZNS1_13binary_searchIS3_S5_PfSG_SI_NS1_16binary_search_opENS9_16wrapped_functionINS8_6system6detail7generic6detail18binary_search_lessEbEEEE10hipError_tPvRmT1_T2_T3_mmT4_T5_P12ihipStream_tbEUlRKfE_EEST_SX_SY_mSZ_S12_bEUlT_E_NS1_11comp_targetILNS1_3genE9ELNS1_11target_archE1100ELNS1_3gpuE3ELNS1_3repE0EEENS1_30default_config_static_selectorELNS0_4arch9wavefront6targetE1EEEvSW_.num_named_barrier, 0
	.set _ZN7rocprim17ROCPRIM_400000_NS6detail17trampoline_kernelINS0_14default_configENS1_29binary_search_config_selectorIfiEEZNS1_14transform_implILb0ES3_S5_N6thrust23THRUST_200600_302600_NS6detail15normal_iteratorINS8_7pointerIfNS8_11hip_rocprim5par_tENS8_11use_defaultESE_EEEENSA_INSB_IiSD_SE_SE_EEEEZNS1_13binary_searchIS3_S5_PfSG_SI_NS1_16binary_search_opENS9_16wrapped_functionINS8_6system6detail7generic6detail18binary_search_lessEbEEEE10hipError_tPvRmT1_T2_T3_mmT4_T5_P12ihipStream_tbEUlRKfE_EEST_SX_SY_mSZ_S12_bEUlT_E_NS1_11comp_targetILNS1_3genE9ELNS1_11target_archE1100ELNS1_3gpuE3ELNS1_3repE0EEENS1_30default_config_static_selectorELNS0_4arch9wavefront6targetE1EEEvSW_.private_seg_size, 0
	.set _ZN7rocprim17ROCPRIM_400000_NS6detail17trampoline_kernelINS0_14default_configENS1_29binary_search_config_selectorIfiEEZNS1_14transform_implILb0ES3_S5_N6thrust23THRUST_200600_302600_NS6detail15normal_iteratorINS8_7pointerIfNS8_11hip_rocprim5par_tENS8_11use_defaultESE_EEEENSA_INSB_IiSD_SE_SE_EEEEZNS1_13binary_searchIS3_S5_PfSG_SI_NS1_16binary_search_opENS9_16wrapped_functionINS8_6system6detail7generic6detail18binary_search_lessEbEEEE10hipError_tPvRmT1_T2_T3_mmT4_T5_P12ihipStream_tbEUlRKfE_EEST_SX_SY_mSZ_S12_bEUlT_E_NS1_11comp_targetILNS1_3genE9ELNS1_11target_archE1100ELNS1_3gpuE3ELNS1_3repE0EEENS1_30default_config_static_selectorELNS0_4arch9wavefront6targetE1EEEvSW_.uses_vcc, 0
	.set _ZN7rocprim17ROCPRIM_400000_NS6detail17trampoline_kernelINS0_14default_configENS1_29binary_search_config_selectorIfiEEZNS1_14transform_implILb0ES3_S5_N6thrust23THRUST_200600_302600_NS6detail15normal_iteratorINS8_7pointerIfNS8_11hip_rocprim5par_tENS8_11use_defaultESE_EEEENSA_INSB_IiSD_SE_SE_EEEEZNS1_13binary_searchIS3_S5_PfSG_SI_NS1_16binary_search_opENS9_16wrapped_functionINS8_6system6detail7generic6detail18binary_search_lessEbEEEE10hipError_tPvRmT1_T2_T3_mmT4_T5_P12ihipStream_tbEUlRKfE_EEST_SX_SY_mSZ_S12_bEUlT_E_NS1_11comp_targetILNS1_3genE9ELNS1_11target_archE1100ELNS1_3gpuE3ELNS1_3repE0EEENS1_30default_config_static_selectorELNS0_4arch9wavefront6targetE1EEEvSW_.uses_flat_scratch, 0
	.set _ZN7rocprim17ROCPRIM_400000_NS6detail17trampoline_kernelINS0_14default_configENS1_29binary_search_config_selectorIfiEEZNS1_14transform_implILb0ES3_S5_N6thrust23THRUST_200600_302600_NS6detail15normal_iteratorINS8_7pointerIfNS8_11hip_rocprim5par_tENS8_11use_defaultESE_EEEENSA_INSB_IiSD_SE_SE_EEEEZNS1_13binary_searchIS3_S5_PfSG_SI_NS1_16binary_search_opENS9_16wrapped_functionINS8_6system6detail7generic6detail18binary_search_lessEbEEEE10hipError_tPvRmT1_T2_T3_mmT4_T5_P12ihipStream_tbEUlRKfE_EEST_SX_SY_mSZ_S12_bEUlT_E_NS1_11comp_targetILNS1_3genE9ELNS1_11target_archE1100ELNS1_3gpuE3ELNS1_3repE0EEENS1_30default_config_static_selectorELNS0_4arch9wavefront6targetE1EEEvSW_.has_dyn_sized_stack, 0
	.set _ZN7rocprim17ROCPRIM_400000_NS6detail17trampoline_kernelINS0_14default_configENS1_29binary_search_config_selectorIfiEEZNS1_14transform_implILb0ES3_S5_N6thrust23THRUST_200600_302600_NS6detail15normal_iteratorINS8_7pointerIfNS8_11hip_rocprim5par_tENS8_11use_defaultESE_EEEENSA_INSB_IiSD_SE_SE_EEEEZNS1_13binary_searchIS3_S5_PfSG_SI_NS1_16binary_search_opENS9_16wrapped_functionINS8_6system6detail7generic6detail18binary_search_lessEbEEEE10hipError_tPvRmT1_T2_T3_mmT4_T5_P12ihipStream_tbEUlRKfE_EEST_SX_SY_mSZ_S12_bEUlT_E_NS1_11comp_targetILNS1_3genE9ELNS1_11target_archE1100ELNS1_3gpuE3ELNS1_3repE0EEENS1_30default_config_static_selectorELNS0_4arch9wavefront6targetE1EEEvSW_.has_recursion, 0
	.set _ZN7rocprim17ROCPRIM_400000_NS6detail17trampoline_kernelINS0_14default_configENS1_29binary_search_config_selectorIfiEEZNS1_14transform_implILb0ES3_S5_N6thrust23THRUST_200600_302600_NS6detail15normal_iteratorINS8_7pointerIfNS8_11hip_rocprim5par_tENS8_11use_defaultESE_EEEENSA_INSB_IiSD_SE_SE_EEEEZNS1_13binary_searchIS3_S5_PfSG_SI_NS1_16binary_search_opENS9_16wrapped_functionINS8_6system6detail7generic6detail18binary_search_lessEbEEEE10hipError_tPvRmT1_T2_T3_mmT4_T5_P12ihipStream_tbEUlRKfE_EEST_SX_SY_mSZ_S12_bEUlT_E_NS1_11comp_targetILNS1_3genE9ELNS1_11target_archE1100ELNS1_3gpuE3ELNS1_3repE0EEENS1_30default_config_static_selectorELNS0_4arch9wavefront6targetE1EEEvSW_.has_indirect_call, 0
	.section	.AMDGPU.csdata,"",@progbits
; Kernel info:
; codeLenInByte = 0
; TotalNumSgprs: 4
; NumVgprs: 0
; ScratchSize: 0
; MemoryBound: 0
; FloatMode: 240
; IeeeMode: 1
; LDSByteSize: 0 bytes/workgroup (compile time only)
; SGPRBlocks: 0
; VGPRBlocks: 0
; NumSGPRsForWavesPerEU: 4
; NumVGPRsForWavesPerEU: 1
; Occupancy: 10
; WaveLimiterHint : 0
; COMPUTE_PGM_RSRC2:SCRATCH_EN: 0
; COMPUTE_PGM_RSRC2:USER_SGPR: 6
; COMPUTE_PGM_RSRC2:TRAP_HANDLER: 0
; COMPUTE_PGM_RSRC2:TGID_X_EN: 1
; COMPUTE_PGM_RSRC2:TGID_Y_EN: 0
; COMPUTE_PGM_RSRC2:TGID_Z_EN: 0
; COMPUTE_PGM_RSRC2:TIDIG_COMP_CNT: 0
	.section	.text._ZN7rocprim17ROCPRIM_400000_NS6detail17trampoline_kernelINS0_14default_configENS1_29binary_search_config_selectorIfiEEZNS1_14transform_implILb0ES3_S5_N6thrust23THRUST_200600_302600_NS6detail15normal_iteratorINS8_7pointerIfNS8_11hip_rocprim5par_tENS8_11use_defaultESE_EEEENSA_INSB_IiSD_SE_SE_EEEEZNS1_13binary_searchIS3_S5_PfSG_SI_NS1_16binary_search_opENS9_16wrapped_functionINS8_6system6detail7generic6detail18binary_search_lessEbEEEE10hipError_tPvRmT1_T2_T3_mmT4_T5_P12ihipStream_tbEUlRKfE_EEST_SX_SY_mSZ_S12_bEUlT_E_NS1_11comp_targetILNS1_3genE8ELNS1_11target_archE1030ELNS1_3gpuE2ELNS1_3repE0EEENS1_30default_config_static_selectorELNS0_4arch9wavefront6targetE1EEEvSW_,"axG",@progbits,_ZN7rocprim17ROCPRIM_400000_NS6detail17trampoline_kernelINS0_14default_configENS1_29binary_search_config_selectorIfiEEZNS1_14transform_implILb0ES3_S5_N6thrust23THRUST_200600_302600_NS6detail15normal_iteratorINS8_7pointerIfNS8_11hip_rocprim5par_tENS8_11use_defaultESE_EEEENSA_INSB_IiSD_SE_SE_EEEEZNS1_13binary_searchIS3_S5_PfSG_SI_NS1_16binary_search_opENS9_16wrapped_functionINS8_6system6detail7generic6detail18binary_search_lessEbEEEE10hipError_tPvRmT1_T2_T3_mmT4_T5_P12ihipStream_tbEUlRKfE_EEST_SX_SY_mSZ_S12_bEUlT_E_NS1_11comp_targetILNS1_3genE8ELNS1_11target_archE1030ELNS1_3gpuE2ELNS1_3repE0EEENS1_30default_config_static_selectorELNS0_4arch9wavefront6targetE1EEEvSW_,comdat
	.protected	_ZN7rocprim17ROCPRIM_400000_NS6detail17trampoline_kernelINS0_14default_configENS1_29binary_search_config_selectorIfiEEZNS1_14transform_implILb0ES3_S5_N6thrust23THRUST_200600_302600_NS6detail15normal_iteratorINS8_7pointerIfNS8_11hip_rocprim5par_tENS8_11use_defaultESE_EEEENSA_INSB_IiSD_SE_SE_EEEEZNS1_13binary_searchIS3_S5_PfSG_SI_NS1_16binary_search_opENS9_16wrapped_functionINS8_6system6detail7generic6detail18binary_search_lessEbEEEE10hipError_tPvRmT1_T2_T3_mmT4_T5_P12ihipStream_tbEUlRKfE_EEST_SX_SY_mSZ_S12_bEUlT_E_NS1_11comp_targetILNS1_3genE8ELNS1_11target_archE1030ELNS1_3gpuE2ELNS1_3repE0EEENS1_30default_config_static_selectorELNS0_4arch9wavefront6targetE1EEEvSW_ ; -- Begin function _ZN7rocprim17ROCPRIM_400000_NS6detail17trampoline_kernelINS0_14default_configENS1_29binary_search_config_selectorIfiEEZNS1_14transform_implILb0ES3_S5_N6thrust23THRUST_200600_302600_NS6detail15normal_iteratorINS8_7pointerIfNS8_11hip_rocprim5par_tENS8_11use_defaultESE_EEEENSA_INSB_IiSD_SE_SE_EEEEZNS1_13binary_searchIS3_S5_PfSG_SI_NS1_16binary_search_opENS9_16wrapped_functionINS8_6system6detail7generic6detail18binary_search_lessEbEEEE10hipError_tPvRmT1_T2_T3_mmT4_T5_P12ihipStream_tbEUlRKfE_EEST_SX_SY_mSZ_S12_bEUlT_E_NS1_11comp_targetILNS1_3genE8ELNS1_11target_archE1030ELNS1_3gpuE2ELNS1_3repE0EEENS1_30default_config_static_selectorELNS0_4arch9wavefront6targetE1EEEvSW_
	.globl	_ZN7rocprim17ROCPRIM_400000_NS6detail17trampoline_kernelINS0_14default_configENS1_29binary_search_config_selectorIfiEEZNS1_14transform_implILb0ES3_S5_N6thrust23THRUST_200600_302600_NS6detail15normal_iteratorINS8_7pointerIfNS8_11hip_rocprim5par_tENS8_11use_defaultESE_EEEENSA_INSB_IiSD_SE_SE_EEEEZNS1_13binary_searchIS3_S5_PfSG_SI_NS1_16binary_search_opENS9_16wrapped_functionINS8_6system6detail7generic6detail18binary_search_lessEbEEEE10hipError_tPvRmT1_T2_T3_mmT4_T5_P12ihipStream_tbEUlRKfE_EEST_SX_SY_mSZ_S12_bEUlT_E_NS1_11comp_targetILNS1_3genE8ELNS1_11target_archE1030ELNS1_3gpuE2ELNS1_3repE0EEENS1_30default_config_static_selectorELNS0_4arch9wavefront6targetE1EEEvSW_
	.p2align	8
	.type	_ZN7rocprim17ROCPRIM_400000_NS6detail17trampoline_kernelINS0_14default_configENS1_29binary_search_config_selectorIfiEEZNS1_14transform_implILb0ES3_S5_N6thrust23THRUST_200600_302600_NS6detail15normal_iteratorINS8_7pointerIfNS8_11hip_rocprim5par_tENS8_11use_defaultESE_EEEENSA_INSB_IiSD_SE_SE_EEEEZNS1_13binary_searchIS3_S5_PfSG_SI_NS1_16binary_search_opENS9_16wrapped_functionINS8_6system6detail7generic6detail18binary_search_lessEbEEEE10hipError_tPvRmT1_T2_T3_mmT4_T5_P12ihipStream_tbEUlRKfE_EEST_SX_SY_mSZ_S12_bEUlT_E_NS1_11comp_targetILNS1_3genE8ELNS1_11target_archE1030ELNS1_3gpuE2ELNS1_3repE0EEENS1_30default_config_static_selectorELNS0_4arch9wavefront6targetE1EEEvSW_,@function
_ZN7rocprim17ROCPRIM_400000_NS6detail17trampoline_kernelINS0_14default_configENS1_29binary_search_config_selectorIfiEEZNS1_14transform_implILb0ES3_S5_N6thrust23THRUST_200600_302600_NS6detail15normal_iteratorINS8_7pointerIfNS8_11hip_rocprim5par_tENS8_11use_defaultESE_EEEENSA_INSB_IiSD_SE_SE_EEEEZNS1_13binary_searchIS3_S5_PfSG_SI_NS1_16binary_search_opENS9_16wrapped_functionINS8_6system6detail7generic6detail18binary_search_lessEbEEEE10hipError_tPvRmT1_T2_T3_mmT4_T5_P12ihipStream_tbEUlRKfE_EEST_SX_SY_mSZ_S12_bEUlT_E_NS1_11comp_targetILNS1_3genE8ELNS1_11target_archE1030ELNS1_3gpuE2ELNS1_3repE0EEENS1_30default_config_static_selectorELNS0_4arch9wavefront6targetE1EEEvSW_: ; @_ZN7rocprim17ROCPRIM_400000_NS6detail17trampoline_kernelINS0_14default_configENS1_29binary_search_config_selectorIfiEEZNS1_14transform_implILb0ES3_S5_N6thrust23THRUST_200600_302600_NS6detail15normal_iteratorINS8_7pointerIfNS8_11hip_rocprim5par_tENS8_11use_defaultESE_EEEENSA_INSB_IiSD_SE_SE_EEEEZNS1_13binary_searchIS3_S5_PfSG_SI_NS1_16binary_search_opENS9_16wrapped_functionINS8_6system6detail7generic6detail18binary_search_lessEbEEEE10hipError_tPvRmT1_T2_T3_mmT4_T5_P12ihipStream_tbEUlRKfE_EEST_SX_SY_mSZ_S12_bEUlT_E_NS1_11comp_targetILNS1_3genE8ELNS1_11target_archE1030ELNS1_3gpuE2ELNS1_3repE0EEENS1_30default_config_static_selectorELNS0_4arch9wavefront6targetE1EEEvSW_
; %bb.0:
	.section	.rodata,"a",@progbits
	.p2align	6, 0x0
	.amdhsa_kernel _ZN7rocprim17ROCPRIM_400000_NS6detail17trampoline_kernelINS0_14default_configENS1_29binary_search_config_selectorIfiEEZNS1_14transform_implILb0ES3_S5_N6thrust23THRUST_200600_302600_NS6detail15normal_iteratorINS8_7pointerIfNS8_11hip_rocprim5par_tENS8_11use_defaultESE_EEEENSA_INSB_IiSD_SE_SE_EEEEZNS1_13binary_searchIS3_S5_PfSG_SI_NS1_16binary_search_opENS9_16wrapped_functionINS8_6system6detail7generic6detail18binary_search_lessEbEEEE10hipError_tPvRmT1_T2_T3_mmT4_T5_P12ihipStream_tbEUlRKfE_EEST_SX_SY_mSZ_S12_bEUlT_E_NS1_11comp_targetILNS1_3genE8ELNS1_11target_archE1030ELNS1_3gpuE2ELNS1_3repE0EEENS1_30default_config_static_selectorELNS0_4arch9wavefront6targetE1EEEvSW_
		.amdhsa_group_segment_fixed_size 0
		.amdhsa_private_segment_fixed_size 0
		.amdhsa_kernarg_size 56
		.amdhsa_user_sgpr_count 6
		.amdhsa_user_sgpr_private_segment_buffer 1
		.amdhsa_user_sgpr_dispatch_ptr 0
		.amdhsa_user_sgpr_queue_ptr 0
		.amdhsa_user_sgpr_kernarg_segment_ptr 1
		.amdhsa_user_sgpr_dispatch_id 0
		.amdhsa_user_sgpr_flat_scratch_init 0
		.amdhsa_user_sgpr_private_segment_size 0
		.amdhsa_uses_dynamic_stack 0
		.amdhsa_system_sgpr_private_segment_wavefront_offset 0
		.amdhsa_system_sgpr_workgroup_id_x 1
		.amdhsa_system_sgpr_workgroup_id_y 0
		.amdhsa_system_sgpr_workgroup_id_z 0
		.amdhsa_system_sgpr_workgroup_info 0
		.amdhsa_system_vgpr_workitem_id 0
		.amdhsa_next_free_vgpr 1
		.amdhsa_next_free_sgpr 0
		.amdhsa_reserve_vcc 0
		.amdhsa_reserve_flat_scratch 0
		.amdhsa_float_round_mode_32 0
		.amdhsa_float_round_mode_16_64 0
		.amdhsa_float_denorm_mode_32 3
		.amdhsa_float_denorm_mode_16_64 3
		.amdhsa_dx10_clamp 1
		.amdhsa_ieee_mode 1
		.amdhsa_fp16_overflow 0
		.amdhsa_exception_fp_ieee_invalid_op 0
		.amdhsa_exception_fp_denorm_src 0
		.amdhsa_exception_fp_ieee_div_zero 0
		.amdhsa_exception_fp_ieee_overflow 0
		.amdhsa_exception_fp_ieee_underflow 0
		.amdhsa_exception_fp_ieee_inexact 0
		.amdhsa_exception_int_div_zero 0
	.end_amdhsa_kernel
	.section	.text._ZN7rocprim17ROCPRIM_400000_NS6detail17trampoline_kernelINS0_14default_configENS1_29binary_search_config_selectorIfiEEZNS1_14transform_implILb0ES3_S5_N6thrust23THRUST_200600_302600_NS6detail15normal_iteratorINS8_7pointerIfNS8_11hip_rocprim5par_tENS8_11use_defaultESE_EEEENSA_INSB_IiSD_SE_SE_EEEEZNS1_13binary_searchIS3_S5_PfSG_SI_NS1_16binary_search_opENS9_16wrapped_functionINS8_6system6detail7generic6detail18binary_search_lessEbEEEE10hipError_tPvRmT1_T2_T3_mmT4_T5_P12ihipStream_tbEUlRKfE_EEST_SX_SY_mSZ_S12_bEUlT_E_NS1_11comp_targetILNS1_3genE8ELNS1_11target_archE1030ELNS1_3gpuE2ELNS1_3repE0EEENS1_30default_config_static_selectorELNS0_4arch9wavefront6targetE1EEEvSW_,"axG",@progbits,_ZN7rocprim17ROCPRIM_400000_NS6detail17trampoline_kernelINS0_14default_configENS1_29binary_search_config_selectorIfiEEZNS1_14transform_implILb0ES3_S5_N6thrust23THRUST_200600_302600_NS6detail15normal_iteratorINS8_7pointerIfNS8_11hip_rocprim5par_tENS8_11use_defaultESE_EEEENSA_INSB_IiSD_SE_SE_EEEEZNS1_13binary_searchIS3_S5_PfSG_SI_NS1_16binary_search_opENS9_16wrapped_functionINS8_6system6detail7generic6detail18binary_search_lessEbEEEE10hipError_tPvRmT1_T2_T3_mmT4_T5_P12ihipStream_tbEUlRKfE_EEST_SX_SY_mSZ_S12_bEUlT_E_NS1_11comp_targetILNS1_3genE8ELNS1_11target_archE1030ELNS1_3gpuE2ELNS1_3repE0EEENS1_30default_config_static_selectorELNS0_4arch9wavefront6targetE1EEEvSW_,comdat
.Lfunc_end261:
	.size	_ZN7rocprim17ROCPRIM_400000_NS6detail17trampoline_kernelINS0_14default_configENS1_29binary_search_config_selectorIfiEEZNS1_14transform_implILb0ES3_S5_N6thrust23THRUST_200600_302600_NS6detail15normal_iteratorINS8_7pointerIfNS8_11hip_rocprim5par_tENS8_11use_defaultESE_EEEENSA_INSB_IiSD_SE_SE_EEEEZNS1_13binary_searchIS3_S5_PfSG_SI_NS1_16binary_search_opENS9_16wrapped_functionINS8_6system6detail7generic6detail18binary_search_lessEbEEEE10hipError_tPvRmT1_T2_T3_mmT4_T5_P12ihipStream_tbEUlRKfE_EEST_SX_SY_mSZ_S12_bEUlT_E_NS1_11comp_targetILNS1_3genE8ELNS1_11target_archE1030ELNS1_3gpuE2ELNS1_3repE0EEENS1_30default_config_static_selectorELNS0_4arch9wavefront6targetE1EEEvSW_, .Lfunc_end261-_ZN7rocprim17ROCPRIM_400000_NS6detail17trampoline_kernelINS0_14default_configENS1_29binary_search_config_selectorIfiEEZNS1_14transform_implILb0ES3_S5_N6thrust23THRUST_200600_302600_NS6detail15normal_iteratorINS8_7pointerIfNS8_11hip_rocprim5par_tENS8_11use_defaultESE_EEEENSA_INSB_IiSD_SE_SE_EEEEZNS1_13binary_searchIS3_S5_PfSG_SI_NS1_16binary_search_opENS9_16wrapped_functionINS8_6system6detail7generic6detail18binary_search_lessEbEEEE10hipError_tPvRmT1_T2_T3_mmT4_T5_P12ihipStream_tbEUlRKfE_EEST_SX_SY_mSZ_S12_bEUlT_E_NS1_11comp_targetILNS1_3genE8ELNS1_11target_archE1030ELNS1_3gpuE2ELNS1_3repE0EEENS1_30default_config_static_selectorELNS0_4arch9wavefront6targetE1EEEvSW_
                                        ; -- End function
	.set _ZN7rocprim17ROCPRIM_400000_NS6detail17trampoline_kernelINS0_14default_configENS1_29binary_search_config_selectorIfiEEZNS1_14transform_implILb0ES3_S5_N6thrust23THRUST_200600_302600_NS6detail15normal_iteratorINS8_7pointerIfNS8_11hip_rocprim5par_tENS8_11use_defaultESE_EEEENSA_INSB_IiSD_SE_SE_EEEEZNS1_13binary_searchIS3_S5_PfSG_SI_NS1_16binary_search_opENS9_16wrapped_functionINS8_6system6detail7generic6detail18binary_search_lessEbEEEE10hipError_tPvRmT1_T2_T3_mmT4_T5_P12ihipStream_tbEUlRKfE_EEST_SX_SY_mSZ_S12_bEUlT_E_NS1_11comp_targetILNS1_3genE8ELNS1_11target_archE1030ELNS1_3gpuE2ELNS1_3repE0EEENS1_30default_config_static_selectorELNS0_4arch9wavefront6targetE1EEEvSW_.num_vgpr, 0
	.set _ZN7rocprim17ROCPRIM_400000_NS6detail17trampoline_kernelINS0_14default_configENS1_29binary_search_config_selectorIfiEEZNS1_14transform_implILb0ES3_S5_N6thrust23THRUST_200600_302600_NS6detail15normal_iteratorINS8_7pointerIfNS8_11hip_rocprim5par_tENS8_11use_defaultESE_EEEENSA_INSB_IiSD_SE_SE_EEEEZNS1_13binary_searchIS3_S5_PfSG_SI_NS1_16binary_search_opENS9_16wrapped_functionINS8_6system6detail7generic6detail18binary_search_lessEbEEEE10hipError_tPvRmT1_T2_T3_mmT4_T5_P12ihipStream_tbEUlRKfE_EEST_SX_SY_mSZ_S12_bEUlT_E_NS1_11comp_targetILNS1_3genE8ELNS1_11target_archE1030ELNS1_3gpuE2ELNS1_3repE0EEENS1_30default_config_static_selectorELNS0_4arch9wavefront6targetE1EEEvSW_.num_agpr, 0
	.set _ZN7rocprim17ROCPRIM_400000_NS6detail17trampoline_kernelINS0_14default_configENS1_29binary_search_config_selectorIfiEEZNS1_14transform_implILb0ES3_S5_N6thrust23THRUST_200600_302600_NS6detail15normal_iteratorINS8_7pointerIfNS8_11hip_rocprim5par_tENS8_11use_defaultESE_EEEENSA_INSB_IiSD_SE_SE_EEEEZNS1_13binary_searchIS3_S5_PfSG_SI_NS1_16binary_search_opENS9_16wrapped_functionINS8_6system6detail7generic6detail18binary_search_lessEbEEEE10hipError_tPvRmT1_T2_T3_mmT4_T5_P12ihipStream_tbEUlRKfE_EEST_SX_SY_mSZ_S12_bEUlT_E_NS1_11comp_targetILNS1_3genE8ELNS1_11target_archE1030ELNS1_3gpuE2ELNS1_3repE0EEENS1_30default_config_static_selectorELNS0_4arch9wavefront6targetE1EEEvSW_.numbered_sgpr, 0
	.set _ZN7rocprim17ROCPRIM_400000_NS6detail17trampoline_kernelINS0_14default_configENS1_29binary_search_config_selectorIfiEEZNS1_14transform_implILb0ES3_S5_N6thrust23THRUST_200600_302600_NS6detail15normal_iteratorINS8_7pointerIfNS8_11hip_rocprim5par_tENS8_11use_defaultESE_EEEENSA_INSB_IiSD_SE_SE_EEEEZNS1_13binary_searchIS3_S5_PfSG_SI_NS1_16binary_search_opENS9_16wrapped_functionINS8_6system6detail7generic6detail18binary_search_lessEbEEEE10hipError_tPvRmT1_T2_T3_mmT4_T5_P12ihipStream_tbEUlRKfE_EEST_SX_SY_mSZ_S12_bEUlT_E_NS1_11comp_targetILNS1_3genE8ELNS1_11target_archE1030ELNS1_3gpuE2ELNS1_3repE0EEENS1_30default_config_static_selectorELNS0_4arch9wavefront6targetE1EEEvSW_.num_named_barrier, 0
	.set _ZN7rocprim17ROCPRIM_400000_NS6detail17trampoline_kernelINS0_14default_configENS1_29binary_search_config_selectorIfiEEZNS1_14transform_implILb0ES3_S5_N6thrust23THRUST_200600_302600_NS6detail15normal_iteratorINS8_7pointerIfNS8_11hip_rocprim5par_tENS8_11use_defaultESE_EEEENSA_INSB_IiSD_SE_SE_EEEEZNS1_13binary_searchIS3_S5_PfSG_SI_NS1_16binary_search_opENS9_16wrapped_functionINS8_6system6detail7generic6detail18binary_search_lessEbEEEE10hipError_tPvRmT1_T2_T3_mmT4_T5_P12ihipStream_tbEUlRKfE_EEST_SX_SY_mSZ_S12_bEUlT_E_NS1_11comp_targetILNS1_3genE8ELNS1_11target_archE1030ELNS1_3gpuE2ELNS1_3repE0EEENS1_30default_config_static_selectorELNS0_4arch9wavefront6targetE1EEEvSW_.private_seg_size, 0
	.set _ZN7rocprim17ROCPRIM_400000_NS6detail17trampoline_kernelINS0_14default_configENS1_29binary_search_config_selectorIfiEEZNS1_14transform_implILb0ES3_S5_N6thrust23THRUST_200600_302600_NS6detail15normal_iteratorINS8_7pointerIfNS8_11hip_rocprim5par_tENS8_11use_defaultESE_EEEENSA_INSB_IiSD_SE_SE_EEEEZNS1_13binary_searchIS3_S5_PfSG_SI_NS1_16binary_search_opENS9_16wrapped_functionINS8_6system6detail7generic6detail18binary_search_lessEbEEEE10hipError_tPvRmT1_T2_T3_mmT4_T5_P12ihipStream_tbEUlRKfE_EEST_SX_SY_mSZ_S12_bEUlT_E_NS1_11comp_targetILNS1_3genE8ELNS1_11target_archE1030ELNS1_3gpuE2ELNS1_3repE0EEENS1_30default_config_static_selectorELNS0_4arch9wavefront6targetE1EEEvSW_.uses_vcc, 0
	.set _ZN7rocprim17ROCPRIM_400000_NS6detail17trampoline_kernelINS0_14default_configENS1_29binary_search_config_selectorIfiEEZNS1_14transform_implILb0ES3_S5_N6thrust23THRUST_200600_302600_NS6detail15normal_iteratorINS8_7pointerIfNS8_11hip_rocprim5par_tENS8_11use_defaultESE_EEEENSA_INSB_IiSD_SE_SE_EEEEZNS1_13binary_searchIS3_S5_PfSG_SI_NS1_16binary_search_opENS9_16wrapped_functionINS8_6system6detail7generic6detail18binary_search_lessEbEEEE10hipError_tPvRmT1_T2_T3_mmT4_T5_P12ihipStream_tbEUlRKfE_EEST_SX_SY_mSZ_S12_bEUlT_E_NS1_11comp_targetILNS1_3genE8ELNS1_11target_archE1030ELNS1_3gpuE2ELNS1_3repE0EEENS1_30default_config_static_selectorELNS0_4arch9wavefront6targetE1EEEvSW_.uses_flat_scratch, 0
	.set _ZN7rocprim17ROCPRIM_400000_NS6detail17trampoline_kernelINS0_14default_configENS1_29binary_search_config_selectorIfiEEZNS1_14transform_implILb0ES3_S5_N6thrust23THRUST_200600_302600_NS6detail15normal_iteratorINS8_7pointerIfNS8_11hip_rocprim5par_tENS8_11use_defaultESE_EEEENSA_INSB_IiSD_SE_SE_EEEEZNS1_13binary_searchIS3_S5_PfSG_SI_NS1_16binary_search_opENS9_16wrapped_functionINS8_6system6detail7generic6detail18binary_search_lessEbEEEE10hipError_tPvRmT1_T2_T3_mmT4_T5_P12ihipStream_tbEUlRKfE_EEST_SX_SY_mSZ_S12_bEUlT_E_NS1_11comp_targetILNS1_3genE8ELNS1_11target_archE1030ELNS1_3gpuE2ELNS1_3repE0EEENS1_30default_config_static_selectorELNS0_4arch9wavefront6targetE1EEEvSW_.has_dyn_sized_stack, 0
	.set _ZN7rocprim17ROCPRIM_400000_NS6detail17trampoline_kernelINS0_14default_configENS1_29binary_search_config_selectorIfiEEZNS1_14transform_implILb0ES3_S5_N6thrust23THRUST_200600_302600_NS6detail15normal_iteratorINS8_7pointerIfNS8_11hip_rocprim5par_tENS8_11use_defaultESE_EEEENSA_INSB_IiSD_SE_SE_EEEEZNS1_13binary_searchIS3_S5_PfSG_SI_NS1_16binary_search_opENS9_16wrapped_functionINS8_6system6detail7generic6detail18binary_search_lessEbEEEE10hipError_tPvRmT1_T2_T3_mmT4_T5_P12ihipStream_tbEUlRKfE_EEST_SX_SY_mSZ_S12_bEUlT_E_NS1_11comp_targetILNS1_3genE8ELNS1_11target_archE1030ELNS1_3gpuE2ELNS1_3repE0EEENS1_30default_config_static_selectorELNS0_4arch9wavefront6targetE1EEEvSW_.has_recursion, 0
	.set _ZN7rocprim17ROCPRIM_400000_NS6detail17trampoline_kernelINS0_14default_configENS1_29binary_search_config_selectorIfiEEZNS1_14transform_implILb0ES3_S5_N6thrust23THRUST_200600_302600_NS6detail15normal_iteratorINS8_7pointerIfNS8_11hip_rocprim5par_tENS8_11use_defaultESE_EEEENSA_INSB_IiSD_SE_SE_EEEEZNS1_13binary_searchIS3_S5_PfSG_SI_NS1_16binary_search_opENS9_16wrapped_functionINS8_6system6detail7generic6detail18binary_search_lessEbEEEE10hipError_tPvRmT1_T2_T3_mmT4_T5_P12ihipStream_tbEUlRKfE_EEST_SX_SY_mSZ_S12_bEUlT_E_NS1_11comp_targetILNS1_3genE8ELNS1_11target_archE1030ELNS1_3gpuE2ELNS1_3repE0EEENS1_30default_config_static_selectorELNS0_4arch9wavefront6targetE1EEEvSW_.has_indirect_call, 0
	.section	.AMDGPU.csdata,"",@progbits
; Kernel info:
; codeLenInByte = 0
; TotalNumSgprs: 4
; NumVgprs: 0
; ScratchSize: 0
; MemoryBound: 0
; FloatMode: 240
; IeeeMode: 1
; LDSByteSize: 0 bytes/workgroup (compile time only)
; SGPRBlocks: 0
; VGPRBlocks: 0
; NumSGPRsForWavesPerEU: 4
; NumVGPRsForWavesPerEU: 1
; Occupancy: 10
; WaveLimiterHint : 0
; COMPUTE_PGM_RSRC2:SCRATCH_EN: 0
; COMPUTE_PGM_RSRC2:USER_SGPR: 6
; COMPUTE_PGM_RSRC2:TRAP_HANDLER: 0
; COMPUTE_PGM_RSRC2:TGID_X_EN: 1
; COMPUTE_PGM_RSRC2:TGID_Y_EN: 0
; COMPUTE_PGM_RSRC2:TGID_Z_EN: 0
; COMPUTE_PGM_RSRC2:TIDIG_COMP_CNT: 0
	.section	.text._Z20binary_search_kernelIyEvmPT_Pb,"axG",@progbits,_Z20binary_search_kernelIyEvmPT_Pb,comdat
	.protected	_Z20binary_search_kernelIyEvmPT_Pb ; -- Begin function _Z20binary_search_kernelIyEvmPT_Pb
	.globl	_Z20binary_search_kernelIyEvmPT_Pb
	.p2align	8
	.type	_Z20binary_search_kernelIyEvmPT_Pb,@function
_Z20binary_search_kernelIyEvmPT_Pb:     ; @_Z20binary_search_kernelIyEvmPT_Pb
; %bb.0:
	s_load_dwordx4 s[0:3], s[4:5], 0x0
	s_load_dwordx2 s[6:7], s[4:5], 0x10
	s_mov_b64 s[10:11], 0
	s_waitcnt lgkmcnt(0)
	s_cmp_eq_u64 s[0:1], 0
	s_cbranch_scc1 .LBB262_2
; %bb.1:
	s_load_dwordx2 s[4:5], s[2:3], 0x0
	s_waitcnt lgkmcnt(0)
	s_cmp_eq_u64 s[4:5], 0
	s_cselect_b64 s[12:13], -1, 0
	s_branch .LBB262_3
.LBB262_2:
	s_mov_b64 s[12:13], 0
.LBB262_3:
	s_lshl_b64 s[4:5], s[0:1], 3
	s_add_u32 s0, s2, s4
	s_addc_u32 s1, s3, s5
	s_sub_u32 s0, s0, s2
	s_subb_u32 s1, s1, s3
	s_ashr_i64 s[8:9], s[0:1], 3
	v_cmp_lt_i64_e64 s[0:1], s[8:9], 1
	v_mov_b32_e32 v0, 0
	v_cndmask_b32_e64 v1, 0, 1, s[12:13]
	s_and_b64 vcc, exec, s[0:1]
	global_store_byte v0, v1, s[6:7]
	s_cbranch_vccnz .LBB262_7
; %bb.4:
	s_mov_b64 s[0:1], 0
	s_mov_b64 s[10:11], s[8:9]
.LBB262_5:                              ; =>This Inner Loop Header: Depth=1
	s_sub_u32 s12, s10, s0
	s_subb_u32 s13, s11, s1
	s_lshr_b64 s[12:13], s[12:13], 1
	s_add_u32 s12, s12, s0
	s_addc_u32 s13, s13, s1
	s_lshl_b64 s[14:15], s[12:13], 3
	s_add_u32 s14, s2, s14
	s_addc_u32 s15, s3, s15
	s_load_dwordx2 s[14:15], s[14:15], 0x0
	s_add_u32 s16, s12, 1
	s_addc_u32 s17, s13, 0
	s_waitcnt lgkmcnt(0)
	s_cmp_eq_u64 s[14:15], 0
	s_cselect_b32 s10, s10, s12
	s_cselect_b32 s11, s11, s13
	v_mov_b32_e32 v0, s10
	s_cselect_b32 s1, s17, s1
	s_cselect_b32 s0, s16, s0
	v_mov_b32_e32 v1, s11
	v_cmp_lt_i64_e32 vcc, s[0:1], v[0:1]
	s_cbranch_vccnz .LBB262_5
; %bb.6:
	s_lshl_b64 s[10:11], s[0:1], 3
.LBB262_7:
	v_cmp_gt_i64_e64 s[14:15], s[8:9], 0
	s_mov_b64 s[12:13], 0
	s_cmp_eq_u64 s[10:11], s[4:5]
	s_mov_b64 s[0:1], 0
	s_cbranch_scc1 .LBB262_9
; %bb.8:
	s_add_u32 s0, s2, s10
	s_addc_u32 s1, s3, s11
	s_load_dwordx2 s[0:1], s[0:1], 0x0
	s_waitcnt lgkmcnt(0)
	v_cmp_lt_u64_e64 s[0:1], s[0:1], 2
.LBB262_9:
	v_cndmask_b32_e64 v2, 0, 1, s[14:15]
	v_mov_b32_e32 v0, 0
	v_cndmask_b32_e64 v1, 0, 1, s[0:1]
	v_cmp_ne_u32_e64 s[0:1], 1, v2
	s_andn2_b64 vcc, exec, s[14:15]
	global_store_byte v0, v1, s[6:7] offset:1
	s_cbranch_vccnz .LBB262_13
; %bb.10:
	s_mov_b64 s[10:11], 0
	s_mov_b64 s[12:13], s[8:9]
.LBB262_11:                             ; =>This Inner Loop Header: Depth=1
	s_sub_u32 s14, s12, s10
	s_subb_u32 s15, s13, s11
	s_lshr_b64 s[14:15], s[14:15], 1
	s_add_u32 s14, s14, s10
	s_addc_u32 s15, s15, s11
	s_lshl_b64 s[16:17], s[14:15], 3
	s_add_u32 s16, s2, s16
	s_addc_u32 s17, s3, s17
	s_load_dwordx2 s[16:17], s[16:17], 0x0
	s_add_u32 s18, s14, 1
	s_addc_u32 s19, s15, 0
	s_waitcnt lgkmcnt(0)
	v_cmp_lt_u64_e64 s[16:17], s[16:17], 2
	s_and_b64 s[16:17], s[16:17], exec
	s_cselect_b32 s12, s12, s14
	s_cselect_b32 s13, s13, s15
	v_mov_b32_e32 v0, s12
	s_cselect_b32 s11, s19, s11
	s_cselect_b32 s10, s18, s10
	v_mov_b32_e32 v1, s13
	v_cmp_lt_i64_e32 vcc, s[10:11], v[0:1]
	s_cbranch_vccnz .LBB262_11
; %bb.12:
	s_lshl_b64 s[12:13], s[10:11], 3
.LBB262_13:
	s_mov_b64 s[10:11], 0
	s_cmp_eq_u64 s[12:13], s[4:5]
	s_mov_b64 s[14:15], 0
	s_cbranch_scc1 .LBB262_15
; %bb.14:
	s_add_u32 s12, s2, s12
	s_addc_u32 s13, s3, s13
	s_load_dwordx2 s[12:13], s[12:13], 0x0
	s_waitcnt lgkmcnt(0)
	v_cmp_lt_u64_e64 s[14:15], s[12:13], 3
.LBB262_15:
	v_mov_b32_e32 v0, 0
	v_cndmask_b32_e64 v1, 0, 1, s[14:15]
	s_and_b64 vcc, exec, s[0:1]
	global_store_byte v0, v1, s[6:7] offset:2
	s_cbranch_vccnz .LBB262_19
; %bb.16:
	s_mov_b64 s[12:13], s[8:9]
.LBB262_17:                             ; =>This Inner Loop Header: Depth=1
	s_sub_u32 s14, s12, s10
	s_subb_u32 s15, s13, s11
	s_lshr_b64 s[14:15], s[14:15], 1
	s_add_u32 s14, s14, s10
	s_addc_u32 s15, s15, s11
	s_lshl_b64 s[16:17], s[14:15], 3
	s_add_u32 s16, s2, s16
	s_addc_u32 s17, s3, s17
	s_load_dwordx2 s[16:17], s[16:17], 0x0
	s_add_u32 s18, s14, 1
	s_addc_u32 s19, s15, 0
	s_waitcnt lgkmcnt(0)
	v_cmp_lt_u64_e64 s[16:17], s[16:17], 3
	s_and_b64 s[16:17], s[16:17], exec
	s_cselect_b32 s12, s12, s14
	s_cselect_b32 s13, s13, s15
	v_mov_b32_e32 v0, s12
	s_cselect_b32 s11, s19, s11
	s_cselect_b32 s10, s18, s10
	v_mov_b32_e32 v1, s13
	v_cmp_lt_i64_e32 vcc, s[10:11], v[0:1]
	s_cbranch_vccnz .LBB262_17
; %bb.18:
	s_lshl_b64 s[10:11], s[10:11], 3
.LBB262_19:
	s_mov_b64 s[12:13], 0
	s_cmp_eq_u64 s[10:11], s[4:5]
	s_mov_b64 s[14:15], 0
	s_cbranch_scc1 .LBB262_21
; %bb.20:
	s_add_u32 s10, s2, s10
	s_addc_u32 s11, s3, s11
	s_load_dwordx2 s[10:11], s[10:11], 0x0
	s_waitcnt lgkmcnt(0)
	v_cmp_lt_u64_e64 s[14:15], s[10:11], 4
.LBB262_21:
	v_mov_b32_e32 v0, 0
	v_cndmask_b32_e64 v1, 0, 1, s[14:15]
	s_and_b64 vcc, exec, s[0:1]
	global_store_byte v0, v1, s[6:7] offset:3
	s_cbranch_vccnz .LBB262_25
; %bb.22:
	s_mov_b64 s[10:11], 0
	s_mov_b64 s[12:13], s[8:9]
.LBB262_23:                             ; =>This Inner Loop Header: Depth=1
	s_sub_u32 s14, s12, s10
	s_subb_u32 s15, s13, s11
	s_lshr_b64 s[14:15], s[14:15], 1
	s_add_u32 s14, s14, s10
	s_addc_u32 s15, s15, s11
	s_lshl_b64 s[16:17], s[14:15], 3
	s_add_u32 s16, s2, s16
	s_addc_u32 s17, s3, s17
	s_load_dwordx2 s[16:17], s[16:17], 0x0
	s_add_u32 s18, s14, 1
	s_addc_u32 s19, s15, 0
	s_waitcnt lgkmcnt(0)
	v_cmp_lt_u64_e64 s[16:17], s[16:17], 4
	s_and_b64 s[16:17], s[16:17], exec
	s_cselect_b32 s12, s12, s14
	s_cselect_b32 s13, s13, s15
	v_mov_b32_e32 v0, s12
	s_cselect_b32 s11, s19, s11
	s_cselect_b32 s10, s18, s10
	v_mov_b32_e32 v1, s13
	v_cmp_lt_i64_e32 vcc, s[10:11], v[0:1]
	s_cbranch_vccnz .LBB262_23
; %bb.24:
	s_lshl_b64 s[12:13], s[10:11], 3
.LBB262_25:
	s_mov_b64 s[10:11], 0
	s_cmp_eq_u64 s[12:13], s[4:5]
	s_mov_b64 s[14:15], 0
	s_cbranch_scc1 .LBB262_27
; %bb.26:
	s_add_u32 s12, s2, s12
	s_addc_u32 s13, s3, s13
	s_load_dwordx2 s[12:13], s[12:13], 0x0
	s_waitcnt lgkmcnt(0)
	v_cmp_lt_u64_e64 s[14:15], s[12:13], 5
.LBB262_27:
	v_mov_b32_e32 v0, 0
	v_cndmask_b32_e64 v1, 0, 1, s[14:15]
	s_and_b64 vcc, exec, s[0:1]
	global_store_byte v0, v1, s[6:7] offset:4
	s_cbranch_vccnz .LBB262_31
; %bb.28:
	s_mov_b64 s[12:13], s[8:9]
.LBB262_29:                             ; =>This Inner Loop Header: Depth=1
	s_sub_u32 s14, s12, s10
	s_subb_u32 s15, s13, s11
	s_lshr_b64 s[14:15], s[14:15], 1
	s_add_u32 s14, s14, s10
	s_addc_u32 s15, s15, s11
	s_lshl_b64 s[16:17], s[14:15], 3
	s_add_u32 s16, s2, s16
	s_addc_u32 s17, s3, s17
	s_load_dwordx2 s[16:17], s[16:17], 0x0
	s_add_u32 s18, s14, 1
	s_addc_u32 s19, s15, 0
	s_waitcnt lgkmcnt(0)
	v_cmp_lt_u64_e64 s[16:17], s[16:17], 5
	s_and_b64 s[16:17], s[16:17], exec
	s_cselect_b32 s12, s12, s14
	s_cselect_b32 s13, s13, s15
	v_mov_b32_e32 v0, s12
	s_cselect_b32 s11, s19, s11
	s_cselect_b32 s10, s18, s10
	v_mov_b32_e32 v1, s13
	v_cmp_lt_i64_e32 vcc, s[10:11], v[0:1]
	s_cbranch_vccnz .LBB262_29
; %bb.30:
	s_lshl_b64 s[10:11], s[10:11], 3
.LBB262_31:
	s_mov_b64 s[12:13], 0
	s_cmp_eq_u64 s[10:11], s[4:5]
	s_mov_b64 s[14:15], 0
	s_cbranch_scc1 .LBB262_33
; %bb.32:
	s_add_u32 s10, s2, s10
	s_addc_u32 s11, s3, s11
	s_load_dwordx2 s[10:11], s[10:11], 0x0
	s_waitcnt lgkmcnt(0)
	v_cmp_lt_u64_e64 s[14:15], s[10:11], 6
.LBB262_33:
	v_mov_b32_e32 v0, 0
	v_cndmask_b32_e64 v1, 0, 1, s[14:15]
	s_and_b64 vcc, exec, s[0:1]
	global_store_byte v0, v1, s[6:7] offset:5
	s_cbranch_vccnz .LBB262_37
; %bb.34:
	s_mov_b64 s[10:11], 0
	s_mov_b64 s[12:13], s[8:9]
.LBB262_35:                             ; =>This Inner Loop Header: Depth=1
	s_sub_u32 s14, s12, s10
	s_subb_u32 s15, s13, s11
	s_lshr_b64 s[14:15], s[14:15], 1
	s_add_u32 s14, s14, s10
	s_addc_u32 s15, s15, s11
	s_lshl_b64 s[16:17], s[14:15], 3
	s_add_u32 s16, s2, s16
	s_addc_u32 s17, s3, s17
	s_load_dwordx2 s[16:17], s[16:17], 0x0
	s_add_u32 s18, s14, 1
	s_addc_u32 s19, s15, 0
	s_waitcnt lgkmcnt(0)
	v_cmp_lt_u64_e64 s[16:17], s[16:17], 6
	s_and_b64 s[16:17], s[16:17], exec
	s_cselect_b32 s12, s12, s14
	s_cselect_b32 s13, s13, s15
	v_mov_b32_e32 v0, s12
	s_cselect_b32 s11, s19, s11
	s_cselect_b32 s10, s18, s10
	v_mov_b32_e32 v1, s13
	v_cmp_lt_i64_e32 vcc, s[10:11], v[0:1]
	s_cbranch_vccnz .LBB262_35
; %bb.36:
	s_lshl_b64 s[12:13], s[10:11], 3
.LBB262_37:
	s_mov_b64 s[10:11], 0
	s_cmp_eq_u64 s[12:13], s[4:5]
	s_mov_b64 s[14:15], 0
	s_cbranch_scc1 .LBB262_39
; %bb.38:
	s_add_u32 s12, s2, s12
	s_addc_u32 s13, s3, s13
	s_load_dwordx2 s[12:13], s[12:13], 0x0
	s_waitcnt lgkmcnt(0)
	v_cmp_lt_u64_e64 s[14:15], s[12:13], 7
.LBB262_39:
	v_mov_b32_e32 v0, 0
	v_cndmask_b32_e64 v1, 0, 1, s[14:15]
	s_and_b64 vcc, exec, s[0:1]
	global_store_byte v0, v1, s[6:7] offset:6
	s_cbranch_vccnz .LBB262_43
; %bb.40:
	s_mov_b64 s[12:13], s[8:9]
.LBB262_41:                             ; =>This Inner Loop Header: Depth=1
	s_sub_u32 s14, s12, s10
	s_subb_u32 s15, s13, s11
	s_lshr_b64 s[14:15], s[14:15], 1
	s_add_u32 s14, s14, s10
	s_addc_u32 s15, s15, s11
	s_lshl_b64 s[16:17], s[14:15], 3
	s_add_u32 s16, s2, s16
	s_addc_u32 s17, s3, s17
	s_load_dwordx2 s[16:17], s[16:17], 0x0
	s_add_u32 s18, s14, 1
	s_addc_u32 s19, s15, 0
	s_waitcnt lgkmcnt(0)
	v_cmp_lt_u64_e64 s[16:17], s[16:17], 7
	s_and_b64 s[16:17], s[16:17], exec
	s_cselect_b32 s12, s12, s14
	s_cselect_b32 s13, s13, s15
	v_mov_b32_e32 v0, s12
	s_cselect_b32 s11, s19, s11
	s_cselect_b32 s10, s18, s10
	v_mov_b32_e32 v1, s13
	v_cmp_lt_i64_e32 vcc, s[10:11], v[0:1]
	s_cbranch_vccnz .LBB262_41
; %bb.42:
	s_lshl_b64 s[10:11], s[10:11], 3
.LBB262_43:
	s_mov_b64 s[12:13], 0
	s_cmp_eq_u64 s[10:11], s[4:5]
	s_mov_b64 s[14:15], 0
	s_cbranch_scc1 .LBB262_45
; %bb.44:
	s_add_u32 s10, s2, s10
	s_addc_u32 s11, s3, s11
	s_load_dwordx2 s[10:11], s[10:11], 0x0
	s_waitcnt lgkmcnt(0)
	v_cmp_lt_u64_e64 s[14:15], s[10:11], 8
.LBB262_45:
	v_mov_b32_e32 v0, 0
	v_cndmask_b32_e64 v1, 0, 1, s[14:15]
	s_and_b64 vcc, exec, s[0:1]
	global_store_byte v0, v1, s[6:7] offset:7
	s_cbranch_vccnz .LBB262_49
; %bb.46:
	s_mov_b64 s[10:11], 0
	s_mov_b64 s[12:13], s[8:9]
.LBB262_47:                             ; =>This Inner Loop Header: Depth=1
	s_sub_u32 s14, s12, s10
	s_subb_u32 s15, s13, s11
	s_lshr_b64 s[14:15], s[14:15], 1
	s_add_u32 s14, s14, s10
	s_addc_u32 s15, s15, s11
	s_lshl_b64 s[16:17], s[14:15], 3
	s_add_u32 s16, s2, s16
	s_addc_u32 s17, s3, s17
	s_load_dwordx2 s[16:17], s[16:17], 0x0
	s_add_u32 s18, s14, 1
	s_addc_u32 s19, s15, 0
	s_waitcnt lgkmcnt(0)
	v_cmp_lt_u64_e64 s[16:17], s[16:17], 8
	s_and_b64 s[16:17], s[16:17], exec
	s_cselect_b32 s12, s12, s14
	s_cselect_b32 s13, s13, s15
	v_mov_b32_e32 v0, s12
	s_cselect_b32 s11, s19, s11
	s_cselect_b32 s10, s18, s10
	v_mov_b32_e32 v1, s13
	v_cmp_lt_i64_e32 vcc, s[10:11], v[0:1]
	s_cbranch_vccnz .LBB262_47
; %bb.48:
	s_lshl_b64 s[12:13], s[10:11], 3
.LBB262_49:
	s_mov_b64 s[10:11], 0
	s_cmp_eq_u64 s[12:13], s[4:5]
	s_mov_b64 s[14:15], 0
	s_cbranch_scc1 .LBB262_51
; %bb.50:
	s_add_u32 s12, s2, s12
	s_addc_u32 s13, s3, s13
	s_load_dwordx2 s[12:13], s[12:13], 0x0
	s_waitcnt lgkmcnt(0)
	v_cmp_lt_u64_e64 s[14:15], s[12:13], 9
.LBB262_51:
	v_mov_b32_e32 v0, 0
	v_cndmask_b32_e64 v1, 0, 1, s[14:15]
	s_and_b64 vcc, exec, s[0:1]
	global_store_byte v0, v1, s[6:7] offset:8
	s_cbranch_vccnz .LBB262_55
; %bb.52:
	s_mov_b64 s[0:1], 0
.LBB262_53:                             ; =>This Inner Loop Header: Depth=1
	s_sub_u32 s10, s8, s0
	s_subb_u32 s11, s9, s1
	s_lshr_b64 s[10:11], s[10:11], 1
	s_add_u32 s10, s10, s0
	s_addc_u32 s11, s11, s1
	s_lshl_b64 s[12:13], s[10:11], 3
	s_add_u32 s12, s2, s12
	s_addc_u32 s13, s3, s13
	s_load_dwordx2 s[12:13], s[12:13], 0x0
	s_add_u32 s14, s10, 1
	s_addc_u32 s15, s11, 0
	s_waitcnt lgkmcnt(0)
	v_cmp_lt_u64_e64 s[12:13], s[12:13], 9
	s_and_b64 s[12:13], s[12:13], exec
	s_cselect_b32 s8, s8, s10
	s_cselect_b32 s9, s9, s11
	v_mov_b32_e32 v0, s8
	s_cselect_b32 s1, s15, s1
	s_cselect_b32 s0, s14, s0
	v_mov_b32_e32 v1, s9
	v_cmp_lt_i64_e32 vcc, s[0:1], v[0:1]
	s_cbranch_vccnz .LBB262_53
; %bb.54:
	s_lshl_b64 s[10:11], s[0:1], 3
.LBB262_55:
	s_cmp_eq_u64 s[10:11], s[4:5]
	s_mov_b64 s[0:1], 0
	s_cbranch_scc1 .LBB262_57
; %bb.56:
	s_add_u32 s0, s2, s10
	s_addc_u32 s1, s3, s11
	s_load_dwordx2 s[0:1], s[0:1], 0x0
	s_waitcnt lgkmcnt(0)
	v_cmp_lt_u64_e64 s[0:1], s[0:1], 10
.LBB262_57:
	v_mov_b32_e32 v0, 0
	v_cndmask_b32_e64 v1, 0, 1, s[0:1]
	global_store_byte v0, v1, s[6:7] offset:9
	s_endpgm
	.section	.rodata,"a",@progbits
	.p2align	6, 0x0
	.amdhsa_kernel _Z20binary_search_kernelIyEvmPT_Pb
		.amdhsa_group_segment_fixed_size 0
		.amdhsa_private_segment_fixed_size 0
		.amdhsa_kernarg_size 24
		.amdhsa_user_sgpr_count 6
		.amdhsa_user_sgpr_private_segment_buffer 1
		.amdhsa_user_sgpr_dispatch_ptr 0
		.amdhsa_user_sgpr_queue_ptr 0
		.amdhsa_user_sgpr_kernarg_segment_ptr 1
		.amdhsa_user_sgpr_dispatch_id 0
		.amdhsa_user_sgpr_flat_scratch_init 0
		.amdhsa_user_sgpr_private_segment_size 0
		.amdhsa_uses_dynamic_stack 0
		.amdhsa_system_sgpr_private_segment_wavefront_offset 0
		.amdhsa_system_sgpr_workgroup_id_x 1
		.amdhsa_system_sgpr_workgroup_id_y 0
		.amdhsa_system_sgpr_workgroup_id_z 0
		.amdhsa_system_sgpr_workgroup_info 0
		.amdhsa_system_vgpr_workitem_id 0
		.amdhsa_next_free_vgpr 3
		.amdhsa_next_free_sgpr 20
		.amdhsa_reserve_vcc 1
		.amdhsa_reserve_flat_scratch 0
		.amdhsa_float_round_mode_32 0
		.amdhsa_float_round_mode_16_64 0
		.amdhsa_float_denorm_mode_32 3
		.amdhsa_float_denorm_mode_16_64 3
		.amdhsa_dx10_clamp 1
		.amdhsa_ieee_mode 1
		.amdhsa_fp16_overflow 0
		.amdhsa_exception_fp_ieee_invalid_op 0
		.amdhsa_exception_fp_denorm_src 0
		.amdhsa_exception_fp_ieee_div_zero 0
		.amdhsa_exception_fp_ieee_overflow 0
		.amdhsa_exception_fp_ieee_underflow 0
		.amdhsa_exception_fp_ieee_inexact 0
		.amdhsa_exception_int_div_zero 0
	.end_amdhsa_kernel
	.section	.text._Z20binary_search_kernelIyEvmPT_Pb,"axG",@progbits,_Z20binary_search_kernelIyEvmPT_Pb,comdat
.Lfunc_end262:
	.size	_Z20binary_search_kernelIyEvmPT_Pb, .Lfunc_end262-_Z20binary_search_kernelIyEvmPT_Pb
                                        ; -- End function
	.set _Z20binary_search_kernelIyEvmPT_Pb.num_vgpr, 3
	.set _Z20binary_search_kernelIyEvmPT_Pb.num_agpr, 0
	.set _Z20binary_search_kernelIyEvmPT_Pb.numbered_sgpr, 20
	.set _Z20binary_search_kernelIyEvmPT_Pb.num_named_barrier, 0
	.set _Z20binary_search_kernelIyEvmPT_Pb.private_seg_size, 0
	.set _Z20binary_search_kernelIyEvmPT_Pb.uses_vcc, 1
	.set _Z20binary_search_kernelIyEvmPT_Pb.uses_flat_scratch, 0
	.set _Z20binary_search_kernelIyEvmPT_Pb.has_dyn_sized_stack, 0
	.set _Z20binary_search_kernelIyEvmPT_Pb.has_recursion, 0
	.set _Z20binary_search_kernelIyEvmPT_Pb.has_indirect_call, 0
	.section	.AMDGPU.csdata,"",@progbits
; Kernel info:
; codeLenInByte = 1732
; TotalNumSgprs: 24
; NumVgprs: 3
; ScratchSize: 0
; MemoryBound: 1
; FloatMode: 240
; IeeeMode: 1
; LDSByteSize: 0 bytes/workgroup (compile time only)
; SGPRBlocks: 2
; VGPRBlocks: 0
; NumSGPRsForWavesPerEU: 24
; NumVGPRsForWavesPerEU: 3
; Occupancy: 10
; WaveLimiterHint : 0
; COMPUTE_PGM_RSRC2:SCRATCH_EN: 0
; COMPUTE_PGM_RSRC2:USER_SGPR: 6
; COMPUTE_PGM_RSRC2:TRAP_HANDLER: 0
; COMPUTE_PGM_RSRC2:TGID_X_EN: 1
; COMPUTE_PGM_RSRC2:TGID_Y_EN: 0
; COMPUTE_PGM_RSRC2:TGID_Z_EN: 0
; COMPUTE_PGM_RSRC2:TIDIG_COMP_CNT: 0
	.section	.text._ZN7rocprim17ROCPRIM_400000_NS6detail17trampoline_kernelINS0_14default_configENS1_29binary_search_config_selectorIyiEEZNS1_14transform_implILb0ES3_S5_N6thrust23THRUST_200600_302600_NS6detail15normal_iteratorINS8_7pointerIyNS8_11hip_rocprim5par_tENS8_11use_defaultESE_EEEENSA_INSB_IiSD_SE_SE_EEEEZNS1_13binary_searchIS3_S5_PySG_SI_NS1_16binary_search_opENS9_16wrapped_functionINS8_6system6detail7generic6detail18binary_search_lessEbEEEE10hipError_tPvRmT1_T2_T3_mmT4_T5_P12ihipStream_tbEUlRKyE_EEST_SX_SY_mSZ_S12_bEUlT_E_NS1_11comp_targetILNS1_3genE0ELNS1_11target_archE4294967295ELNS1_3gpuE0ELNS1_3repE0EEENS1_30default_config_static_selectorELNS0_4arch9wavefront6targetE1EEEvSW_,"axG",@progbits,_ZN7rocprim17ROCPRIM_400000_NS6detail17trampoline_kernelINS0_14default_configENS1_29binary_search_config_selectorIyiEEZNS1_14transform_implILb0ES3_S5_N6thrust23THRUST_200600_302600_NS6detail15normal_iteratorINS8_7pointerIyNS8_11hip_rocprim5par_tENS8_11use_defaultESE_EEEENSA_INSB_IiSD_SE_SE_EEEEZNS1_13binary_searchIS3_S5_PySG_SI_NS1_16binary_search_opENS9_16wrapped_functionINS8_6system6detail7generic6detail18binary_search_lessEbEEEE10hipError_tPvRmT1_T2_T3_mmT4_T5_P12ihipStream_tbEUlRKyE_EEST_SX_SY_mSZ_S12_bEUlT_E_NS1_11comp_targetILNS1_3genE0ELNS1_11target_archE4294967295ELNS1_3gpuE0ELNS1_3repE0EEENS1_30default_config_static_selectorELNS0_4arch9wavefront6targetE1EEEvSW_,comdat
	.protected	_ZN7rocprim17ROCPRIM_400000_NS6detail17trampoline_kernelINS0_14default_configENS1_29binary_search_config_selectorIyiEEZNS1_14transform_implILb0ES3_S5_N6thrust23THRUST_200600_302600_NS6detail15normal_iteratorINS8_7pointerIyNS8_11hip_rocprim5par_tENS8_11use_defaultESE_EEEENSA_INSB_IiSD_SE_SE_EEEEZNS1_13binary_searchIS3_S5_PySG_SI_NS1_16binary_search_opENS9_16wrapped_functionINS8_6system6detail7generic6detail18binary_search_lessEbEEEE10hipError_tPvRmT1_T2_T3_mmT4_T5_P12ihipStream_tbEUlRKyE_EEST_SX_SY_mSZ_S12_bEUlT_E_NS1_11comp_targetILNS1_3genE0ELNS1_11target_archE4294967295ELNS1_3gpuE0ELNS1_3repE0EEENS1_30default_config_static_selectorELNS0_4arch9wavefront6targetE1EEEvSW_ ; -- Begin function _ZN7rocprim17ROCPRIM_400000_NS6detail17trampoline_kernelINS0_14default_configENS1_29binary_search_config_selectorIyiEEZNS1_14transform_implILb0ES3_S5_N6thrust23THRUST_200600_302600_NS6detail15normal_iteratorINS8_7pointerIyNS8_11hip_rocprim5par_tENS8_11use_defaultESE_EEEENSA_INSB_IiSD_SE_SE_EEEEZNS1_13binary_searchIS3_S5_PySG_SI_NS1_16binary_search_opENS9_16wrapped_functionINS8_6system6detail7generic6detail18binary_search_lessEbEEEE10hipError_tPvRmT1_T2_T3_mmT4_T5_P12ihipStream_tbEUlRKyE_EEST_SX_SY_mSZ_S12_bEUlT_E_NS1_11comp_targetILNS1_3genE0ELNS1_11target_archE4294967295ELNS1_3gpuE0ELNS1_3repE0EEENS1_30default_config_static_selectorELNS0_4arch9wavefront6targetE1EEEvSW_
	.globl	_ZN7rocprim17ROCPRIM_400000_NS6detail17trampoline_kernelINS0_14default_configENS1_29binary_search_config_selectorIyiEEZNS1_14transform_implILb0ES3_S5_N6thrust23THRUST_200600_302600_NS6detail15normal_iteratorINS8_7pointerIyNS8_11hip_rocprim5par_tENS8_11use_defaultESE_EEEENSA_INSB_IiSD_SE_SE_EEEEZNS1_13binary_searchIS3_S5_PySG_SI_NS1_16binary_search_opENS9_16wrapped_functionINS8_6system6detail7generic6detail18binary_search_lessEbEEEE10hipError_tPvRmT1_T2_T3_mmT4_T5_P12ihipStream_tbEUlRKyE_EEST_SX_SY_mSZ_S12_bEUlT_E_NS1_11comp_targetILNS1_3genE0ELNS1_11target_archE4294967295ELNS1_3gpuE0ELNS1_3repE0EEENS1_30default_config_static_selectorELNS0_4arch9wavefront6targetE1EEEvSW_
	.p2align	8
	.type	_ZN7rocprim17ROCPRIM_400000_NS6detail17trampoline_kernelINS0_14default_configENS1_29binary_search_config_selectorIyiEEZNS1_14transform_implILb0ES3_S5_N6thrust23THRUST_200600_302600_NS6detail15normal_iteratorINS8_7pointerIyNS8_11hip_rocprim5par_tENS8_11use_defaultESE_EEEENSA_INSB_IiSD_SE_SE_EEEEZNS1_13binary_searchIS3_S5_PySG_SI_NS1_16binary_search_opENS9_16wrapped_functionINS8_6system6detail7generic6detail18binary_search_lessEbEEEE10hipError_tPvRmT1_T2_T3_mmT4_T5_P12ihipStream_tbEUlRKyE_EEST_SX_SY_mSZ_S12_bEUlT_E_NS1_11comp_targetILNS1_3genE0ELNS1_11target_archE4294967295ELNS1_3gpuE0ELNS1_3repE0EEENS1_30default_config_static_selectorELNS0_4arch9wavefront6targetE1EEEvSW_,@function
_ZN7rocprim17ROCPRIM_400000_NS6detail17trampoline_kernelINS0_14default_configENS1_29binary_search_config_selectorIyiEEZNS1_14transform_implILb0ES3_S5_N6thrust23THRUST_200600_302600_NS6detail15normal_iteratorINS8_7pointerIyNS8_11hip_rocprim5par_tENS8_11use_defaultESE_EEEENSA_INSB_IiSD_SE_SE_EEEEZNS1_13binary_searchIS3_S5_PySG_SI_NS1_16binary_search_opENS9_16wrapped_functionINS8_6system6detail7generic6detail18binary_search_lessEbEEEE10hipError_tPvRmT1_T2_T3_mmT4_T5_P12ihipStream_tbEUlRKyE_EEST_SX_SY_mSZ_S12_bEUlT_E_NS1_11comp_targetILNS1_3genE0ELNS1_11target_archE4294967295ELNS1_3gpuE0ELNS1_3repE0EEENS1_30default_config_static_selectorELNS0_4arch9wavefront6targetE1EEEvSW_: ; @_ZN7rocprim17ROCPRIM_400000_NS6detail17trampoline_kernelINS0_14default_configENS1_29binary_search_config_selectorIyiEEZNS1_14transform_implILb0ES3_S5_N6thrust23THRUST_200600_302600_NS6detail15normal_iteratorINS8_7pointerIyNS8_11hip_rocprim5par_tENS8_11use_defaultESE_EEEENSA_INSB_IiSD_SE_SE_EEEEZNS1_13binary_searchIS3_S5_PySG_SI_NS1_16binary_search_opENS9_16wrapped_functionINS8_6system6detail7generic6detail18binary_search_lessEbEEEE10hipError_tPvRmT1_T2_T3_mmT4_T5_P12ihipStream_tbEUlRKyE_EEST_SX_SY_mSZ_S12_bEUlT_E_NS1_11comp_targetILNS1_3genE0ELNS1_11target_archE4294967295ELNS1_3gpuE0ELNS1_3repE0EEENS1_30default_config_static_selectorELNS0_4arch9wavefront6targetE1EEEvSW_
; %bb.0:
	.section	.rodata,"a",@progbits
	.p2align	6, 0x0
	.amdhsa_kernel _ZN7rocprim17ROCPRIM_400000_NS6detail17trampoline_kernelINS0_14default_configENS1_29binary_search_config_selectorIyiEEZNS1_14transform_implILb0ES3_S5_N6thrust23THRUST_200600_302600_NS6detail15normal_iteratorINS8_7pointerIyNS8_11hip_rocprim5par_tENS8_11use_defaultESE_EEEENSA_INSB_IiSD_SE_SE_EEEEZNS1_13binary_searchIS3_S5_PySG_SI_NS1_16binary_search_opENS9_16wrapped_functionINS8_6system6detail7generic6detail18binary_search_lessEbEEEE10hipError_tPvRmT1_T2_T3_mmT4_T5_P12ihipStream_tbEUlRKyE_EEST_SX_SY_mSZ_S12_bEUlT_E_NS1_11comp_targetILNS1_3genE0ELNS1_11target_archE4294967295ELNS1_3gpuE0ELNS1_3repE0EEENS1_30default_config_static_selectorELNS0_4arch9wavefront6targetE1EEEvSW_
		.amdhsa_group_segment_fixed_size 0
		.amdhsa_private_segment_fixed_size 0
		.amdhsa_kernarg_size 56
		.amdhsa_user_sgpr_count 6
		.amdhsa_user_sgpr_private_segment_buffer 1
		.amdhsa_user_sgpr_dispatch_ptr 0
		.amdhsa_user_sgpr_queue_ptr 0
		.amdhsa_user_sgpr_kernarg_segment_ptr 1
		.amdhsa_user_sgpr_dispatch_id 0
		.amdhsa_user_sgpr_flat_scratch_init 0
		.amdhsa_user_sgpr_private_segment_size 0
		.amdhsa_uses_dynamic_stack 0
		.amdhsa_system_sgpr_private_segment_wavefront_offset 0
		.amdhsa_system_sgpr_workgroup_id_x 1
		.amdhsa_system_sgpr_workgroup_id_y 0
		.amdhsa_system_sgpr_workgroup_id_z 0
		.amdhsa_system_sgpr_workgroup_info 0
		.amdhsa_system_vgpr_workitem_id 0
		.amdhsa_next_free_vgpr 1
		.amdhsa_next_free_sgpr 0
		.amdhsa_reserve_vcc 0
		.amdhsa_reserve_flat_scratch 0
		.amdhsa_float_round_mode_32 0
		.amdhsa_float_round_mode_16_64 0
		.amdhsa_float_denorm_mode_32 3
		.amdhsa_float_denorm_mode_16_64 3
		.amdhsa_dx10_clamp 1
		.amdhsa_ieee_mode 1
		.amdhsa_fp16_overflow 0
		.amdhsa_exception_fp_ieee_invalid_op 0
		.amdhsa_exception_fp_denorm_src 0
		.amdhsa_exception_fp_ieee_div_zero 0
		.amdhsa_exception_fp_ieee_overflow 0
		.amdhsa_exception_fp_ieee_underflow 0
		.amdhsa_exception_fp_ieee_inexact 0
		.amdhsa_exception_int_div_zero 0
	.end_amdhsa_kernel
	.section	.text._ZN7rocprim17ROCPRIM_400000_NS6detail17trampoline_kernelINS0_14default_configENS1_29binary_search_config_selectorIyiEEZNS1_14transform_implILb0ES3_S5_N6thrust23THRUST_200600_302600_NS6detail15normal_iteratorINS8_7pointerIyNS8_11hip_rocprim5par_tENS8_11use_defaultESE_EEEENSA_INSB_IiSD_SE_SE_EEEEZNS1_13binary_searchIS3_S5_PySG_SI_NS1_16binary_search_opENS9_16wrapped_functionINS8_6system6detail7generic6detail18binary_search_lessEbEEEE10hipError_tPvRmT1_T2_T3_mmT4_T5_P12ihipStream_tbEUlRKyE_EEST_SX_SY_mSZ_S12_bEUlT_E_NS1_11comp_targetILNS1_3genE0ELNS1_11target_archE4294967295ELNS1_3gpuE0ELNS1_3repE0EEENS1_30default_config_static_selectorELNS0_4arch9wavefront6targetE1EEEvSW_,"axG",@progbits,_ZN7rocprim17ROCPRIM_400000_NS6detail17trampoline_kernelINS0_14default_configENS1_29binary_search_config_selectorIyiEEZNS1_14transform_implILb0ES3_S5_N6thrust23THRUST_200600_302600_NS6detail15normal_iteratorINS8_7pointerIyNS8_11hip_rocprim5par_tENS8_11use_defaultESE_EEEENSA_INSB_IiSD_SE_SE_EEEEZNS1_13binary_searchIS3_S5_PySG_SI_NS1_16binary_search_opENS9_16wrapped_functionINS8_6system6detail7generic6detail18binary_search_lessEbEEEE10hipError_tPvRmT1_T2_T3_mmT4_T5_P12ihipStream_tbEUlRKyE_EEST_SX_SY_mSZ_S12_bEUlT_E_NS1_11comp_targetILNS1_3genE0ELNS1_11target_archE4294967295ELNS1_3gpuE0ELNS1_3repE0EEENS1_30default_config_static_selectorELNS0_4arch9wavefront6targetE1EEEvSW_,comdat
.Lfunc_end263:
	.size	_ZN7rocprim17ROCPRIM_400000_NS6detail17trampoline_kernelINS0_14default_configENS1_29binary_search_config_selectorIyiEEZNS1_14transform_implILb0ES3_S5_N6thrust23THRUST_200600_302600_NS6detail15normal_iteratorINS8_7pointerIyNS8_11hip_rocprim5par_tENS8_11use_defaultESE_EEEENSA_INSB_IiSD_SE_SE_EEEEZNS1_13binary_searchIS3_S5_PySG_SI_NS1_16binary_search_opENS9_16wrapped_functionINS8_6system6detail7generic6detail18binary_search_lessEbEEEE10hipError_tPvRmT1_T2_T3_mmT4_T5_P12ihipStream_tbEUlRKyE_EEST_SX_SY_mSZ_S12_bEUlT_E_NS1_11comp_targetILNS1_3genE0ELNS1_11target_archE4294967295ELNS1_3gpuE0ELNS1_3repE0EEENS1_30default_config_static_selectorELNS0_4arch9wavefront6targetE1EEEvSW_, .Lfunc_end263-_ZN7rocprim17ROCPRIM_400000_NS6detail17trampoline_kernelINS0_14default_configENS1_29binary_search_config_selectorIyiEEZNS1_14transform_implILb0ES3_S5_N6thrust23THRUST_200600_302600_NS6detail15normal_iteratorINS8_7pointerIyNS8_11hip_rocprim5par_tENS8_11use_defaultESE_EEEENSA_INSB_IiSD_SE_SE_EEEEZNS1_13binary_searchIS3_S5_PySG_SI_NS1_16binary_search_opENS9_16wrapped_functionINS8_6system6detail7generic6detail18binary_search_lessEbEEEE10hipError_tPvRmT1_T2_T3_mmT4_T5_P12ihipStream_tbEUlRKyE_EEST_SX_SY_mSZ_S12_bEUlT_E_NS1_11comp_targetILNS1_3genE0ELNS1_11target_archE4294967295ELNS1_3gpuE0ELNS1_3repE0EEENS1_30default_config_static_selectorELNS0_4arch9wavefront6targetE1EEEvSW_
                                        ; -- End function
	.set _ZN7rocprim17ROCPRIM_400000_NS6detail17trampoline_kernelINS0_14default_configENS1_29binary_search_config_selectorIyiEEZNS1_14transform_implILb0ES3_S5_N6thrust23THRUST_200600_302600_NS6detail15normal_iteratorINS8_7pointerIyNS8_11hip_rocprim5par_tENS8_11use_defaultESE_EEEENSA_INSB_IiSD_SE_SE_EEEEZNS1_13binary_searchIS3_S5_PySG_SI_NS1_16binary_search_opENS9_16wrapped_functionINS8_6system6detail7generic6detail18binary_search_lessEbEEEE10hipError_tPvRmT1_T2_T3_mmT4_T5_P12ihipStream_tbEUlRKyE_EEST_SX_SY_mSZ_S12_bEUlT_E_NS1_11comp_targetILNS1_3genE0ELNS1_11target_archE4294967295ELNS1_3gpuE0ELNS1_3repE0EEENS1_30default_config_static_selectorELNS0_4arch9wavefront6targetE1EEEvSW_.num_vgpr, 0
	.set _ZN7rocprim17ROCPRIM_400000_NS6detail17trampoline_kernelINS0_14default_configENS1_29binary_search_config_selectorIyiEEZNS1_14transform_implILb0ES3_S5_N6thrust23THRUST_200600_302600_NS6detail15normal_iteratorINS8_7pointerIyNS8_11hip_rocprim5par_tENS8_11use_defaultESE_EEEENSA_INSB_IiSD_SE_SE_EEEEZNS1_13binary_searchIS3_S5_PySG_SI_NS1_16binary_search_opENS9_16wrapped_functionINS8_6system6detail7generic6detail18binary_search_lessEbEEEE10hipError_tPvRmT1_T2_T3_mmT4_T5_P12ihipStream_tbEUlRKyE_EEST_SX_SY_mSZ_S12_bEUlT_E_NS1_11comp_targetILNS1_3genE0ELNS1_11target_archE4294967295ELNS1_3gpuE0ELNS1_3repE0EEENS1_30default_config_static_selectorELNS0_4arch9wavefront6targetE1EEEvSW_.num_agpr, 0
	.set _ZN7rocprim17ROCPRIM_400000_NS6detail17trampoline_kernelINS0_14default_configENS1_29binary_search_config_selectorIyiEEZNS1_14transform_implILb0ES3_S5_N6thrust23THRUST_200600_302600_NS6detail15normal_iteratorINS8_7pointerIyNS8_11hip_rocprim5par_tENS8_11use_defaultESE_EEEENSA_INSB_IiSD_SE_SE_EEEEZNS1_13binary_searchIS3_S5_PySG_SI_NS1_16binary_search_opENS9_16wrapped_functionINS8_6system6detail7generic6detail18binary_search_lessEbEEEE10hipError_tPvRmT1_T2_T3_mmT4_T5_P12ihipStream_tbEUlRKyE_EEST_SX_SY_mSZ_S12_bEUlT_E_NS1_11comp_targetILNS1_3genE0ELNS1_11target_archE4294967295ELNS1_3gpuE0ELNS1_3repE0EEENS1_30default_config_static_selectorELNS0_4arch9wavefront6targetE1EEEvSW_.numbered_sgpr, 0
	.set _ZN7rocprim17ROCPRIM_400000_NS6detail17trampoline_kernelINS0_14default_configENS1_29binary_search_config_selectorIyiEEZNS1_14transform_implILb0ES3_S5_N6thrust23THRUST_200600_302600_NS6detail15normal_iteratorINS8_7pointerIyNS8_11hip_rocprim5par_tENS8_11use_defaultESE_EEEENSA_INSB_IiSD_SE_SE_EEEEZNS1_13binary_searchIS3_S5_PySG_SI_NS1_16binary_search_opENS9_16wrapped_functionINS8_6system6detail7generic6detail18binary_search_lessEbEEEE10hipError_tPvRmT1_T2_T3_mmT4_T5_P12ihipStream_tbEUlRKyE_EEST_SX_SY_mSZ_S12_bEUlT_E_NS1_11comp_targetILNS1_3genE0ELNS1_11target_archE4294967295ELNS1_3gpuE0ELNS1_3repE0EEENS1_30default_config_static_selectorELNS0_4arch9wavefront6targetE1EEEvSW_.num_named_barrier, 0
	.set _ZN7rocprim17ROCPRIM_400000_NS6detail17trampoline_kernelINS0_14default_configENS1_29binary_search_config_selectorIyiEEZNS1_14transform_implILb0ES3_S5_N6thrust23THRUST_200600_302600_NS6detail15normal_iteratorINS8_7pointerIyNS8_11hip_rocprim5par_tENS8_11use_defaultESE_EEEENSA_INSB_IiSD_SE_SE_EEEEZNS1_13binary_searchIS3_S5_PySG_SI_NS1_16binary_search_opENS9_16wrapped_functionINS8_6system6detail7generic6detail18binary_search_lessEbEEEE10hipError_tPvRmT1_T2_T3_mmT4_T5_P12ihipStream_tbEUlRKyE_EEST_SX_SY_mSZ_S12_bEUlT_E_NS1_11comp_targetILNS1_3genE0ELNS1_11target_archE4294967295ELNS1_3gpuE0ELNS1_3repE0EEENS1_30default_config_static_selectorELNS0_4arch9wavefront6targetE1EEEvSW_.private_seg_size, 0
	.set _ZN7rocprim17ROCPRIM_400000_NS6detail17trampoline_kernelINS0_14default_configENS1_29binary_search_config_selectorIyiEEZNS1_14transform_implILb0ES3_S5_N6thrust23THRUST_200600_302600_NS6detail15normal_iteratorINS8_7pointerIyNS8_11hip_rocprim5par_tENS8_11use_defaultESE_EEEENSA_INSB_IiSD_SE_SE_EEEEZNS1_13binary_searchIS3_S5_PySG_SI_NS1_16binary_search_opENS9_16wrapped_functionINS8_6system6detail7generic6detail18binary_search_lessEbEEEE10hipError_tPvRmT1_T2_T3_mmT4_T5_P12ihipStream_tbEUlRKyE_EEST_SX_SY_mSZ_S12_bEUlT_E_NS1_11comp_targetILNS1_3genE0ELNS1_11target_archE4294967295ELNS1_3gpuE0ELNS1_3repE0EEENS1_30default_config_static_selectorELNS0_4arch9wavefront6targetE1EEEvSW_.uses_vcc, 0
	.set _ZN7rocprim17ROCPRIM_400000_NS6detail17trampoline_kernelINS0_14default_configENS1_29binary_search_config_selectorIyiEEZNS1_14transform_implILb0ES3_S5_N6thrust23THRUST_200600_302600_NS6detail15normal_iteratorINS8_7pointerIyNS8_11hip_rocprim5par_tENS8_11use_defaultESE_EEEENSA_INSB_IiSD_SE_SE_EEEEZNS1_13binary_searchIS3_S5_PySG_SI_NS1_16binary_search_opENS9_16wrapped_functionINS8_6system6detail7generic6detail18binary_search_lessEbEEEE10hipError_tPvRmT1_T2_T3_mmT4_T5_P12ihipStream_tbEUlRKyE_EEST_SX_SY_mSZ_S12_bEUlT_E_NS1_11comp_targetILNS1_3genE0ELNS1_11target_archE4294967295ELNS1_3gpuE0ELNS1_3repE0EEENS1_30default_config_static_selectorELNS0_4arch9wavefront6targetE1EEEvSW_.uses_flat_scratch, 0
	.set _ZN7rocprim17ROCPRIM_400000_NS6detail17trampoline_kernelINS0_14default_configENS1_29binary_search_config_selectorIyiEEZNS1_14transform_implILb0ES3_S5_N6thrust23THRUST_200600_302600_NS6detail15normal_iteratorINS8_7pointerIyNS8_11hip_rocprim5par_tENS8_11use_defaultESE_EEEENSA_INSB_IiSD_SE_SE_EEEEZNS1_13binary_searchIS3_S5_PySG_SI_NS1_16binary_search_opENS9_16wrapped_functionINS8_6system6detail7generic6detail18binary_search_lessEbEEEE10hipError_tPvRmT1_T2_T3_mmT4_T5_P12ihipStream_tbEUlRKyE_EEST_SX_SY_mSZ_S12_bEUlT_E_NS1_11comp_targetILNS1_3genE0ELNS1_11target_archE4294967295ELNS1_3gpuE0ELNS1_3repE0EEENS1_30default_config_static_selectorELNS0_4arch9wavefront6targetE1EEEvSW_.has_dyn_sized_stack, 0
	.set _ZN7rocprim17ROCPRIM_400000_NS6detail17trampoline_kernelINS0_14default_configENS1_29binary_search_config_selectorIyiEEZNS1_14transform_implILb0ES3_S5_N6thrust23THRUST_200600_302600_NS6detail15normal_iteratorINS8_7pointerIyNS8_11hip_rocprim5par_tENS8_11use_defaultESE_EEEENSA_INSB_IiSD_SE_SE_EEEEZNS1_13binary_searchIS3_S5_PySG_SI_NS1_16binary_search_opENS9_16wrapped_functionINS8_6system6detail7generic6detail18binary_search_lessEbEEEE10hipError_tPvRmT1_T2_T3_mmT4_T5_P12ihipStream_tbEUlRKyE_EEST_SX_SY_mSZ_S12_bEUlT_E_NS1_11comp_targetILNS1_3genE0ELNS1_11target_archE4294967295ELNS1_3gpuE0ELNS1_3repE0EEENS1_30default_config_static_selectorELNS0_4arch9wavefront6targetE1EEEvSW_.has_recursion, 0
	.set _ZN7rocprim17ROCPRIM_400000_NS6detail17trampoline_kernelINS0_14default_configENS1_29binary_search_config_selectorIyiEEZNS1_14transform_implILb0ES3_S5_N6thrust23THRUST_200600_302600_NS6detail15normal_iteratorINS8_7pointerIyNS8_11hip_rocprim5par_tENS8_11use_defaultESE_EEEENSA_INSB_IiSD_SE_SE_EEEEZNS1_13binary_searchIS3_S5_PySG_SI_NS1_16binary_search_opENS9_16wrapped_functionINS8_6system6detail7generic6detail18binary_search_lessEbEEEE10hipError_tPvRmT1_T2_T3_mmT4_T5_P12ihipStream_tbEUlRKyE_EEST_SX_SY_mSZ_S12_bEUlT_E_NS1_11comp_targetILNS1_3genE0ELNS1_11target_archE4294967295ELNS1_3gpuE0ELNS1_3repE0EEENS1_30default_config_static_selectorELNS0_4arch9wavefront6targetE1EEEvSW_.has_indirect_call, 0
	.section	.AMDGPU.csdata,"",@progbits
; Kernel info:
; codeLenInByte = 0
; TotalNumSgprs: 4
; NumVgprs: 0
; ScratchSize: 0
; MemoryBound: 0
; FloatMode: 240
; IeeeMode: 1
; LDSByteSize: 0 bytes/workgroup (compile time only)
; SGPRBlocks: 0
; VGPRBlocks: 0
; NumSGPRsForWavesPerEU: 4
; NumVGPRsForWavesPerEU: 1
; Occupancy: 10
; WaveLimiterHint : 0
; COMPUTE_PGM_RSRC2:SCRATCH_EN: 0
; COMPUTE_PGM_RSRC2:USER_SGPR: 6
; COMPUTE_PGM_RSRC2:TRAP_HANDLER: 0
; COMPUTE_PGM_RSRC2:TGID_X_EN: 1
; COMPUTE_PGM_RSRC2:TGID_Y_EN: 0
; COMPUTE_PGM_RSRC2:TGID_Z_EN: 0
; COMPUTE_PGM_RSRC2:TIDIG_COMP_CNT: 0
	.section	.text._ZN7rocprim17ROCPRIM_400000_NS6detail17trampoline_kernelINS0_14default_configENS1_29binary_search_config_selectorIyiEEZNS1_14transform_implILb0ES3_S5_N6thrust23THRUST_200600_302600_NS6detail15normal_iteratorINS8_7pointerIyNS8_11hip_rocprim5par_tENS8_11use_defaultESE_EEEENSA_INSB_IiSD_SE_SE_EEEEZNS1_13binary_searchIS3_S5_PySG_SI_NS1_16binary_search_opENS9_16wrapped_functionINS8_6system6detail7generic6detail18binary_search_lessEbEEEE10hipError_tPvRmT1_T2_T3_mmT4_T5_P12ihipStream_tbEUlRKyE_EEST_SX_SY_mSZ_S12_bEUlT_E_NS1_11comp_targetILNS1_3genE5ELNS1_11target_archE942ELNS1_3gpuE9ELNS1_3repE0EEENS1_30default_config_static_selectorELNS0_4arch9wavefront6targetE1EEEvSW_,"axG",@progbits,_ZN7rocprim17ROCPRIM_400000_NS6detail17trampoline_kernelINS0_14default_configENS1_29binary_search_config_selectorIyiEEZNS1_14transform_implILb0ES3_S5_N6thrust23THRUST_200600_302600_NS6detail15normal_iteratorINS8_7pointerIyNS8_11hip_rocprim5par_tENS8_11use_defaultESE_EEEENSA_INSB_IiSD_SE_SE_EEEEZNS1_13binary_searchIS3_S5_PySG_SI_NS1_16binary_search_opENS9_16wrapped_functionINS8_6system6detail7generic6detail18binary_search_lessEbEEEE10hipError_tPvRmT1_T2_T3_mmT4_T5_P12ihipStream_tbEUlRKyE_EEST_SX_SY_mSZ_S12_bEUlT_E_NS1_11comp_targetILNS1_3genE5ELNS1_11target_archE942ELNS1_3gpuE9ELNS1_3repE0EEENS1_30default_config_static_selectorELNS0_4arch9wavefront6targetE1EEEvSW_,comdat
	.protected	_ZN7rocprim17ROCPRIM_400000_NS6detail17trampoline_kernelINS0_14default_configENS1_29binary_search_config_selectorIyiEEZNS1_14transform_implILb0ES3_S5_N6thrust23THRUST_200600_302600_NS6detail15normal_iteratorINS8_7pointerIyNS8_11hip_rocprim5par_tENS8_11use_defaultESE_EEEENSA_INSB_IiSD_SE_SE_EEEEZNS1_13binary_searchIS3_S5_PySG_SI_NS1_16binary_search_opENS9_16wrapped_functionINS8_6system6detail7generic6detail18binary_search_lessEbEEEE10hipError_tPvRmT1_T2_T3_mmT4_T5_P12ihipStream_tbEUlRKyE_EEST_SX_SY_mSZ_S12_bEUlT_E_NS1_11comp_targetILNS1_3genE5ELNS1_11target_archE942ELNS1_3gpuE9ELNS1_3repE0EEENS1_30default_config_static_selectorELNS0_4arch9wavefront6targetE1EEEvSW_ ; -- Begin function _ZN7rocprim17ROCPRIM_400000_NS6detail17trampoline_kernelINS0_14default_configENS1_29binary_search_config_selectorIyiEEZNS1_14transform_implILb0ES3_S5_N6thrust23THRUST_200600_302600_NS6detail15normal_iteratorINS8_7pointerIyNS8_11hip_rocprim5par_tENS8_11use_defaultESE_EEEENSA_INSB_IiSD_SE_SE_EEEEZNS1_13binary_searchIS3_S5_PySG_SI_NS1_16binary_search_opENS9_16wrapped_functionINS8_6system6detail7generic6detail18binary_search_lessEbEEEE10hipError_tPvRmT1_T2_T3_mmT4_T5_P12ihipStream_tbEUlRKyE_EEST_SX_SY_mSZ_S12_bEUlT_E_NS1_11comp_targetILNS1_3genE5ELNS1_11target_archE942ELNS1_3gpuE9ELNS1_3repE0EEENS1_30default_config_static_selectorELNS0_4arch9wavefront6targetE1EEEvSW_
	.globl	_ZN7rocprim17ROCPRIM_400000_NS6detail17trampoline_kernelINS0_14default_configENS1_29binary_search_config_selectorIyiEEZNS1_14transform_implILb0ES3_S5_N6thrust23THRUST_200600_302600_NS6detail15normal_iteratorINS8_7pointerIyNS8_11hip_rocprim5par_tENS8_11use_defaultESE_EEEENSA_INSB_IiSD_SE_SE_EEEEZNS1_13binary_searchIS3_S5_PySG_SI_NS1_16binary_search_opENS9_16wrapped_functionINS8_6system6detail7generic6detail18binary_search_lessEbEEEE10hipError_tPvRmT1_T2_T3_mmT4_T5_P12ihipStream_tbEUlRKyE_EEST_SX_SY_mSZ_S12_bEUlT_E_NS1_11comp_targetILNS1_3genE5ELNS1_11target_archE942ELNS1_3gpuE9ELNS1_3repE0EEENS1_30default_config_static_selectorELNS0_4arch9wavefront6targetE1EEEvSW_
	.p2align	8
	.type	_ZN7rocprim17ROCPRIM_400000_NS6detail17trampoline_kernelINS0_14default_configENS1_29binary_search_config_selectorIyiEEZNS1_14transform_implILb0ES3_S5_N6thrust23THRUST_200600_302600_NS6detail15normal_iteratorINS8_7pointerIyNS8_11hip_rocprim5par_tENS8_11use_defaultESE_EEEENSA_INSB_IiSD_SE_SE_EEEEZNS1_13binary_searchIS3_S5_PySG_SI_NS1_16binary_search_opENS9_16wrapped_functionINS8_6system6detail7generic6detail18binary_search_lessEbEEEE10hipError_tPvRmT1_T2_T3_mmT4_T5_P12ihipStream_tbEUlRKyE_EEST_SX_SY_mSZ_S12_bEUlT_E_NS1_11comp_targetILNS1_3genE5ELNS1_11target_archE942ELNS1_3gpuE9ELNS1_3repE0EEENS1_30default_config_static_selectorELNS0_4arch9wavefront6targetE1EEEvSW_,@function
_ZN7rocprim17ROCPRIM_400000_NS6detail17trampoline_kernelINS0_14default_configENS1_29binary_search_config_selectorIyiEEZNS1_14transform_implILb0ES3_S5_N6thrust23THRUST_200600_302600_NS6detail15normal_iteratorINS8_7pointerIyNS8_11hip_rocprim5par_tENS8_11use_defaultESE_EEEENSA_INSB_IiSD_SE_SE_EEEEZNS1_13binary_searchIS3_S5_PySG_SI_NS1_16binary_search_opENS9_16wrapped_functionINS8_6system6detail7generic6detail18binary_search_lessEbEEEE10hipError_tPvRmT1_T2_T3_mmT4_T5_P12ihipStream_tbEUlRKyE_EEST_SX_SY_mSZ_S12_bEUlT_E_NS1_11comp_targetILNS1_3genE5ELNS1_11target_archE942ELNS1_3gpuE9ELNS1_3repE0EEENS1_30default_config_static_selectorELNS0_4arch9wavefront6targetE1EEEvSW_: ; @_ZN7rocprim17ROCPRIM_400000_NS6detail17trampoline_kernelINS0_14default_configENS1_29binary_search_config_selectorIyiEEZNS1_14transform_implILb0ES3_S5_N6thrust23THRUST_200600_302600_NS6detail15normal_iteratorINS8_7pointerIyNS8_11hip_rocprim5par_tENS8_11use_defaultESE_EEEENSA_INSB_IiSD_SE_SE_EEEEZNS1_13binary_searchIS3_S5_PySG_SI_NS1_16binary_search_opENS9_16wrapped_functionINS8_6system6detail7generic6detail18binary_search_lessEbEEEE10hipError_tPvRmT1_T2_T3_mmT4_T5_P12ihipStream_tbEUlRKyE_EEST_SX_SY_mSZ_S12_bEUlT_E_NS1_11comp_targetILNS1_3genE5ELNS1_11target_archE942ELNS1_3gpuE9ELNS1_3repE0EEENS1_30default_config_static_selectorELNS0_4arch9wavefront6targetE1EEEvSW_
; %bb.0:
	.section	.rodata,"a",@progbits
	.p2align	6, 0x0
	.amdhsa_kernel _ZN7rocprim17ROCPRIM_400000_NS6detail17trampoline_kernelINS0_14default_configENS1_29binary_search_config_selectorIyiEEZNS1_14transform_implILb0ES3_S5_N6thrust23THRUST_200600_302600_NS6detail15normal_iteratorINS8_7pointerIyNS8_11hip_rocprim5par_tENS8_11use_defaultESE_EEEENSA_INSB_IiSD_SE_SE_EEEEZNS1_13binary_searchIS3_S5_PySG_SI_NS1_16binary_search_opENS9_16wrapped_functionINS8_6system6detail7generic6detail18binary_search_lessEbEEEE10hipError_tPvRmT1_T2_T3_mmT4_T5_P12ihipStream_tbEUlRKyE_EEST_SX_SY_mSZ_S12_bEUlT_E_NS1_11comp_targetILNS1_3genE5ELNS1_11target_archE942ELNS1_3gpuE9ELNS1_3repE0EEENS1_30default_config_static_selectorELNS0_4arch9wavefront6targetE1EEEvSW_
		.amdhsa_group_segment_fixed_size 0
		.amdhsa_private_segment_fixed_size 0
		.amdhsa_kernarg_size 56
		.amdhsa_user_sgpr_count 6
		.amdhsa_user_sgpr_private_segment_buffer 1
		.amdhsa_user_sgpr_dispatch_ptr 0
		.amdhsa_user_sgpr_queue_ptr 0
		.amdhsa_user_sgpr_kernarg_segment_ptr 1
		.amdhsa_user_sgpr_dispatch_id 0
		.amdhsa_user_sgpr_flat_scratch_init 0
		.amdhsa_user_sgpr_private_segment_size 0
		.amdhsa_uses_dynamic_stack 0
		.amdhsa_system_sgpr_private_segment_wavefront_offset 0
		.amdhsa_system_sgpr_workgroup_id_x 1
		.amdhsa_system_sgpr_workgroup_id_y 0
		.amdhsa_system_sgpr_workgroup_id_z 0
		.amdhsa_system_sgpr_workgroup_info 0
		.amdhsa_system_vgpr_workitem_id 0
		.amdhsa_next_free_vgpr 1
		.amdhsa_next_free_sgpr 0
		.amdhsa_reserve_vcc 0
		.amdhsa_reserve_flat_scratch 0
		.amdhsa_float_round_mode_32 0
		.amdhsa_float_round_mode_16_64 0
		.amdhsa_float_denorm_mode_32 3
		.amdhsa_float_denorm_mode_16_64 3
		.amdhsa_dx10_clamp 1
		.amdhsa_ieee_mode 1
		.amdhsa_fp16_overflow 0
		.amdhsa_exception_fp_ieee_invalid_op 0
		.amdhsa_exception_fp_denorm_src 0
		.amdhsa_exception_fp_ieee_div_zero 0
		.amdhsa_exception_fp_ieee_overflow 0
		.amdhsa_exception_fp_ieee_underflow 0
		.amdhsa_exception_fp_ieee_inexact 0
		.amdhsa_exception_int_div_zero 0
	.end_amdhsa_kernel
	.section	.text._ZN7rocprim17ROCPRIM_400000_NS6detail17trampoline_kernelINS0_14default_configENS1_29binary_search_config_selectorIyiEEZNS1_14transform_implILb0ES3_S5_N6thrust23THRUST_200600_302600_NS6detail15normal_iteratorINS8_7pointerIyNS8_11hip_rocprim5par_tENS8_11use_defaultESE_EEEENSA_INSB_IiSD_SE_SE_EEEEZNS1_13binary_searchIS3_S5_PySG_SI_NS1_16binary_search_opENS9_16wrapped_functionINS8_6system6detail7generic6detail18binary_search_lessEbEEEE10hipError_tPvRmT1_T2_T3_mmT4_T5_P12ihipStream_tbEUlRKyE_EEST_SX_SY_mSZ_S12_bEUlT_E_NS1_11comp_targetILNS1_3genE5ELNS1_11target_archE942ELNS1_3gpuE9ELNS1_3repE0EEENS1_30default_config_static_selectorELNS0_4arch9wavefront6targetE1EEEvSW_,"axG",@progbits,_ZN7rocprim17ROCPRIM_400000_NS6detail17trampoline_kernelINS0_14default_configENS1_29binary_search_config_selectorIyiEEZNS1_14transform_implILb0ES3_S5_N6thrust23THRUST_200600_302600_NS6detail15normal_iteratorINS8_7pointerIyNS8_11hip_rocprim5par_tENS8_11use_defaultESE_EEEENSA_INSB_IiSD_SE_SE_EEEEZNS1_13binary_searchIS3_S5_PySG_SI_NS1_16binary_search_opENS9_16wrapped_functionINS8_6system6detail7generic6detail18binary_search_lessEbEEEE10hipError_tPvRmT1_T2_T3_mmT4_T5_P12ihipStream_tbEUlRKyE_EEST_SX_SY_mSZ_S12_bEUlT_E_NS1_11comp_targetILNS1_3genE5ELNS1_11target_archE942ELNS1_3gpuE9ELNS1_3repE0EEENS1_30default_config_static_selectorELNS0_4arch9wavefront6targetE1EEEvSW_,comdat
.Lfunc_end264:
	.size	_ZN7rocprim17ROCPRIM_400000_NS6detail17trampoline_kernelINS0_14default_configENS1_29binary_search_config_selectorIyiEEZNS1_14transform_implILb0ES3_S5_N6thrust23THRUST_200600_302600_NS6detail15normal_iteratorINS8_7pointerIyNS8_11hip_rocprim5par_tENS8_11use_defaultESE_EEEENSA_INSB_IiSD_SE_SE_EEEEZNS1_13binary_searchIS3_S5_PySG_SI_NS1_16binary_search_opENS9_16wrapped_functionINS8_6system6detail7generic6detail18binary_search_lessEbEEEE10hipError_tPvRmT1_T2_T3_mmT4_T5_P12ihipStream_tbEUlRKyE_EEST_SX_SY_mSZ_S12_bEUlT_E_NS1_11comp_targetILNS1_3genE5ELNS1_11target_archE942ELNS1_3gpuE9ELNS1_3repE0EEENS1_30default_config_static_selectorELNS0_4arch9wavefront6targetE1EEEvSW_, .Lfunc_end264-_ZN7rocprim17ROCPRIM_400000_NS6detail17trampoline_kernelINS0_14default_configENS1_29binary_search_config_selectorIyiEEZNS1_14transform_implILb0ES3_S5_N6thrust23THRUST_200600_302600_NS6detail15normal_iteratorINS8_7pointerIyNS8_11hip_rocprim5par_tENS8_11use_defaultESE_EEEENSA_INSB_IiSD_SE_SE_EEEEZNS1_13binary_searchIS3_S5_PySG_SI_NS1_16binary_search_opENS9_16wrapped_functionINS8_6system6detail7generic6detail18binary_search_lessEbEEEE10hipError_tPvRmT1_T2_T3_mmT4_T5_P12ihipStream_tbEUlRKyE_EEST_SX_SY_mSZ_S12_bEUlT_E_NS1_11comp_targetILNS1_3genE5ELNS1_11target_archE942ELNS1_3gpuE9ELNS1_3repE0EEENS1_30default_config_static_selectorELNS0_4arch9wavefront6targetE1EEEvSW_
                                        ; -- End function
	.set _ZN7rocprim17ROCPRIM_400000_NS6detail17trampoline_kernelINS0_14default_configENS1_29binary_search_config_selectorIyiEEZNS1_14transform_implILb0ES3_S5_N6thrust23THRUST_200600_302600_NS6detail15normal_iteratorINS8_7pointerIyNS8_11hip_rocprim5par_tENS8_11use_defaultESE_EEEENSA_INSB_IiSD_SE_SE_EEEEZNS1_13binary_searchIS3_S5_PySG_SI_NS1_16binary_search_opENS9_16wrapped_functionINS8_6system6detail7generic6detail18binary_search_lessEbEEEE10hipError_tPvRmT1_T2_T3_mmT4_T5_P12ihipStream_tbEUlRKyE_EEST_SX_SY_mSZ_S12_bEUlT_E_NS1_11comp_targetILNS1_3genE5ELNS1_11target_archE942ELNS1_3gpuE9ELNS1_3repE0EEENS1_30default_config_static_selectorELNS0_4arch9wavefront6targetE1EEEvSW_.num_vgpr, 0
	.set _ZN7rocprim17ROCPRIM_400000_NS6detail17trampoline_kernelINS0_14default_configENS1_29binary_search_config_selectorIyiEEZNS1_14transform_implILb0ES3_S5_N6thrust23THRUST_200600_302600_NS6detail15normal_iteratorINS8_7pointerIyNS8_11hip_rocprim5par_tENS8_11use_defaultESE_EEEENSA_INSB_IiSD_SE_SE_EEEEZNS1_13binary_searchIS3_S5_PySG_SI_NS1_16binary_search_opENS9_16wrapped_functionINS8_6system6detail7generic6detail18binary_search_lessEbEEEE10hipError_tPvRmT1_T2_T3_mmT4_T5_P12ihipStream_tbEUlRKyE_EEST_SX_SY_mSZ_S12_bEUlT_E_NS1_11comp_targetILNS1_3genE5ELNS1_11target_archE942ELNS1_3gpuE9ELNS1_3repE0EEENS1_30default_config_static_selectorELNS0_4arch9wavefront6targetE1EEEvSW_.num_agpr, 0
	.set _ZN7rocprim17ROCPRIM_400000_NS6detail17trampoline_kernelINS0_14default_configENS1_29binary_search_config_selectorIyiEEZNS1_14transform_implILb0ES3_S5_N6thrust23THRUST_200600_302600_NS6detail15normal_iteratorINS8_7pointerIyNS8_11hip_rocprim5par_tENS8_11use_defaultESE_EEEENSA_INSB_IiSD_SE_SE_EEEEZNS1_13binary_searchIS3_S5_PySG_SI_NS1_16binary_search_opENS9_16wrapped_functionINS8_6system6detail7generic6detail18binary_search_lessEbEEEE10hipError_tPvRmT1_T2_T3_mmT4_T5_P12ihipStream_tbEUlRKyE_EEST_SX_SY_mSZ_S12_bEUlT_E_NS1_11comp_targetILNS1_3genE5ELNS1_11target_archE942ELNS1_3gpuE9ELNS1_3repE0EEENS1_30default_config_static_selectorELNS0_4arch9wavefront6targetE1EEEvSW_.numbered_sgpr, 0
	.set _ZN7rocprim17ROCPRIM_400000_NS6detail17trampoline_kernelINS0_14default_configENS1_29binary_search_config_selectorIyiEEZNS1_14transform_implILb0ES3_S5_N6thrust23THRUST_200600_302600_NS6detail15normal_iteratorINS8_7pointerIyNS8_11hip_rocprim5par_tENS8_11use_defaultESE_EEEENSA_INSB_IiSD_SE_SE_EEEEZNS1_13binary_searchIS3_S5_PySG_SI_NS1_16binary_search_opENS9_16wrapped_functionINS8_6system6detail7generic6detail18binary_search_lessEbEEEE10hipError_tPvRmT1_T2_T3_mmT4_T5_P12ihipStream_tbEUlRKyE_EEST_SX_SY_mSZ_S12_bEUlT_E_NS1_11comp_targetILNS1_3genE5ELNS1_11target_archE942ELNS1_3gpuE9ELNS1_3repE0EEENS1_30default_config_static_selectorELNS0_4arch9wavefront6targetE1EEEvSW_.num_named_barrier, 0
	.set _ZN7rocprim17ROCPRIM_400000_NS6detail17trampoline_kernelINS0_14default_configENS1_29binary_search_config_selectorIyiEEZNS1_14transform_implILb0ES3_S5_N6thrust23THRUST_200600_302600_NS6detail15normal_iteratorINS8_7pointerIyNS8_11hip_rocprim5par_tENS8_11use_defaultESE_EEEENSA_INSB_IiSD_SE_SE_EEEEZNS1_13binary_searchIS3_S5_PySG_SI_NS1_16binary_search_opENS9_16wrapped_functionINS8_6system6detail7generic6detail18binary_search_lessEbEEEE10hipError_tPvRmT1_T2_T3_mmT4_T5_P12ihipStream_tbEUlRKyE_EEST_SX_SY_mSZ_S12_bEUlT_E_NS1_11comp_targetILNS1_3genE5ELNS1_11target_archE942ELNS1_3gpuE9ELNS1_3repE0EEENS1_30default_config_static_selectorELNS0_4arch9wavefront6targetE1EEEvSW_.private_seg_size, 0
	.set _ZN7rocprim17ROCPRIM_400000_NS6detail17trampoline_kernelINS0_14default_configENS1_29binary_search_config_selectorIyiEEZNS1_14transform_implILb0ES3_S5_N6thrust23THRUST_200600_302600_NS6detail15normal_iteratorINS8_7pointerIyNS8_11hip_rocprim5par_tENS8_11use_defaultESE_EEEENSA_INSB_IiSD_SE_SE_EEEEZNS1_13binary_searchIS3_S5_PySG_SI_NS1_16binary_search_opENS9_16wrapped_functionINS8_6system6detail7generic6detail18binary_search_lessEbEEEE10hipError_tPvRmT1_T2_T3_mmT4_T5_P12ihipStream_tbEUlRKyE_EEST_SX_SY_mSZ_S12_bEUlT_E_NS1_11comp_targetILNS1_3genE5ELNS1_11target_archE942ELNS1_3gpuE9ELNS1_3repE0EEENS1_30default_config_static_selectorELNS0_4arch9wavefront6targetE1EEEvSW_.uses_vcc, 0
	.set _ZN7rocprim17ROCPRIM_400000_NS6detail17trampoline_kernelINS0_14default_configENS1_29binary_search_config_selectorIyiEEZNS1_14transform_implILb0ES3_S5_N6thrust23THRUST_200600_302600_NS6detail15normal_iteratorINS8_7pointerIyNS8_11hip_rocprim5par_tENS8_11use_defaultESE_EEEENSA_INSB_IiSD_SE_SE_EEEEZNS1_13binary_searchIS3_S5_PySG_SI_NS1_16binary_search_opENS9_16wrapped_functionINS8_6system6detail7generic6detail18binary_search_lessEbEEEE10hipError_tPvRmT1_T2_T3_mmT4_T5_P12ihipStream_tbEUlRKyE_EEST_SX_SY_mSZ_S12_bEUlT_E_NS1_11comp_targetILNS1_3genE5ELNS1_11target_archE942ELNS1_3gpuE9ELNS1_3repE0EEENS1_30default_config_static_selectorELNS0_4arch9wavefront6targetE1EEEvSW_.uses_flat_scratch, 0
	.set _ZN7rocprim17ROCPRIM_400000_NS6detail17trampoline_kernelINS0_14default_configENS1_29binary_search_config_selectorIyiEEZNS1_14transform_implILb0ES3_S5_N6thrust23THRUST_200600_302600_NS6detail15normal_iteratorINS8_7pointerIyNS8_11hip_rocprim5par_tENS8_11use_defaultESE_EEEENSA_INSB_IiSD_SE_SE_EEEEZNS1_13binary_searchIS3_S5_PySG_SI_NS1_16binary_search_opENS9_16wrapped_functionINS8_6system6detail7generic6detail18binary_search_lessEbEEEE10hipError_tPvRmT1_T2_T3_mmT4_T5_P12ihipStream_tbEUlRKyE_EEST_SX_SY_mSZ_S12_bEUlT_E_NS1_11comp_targetILNS1_3genE5ELNS1_11target_archE942ELNS1_3gpuE9ELNS1_3repE0EEENS1_30default_config_static_selectorELNS0_4arch9wavefront6targetE1EEEvSW_.has_dyn_sized_stack, 0
	.set _ZN7rocprim17ROCPRIM_400000_NS6detail17trampoline_kernelINS0_14default_configENS1_29binary_search_config_selectorIyiEEZNS1_14transform_implILb0ES3_S5_N6thrust23THRUST_200600_302600_NS6detail15normal_iteratorINS8_7pointerIyNS8_11hip_rocprim5par_tENS8_11use_defaultESE_EEEENSA_INSB_IiSD_SE_SE_EEEEZNS1_13binary_searchIS3_S5_PySG_SI_NS1_16binary_search_opENS9_16wrapped_functionINS8_6system6detail7generic6detail18binary_search_lessEbEEEE10hipError_tPvRmT1_T2_T3_mmT4_T5_P12ihipStream_tbEUlRKyE_EEST_SX_SY_mSZ_S12_bEUlT_E_NS1_11comp_targetILNS1_3genE5ELNS1_11target_archE942ELNS1_3gpuE9ELNS1_3repE0EEENS1_30default_config_static_selectorELNS0_4arch9wavefront6targetE1EEEvSW_.has_recursion, 0
	.set _ZN7rocprim17ROCPRIM_400000_NS6detail17trampoline_kernelINS0_14default_configENS1_29binary_search_config_selectorIyiEEZNS1_14transform_implILb0ES3_S5_N6thrust23THRUST_200600_302600_NS6detail15normal_iteratorINS8_7pointerIyNS8_11hip_rocprim5par_tENS8_11use_defaultESE_EEEENSA_INSB_IiSD_SE_SE_EEEEZNS1_13binary_searchIS3_S5_PySG_SI_NS1_16binary_search_opENS9_16wrapped_functionINS8_6system6detail7generic6detail18binary_search_lessEbEEEE10hipError_tPvRmT1_T2_T3_mmT4_T5_P12ihipStream_tbEUlRKyE_EEST_SX_SY_mSZ_S12_bEUlT_E_NS1_11comp_targetILNS1_3genE5ELNS1_11target_archE942ELNS1_3gpuE9ELNS1_3repE0EEENS1_30default_config_static_selectorELNS0_4arch9wavefront6targetE1EEEvSW_.has_indirect_call, 0
	.section	.AMDGPU.csdata,"",@progbits
; Kernel info:
; codeLenInByte = 0
; TotalNumSgprs: 4
; NumVgprs: 0
; ScratchSize: 0
; MemoryBound: 0
; FloatMode: 240
; IeeeMode: 1
; LDSByteSize: 0 bytes/workgroup (compile time only)
; SGPRBlocks: 0
; VGPRBlocks: 0
; NumSGPRsForWavesPerEU: 4
; NumVGPRsForWavesPerEU: 1
; Occupancy: 10
; WaveLimiterHint : 0
; COMPUTE_PGM_RSRC2:SCRATCH_EN: 0
; COMPUTE_PGM_RSRC2:USER_SGPR: 6
; COMPUTE_PGM_RSRC2:TRAP_HANDLER: 0
; COMPUTE_PGM_RSRC2:TGID_X_EN: 1
; COMPUTE_PGM_RSRC2:TGID_Y_EN: 0
; COMPUTE_PGM_RSRC2:TGID_Z_EN: 0
; COMPUTE_PGM_RSRC2:TIDIG_COMP_CNT: 0
	.section	.text._ZN7rocprim17ROCPRIM_400000_NS6detail17trampoline_kernelINS0_14default_configENS1_29binary_search_config_selectorIyiEEZNS1_14transform_implILb0ES3_S5_N6thrust23THRUST_200600_302600_NS6detail15normal_iteratorINS8_7pointerIyNS8_11hip_rocprim5par_tENS8_11use_defaultESE_EEEENSA_INSB_IiSD_SE_SE_EEEEZNS1_13binary_searchIS3_S5_PySG_SI_NS1_16binary_search_opENS9_16wrapped_functionINS8_6system6detail7generic6detail18binary_search_lessEbEEEE10hipError_tPvRmT1_T2_T3_mmT4_T5_P12ihipStream_tbEUlRKyE_EEST_SX_SY_mSZ_S12_bEUlT_E_NS1_11comp_targetILNS1_3genE4ELNS1_11target_archE910ELNS1_3gpuE8ELNS1_3repE0EEENS1_30default_config_static_selectorELNS0_4arch9wavefront6targetE1EEEvSW_,"axG",@progbits,_ZN7rocprim17ROCPRIM_400000_NS6detail17trampoline_kernelINS0_14default_configENS1_29binary_search_config_selectorIyiEEZNS1_14transform_implILb0ES3_S5_N6thrust23THRUST_200600_302600_NS6detail15normal_iteratorINS8_7pointerIyNS8_11hip_rocprim5par_tENS8_11use_defaultESE_EEEENSA_INSB_IiSD_SE_SE_EEEEZNS1_13binary_searchIS3_S5_PySG_SI_NS1_16binary_search_opENS9_16wrapped_functionINS8_6system6detail7generic6detail18binary_search_lessEbEEEE10hipError_tPvRmT1_T2_T3_mmT4_T5_P12ihipStream_tbEUlRKyE_EEST_SX_SY_mSZ_S12_bEUlT_E_NS1_11comp_targetILNS1_3genE4ELNS1_11target_archE910ELNS1_3gpuE8ELNS1_3repE0EEENS1_30default_config_static_selectorELNS0_4arch9wavefront6targetE1EEEvSW_,comdat
	.protected	_ZN7rocprim17ROCPRIM_400000_NS6detail17trampoline_kernelINS0_14default_configENS1_29binary_search_config_selectorIyiEEZNS1_14transform_implILb0ES3_S5_N6thrust23THRUST_200600_302600_NS6detail15normal_iteratorINS8_7pointerIyNS8_11hip_rocprim5par_tENS8_11use_defaultESE_EEEENSA_INSB_IiSD_SE_SE_EEEEZNS1_13binary_searchIS3_S5_PySG_SI_NS1_16binary_search_opENS9_16wrapped_functionINS8_6system6detail7generic6detail18binary_search_lessEbEEEE10hipError_tPvRmT1_T2_T3_mmT4_T5_P12ihipStream_tbEUlRKyE_EEST_SX_SY_mSZ_S12_bEUlT_E_NS1_11comp_targetILNS1_3genE4ELNS1_11target_archE910ELNS1_3gpuE8ELNS1_3repE0EEENS1_30default_config_static_selectorELNS0_4arch9wavefront6targetE1EEEvSW_ ; -- Begin function _ZN7rocprim17ROCPRIM_400000_NS6detail17trampoline_kernelINS0_14default_configENS1_29binary_search_config_selectorIyiEEZNS1_14transform_implILb0ES3_S5_N6thrust23THRUST_200600_302600_NS6detail15normal_iteratorINS8_7pointerIyNS8_11hip_rocprim5par_tENS8_11use_defaultESE_EEEENSA_INSB_IiSD_SE_SE_EEEEZNS1_13binary_searchIS3_S5_PySG_SI_NS1_16binary_search_opENS9_16wrapped_functionINS8_6system6detail7generic6detail18binary_search_lessEbEEEE10hipError_tPvRmT1_T2_T3_mmT4_T5_P12ihipStream_tbEUlRKyE_EEST_SX_SY_mSZ_S12_bEUlT_E_NS1_11comp_targetILNS1_3genE4ELNS1_11target_archE910ELNS1_3gpuE8ELNS1_3repE0EEENS1_30default_config_static_selectorELNS0_4arch9wavefront6targetE1EEEvSW_
	.globl	_ZN7rocprim17ROCPRIM_400000_NS6detail17trampoline_kernelINS0_14default_configENS1_29binary_search_config_selectorIyiEEZNS1_14transform_implILb0ES3_S5_N6thrust23THRUST_200600_302600_NS6detail15normal_iteratorINS8_7pointerIyNS8_11hip_rocprim5par_tENS8_11use_defaultESE_EEEENSA_INSB_IiSD_SE_SE_EEEEZNS1_13binary_searchIS3_S5_PySG_SI_NS1_16binary_search_opENS9_16wrapped_functionINS8_6system6detail7generic6detail18binary_search_lessEbEEEE10hipError_tPvRmT1_T2_T3_mmT4_T5_P12ihipStream_tbEUlRKyE_EEST_SX_SY_mSZ_S12_bEUlT_E_NS1_11comp_targetILNS1_3genE4ELNS1_11target_archE910ELNS1_3gpuE8ELNS1_3repE0EEENS1_30default_config_static_selectorELNS0_4arch9wavefront6targetE1EEEvSW_
	.p2align	8
	.type	_ZN7rocprim17ROCPRIM_400000_NS6detail17trampoline_kernelINS0_14default_configENS1_29binary_search_config_selectorIyiEEZNS1_14transform_implILb0ES3_S5_N6thrust23THRUST_200600_302600_NS6detail15normal_iteratorINS8_7pointerIyNS8_11hip_rocprim5par_tENS8_11use_defaultESE_EEEENSA_INSB_IiSD_SE_SE_EEEEZNS1_13binary_searchIS3_S5_PySG_SI_NS1_16binary_search_opENS9_16wrapped_functionINS8_6system6detail7generic6detail18binary_search_lessEbEEEE10hipError_tPvRmT1_T2_T3_mmT4_T5_P12ihipStream_tbEUlRKyE_EEST_SX_SY_mSZ_S12_bEUlT_E_NS1_11comp_targetILNS1_3genE4ELNS1_11target_archE910ELNS1_3gpuE8ELNS1_3repE0EEENS1_30default_config_static_selectorELNS0_4arch9wavefront6targetE1EEEvSW_,@function
_ZN7rocprim17ROCPRIM_400000_NS6detail17trampoline_kernelINS0_14default_configENS1_29binary_search_config_selectorIyiEEZNS1_14transform_implILb0ES3_S5_N6thrust23THRUST_200600_302600_NS6detail15normal_iteratorINS8_7pointerIyNS8_11hip_rocprim5par_tENS8_11use_defaultESE_EEEENSA_INSB_IiSD_SE_SE_EEEEZNS1_13binary_searchIS3_S5_PySG_SI_NS1_16binary_search_opENS9_16wrapped_functionINS8_6system6detail7generic6detail18binary_search_lessEbEEEE10hipError_tPvRmT1_T2_T3_mmT4_T5_P12ihipStream_tbEUlRKyE_EEST_SX_SY_mSZ_S12_bEUlT_E_NS1_11comp_targetILNS1_3genE4ELNS1_11target_archE910ELNS1_3gpuE8ELNS1_3repE0EEENS1_30default_config_static_selectorELNS0_4arch9wavefront6targetE1EEEvSW_: ; @_ZN7rocprim17ROCPRIM_400000_NS6detail17trampoline_kernelINS0_14default_configENS1_29binary_search_config_selectorIyiEEZNS1_14transform_implILb0ES3_S5_N6thrust23THRUST_200600_302600_NS6detail15normal_iteratorINS8_7pointerIyNS8_11hip_rocprim5par_tENS8_11use_defaultESE_EEEENSA_INSB_IiSD_SE_SE_EEEEZNS1_13binary_searchIS3_S5_PySG_SI_NS1_16binary_search_opENS9_16wrapped_functionINS8_6system6detail7generic6detail18binary_search_lessEbEEEE10hipError_tPvRmT1_T2_T3_mmT4_T5_P12ihipStream_tbEUlRKyE_EEST_SX_SY_mSZ_S12_bEUlT_E_NS1_11comp_targetILNS1_3genE4ELNS1_11target_archE910ELNS1_3gpuE8ELNS1_3repE0EEENS1_30default_config_static_selectorELNS0_4arch9wavefront6targetE1EEEvSW_
; %bb.0:
	.section	.rodata,"a",@progbits
	.p2align	6, 0x0
	.amdhsa_kernel _ZN7rocprim17ROCPRIM_400000_NS6detail17trampoline_kernelINS0_14default_configENS1_29binary_search_config_selectorIyiEEZNS1_14transform_implILb0ES3_S5_N6thrust23THRUST_200600_302600_NS6detail15normal_iteratorINS8_7pointerIyNS8_11hip_rocprim5par_tENS8_11use_defaultESE_EEEENSA_INSB_IiSD_SE_SE_EEEEZNS1_13binary_searchIS3_S5_PySG_SI_NS1_16binary_search_opENS9_16wrapped_functionINS8_6system6detail7generic6detail18binary_search_lessEbEEEE10hipError_tPvRmT1_T2_T3_mmT4_T5_P12ihipStream_tbEUlRKyE_EEST_SX_SY_mSZ_S12_bEUlT_E_NS1_11comp_targetILNS1_3genE4ELNS1_11target_archE910ELNS1_3gpuE8ELNS1_3repE0EEENS1_30default_config_static_selectorELNS0_4arch9wavefront6targetE1EEEvSW_
		.amdhsa_group_segment_fixed_size 0
		.amdhsa_private_segment_fixed_size 0
		.amdhsa_kernarg_size 56
		.amdhsa_user_sgpr_count 6
		.amdhsa_user_sgpr_private_segment_buffer 1
		.amdhsa_user_sgpr_dispatch_ptr 0
		.amdhsa_user_sgpr_queue_ptr 0
		.amdhsa_user_sgpr_kernarg_segment_ptr 1
		.amdhsa_user_sgpr_dispatch_id 0
		.amdhsa_user_sgpr_flat_scratch_init 0
		.amdhsa_user_sgpr_private_segment_size 0
		.amdhsa_uses_dynamic_stack 0
		.amdhsa_system_sgpr_private_segment_wavefront_offset 0
		.amdhsa_system_sgpr_workgroup_id_x 1
		.amdhsa_system_sgpr_workgroup_id_y 0
		.amdhsa_system_sgpr_workgroup_id_z 0
		.amdhsa_system_sgpr_workgroup_info 0
		.amdhsa_system_vgpr_workitem_id 0
		.amdhsa_next_free_vgpr 1
		.amdhsa_next_free_sgpr 0
		.amdhsa_reserve_vcc 0
		.amdhsa_reserve_flat_scratch 0
		.amdhsa_float_round_mode_32 0
		.amdhsa_float_round_mode_16_64 0
		.amdhsa_float_denorm_mode_32 3
		.amdhsa_float_denorm_mode_16_64 3
		.amdhsa_dx10_clamp 1
		.amdhsa_ieee_mode 1
		.amdhsa_fp16_overflow 0
		.amdhsa_exception_fp_ieee_invalid_op 0
		.amdhsa_exception_fp_denorm_src 0
		.amdhsa_exception_fp_ieee_div_zero 0
		.amdhsa_exception_fp_ieee_overflow 0
		.amdhsa_exception_fp_ieee_underflow 0
		.amdhsa_exception_fp_ieee_inexact 0
		.amdhsa_exception_int_div_zero 0
	.end_amdhsa_kernel
	.section	.text._ZN7rocprim17ROCPRIM_400000_NS6detail17trampoline_kernelINS0_14default_configENS1_29binary_search_config_selectorIyiEEZNS1_14transform_implILb0ES3_S5_N6thrust23THRUST_200600_302600_NS6detail15normal_iteratorINS8_7pointerIyNS8_11hip_rocprim5par_tENS8_11use_defaultESE_EEEENSA_INSB_IiSD_SE_SE_EEEEZNS1_13binary_searchIS3_S5_PySG_SI_NS1_16binary_search_opENS9_16wrapped_functionINS8_6system6detail7generic6detail18binary_search_lessEbEEEE10hipError_tPvRmT1_T2_T3_mmT4_T5_P12ihipStream_tbEUlRKyE_EEST_SX_SY_mSZ_S12_bEUlT_E_NS1_11comp_targetILNS1_3genE4ELNS1_11target_archE910ELNS1_3gpuE8ELNS1_3repE0EEENS1_30default_config_static_selectorELNS0_4arch9wavefront6targetE1EEEvSW_,"axG",@progbits,_ZN7rocprim17ROCPRIM_400000_NS6detail17trampoline_kernelINS0_14default_configENS1_29binary_search_config_selectorIyiEEZNS1_14transform_implILb0ES3_S5_N6thrust23THRUST_200600_302600_NS6detail15normal_iteratorINS8_7pointerIyNS8_11hip_rocprim5par_tENS8_11use_defaultESE_EEEENSA_INSB_IiSD_SE_SE_EEEEZNS1_13binary_searchIS3_S5_PySG_SI_NS1_16binary_search_opENS9_16wrapped_functionINS8_6system6detail7generic6detail18binary_search_lessEbEEEE10hipError_tPvRmT1_T2_T3_mmT4_T5_P12ihipStream_tbEUlRKyE_EEST_SX_SY_mSZ_S12_bEUlT_E_NS1_11comp_targetILNS1_3genE4ELNS1_11target_archE910ELNS1_3gpuE8ELNS1_3repE0EEENS1_30default_config_static_selectorELNS0_4arch9wavefront6targetE1EEEvSW_,comdat
.Lfunc_end265:
	.size	_ZN7rocprim17ROCPRIM_400000_NS6detail17trampoline_kernelINS0_14default_configENS1_29binary_search_config_selectorIyiEEZNS1_14transform_implILb0ES3_S5_N6thrust23THRUST_200600_302600_NS6detail15normal_iteratorINS8_7pointerIyNS8_11hip_rocprim5par_tENS8_11use_defaultESE_EEEENSA_INSB_IiSD_SE_SE_EEEEZNS1_13binary_searchIS3_S5_PySG_SI_NS1_16binary_search_opENS9_16wrapped_functionINS8_6system6detail7generic6detail18binary_search_lessEbEEEE10hipError_tPvRmT1_T2_T3_mmT4_T5_P12ihipStream_tbEUlRKyE_EEST_SX_SY_mSZ_S12_bEUlT_E_NS1_11comp_targetILNS1_3genE4ELNS1_11target_archE910ELNS1_3gpuE8ELNS1_3repE0EEENS1_30default_config_static_selectorELNS0_4arch9wavefront6targetE1EEEvSW_, .Lfunc_end265-_ZN7rocprim17ROCPRIM_400000_NS6detail17trampoline_kernelINS0_14default_configENS1_29binary_search_config_selectorIyiEEZNS1_14transform_implILb0ES3_S5_N6thrust23THRUST_200600_302600_NS6detail15normal_iteratorINS8_7pointerIyNS8_11hip_rocprim5par_tENS8_11use_defaultESE_EEEENSA_INSB_IiSD_SE_SE_EEEEZNS1_13binary_searchIS3_S5_PySG_SI_NS1_16binary_search_opENS9_16wrapped_functionINS8_6system6detail7generic6detail18binary_search_lessEbEEEE10hipError_tPvRmT1_T2_T3_mmT4_T5_P12ihipStream_tbEUlRKyE_EEST_SX_SY_mSZ_S12_bEUlT_E_NS1_11comp_targetILNS1_3genE4ELNS1_11target_archE910ELNS1_3gpuE8ELNS1_3repE0EEENS1_30default_config_static_selectorELNS0_4arch9wavefront6targetE1EEEvSW_
                                        ; -- End function
	.set _ZN7rocprim17ROCPRIM_400000_NS6detail17trampoline_kernelINS0_14default_configENS1_29binary_search_config_selectorIyiEEZNS1_14transform_implILb0ES3_S5_N6thrust23THRUST_200600_302600_NS6detail15normal_iteratorINS8_7pointerIyNS8_11hip_rocprim5par_tENS8_11use_defaultESE_EEEENSA_INSB_IiSD_SE_SE_EEEEZNS1_13binary_searchIS3_S5_PySG_SI_NS1_16binary_search_opENS9_16wrapped_functionINS8_6system6detail7generic6detail18binary_search_lessEbEEEE10hipError_tPvRmT1_T2_T3_mmT4_T5_P12ihipStream_tbEUlRKyE_EEST_SX_SY_mSZ_S12_bEUlT_E_NS1_11comp_targetILNS1_3genE4ELNS1_11target_archE910ELNS1_3gpuE8ELNS1_3repE0EEENS1_30default_config_static_selectorELNS0_4arch9wavefront6targetE1EEEvSW_.num_vgpr, 0
	.set _ZN7rocprim17ROCPRIM_400000_NS6detail17trampoline_kernelINS0_14default_configENS1_29binary_search_config_selectorIyiEEZNS1_14transform_implILb0ES3_S5_N6thrust23THRUST_200600_302600_NS6detail15normal_iteratorINS8_7pointerIyNS8_11hip_rocprim5par_tENS8_11use_defaultESE_EEEENSA_INSB_IiSD_SE_SE_EEEEZNS1_13binary_searchIS3_S5_PySG_SI_NS1_16binary_search_opENS9_16wrapped_functionINS8_6system6detail7generic6detail18binary_search_lessEbEEEE10hipError_tPvRmT1_T2_T3_mmT4_T5_P12ihipStream_tbEUlRKyE_EEST_SX_SY_mSZ_S12_bEUlT_E_NS1_11comp_targetILNS1_3genE4ELNS1_11target_archE910ELNS1_3gpuE8ELNS1_3repE0EEENS1_30default_config_static_selectorELNS0_4arch9wavefront6targetE1EEEvSW_.num_agpr, 0
	.set _ZN7rocprim17ROCPRIM_400000_NS6detail17trampoline_kernelINS0_14default_configENS1_29binary_search_config_selectorIyiEEZNS1_14transform_implILb0ES3_S5_N6thrust23THRUST_200600_302600_NS6detail15normal_iteratorINS8_7pointerIyNS8_11hip_rocprim5par_tENS8_11use_defaultESE_EEEENSA_INSB_IiSD_SE_SE_EEEEZNS1_13binary_searchIS3_S5_PySG_SI_NS1_16binary_search_opENS9_16wrapped_functionINS8_6system6detail7generic6detail18binary_search_lessEbEEEE10hipError_tPvRmT1_T2_T3_mmT4_T5_P12ihipStream_tbEUlRKyE_EEST_SX_SY_mSZ_S12_bEUlT_E_NS1_11comp_targetILNS1_3genE4ELNS1_11target_archE910ELNS1_3gpuE8ELNS1_3repE0EEENS1_30default_config_static_selectorELNS0_4arch9wavefront6targetE1EEEvSW_.numbered_sgpr, 0
	.set _ZN7rocprim17ROCPRIM_400000_NS6detail17trampoline_kernelINS0_14default_configENS1_29binary_search_config_selectorIyiEEZNS1_14transform_implILb0ES3_S5_N6thrust23THRUST_200600_302600_NS6detail15normal_iteratorINS8_7pointerIyNS8_11hip_rocprim5par_tENS8_11use_defaultESE_EEEENSA_INSB_IiSD_SE_SE_EEEEZNS1_13binary_searchIS3_S5_PySG_SI_NS1_16binary_search_opENS9_16wrapped_functionINS8_6system6detail7generic6detail18binary_search_lessEbEEEE10hipError_tPvRmT1_T2_T3_mmT4_T5_P12ihipStream_tbEUlRKyE_EEST_SX_SY_mSZ_S12_bEUlT_E_NS1_11comp_targetILNS1_3genE4ELNS1_11target_archE910ELNS1_3gpuE8ELNS1_3repE0EEENS1_30default_config_static_selectorELNS0_4arch9wavefront6targetE1EEEvSW_.num_named_barrier, 0
	.set _ZN7rocprim17ROCPRIM_400000_NS6detail17trampoline_kernelINS0_14default_configENS1_29binary_search_config_selectorIyiEEZNS1_14transform_implILb0ES3_S5_N6thrust23THRUST_200600_302600_NS6detail15normal_iteratorINS8_7pointerIyNS8_11hip_rocprim5par_tENS8_11use_defaultESE_EEEENSA_INSB_IiSD_SE_SE_EEEEZNS1_13binary_searchIS3_S5_PySG_SI_NS1_16binary_search_opENS9_16wrapped_functionINS8_6system6detail7generic6detail18binary_search_lessEbEEEE10hipError_tPvRmT1_T2_T3_mmT4_T5_P12ihipStream_tbEUlRKyE_EEST_SX_SY_mSZ_S12_bEUlT_E_NS1_11comp_targetILNS1_3genE4ELNS1_11target_archE910ELNS1_3gpuE8ELNS1_3repE0EEENS1_30default_config_static_selectorELNS0_4arch9wavefront6targetE1EEEvSW_.private_seg_size, 0
	.set _ZN7rocprim17ROCPRIM_400000_NS6detail17trampoline_kernelINS0_14default_configENS1_29binary_search_config_selectorIyiEEZNS1_14transform_implILb0ES3_S5_N6thrust23THRUST_200600_302600_NS6detail15normal_iteratorINS8_7pointerIyNS8_11hip_rocprim5par_tENS8_11use_defaultESE_EEEENSA_INSB_IiSD_SE_SE_EEEEZNS1_13binary_searchIS3_S5_PySG_SI_NS1_16binary_search_opENS9_16wrapped_functionINS8_6system6detail7generic6detail18binary_search_lessEbEEEE10hipError_tPvRmT1_T2_T3_mmT4_T5_P12ihipStream_tbEUlRKyE_EEST_SX_SY_mSZ_S12_bEUlT_E_NS1_11comp_targetILNS1_3genE4ELNS1_11target_archE910ELNS1_3gpuE8ELNS1_3repE0EEENS1_30default_config_static_selectorELNS0_4arch9wavefront6targetE1EEEvSW_.uses_vcc, 0
	.set _ZN7rocprim17ROCPRIM_400000_NS6detail17trampoline_kernelINS0_14default_configENS1_29binary_search_config_selectorIyiEEZNS1_14transform_implILb0ES3_S5_N6thrust23THRUST_200600_302600_NS6detail15normal_iteratorINS8_7pointerIyNS8_11hip_rocprim5par_tENS8_11use_defaultESE_EEEENSA_INSB_IiSD_SE_SE_EEEEZNS1_13binary_searchIS3_S5_PySG_SI_NS1_16binary_search_opENS9_16wrapped_functionINS8_6system6detail7generic6detail18binary_search_lessEbEEEE10hipError_tPvRmT1_T2_T3_mmT4_T5_P12ihipStream_tbEUlRKyE_EEST_SX_SY_mSZ_S12_bEUlT_E_NS1_11comp_targetILNS1_3genE4ELNS1_11target_archE910ELNS1_3gpuE8ELNS1_3repE0EEENS1_30default_config_static_selectorELNS0_4arch9wavefront6targetE1EEEvSW_.uses_flat_scratch, 0
	.set _ZN7rocprim17ROCPRIM_400000_NS6detail17trampoline_kernelINS0_14default_configENS1_29binary_search_config_selectorIyiEEZNS1_14transform_implILb0ES3_S5_N6thrust23THRUST_200600_302600_NS6detail15normal_iteratorINS8_7pointerIyNS8_11hip_rocprim5par_tENS8_11use_defaultESE_EEEENSA_INSB_IiSD_SE_SE_EEEEZNS1_13binary_searchIS3_S5_PySG_SI_NS1_16binary_search_opENS9_16wrapped_functionINS8_6system6detail7generic6detail18binary_search_lessEbEEEE10hipError_tPvRmT1_T2_T3_mmT4_T5_P12ihipStream_tbEUlRKyE_EEST_SX_SY_mSZ_S12_bEUlT_E_NS1_11comp_targetILNS1_3genE4ELNS1_11target_archE910ELNS1_3gpuE8ELNS1_3repE0EEENS1_30default_config_static_selectorELNS0_4arch9wavefront6targetE1EEEvSW_.has_dyn_sized_stack, 0
	.set _ZN7rocprim17ROCPRIM_400000_NS6detail17trampoline_kernelINS0_14default_configENS1_29binary_search_config_selectorIyiEEZNS1_14transform_implILb0ES3_S5_N6thrust23THRUST_200600_302600_NS6detail15normal_iteratorINS8_7pointerIyNS8_11hip_rocprim5par_tENS8_11use_defaultESE_EEEENSA_INSB_IiSD_SE_SE_EEEEZNS1_13binary_searchIS3_S5_PySG_SI_NS1_16binary_search_opENS9_16wrapped_functionINS8_6system6detail7generic6detail18binary_search_lessEbEEEE10hipError_tPvRmT1_T2_T3_mmT4_T5_P12ihipStream_tbEUlRKyE_EEST_SX_SY_mSZ_S12_bEUlT_E_NS1_11comp_targetILNS1_3genE4ELNS1_11target_archE910ELNS1_3gpuE8ELNS1_3repE0EEENS1_30default_config_static_selectorELNS0_4arch9wavefront6targetE1EEEvSW_.has_recursion, 0
	.set _ZN7rocprim17ROCPRIM_400000_NS6detail17trampoline_kernelINS0_14default_configENS1_29binary_search_config_selectorIyiEEZNS1_14transform_implILb0ES3_S5_N6thrust23THRUST_200600_302600_NS6detail15normal_iteratorINS8_7pointerIyNS8_11hip_rocprim5par_tENS8_11use_defaultESE_EEEENSA_INSB_IiSD_SE_SE_EEEEZNS1_13binary_searchIS3_S5_PySG_SI_NS1_16binary_search_opENS9_16wrapped_functionINS8_6system6detail7generic6detail18binary_search_lessEbEEEE10hipError_tPvRmT1_T2_T3_mmT4_T5_P12ihipStream_tbEUlRKyE_EEST_SX_SY_mSZ_S12_bEUlT_E_NS1_11comp_targetILNS1_3genE4ELNS1_11target_archE910ELNS1_3gpuE8ELNS1_3repE0EEENS1_30default_config_static_selectorELNS0_4arch9wavefront6targetE1EEEvSW_.has_indirect_call, 0
	.section	.AMDGPU.csdata,"",@progbits
; Kernel info:
; codeLenInByte = 0
; TotalNumSgprs: 4
; NumVgprs: 0
; ScratchSize: 0
; MemoryBound: 0
; FloatMode: 240
; IeeeMode: 1
; LDSByteSize: 0 bytes/workgroup (compile time only)
; SGPRBlocks: 0
; VGPRBlocks: 0
; NumSGPRsForWavesPerEU: 4
; NumVGPRsForWavesPerEU: 1
; Occupancy: 10
; WaveLimiterHint : 0
; COMPUTE_PGM_RSRC2:SCRATCH_EN: 0
; COMPUTE_PGM_RSRC2:USER_SGPR: 6
; COMPUTE_PGM_RSRC2:TRAP_HANDLER: 0
; COMPUTE_PGM_RSRC2:TGID_X_EN: 1
; COMPUTE_PGM_RSRC2:TGID_Y_EN: 0
; COMPUTE_PGM_RSRC2:TGID_Z_EN: 0
; COMPUTE_PGM_RSRC2:TIDIG_COMP_CNT: 0
	.section	.text._ZN7rocprim17ROCPRIM_400000_NS6detail17trampoline_kernelINS0_14default_configENS1_29binary_search_config_selectorIyiEEZNS1_14transform_implILb0ES3_S5_N6thrust23THRUST_200600_302600_NS6detail15normal_iteratorINS8_7pointerIyNS8_11hip_rocprim5par_tENS8_11use_defaultESE_EEEENSA_INSB_IiSD_SE_SE_EEEEZNS1_13binary_searchIS3_S5_PySG_SI_NS1_16binary_search_opENS9_16wrapped_functionINS8_6system6detail7generic6detail18binary_search_lessEbEEEE10hipError_tPvRmT1_T2_T3_mmT4_T5_P12ihipStream_tbEUlRKyE_EEST_SX_SY_mSZ_S12_bEUlT_E_NS1_11comp_targetILNS1_3genE3ELNS1_11target_archE908ELNS1_3gpuE7ELNS1_3repE0EEENS1_30default_config_static_selectorELNS0_4arch9wavefront6targetE1EEEvSW_,"axG",@progbits,_ZN7rocprim17ROCPRIM_400000_NS6detail17trampoline_kernelINS0_14default_configENS1_29binary_search_config_selectorIyiEEZNS1_14transform_implILb0ES3_S5_N6thrust23THRUST_200600_302600_NS6detail15normal_iteratorINS8_7pointerIyNS8_11hip_rocprim5par_tENS8_11use_defaultESE_EEEENSA_INSB_IiSD_SE_SE_EEEEZNS1_13binary_searchIS3_S5_PySG_SI_NS1_16binary_search_opENS9_16wrapped_functionINS8_6system6detail7generic6detail18binary_search_lessEbEEEE10hipError_tPvRmT1_T2_T3_mmT4_T5_P12ihipStream_tbEUlRKyE_EEST_SX_SY_mSZ_S12_bEUlT_E_NS1_11comp_targetILNS1_3genE3ELNS1_11target_archE908ELNS1_3gpuE7ELNS1_3repE0EEENS1_30default_config_static_selectorELNS0_4arch9wavefront6targetE1EEEvSW_,comdat
	.protected	_ZN7rocprim17ROCPRIM_400000_NS6detail17trampoline_kernelINS0_14default_configENS1_29binary_search_config_selectorIyiEEZNS1_14transform_implILb0ES3_S5_N6thrust23THRUST_200600_302600_NS6detail15normal_iteratorINS8_7pointerIyNS8_11hip_rocprim5par_tENS8_11use_defaultESE_EEEENSA_INSB_IiSD_SE_SE_EEEEZNS1_13binary_searchIS3_S5_PySG_SI_NS1_16binary_search_opENS9_16wrapped_functionINS8_6system6detail7generic6detail18binary_search_lessEbEEEE10hipError_tPvRmT1_T2_T3_mmT4_T5_P12ihipStream_tbEUlRKyE_EEST_SX_SY_mSZ_S12_bEUlT_E_NS1_11comp_targetILNS1_3genE3ELNS1_11target_archE908ELNS1_3gpuE7ELNS1_3repE0EEENS1_30default_config_static_selectorELNS0_4arch9wavefront6targetE1EEEvSW_ ; -- Begin function _ZN7rocprim17ROCPRIM_400000_NS6detail17trampoline_kernelINS0_14default_configENS1_29binary_search_config_selectorIyiEEZNS1_14transform_implILb0ES3_S5_N6thrust23THRUST_200600_302600_NS6detail15normal_iteratorINS8_7pointerIyNS8_11hip_rocprim5par_tENS8_11use_defaultESE_EEEENSA_INSB_IiSD_SE_SE_EEEEZNS1_13binary_searchIS3_S5_PySG_SI_NS1_16binary_search_opENS9_16wrapped_functionINS8_6system6detail7generic6detail18binary_search_lessEbEEEE10hipError_tPvRmT1_T2_T3_mmT4_T5_P12ihipStream_tbEUlRKyE_EEST_SX_SY_mSZ_S12_bEUlT_E_NS1_11comp_targetILNS1_3genE3ELNS1_11target_archE908ELNS1_3gpuE7ELNS1_3repE0EEENS1_30default_config_static_selectorELNS0_4arch9wavefront6targetE1EEEvSW_
	.globl	_ZN7rocprim17ROCPRIM_400000_NS6detail17trampoline_kernelINS0_14default_configENS1_29binary_search_config_selectorIyiEEZNS1_14transform_implILb0ES3_S5_N6thrust23THRUST_200600_302600_NS6detail15normal_iteratorINS8_7pointerIyNS8_11hip_rocprim5par_tENS8_11use_defaultESE_EEEENSA_INSB_IiSD_SE_SE_EEEEZNS1_13binary_searchIS3_S5_PySG_SI_NS1_16binary_search_opENS9_16wrapped_functionINS8_6system6detail7generic6detail18binary_search_lessEbEEEE10hipError_tPvRmT1_T2_T3_mmT4_T5_P12ihipStream_tbEUlRKyE_EEST_SX_SY_mSZ_S12_bEUlT_E_NS1_11comp_targetILNS1_3genE3ELNS1_11target_archE908ELNS1_3gpuE7ELNS1_3repE0EEENS1_30default_config_static_selectorELNS0_4arch9wavefront6targetE1EEEvSW_
	.p2align	8
	.type	_ZN7rocprim17ROCPRIM_400000_NS6detail17trampoline_kernelINS0_14default_configENS1_29binary_search_config_selectorIyiEEZNS1_14transform_implILb0ES3_S5_N6thrust23THRUST_200600_302600_NS6detail15normal_iteratorINS8_7pointerIyNS8_11hip_rocprim5par_tENS8_11use_defaultESE_EEEENSA_INSB_IiSD_SE_SE_EEEEZNS1_13binary_searchIS3_S5_PySG_SI_NS1_16binary_search_opENS9_16wrapped_functionINS8_6system6detail7generic6detail18binary_search_lessEbEEEE10hipError_tPvRmT1_T2_T3_mmT4_T5_P12ihipStream_tbEUlRKyE_EEST_SX_SY_mSZ_S12_bEUlT_E_NS1_11comp_targetILNS1_3genE3ELNS1_11target_archE908ELNS1_3gpuE7ELNS1_3repE0EEENS1_30default_config_static_selectorELNS0_4arch9wavefront6targetE1EEEvSW_,@function
_ZN7rocprim17ROCPRIM_400000_NS6detail17trampoline_kernelINS0_14default_configENS1_29binary_search_config_selectorIyiEEZNS1_14transform_implILb0ES3_S5_N6thrust23THRUST_200600_302600_NS6detail15normal_iteratorINS8_7pointerIyNS8_11hip_rocprim5par_tENS8_11use_defaultESE_EEEENSA_INSB_IiSD_SE_SE_EEEEZNS1_13binary_searchIS3_S5_PySG_SI_NS1_16binary_search_opENS9_16wrapped_functionINS8_6system6detail7generic6detail18binary_search_lessEbEEEE10hipError_tPvRmT1_T2_T3_mmT4_T5_P12ihipStream_tbEUlRKyE_EEST_SX_SY_mSZ_S12_bEUlT_E_NS1_11comp_targetILNS1_3genE3ELNS1_11target_archE908ELNS1_3gpuE7ELNS1_3repE0EEENS1_30default_config_static_selectorELNS0_4arch9wavefront6targetE1EEEvSW_: ; @_ZN7rocprim17ROCPRIM_400000_NS6detail17trampoline_kernelINS0_14default_configENS1_29binary_search_config_selectorIyiEEZNS1_14transform_implILb0ES3_S5_N6thrust23THRUST_200600_302600_NS6detail15normal_iteratorINS8_7pointerIyNS8_11hip_rocprim5par_tENS8_11use_defaultESE_EEEENSA_INSB_IiSD_SE_SE_EEEEZNS1_13binary_searchIS3_S5_PySG_SI_NS1_16binary_search_opENS9_16wrapped_functionINS8_6system6detail7generic6detail18binary_search_lessEbEEEE10hipError_tPvRmT1_T2_T3_mmT4_T5_P12ihipStream_tbEUlRKyE_EEST_SX_SY_mSZ_S12_bEUlT_E_NS1_11comp_targetILNS1_3genE3ELNS1_11target_archE908ELNS1_3gpuE7ELNS1_3repE0EEENS1_30default_config_static_selectorELNS0_4arch9wavefront6targetE1EEEvSW_
; %bb.0:
	.section	.rodata,"a",@progbits
	.p2align	6, 0x0
	.amdhsa_kernel _ZN7rocprim17ROCPRIM_400000_NS6detail17trampoline_kernelINS0_14default_configENS1_29binary_search_config_selectorIyiEEZNS1_14transform_implILb0ES3_S5_N6thrust23THRUST_200600_302600_NS6detail15normal_iteratorINS8_7pointerIyNS8_11hip_rocprim5par_tENS8_11use_defaultESE_EEEENSA_INSB_IiSD_SE_SE_EEEEZNS1_13binary_searchIS3_S5_PySG_SI_NS1_16binary_search_opENS9_16wrapped_functionINS8_6system6detail7generic6detail18binary_search_lessEbEEEE10hipError_tPvRmT1_T2_T3_mmT4_T5_P12ihipStream_tbEUlRKyE_EEST_SX_SY_mSZ_S12_bEUlT_E_NS1_11comp_targetILNS1_3genE3ELNS1_11target_archE908ELNS1_3gpuE7ELNS1_3repE0EEENS1_30default_config_static_selectorELNS0_4arch9wavefront6targetE1EEEvSW_
		.amdhsa_group_segment_fixed_size 0
		.amdhsa_private_segment_fixed_size 0
		.amdhsa_kernarg_size 56
		.amdhsa_user_sgpr_count 6
		.amdhsa_user_sgpr_private_segment_buffer 1
		.amdhsa_user_sgpr_dispatch_ptr 0
		.amdhsa_user_sgpr_queue_ptr 0
		.amdhsa_user_sgpr_kernarg_segment_ptr 1
		.amdhsa_user_sgpr_dispatch_id 0
		.amdhsa_user_sgpr_flat_scratch_init 0
		.amdhsa_user_sgpr_private_segment_size 0
		.amdhsa_uses_dynamic_stack 0
		.amdhsa_system_sgpr_private_segment_wavefront_offset 0
		.amdhsa_system_sgpr_workgroup_id_x 1
		.amdhsa_system_sgpr_workgroup_id_y 0
		.amdhsa_system_sgpr_workgroup_id_z 0
		.amdhsa_system_sgpr_workgroup_info 0
		.amdhsa_system_vgpr_workitem_id 0
		.amdhsa_next_free_vgpr 1
		.amdhsa_next_free_sgpr 0
		.amdhsa_reserve_vcc 0
		.amdhsa_reserve_flat_scratch 0
		.amdhsa_float_round_mode_32 0
		.amdhsa_float_round_mode_16_64 0
		.amdhsa_float_denorm_mode_32 3
		.amdhsa_float_denorm_mode_16_64 3
		.amdhsa_dx10_clamp 1
		.amdhsa_ieee_mode 1
		.amdhsa_fp16_overflow 0
		.amdhsa_exception_fp_ieee_invalid_op 0
		.amdhsa_exception_fp_denorm_src 0
		.amdhsa_exception_fp_ieee_div_zero 0
		.amdhsa_exception_fp_ieee_overflow 0
		.amdhsa_exception_fp_ieee_underflow 0
		.amdhsa_exception_fp_ieee_inexact 0
		.amdhsa_exception_int_div_zero 0
	.end_amdhsa_kernel
	.section	.text._ZN7rocprim17ROCPRIM_400000_NS6detail17trampoline_kernelINS0_14default_configENS1_29binary_search_config_selectorIyiEEZNS1_14transform_implILb0ES3_S5_N6thrust23THRUST_200600_302600_NS6detail15normal_iteratorINS8_7pointerIyNS8_11hip_rocprim5par_tENS8_11use_defaultESE_EEEENSA_INSB_IiSD_SE_SE_EEEEZNS1_13binary_searchIS3_S5_PySG_SI_NS1_16binary_search_opENS9_16wrapped_functionINS8_6system6detail7generic6detail18binary_search_lessEbEEEE10hipError_tPvRmT1_T2_T3_mmT4_T5_P12ihipStream_tbEUlRKyE_EEST_SX_SY_mSZ_S12_bEUlT_E_NS1_11comp_targetILNS1_3genE3ELNS1_11target_archE908ELNS1_3gpuE7ELNS1_3repE0EEENS1_30default_config_static_selectorELNS0_4arch9wavefront6targetE1EEEvSW_,"axG",@progbits,_ZN7rocprim17ROCPRIM_400000_NS6detail17trampoline_kernelINS0_14default_configENS1_29binary_search_config_selectorIyiEEZNS1_14transform_implILb0ES3_S5_N6thrust23THRUST_200600_302600_NS6detail15normal_iteratorINS8_7pointerIyNS8_11hip_rocprim5par_tENS8_11use_defaultESE_EEEENSA_INSB_IiSD_SE_SE_EEEEZNS1_13binary_searchIS3_S5_PySG_SI_NS1_16binary_search_opENS9_16wrapped_functionINS8_6system6detail7generic6detail18binary_search_lessEbEEEE10hipError_tPvRmT1_T2_T3_mmT4_T5_P12ihipStream_tbEUlRKyE_EEST_SX_SY_mSZ_S12_bEUlT_E_NS1_11comp_targetILNS1_3genE3ELNS1_11target_archE908ELNS1_3gpuE7ELNS1_3repE0EEENS1_30default_config_static_selectorELNS0_4arch9wavefront6targetE1EEEvSW_,comdat
.Lfunc_end266:
	.size	_ZN7rocprim17ROCPRIM_400000_NS6detail17trampoline_kernelINS0_14default_configENS1_29binary_search_config_selectorIyiEEZNS1_14transform_implILb0ES3_S5_N6thrust23THRUST_200600_302600_NS6detail15normal_iteratorINS8_7pointerIyNS8_11hip_rocprim5par_tENS8_11use_defaultESE_EEEENSA_INSB_IiSD_SE_SE_EEEEZNS1_13binary_searchIS3_S5_PySG_SI_NS1_16binary_search_opENS9_16wrapped_functionINS8_6system6detail7generic6detail18binary_search_lessEbEEEE10hipError_tPvRmT1_T2_T3_mmT4_T5_P12ihipStream_tbEUlRKyE_EEST_SX_SY_mSZ_S12_bEUlT_E_NS1_11comp_targetILNS1_3genE3ELNS1_11target_archE908ELNS1_3gpuE7ELNS1_3repE0EEENS1_30default_config_static_selectorELNS0_4arch9wavefront6targetE1EEEvSW_, .Lfunc_end266-_ZN7rocprim17ROCPRIM_400000_NS6detail17trampoline_kernelINS0_14default_configENS1_29binary_search_config_selectorIyiEEZNS1_14transform_implILb0ES3_S5_N6thrust23THRUST_200600_302600_NS6detail15normal_iteratorINS8_7pointerIyNS8_11hip_rocprim5par_tENS8_11use_defaultESE_EEEENSA_INSB_IiSD_SE_SE_EEEEZNS1_13binary_searchIS3_S5_PySG_SI_NS1_16binary_search_opENS9_16wrapped_functionINS8_6system6detail7generic6detail18binary_search_lessEbEEEE10hipError_tPvRmT1_T2_T3_mmT4_T5_P12ihipStream_tbEUlRKyE_EEST_SX_SY_mSZ_S12_bEUlT_E_NS1_11comp_targetILNS1_3genE3ELNS1_11target_archE908ELNS1_3gpuE7ELNS1_3repE0EEENS1_30default_config_static_selectorELNS0_4arch9wavefront6targetE1EEEvSW_
                                        ; -- End function
	.set _ZN7rocprim17ROCPRIM_400000_NS6detail17trampoline_kernelINS0_14default_configENS1_29binary_search_config_selectorIyiEEZNS1_14transform_implILb0ES3_S5_N6thrust23THRUST_200600_302600_NS6detail15normal_iteratorINS8_7pointerIyNS8_11hip_rocprim5par_tENS8_11use_defaultESE_EEEENSA_INSB_IiSD_SE_SE_EEEEZNS1_13binary_searchIS3_S5_PySG_SI_NS1_16binary_search_opENS9_16wrapped_functionINS8_6system6detail7generic6detail18binary_search_lessEbEEEE10hipError_tPvRmT1_T2_T3_mmT4_T5_P12ihipStream_tbEUlRKyE_EEST_SX_SY_mSZ_S12_bEUlT_E_NS1_11comp_targetILNS1_3genE3ELNS1_11target_archE908ELNS1_3gpuE7ELNS1_3repE0EEENS1_30default_config_static_selectorELNS0_4arch9wavefront6targetE1EEEvSW_.num_vgpr, 0
	.set _ZN7rocprim17ROCPRIM_400000_NS6detail17trampoline_kernelINS0_14default_configENS1_29binary_search_config_selectorIyiEEZNS1_14transform_implILb0ES3_S5_N6thrust23THRUST_200600_302600_NS6detail15normal_iteratorINS8_7pointerIyNS8_11hip_rocprim5par_tENS8_11use_defaultESE_EEEENSA_INSB_IiSD_SE_SE_EEEEZNS1_13binary_searchIS3_S5_PySG_SI_NS1_16binary_search_opENS9_16wrapped_functionINS8_6system6detail7generic6detail18binary_search_lessEbEEEE10hipError_tPvRmT1_T2_T3_mmT4_T5_P12ihipStream_tbEUlRKyE_EEST_SX_SY_mSZ_S12_bEUlT_E_NS1_11comp_targetILNS1_3genE3ELNS1_11target_archE908ELNS1_3gpuE7ELNS1_3repE0EEENS1_30default_config_static_selectorELNS0_4arch9wavefront6targetE1EEEvSW_.num_agpr, 0
	.set _ZN7rocprim17ROCPRIM_400000_NS6detail17trampoline_kernelINS0_14default_configENS1_29binary_search_config_selectorIyiEEZNS1_14transform_implILb0ES3_S5_N6thrust23THRUST_200600_302600_NS6detail15normal_iteratorINS8_7pointerIyNS8_11hip_rocprim5par_tENS8_11use_defaultESE_EEEENSA_INSB_IiSD_SE_SE_EEEEZNS1_13binary_searchIS3_S5_PySG_SI_NS1_16binary_search_opENS9_16wrapped_functionINS8_6system6detail7generic6detail18binary_search_lessEbEEEE10hipError_tPvRmT1_T2_T3_mmT4_T5_P12ihipStream_tbEUlRKyE_EEST_SX_SY_mSZ_S12_bEUlT_E_NS1_11comp_targetILNS1_3genE3ELNS1_11target_archE908ELNS1_3gpuE7ELNS1_3repE0EEENS1_30default_config_static_selectorELNS0_4arch9wavefront6targetE1EEEvSW_.numbered_sgpr, 0
	.set _ZN7rocprim17ROCPRIM_400000_NS6detail17trampoline_kernelINS0_14default_configENS1_29binary_search_config_selectorIyiEEZNS1_14transform_implILb0ES3_S5_N6thrust23THRUST_200600_302600_NS6detail15normal_iteratorINS8_7pointerIyNS8_11hip_rocprim5par_tENS8_11use_defaultESE_EEEENSA_INSB_IiSD_SE_SE_EEEEZNS1_13binary_searchIS3_S5_PySG_SI_NS1_16binary_search_opENS9_16wrapped_functionINS8_6system6detail7generic6detail18binary_search_lessEbEEEE10hipError_tPvRmT1_T2_T3_mmT4_T5_P12ihipStream_tbEUlRKyE_EEST_SX_SY_mSZ_S12_bEUlT_E_NS1_11comp_targetILNS1_3genE3ELNS1_11target_archE908ELNS1_3gpuE7ELNS1_3repE0EEENS1_30default_config_static_selectorELNS0_4arch9wavefront6targetE1EEEvSW_.num_named_barrier, 0
	.set _ZN7rocprim17ROCPRIM_400000_NS6detail17trampoline_kernelINS0_14default_configENS1_29binary_search_config_selectorIyiEEZNS1_14transform_implILb0ES3_S5_N6thrust23THRUST_200600_302600_NS6detail15normal_iteratorINS8_7pointerIyNS8_11hip_rocprim5par_tENS8_11use_defaultESE_EEEENSA_INSB_IiSD_SE_SE_EEEEZNS1_13binary_searchIS3_S5_PySG_SI_NS1_16binary_search_opENS9_16wrapped_functionINS8_6system6detail7generic6detail18binary_search_lessEbEEEE10hipError_tPvRmT1_T2_T3_mmT4_T5_P12ihipStream_tbEUlRKyE_EEST_SX_SY_mSZ_S12_bEUlT_E_NS1_11comp_targetILNS1_3genE3ELNS1_11target_archE908ELNS1_3gpuE7ELNS1_3repE0EEENS1_30default_config_static_selectorELNS0_4arch9wavefront6targetE1EEEvSW_.private_seg_size, 0
	.set _ZN7rocprim17ROCPRIM_400000_NS6detail17trampoline_kernelINS0_14default_configENS1_29binary_search_config_selectorIyiEEZNS1_14transform_implILb0ES3_S5_N6thrust23THRUST_200600_302600_NS6detail15normal_iteratorINS8_7pointerIyNS8_11hip_rocprim5par_tENS8_11use_defaultESE_EEEENSA_INSB_IiSD_SE_SE_EEEEZNS1_13binary_searchIS3_S5_PySG_SI_NS1_16binary_search_opENS9_16wrapped_functionINS8_6system6detail7generic6detail18binary_search_lessEbEEEE10hipError_tPvRmT1_T2_T3_mmT4_T5_P12ihipStream_tbEUlRKyE_EEST_SX_SY_mSZ_S12_bEUlT_E_NS1_11comp_targetILNS1_3genE3ELNS1_11target_archE908ELNS1_3gpuE7ELNS1_3repE0EEENS1_30default_config_static_selectorELNS0_4arch9wavefront6targetE1EEEvSW_.uses_vcc, 0
	.set _ZN7rocprim17ROCPRIM_400000_NS6detail17trampoline_kernelINS0_14default_configENS1_29binary_search_config_selectorIyiEEZNS1_14transform_implILb0ES3_S5_N6thrust23THRUST_200600_302600_NS6detail15normal_iteratorINS8_7pointerIyNS8_11hip_rocprim5par_tENS8_11use_defaultESE_EEEENSA_INSB_IiSD_SE_SE_EEEEZNS1_13binary_searchIS3_S5_PySG_SI_NS1_16binary_search_opENS9_16wrapped_functionINS8_6system6detail7generic6detail18binary_search_lessEbEEEE10hipError_tPvRmT1_T2_T3_mmT4_T5_P12ihipStream_tbEUlRKyE_EEST_SX_SY_mSZ_S12_bEUlT_E_NS1_11comp_targetILNS1_3genE3ELNS1_11target_archE908ELNS1_3gpuE7ELNS1_3repE0EEENS1_30default_config_static_selectorELNS0_4arch9wavefront6targetE1EEEvSW_.uses_flat_scratch, 0
	.set _ZN7rocprim17ROCPRIM_400000_NS6detail17trampoline_kernelINS0_14default_configENS1_29binary_search_config_selectorIyiEEZNS1_14transform_implILb0ES3_S5_N6thrust23THRUST_200600_302600_NS6detail15normal_iteratorINS8_7pointerIyNS8_11hip_rocprim5par_tENS8_11use_defaultESE_EEEENSA_INSB_IiSD_SE_SE_EEEEZNS1_13binary_searchIS3_S5_PySG_SI_NS1_16binary_search_opENS9_16wrapped_functionINS8_6system6detail7generic6detail18binary_search_lessEbEEEE10hipError_tPvRmT1_T2_T3_mmT4_T5_P12ihipStream_tbEUlRKyE_EEST_SX_SY_mSZ_S12_bEUlT_E_NS1_11comp_targetILNS1_3genE3ELNS1_11target_archE908ELNS1_3gpuE7ELNS1_3repE0EEENS1_30default_config_static_selectorELNS0_4arch9wavefront6targetE1EEEvSW_.has_dyn_sized_stack, 0
	.set _ZN7rocprim17ROCPRIM_400000_NS6detail17trampoline_kernelINS0_14default_configENS1_29binary_search_config_selectorIyiEEZNS1_14transform_implILb0ES3_S5_N6thrust23THRUST_200600_302600_NS6detail15normal_iteratorINS8_7pointerIyNS8_11hip_rocprim5par_tENS8_11use_defaultESE_EEEENSA_INSB_IiSD_SE_SE_EEEEZNS1_13binary_searchIS3_S5_PySG_SI_NS1_16binary_search_opENS9_16wrapped_functionINS8_6system6detail7generic6detail18binary_search_lessEbEEEE10hipError_tPvRmT1_T2_T3_mmT4_T5_P12ihipStream_tbEUlRKyE_EEST_SX_SY_mSZ_S12_bEUlT_E_NS1_11comp_targetILNS1_3genE3ELNS1_11target_archE908ELNS1_3gpuE7ELNS1_3repE0EEENS1_30default_config_static_selectorELNS0_4arch9wavefront6targetE1EEEvSW_.has_recursion, 0
	.set _ZN7rocprim17ROCPRIM_400000_NS6detail17trampoline_kernelINS0_14default_configENS1_29binary_search_config_selectorIyiEEZNS1_14transform_implILb0ES3_S5_N6thrust23THRUST_200600_302600_NS6detail15normal_iteratorINS8_7pointerIyNS8_11hip_rocprim5par_tENS8_11use_defaultESE_EEEENSA_INSB_IiSD_SE_SE_EEEEZNS1_13binary_searchIS3_S5_PySG_SI_NS1_16binary_search_opENS9_16wrapped_functionINS8_6system6detail7generic6detail18binary_search_lessEbEEEE10hipError_tPvRmT1_T2_T3_mmT4_T5_P12ihipStream_tbEUlRKyE_EEST_SX_SY_mSZ_S12_bEUlT_E_NS1_11comp_targetILNS1_3genE3ELNS1_11target_archE908ELNS1_3gpuE7ELNS1_3repE0EEENS1_30default_config_static_selectorELNS0_4arch9wavefront6targetE1EEEvSW_.has_indirect_call, 0
	.section	.AMDGPU.csdata,"",@progbits
; Kernel info:
; codeLenInByte = 0
; TotalNumSgprs: 4
; NumVgprs: 0
; ScratchSize: 0
; MemoryBound: 0
; FloatMode: 240
; IeeeMode: 1
; LDSByteSize: 0 bytes/workgroup (compile time only)
; SGPRBlocks: 0
; VGPRBlocks: 0
; NumSGPRsForWavesPerEU: 4
; NumVGPRsForWavesPerEU: 1
; Occupancy: 10
; WaveLimiterHint : 0
; COMPUTE_PGM_RSRC2:SCRATCH_EN: 0
; COMPUTE_PGM_RSRC2:USER_SGPR: 6
; COMPUTE_PGM_RSRC2:TRAP_HANDLER: 0
; COMPUTE_PGM_RSRC2:TGID_X_EN: 1
; COMPUTE_PGM_RSRC2:TGID_Y_EN: 0
; COMPUTE_PGM_RSRC2:TGID_Z_EN: 0
; COMPUTE_PGM_RSRC2:TIDIG_COMP_CNT: 0
	.section	.text._ZN7rocprim17ROCPRIM_400000_NS6detail17trampoline_kernelINS0_14default_configENS1_29binary_search_config_selectorIyiEEZNS1_14transform_implILb0ES3_S5_N6thrust23THRUST_200600_302600_NS6detail15normal_iteratorINS8_7pointerIyNS8_11hip_rocprim5par_tENS8_11use_defaultESE_EEEENSA_INSB_IiSD_SE_SE_EEEEZNS1_13binary_searchIS3_S5_PySG_SI_NS1_16binary_search_opENS9_16wrapped_functionINS8_6system6detail7generic6detail18binary_search_lessEbEEEE10hipError_tPvRmT1_T2_T3_mmT4_T5_P12ihipStream_tbEUlRKyE_EEST_SX_SY_mSZ_S12_bEUlT_E_NS1_11comp_targetILNS1_3genE2ELNS1_11target_archE906ELNS1_3gpuE6ELNS1_3repE0EEENS1_30default_config_static_selectorELNS0_4arch9wavefront6targetE1EEEvSW_,"axG",@progbits,_ZN7rocprim17ROCPRIM_400000_NS6detail17trampoline_kernelINS0_14default_configENS1_29binary_search_config_selectorIyiEEZNS1_14transform_implILb0ES3_S5_N6thrust23THRUST_200600_302600_NS6detail15normal_iteratorINS8_7pointerIyNS8_11hip_rocprim5par_tENS8_11use_defaultESE_EEEENSA_INSB_IiSD_SE_SE_EEEEZNS1_13binary_searchIS3_S5_PySG_SI_NS1_16binary_search_opENS9_16wrapped_functionINS8_6system6detail7generic6detail18binary_search_lessEbEEEE10hipError_tPvRmT1_T2_T3_mmT4_T5_P12ihipStream_tbEUlRKyE_EEST_SX_SY_mSZ_S12_bEUlT_E_NS1_11comp_targetILNS1_3genE2ELNS1_11target_archE906ELNS1_3gpuE6ELNS1_3repE0EEENS1_30default_config_static_selectorELNS0_4arch9wavefront6targetE1EEEvSW_,comdat
	.protected	_ZN7rocprim17ROCPRIM_400000_NS6detail17trampoline_kernelINS0_14default_configENS1_29binary_search_config_selectorIyiEEZNS1_14transform_implILb0ES3_S5_N6thrust23THRUST_200600_302600_NS6detail15normal_iteratorINS8_7pointerIyNS8_11hip_rocprim5par_tENS8_11use_defaultESE_EEEENSA_INSB_IiSD_SE_SE_EEEEZNS1_13binary_searchIS3_S5_PySG_SI_NS1_16binary_search_opENS9_16wrapped_functionINS8_6system6detail7generic6detail18binary_search_lessEbEEEE10hipError_tPvRmT1_T2_T3_mmT4_T5_P12ihipStream_tbEUlRKyE_EEST_SX_SY_mSZ_S12_bEUlT_E_NS1_11comp_targetILNS1_3genE2ELNS1_11target_archE906ELNS1_3gpuE6ELNS1_3repE0EEENS1_30default_config_static_selectorELNS0_4arch9wavefront6targetE1EEEvSW_ ; -- Begin function _ZN7rocprim17ROCPRIM_400000_NS6detail17trampoline_kernelINS0_14default_configENS1_29binary_search_config_selectorIyiEEZNS1_14transform_implILb0ES3_S5_N6thrust23THRUST_200600_302600_NS6detail15normal_iteratorINS8_7pointerIyNS8_11hip_rocprim5par_tENS8_11use_defaultESE_EEEENSA_INSB_IiSD_SE_SE_EEEEZNS1_13binary_searchIS3_S5_PySG_SI_NS1_16binary_search_opENS9_16wrapped_functionINS8_6system6detail7generic6detail18binary_search_lessEbEEEE10hipError_tPvRmT1_T2_T3_mmT4_T5_P12ihipStream_tbEUlRKyE_EEST_SX_SY_mSZ_S12_bEUlT_E_NS1_11comp_targetILNS1_3genE2ELNS1_11target_archE906ELNS1_3gpuE6ELNS1_3repE0EEENS1_30default_config_static_selectorELNS0_4arch9wavefront6targetE1EEEvSW_
	.globl	_ZN7rocprim17ROCPRIM_400000_NS6detail17trampoline_kernelINS0_14default_configENS1_29binary_search_config_selectorIyiEEZNS1_14transform_implILb0ES3_S5_N6thrust23THRUST_200600_302600_NS6detail15normal_iteratorINS8_7pointerIyNS8_11hip_rocprim5par_tENS8_11use_defaultESE_EEEENSA_INSB_IiSD_SE_SE_EEEEZNS1_13binary_searchIS3_S5_PySG_SI_NS1_16binary_search_opENS9_16wrapped_functionINS8_6system6detail7generic6detail18binary_search_lessEbEEEE10hipError_tPvRmT1_T2_T3_mmT4_T5_P12ihipStream_tbEUlRKyE_EEST_SX_SY_mSZ_S12_bEUlT_E_NS1_11comp_targetILNS1_3genE2ELNS1_11target_archE906ELNS1_3gpuE6ELNS1_3repE0EEENS1_30default_config_static_selectorELNS0_4arch9wavefront6targetE1EEEvSW_
	.p2align	8
	.type	_ZN7rocprim17ROCPRIM_400000_NS6detail17trampoline_kernelINS0_14default_configENS1_29binary_search_config_selectorIyiEEZNS1_14transform_implILb0ES3_S5_N6thrust23THRUST_200600_302600_NS6detail15normal_iteratorINS8_7pointerIyNS8_11hip_rocprim5par_tENS8_11use_defaultESE_EEEENSA_INSB_IiSD_SE_SE_EEEEZNS1_13binary_searchIS3_S5_PySG_SI_NS1_16binary_search_opENS9_16wrapped_functionINS8_6system6detail7generic6detail18binary_search_lessEbEEEE10hipError_tPvRmT1_T2_T3_mmT4_T5_P12ihipStream_tbEUlRKyE_EEST_SX_SY_mSZ_S12_bEUlT_E_NS1_11comp_targetILNS1_3genE2ELNS1_11target_archE906ELNS1_3gpuE6ELNS1_3repE0EEENS1_30default_config_static_selectorELNS0_4arch9wavefront6targetE1EEEvSW_,@function
_ZN7rocprim17ROCPRIM_400000_NS6detail17trampoline_kernelINS0_14default_configENS1_29binary_search_config_selectorIyiEEZNS1_14transform_implILb0ES3_S5_N6thrust23THRUST_200600_302600_NS6detail15normal_iteratorINS8_7pointerIyNS8_11hip_rocprim5par_tENS8_11use_defaultESE_EEEENSA_INSB_IiSD_SE_SE_EEEEZNS1_13binary_searchIS3_S5_PySG_SI_NS1_16binary_search_opENS9_16wrapped_functionINS8_6system6detail7generic6detail18binary_search_lessEbEEEE10hipError_tPvRmT1_T2_T3_mmT4_T5_P12ihipStream_tbEUlRKyE_EEST_SX_SY_mSZ_S12_bEUlT_E_NS1_11comp_targetILNS1_3genE2ELNS1_11target_archE906ELNS1_3gpuE6ELNS1_3repE0EEENS1_30default_config_static_selectorELNS0_4arch9wavefront6targetE1EEEvSW_: ; @_ZN7rocprim17ROCPRIM_400000_NS6detail17trampoline_kernelINS0_14default_configENS1_29binary_search_config_selectorIyiEEZNS1_14transform_implILb0ES3_S5_N6thrust23THRUST_200600_302600_NS6detail15normal_iteratorINS8_7pointerIyNS8_11hip_rocprim5par_tENS8_11use_defaultESE_EEEENSA_INSB_IiSD_SE_SE_EEEEZNS1_13binary_searchIS3_S5_PySG_SI_NS1_16binary_search_opENS9_16wrapped_functionINS8_6system6detail7generic6detail18binary_search_lessEbEEEE10hipError_tPvRmT1_T2_T3_mmT4_T5_P12ihipStream_tbEUlRKyE_EEST_SX_SY_mSZ_S12_bEUlT_E_NS1_11comp_targetILNS1_3genE2ELNS1_11target_archE906ELNS1_3gpuE6ELNS1_3repE0EEENS1_30default_config_static_selectorELNS0_4arch9wavefront6targetE1EEEvSW_
; %bb.0:
	s_load_dwordx4 s[0:3], s[4:5], 0x0
	s_load_dwordx4 s[8:11], s[4:5], 0x18
	s_load_dwordx2 s[14:15], s[4:5], 0x28
	s_load_dword s7, s[4:5], 0x38
	s_waitcnt lgkmcnt(0)
	s_lshl_b64 s[12:13], s[2:3], 3
	s_add_u32 s18, s0, s12
	s_addc_u32 s19, s1, s13
	s_lshl_b32 s12, s6, 8
	s_add_i32 s7, s7, -1
	s_cmp_lg_u32 s6, s7
	s_mov_b32 s13, 0
	s_cbranch_scc0 .LBB267_6
; %bb.1:
	s_lshl_b64 s[0:1], s[12:13], 3
	s_add_u32 s0, s18, s0
	s_addc_u32 s1, s19, s1
	v_lshlrev_b32_e32 v1, 3, v0
	v_mov_b32_e32 v2, s1
	v_add_co_u32_e32 v1, vcc, s0, v1
	v_addc_co_u32_e32 v2, vcc, 0, v2, vcc
	flat_load_dwordx2 v[2:3], v[1:2]
	v_mov_b32_e32 v4, 0
	v_mov_b32_e32 v1, 0
	s_cmp_eq_u64 s[14:15], 0
	s_mov_b64 s[0:1], 0
	v_mov_b32_e32 v5, 0
	s_cbranch_scc1 .LBB267_5
; %bb.2:
	v_mov_b32_e32 v6, s14
	v_mov_b32_e32 v7, s15
	;; [unrolled: 1-line block ×3, first 2 shown]
.LBB267_3:                              ; =>This Inner Loop Header: Depth=1
	v_sub_co_u32_e32 v9, vcc, v6, v4
	v_subb_co_u32_e32 v10, vcc, v7, v5, vcc
	v_lshrrev_b64 v[11:12], 1, v[9:10]
	v_lshrrev_b64 v[9:10], 6, v[9:10]
	v_add_co_u32_e32 v11, vcc, v11, v4
	v_addc_co_u32_e32 v12, vcc, v12, v5, vcc
	v_add_co_u32_e32 v9, vcc, v11, v9
	v_addc_co_u32_e32 v10, vcc, v12, v10, vcc
	v_lshlrev_b64 v[11:12], 3, v[9:10]
	v_add_co_u32_e32 v11, vcc, s10, v11
	v_addc_co_u32_e32 v12, vcc, v8, v12, vcc
	global_load_dwordx2 v[11:12], v[11:12], off
	v_add_co_u32_e32 v13, vcc, 1, v9
	v_addc_co_u32_e32 v14, vcc, 0, v10, vcc
	s_waitcnt vmcnt(0) lgkmcnt(0)
	v_cmp_lt_u64_e32 vcc, v[11:12], v[2:3]
	v_cndmask_b32_e32 v7, v10, v7, vcc
	v_cndmask_b32_e32 v6, v9, v6, vcc
	;; [unrolled: 1-line block ×4, first 2 shown]
	v_cmp_ge_u64_e32 vcc, v[4:5], v[6:7]
	s_or_b64 s[0:1], vcc, s[0:1]
	s_andn2_b64 exec, exec, s[0:1]
	s_cbranch_execnz .LBB267_3
; %bb.4:
	s_or_b64 exec, exec, s[0:1]
.LBB267_5:
	v_cmp_eq_u64_e64 s[6:7], s[14:15], v[4:5]
	v_cmp_ne_u64_e64 s[16:17], s[14:15], v[4:5]
	s_branch .LBB267_14
.LBB267_6:
	s_mov_b64 s[16:17], 0
	s_mov_b64 s[6:7], 0
                                        ; implicit-def: $vgpr2_vgpr3
                                        ; implicit-def: $vgpr4_vgpr5
	s_cbranch_execz .LBB267_14
; %bb.7:
	s_load_dword s0, s[4:5], 0x10
                                        ; implicit-def: $vgpr2_vgpr3
                                        ; implicit-def: $vgpr4_vgpr5
	s_waitcnt lgkmcnt(0)
	s_sub_i32 s0, s0, s12
	v_cmp_gt_u32_e32 vcc, s0, v0
	s_and_saveexec_b64 s[4:5], vcc
	s_cbranch_execz .LBB267_13
; %bb.8:
	s_lshl_b64 s[0:1], s[12:13], 3
	s_add_u32 s0, s18, s0
	s_addc_u32 s1, s19, s1
	v_lshlrev_b32_e32 v1, 3, v0
	s_waitcnt vmcnt(0)
	v_mov_b32_e32 v2, s1
	v_add_co_u32_e32 v1, vcc, s0, v1
	v_addc_co_u32_e32 v2, vcc, 0, v2, vcc
	flat_load_dwordx2 v[2:3], v[1:2]
	v_mov_b32_e32 v4, 0
	v_mov_b32_e32 v1, 0
	s_cmp_eq_u64 s[14:15], 0
	s_mov_b64 s[0:1], 0
	v_mov_b32_e32 v5, 0
	s_cbranch_scc1 .LBB267_12
; %bb.9:
	v_mov_b32_e32 v6, s14
	v_mov_b32_e32 v7, s15
	;; [unrolled: 1-line block ×3, first 2 shown]
.LBB267_10:                             ; =>This Inner Loop Header: Depth=1
	v_sub_co_u32_e32 v9, vcc, v6, v4
	v_subb_co_u32_e32 v10, vcc, v7, v5, vcc
	v_lshrrev_b64 v[11:12], 1, v[9:10]
	v_lshrrev_b64 v[9:10], 6, v[9:10]
	v_add_co_u32_e32 v11, vcc, v11, v4
	v_addc_co_u32_e32 v12, vcc, v12, v5, vcc
	v_add_co_u32_e32 v9, vcc, v11, v9
	v_addc_co_u32_e32 v10, vcc, v12, v10, vcc
	v_lshlrev_b64 v[11:12], 3, v[9:10]
	v_add_co_u32_e32 v11, vcc, s10, v11
	v_addc_co_u32_e32 v12, vcc, v8, v12, vcc
	global_load_dwordx2 v[11:12], v[11:12], off
	v_add_co_u32_e32 v13, vcc, 1, v9
	v_addc_co_u32_e32 v14, vcc, 0, v10, vcc
	s_waitcnt vmcnt(0) lgkmcnt(0)
	v_cmp_lt_u64_e32 vcc, v[11:12], v[2:3]
	v_cndmask_b32_e32 v7, v10, v7, vcc
	v_cndmask_b32_e32 v6, v9, v6, vcc
	;; [unrolled: 1-line block ×4, first 2 shown]
	v_cmp_ge_u64_e32 vcc, v[4:5], v[6:7]
	s_or_b64 s[0:1], vcc, s[0:1]
	s_andn2_b64 exec, exec, s[0:1]
	s_cbranch_execnz .LBB267_10
; %bb.11:
	s_or_b64 exec, exec, s[0:1]
.LBB267_12:
	v_cmp_eq_u64_e32 vcc, s[14:15], v[4:5]
	v_cmp_ne_u64_e64 s[0:1], s[14:15], v[4:5]
	s_andn2_b64 s[6:7], s[6:7], exec
	s_and_b64 s[14:15], vcc, exec
	s_or_b64 s[6:7], s[6:7], s[14:15]
	s_andn2_b64 s[14:15], s[16:17], exec
	s_and_b64 s[0:1], s[0:1], exec
	s_or_b64 s[16:17], s[14:15], s[0:1]
.LBB267_13:
	s_or_b64 exec, exec, s[4:5]
.LBB267_14:
	v_mov_b32_e32 v6, 0
	s_and_saveexec_b64 s[0:1], s[16:17]
	s_cbranch_execnz .LBB267_17
; %bb.15:
	s_or_b64 exec, exec, s[0:1]
	s_and_saveexec_b64 s[0:1], s[6:7]
	s_cbranch_execnz .LBB267_18
.LBB267_16:
	s_endpgm
.LBB267_17:
	v_lshlrev_b64 v[4:5], 3, v[4:5]
	v_mov_b32_e32 v6, s11
	v_add_co_u32_e32 v4, vcc, s10, v4
	v_addc_co_u32_e32 v5, vcc, v6, v5, vcc
	global_load_dwordx2 v[4:5], v[4:5], off
	s_or_b64 s[6:7], s[6:7], exec
	s_waitcnt vmcnt(0) lgkmcnt(0)
	v_cmp_ge_u64_e32 vcc, v[2:3], v[4:5]
	v_cndmask_b32_e64 v6, 0, 1, vcc
	s_or_b64 exec, exec, s[0:1]
	s_and_saveexec_b64 s[0:1], s[6:7]
	s_cbranch_execz .LBB267_16
.LBB267_18:
	s_lshl_b64 s[0:1], s[2:3], 2
	s_add_u32 s2, s8, s0
	s_addc_u32 s3, s9, s1
	s_lshl_b64 s[0:1], s[12:13], 2
	s_add_u32 s0, s2, s0
	v_lshlrev_b64 v[0:1], 2, v[0:1]
	s_addc_u32 s1, s3, s1
	s_waitcnt vmcnt(0) lgkmcnt(0)
	v_mov_b32_e32 v2, s1
	v_add_co_u32_e32 v0, vcc, s0, v0
	v_addc_co_u32_e32 v1, vcc, v2, v1, vcc
	flat_store_dword v[0:1], v6
	s_endpgm
	.section	.rodata,"a",@progbits
	.p2align	6, 0x0
	.amdhsa_kernel _ZN7rocprim17ROCPRIM_400000_NS6detail17trampoline_kernelINS0_14default_configENS1_29binary_search_config_selectorIyiEEZNS1_14transform_implILb0ES3_S5_N6thrust23THRUST_200600_302600_NS6detail15normal_iteratorINS8_7pointerIyNS8_11hip_rocprim5par_tENS8_11use_defaultESE_EEEENSA_INSB_IiSD_SE_SE_EEEEZNS1_13binary_searchIS3_S5_PySG_SI_NS1_16binary_search_opENS9_16wrapped_functionINS8_6system6detail7generic6detail18binary_search_lessEbEEEE10hipError_tPvRmT1_T2_T3_mmT4_T5_P12ihipStream_tbEUlRKyE_EEST_SX_SY_mSZ_S12_bEUlT_E_NS1_11comp_targetILNS1_3genE2ELNS1_11target_archE906ELNS1_3gpuE6ELNS1_3repE0EEENS1_30default_config_static_selectorELNS0_4arch9wavefront6targetE1EEEvSW_
		.amdhsa_group_segment_fixed_size 0
		.amdhsa_private_segment_fixed_size 0
		.amdhsa_kernarg_size 312
		.amdhsa_user_sgpr_count 6
		.amdhsa_user_sgpr_private_segment_buffer 1
		.amdhsa_user_sgpr_dispatch_ptr 0
		.amdhsa_user_sgpr_queue_ptr 0
		.amdhsa_user_sgpr_kernarg_segment_ptr 1
		.amdhsa_user_sgpr_dispatch_id 0
		.amdhsa_user_sgpr_flat_scratch_init 0
		.amdhsa_user_sgpr_private_segment_size 0
		.amdhsa_uses_dynamic_stack 0
		.amdhsa_system_sgpr_private_segment_wavefront_offset 0
		.amdhsa_system_sgpr_workgroup_id_x 1
		.amdhsa_system_sgpr_workgroup_id_y 0
		.amdhsa_system_sgpr_workgroup_id_z 0
		.amdhsa_system_sgpr_workgroup_info 0
		.amdhsa_system_vgpr_workitem_id 0
		.amdhsa_next_free_vgpr 15
		.amdhsa_next_free_sgpr 20
		.amdhsa_reserve_vcc 1
		.amdhsa_reserve_flat_scratch 0
		.amdhsa_float_round_mode_32 0
		.amdhsa_float_round_mode_16_64 0
		.amdhsa_float_denorm_mode_32 3
		.amdhsa_float_denorm_mode_16_64 3
		.amdhsa_dx10_clamp 1
		.amdhsa_ieee_mode 1
		.amdhsa_fp16_overflow 0
		.amdhsa_exception_fp_ieee_invalid_op 0
		.amdhsa_exception_fp_denorm_src 0
		.amdhsa_exception_fp_ieee_div_zero 0
		.amdhsa_exception_fp_ieee_overflow 0
		.amdhsa_exception_fp_ieee_underflow 0
		.amdhsa_exception_fp_ieee_inexact 0
		.amdhsa_exception_int_div_zero 0
	.end_amdhsa_kernel
	.section	.text._ZN7rocprim17ROCPRIM_400000_NS6detail17trampoline_kernelINS0_14default_configENS1_29binary_search_config_selectorIyiEEZNS1_14transform_implILb0ES3_S5_N6thrust23THRUST_200600_302600_NS6detail15normal_iteratorINS8_7pointerIyNS8_11hip_rocprim5par_tENS8_11use_defaultESE_EEEENSA_INSB_IiSD_SE_SE_EEEEZNS1_13binary_searchIS3_S5_PySG_SI_NS1_16binary_search_opENS9_16wrapped_functionINS8_6system6detail7generic6detail18binary_search_lessEbEEEE10hipError_tPvRmT1_T2_T3_mmT4_T5_P12ihipStream_tbEUlRKyE_EEST_SX_SY_mSZ_S12_bEUlT_E_NS1_11comp_targetILNS1_3genE2ELNS1_11target_archE906ELNS1_3gpuE6ELNS1_3repE0EEENS1_30default_config_static_selectorELNS0_4arch9wavefront6targetE1EEEvSW_,"axG",@progbits,_ZN7rocprim17ROCPRIM_400000_NS6detail17trampoline_kernelINS0_14default_configENS1_29binary_search_config_selectorIyiEEZNS1_14transform_implILb0ES3_S5_N6thrust23THRUST_200600_302600_NS6detail15normal_iteratorINS8_7pointerIyNS8_11hip_rocprim5par_tENS8_11use_defaultESE_EEEENSA_INSB_IiSD_SE_SE_EEEEZNS1_13binary_searchIS3_S5_PySG_SI_NS1_16binary_search_opENS9_16wrapped_functionINS8_6system6detail7generic6detail18binary_search_lessEbEEEE10hipError_tPvRmT1_T2_T3_mmT4_T5_P12ihipStream_tbEUlRKyE_EEST_SX_SY_mSZ_S12_bEUlT_E_NS1_11comp_targetILNS1_3genE2ELNS1_11target_archE906ELNS1_3gpuE6ELNS1_3repE0EEENS1_30default_config_static_selectorELNS0_4arch9wavefront6targetE1EEEvSW_,comdat
.Lfunc_end267:
	.size	_ZN7rocprim17ROCPRIM_400000_NS6detail17trampoline_kernelINS0_14default_configENS1_29binary_search_config_selectorIyiEEZNS1_14transform_implILb0ES3_S5_N6thrust23THRUST_200600_302600_NS6detail15normal_iteratorINS8_7pointerIyNS8_11hip_rocprim5par_tENS8_11use_defaultESE_EEEENSA_INSB_IiSD_SE_SE_EEEEZNS1_13binary_searchIS3_S5_PySG_SI_NS1_16binary_search_opENS9_16wrapped_functionINS8_6system6detail7generic6detail18binary_search_lessEbEEEE10hipError_tPvRmT1_T2_T3_mmT4_T5_P12ihipStream_tbEUlRKyE_EEST_SX_SY_mSZ_S12_bEUlT_E_NS1_11comp_targetILNS1_3genE2ELNS1_11target_archE906ELNS1_3gpuE6ELNS1_3repE0EEENS1_30default_config_static_selectorELNS0_4arch9wavefront6targetE1EEEvSW_, .Lfunc_end267-_ZN7rocprim17ROCPRIM_400000_NS6detail17trampoline_kernelINS0_14default_configENS1_29binary_search_config_selectorIyiEEZNS1_14transform_implILb0ES3_S5_N6thrust23THRUST_200600_302600_NS6detail15normal_iteratorINS8_7pointerIyNS8_11hip_rocprim5par_tENS8_11use_defaultESE_EEEENSA_INSB_IiSD_SE_SE_EEEEZNS1_13binary_searchIS3_S5_PySG_SI_NS1_16binary_search_opENS9_16wrapped_functionINS8_6system6detail7generic6detail18binary_search_lessEbEEEE10hipError_tPvRmT1_T2_T3_mmT4_T5_P12ihipStream_tbEUlRKyE_EEST_SX_SY_mSZ_S12_bEUlT_E_NS1_11comp_targetILNS1_3genE2ELNS1_11target_archE906ELNS1_3gpuE6ELNS1_3repE0EEENS1_30default_config_static_selectorELNS0_4arch9wavefront6targetE1EEEvSW_
                                        ; -- End function
	.set _ZN7rocprim17ROCPRIM_400000_NS6detail17trampoline_kernelINS0_14default_configENS1_29binary_search_config_selectorIyiEEZNS1_14transform_implILb0ES3_S5_N6thrust23THRUST_200600_302600_NS6detail15normal_iteratorINS8_7pointerIyNS8_11hip_rocprim5par_tENS8_11use_defaultESE_EEEENSA_INSB_IiSD_SE_SE_EEEEZNS1_13binary_searchIS3_S5_PySG_SI_NS1_16binary_search_opENS9_16wrapped_functionINS8_6system6detail7generic6detail18binary_search_lessEbEEEE10hipError_tPvRmT1_T2_T3_mmT4_T5_P12ihipStream_tbEUlRKyE_EEST_SX_SY_mSZ_S12_bEUlT_E_NS1_11comp_targetILNS1_3genE2ELNS1_11target_archE906ELNS1_3gpuE6ELNS1_3repE0EEENS1_30default_config_static_selectorELNS0_4arch9wavefront6targetE1EEEvSW_.num_vgpr, 15
	.set _ZN7rocprim17ROCPRIM_400000_NS6detail17trampoline_kernelINS0_14default_configENS1_29binary_search_config_selectorIyiEEZNS1_14transform_implILb0ES3_S5_N6thrust23THRUST_200600_302600_NS6detail15normal_iteratorINS8_7pointerIyNS8_11hip_rocprim5par_tENS8_11use_defaultESE_EEEENSA_INSB_IiSD_SE_SE_EEEEZNS1_13binary_searchIS3_S5_PySG_SI_NS1_16binary_search_opENS9_16wrapped_functionINS8_6system6detail7generic6detail18binary_search_lessEbEEEE10hipError_tPvRmT1_T2_T3_mmT4_T5_P12ihipStream_tbEUlRKyE_EEST_SX_SY_mSZ_S12_bEUlT_E_NS1_11comp_targetILNS1_3genE2ELNS1_11target_archE906ELNS1_3gpuE6ELNS1_3repE0EEENS1_30default_config_static_selectorELNS0_4arch9wavefront6targetE1EEEvSW_.num_agpr, 0
	.set _ZN7rocprim17ROCPRIM_400000_NS6detail17trampoline_kernelINS0_14default_configENS1_29binary_search_config_selectorIyiEEZNS1_14transform_implILb0ES3_S5_N6thrust23THRUST_200600_302600_NS6detail15normal_iteratorINS8_7pointerIyNS8_11hip_rocprim5par_tENS8_11use_defaultESE_EEEENSA_INSB_IiSD_SE_SE_EEEEZNS1_13binary_searchIS3_S5_PySG_SI_NS1_16binary_search_opENS9_16wrapped_functionINS8_6system6detail7generic6detail18binary_search_lessEbEEEE10hipError_tPvRmT1_T2_T3_mmT4_T5_P12ihipStream_tbEUlRKyE_EEST_SX_SY_mSZ_S12_bEUlT_E_NS1_11comp_targetILNS1_3genE2ELNS1_11target_archE906ELNS1_3gpuE6ELNS1_3repE0EEENS1_30default_config_static_selectorELNS0_4arch9wavefront6targetE1EEEvSW_.numbered_sgpr, 20
	.set _ZN7rocprim17ROCPRIM_400000_NS6detail17trampoline_kernelINS0_14default_configENS1_29binary_search_config_selectorIyiEEZNS1_14transform_implILb0ES3_S5_N6thrust23THRUST_200600_302600_NS6detail15normal_iteratorINS8_7pointerIyNS8_11hip_rocprim5par_tENS8_11use_defaultESE_EEEENSA_INSB_IiSD_SE_SE_EEEEZNS1_13binary_searchIS3_S5_PySG_SI_NS1_16binary_search_opENS9_16wrapped_functionINS8_6system6detail7generic6detail18binary_search_lessEbEEEE10hipError_tPvRmT1_T2_T3_mmT4_T5_P12ihipStream_tbEUlRKyE_EEST_SX_SY_mSZ_S12_bEUlT_E_NS1_11comp_targetILNS1_3genE2ELNS1_11target_archE906ELNS1_3gpuE6ELNS1_3repE0EEENS1_30default_config_static_selectorELNS0_4arch9wavefront6targetE1EEEvSW_.num_named_barrier, 0
	.set _ZN7rocprim17ROCPRIM_400000_NS6detail17trampoline_kernelINS0_14default_configENS1_29binary_search_config_selectorIyiEEZNS1_14transform_implILb0ES3_S5_N6thrust23THRUST_200600_302600_NS6detail15normal_iteratorINS8_7pointerIyNS8_11hip_rocprim5par_tENS8_11use_defaultESE_EEEENSA_INSB_IiSD_SE_SE_EEEEZNS1_13binary_searchIS3_S5_PySG_SI_NS1_16binary_search_opENS9_16wrapped_functionINS8_6system6detail7generic6detail18binary_search_lessEbEEEE10hipError_tPvRmT1_T2_T3_mmT4_T5_P12ihipStream_tbEUlRKyE_EEST_SX_SY_mSZ_S12_bEUlT_E_NS1_11comp_targetILNS1_3genE2ELNS1_11target_archE906ELNS1_3gpuE6ELNS1_3repE0EEENS1_30default_config_static_selectorELNS0_4arch9wavefront6targetE1EEEvSW_.private_seg_size, 0
	.set _ZN7rocprim17ROCPRIM_400000_NS6detail17trampoline_kernelINS0_14default_configENS1_29binary_search_config_selectorIyiEEZNS1_14transform_implILb0ES3_S5_N6thrust23THRUST_200600_302600_NS6detail15normal_iteratorINS8_7pointerIyNS8_11hip_rocprim5par_tENS8_11use_defaultESE_EEEENSA_INSB_IiSD_SE_SE_EEEEZNS1_13binary_searchIS3_S5_PySG_SI_NS1_16binary_search_opENS9_16wrapped_functionINS8_6system6detail7generic6detail18binary_search_lessEbEEEE10hipError_tPvRmT1_T2_T3_mmT4_T5_P12ihipStream_tbEUlRKyE_EEST_SX_SY_mSZ_S12_bEUlT_E_NS1_11comp_targetILNS1_3genE2ELNS1_11target_archE906ELNS1_3gpuE6ELNS1_3repE0EEENS1_30default_config_static_selectorELNS0_4arch9wavefront6targetE1EEEvSW_.uses_vcc, 1
	.set _ZN7rocprim17ROCPRIM_400000_NS6detail17trampoline_kernelINS0_14default_configENS1_29binary_search_config_selectorIyiEEZNS1_14transform_implILb0ES3_S5_N6thrust23THRUST_200600_302600_NS6detail15normal_iteratorINS8_7pointerIyNS8_11hip_rocprim5par_tENS8_11use_defaultESE_EEEENSA_INSB_IiSD_SE_SE_EEEEZNS1_13binary_searchIS3_S5_PySG_SI_NS1_16binary_search_opENS9_16wrapped_functionINS8_6system6detail7generic6detail18binary_search_lessEbEEEE10hipError_tPvRmT1_T2_T3_mmT4_T5_P12ihipStream_tbEUlRKyE_EEST_SX_SY_mSZ_S12_bEUlT_E_NS1_11comp_targetILNS1_3genE2ELNS1_11target_archE906ELNS1_3gpuE6ELNS1_3repE0EEENS1_30default_config_static_selectorELNS0_4arch9wavefront6targetE1EEEvSW_.uses_flat_scratch, 0
	.set _ZN7rocprim17ROCPRIM_400000_NS6detail17trampoline_kernelINS0_14default_configENS1_29binary_search_config_selectorIyiEEZNS1_14transform_implILb0ES3_S5_N6thrust23THRUST_200600_302600_NS6detail15normal_iteratorINS8_7pointerIyNS8_11hip_rocprim5par_tENS8_11use_defaultESE_EEEENSA_INSB_IiSD_SE_SE_EEEEZNS1_13binary_searchIS3_S5_PySG_SI_NS1_16binary_search_opENS9_16wrapped_functionINS8_6system6detail7generic6detail18binary_search_lessEbEEEE10hipError_tPvRmT1_T2_T3_mmT4_T5_P12ihipStream_tbEUlRKyE_EEST_SX_SY_mSZ_S12_bEUlT_E_NS1_11comp_targetILNS1_3genE2ELNS1_11target_archE906ELNS1_3gpuE6ELNS1_3repE0EEENS1_30default_config_static_selectorELNS0_4arch9wavefront6targetE1EEEvSW_.has_dyn_sized_stack, 0
	.set _ZN7rocprim17ROCPRIM_400000_NS6detail17trampoline_kernelINS0_14default_configENS1_29binary_search_config_selectorIyiEEZNS1_14transform_implILb0ES3_S5_N6thrust23THRUST_200600_302600_NS6detail15normal_iteratorINS8_7pointerIyNS8_11hip_rocprim5par_tENS8_11use_defaultESE_EEEENSA_INSB_IiSD_SE_SE_EEEEZNS1_13binary_searchIS3_S5_PySG_SI_NS1_16binary_search_opENS9_16wrapped_functionINS8_6system6detail7generic6detail18binary_search_lessEbEEEE10hipError_tPvRmT1_T2_T3_mmT4_T5_P12ihipStream_tbEUlRKyE_EEST_SX_SY_mSZ_S12_bEUlT_E_NS1_11comp_targetILNS1_3genE2ELNS1_11target_archE906ELNS1_3gpuE6ELNS1_3repE0EEENS1_30default_config_static_selectorELNS0_4arch9wavefront6targetE1EEEvSW_.has_recursion, 0
	.set _ZN7rocprim17ROCPRIM_400000_NS6detail17trampoline_kernelINS0_14default_configENS1_29binary_search_config_selectorIyiEEZNS1_14transform_implILb0ES3_S5_N6thrust23THRUST_200600_302600_NS6detail15normal_iteratorINS8_7pointerIyNS8_11hip_rocprim5par_tENS8_11use_defaultESE_EEEENSA_INSB_IiSD_SE_SE_EEEEZNS1_13binary_searchIS3_S5_PySG_SI_NS1_16binary_search_opENS9_16wrapped_functionINS8_6system6detail7generic6detail18binary_search_lessEbEEEE10hipError_tPvRmT1_T2_T3_mmT4_T5_P12ihipStream_tbEUlRKyE_EEST_SX_SY_mSZ_S12_bEUlT_E_NS1_11comp_targetILNS1_3genE2ELNS1_11target_archE906ELNS1_3gpuE6ELNS1_3repE0EEENS1_30default_config_static_selectorELNS0_4arch9wavefront6targetE1EEEvSW_.has_indirect_call, 0
	.section	.AMDGPU.csdata,"",@progbits
; Kernel info:
; codeLenInByte = 696
; TotalNumSgprs: 24
; NumVgprs: 15
; ScratchSize: 0
; MemoryBound: 0
; FloatMode: 240
; IeeeMode: 1
; LDSByteSize: 0 bytes/workgroup (compile time only)
; SGPRBlocks: 2
; VGPRBlocks: 3
; NumSGPRsForWavesPerEU: 24
; NumVGPRsForWavesPerEU: 15
; Occupancy: 10
; WaveLimiterHint : 0
; COMPUTE_PGM_RSRC2:SCRATCH_EN: 0
; COMPUTE_PGM_RSRC2:USER_SGPR: 6
; COMPUTE_PGM_RSRC2:TRAP_HANDLER: 0
; COMPUTE_PGM_RSRC2:TGID_X_EN: 1
; COMPUTE_PGM_RSRC2:TGID_Y_EN: 0
; COMPUTE_PGM_RSRC2:TGID_Z_EN: 0
; COMPUTE_PGM_RSRC2:TIDIG_COMP_CNT: 0
	.section	.text._ZN7rocprim17ROCPRIM_400000_NS6detail17trampoline_kernelINS0_14default_configENS1_29binary_search_config_selectorIyiEEZNS1_14transform_implILb0ES3_S5_N6thrust23THRUST_200600_302600_NS6detail15normal_iteratorINS8_7pointerIyNS8_11hip_rocprim5par_tENS8_11use_defaultESE_EEEENSA_INSB_IiSD_SE_SE_EEEEZNS1_13binary_searchIS3_S5_PySG_SI_NS1_16binary_search_opENS9_16wrapped_functionINS8_6system6detail7generic6detail18binary_search_lessEbEEEE10hipError_tPvRmT1_T2_T3_mmT4_T5_P12ihipStream_tbEUlRKyE_EEST_SX_SY_mSZ_S12_bEUlT_E_NS1_11comp_targetILNS1_3genE10ELNS1_11target_archE1201ELNS1_3gpuE5ELNS1_3repE0EEENS1_30default_config_static_selectorELNS0_4arch9wavefront6targetE1EEEvSW_,"axG",@progbits,_ZN7rocprim17ROCPRIM_400000_NS6detail17trampoline_kernelINS0_14default_configENS1_29binary_search_config_selectorIyiEEZNS1_14transform_implILb0ES3_S5_N6thrust23THRUST_200600_302600_NS6detail15normal_iteratorINS8_7pointerIyNS8_11hip_rocprim5par_tENS8_11use_defaultESE_EEEENSA_INSB_IiSD_SE_SE_EEEEZNS1_13binary_searchIS3_S5_PySG_SI_NS1_16binary_search_opENS9_16wrapped_functionINS8_6system6detail7generic6detail18binary_search_lessEbEEEE10hipError_tPvRmT1_T2_T3_mmT4_T5_P12ihipStream_tbEUlRKyE_EEST_SX_SY_mSZ_S12_bEUlT_E_NS1_11comp_targetILNS1_3genE10ELNS1_11target_archE1201ELNS1_3gpuE5ELNS1_3repE0EEENS1_30default_config_static_selectorELNS0_4arch9wavefront6targetE1EEEvSW_,comdat
	.protected	_ZN7rocprim17ROCPRIM_400000_NS6detail17trampoline_kernelINS0_14default_configENS1_29binary_search_config_selectorIyiEEZNS1_14transform_implILb0ES3_S5_N6thrust23THRUST_200600_302600_NS6detail15normal_iteratorINS8_7pointerIyNS8_11hip_rocprim5par_tENS8_11use_defaultESE_EEEENSA_INSB_IiSD_SE_SE_EEEEZNS1_13binary_searchIS3_S5_PySG_SI_NS1_16binary_search_opENS9_16wrapped_functionINS8_6system6detail7generic6detail18binary_search_lessEbEEEE10hipError_tPvRmT1_T2_T3_mmT4_T5_P12ihipStream_tbEUlRKyE_EEST_SX_SY_mSZ_S12_bEUlT_E_NS1_11comp_targetILNS1_3genE10ELNS1_11target_archE1201ELNS1_3gpuE5ELNS1_3repE0EEENS1_30default_config_static_selectorELNS0_4arch9wavefront6targetE1EEEvSW_ ; -- Begin function _ZN7rocprim17ROCPRIM_400000_NS6detail17trampoline_kernelINS0_14default_configENS1_29binary_search_config_selectorIyiEEZNS1_14transform_implILb0ES3_S5_N6thrust23THRUST_200600_302600_NS6detail15normal_iteratorINS8_7pointerIyNS8_11hip_rocprim5par_tENS8_11use_defaultESE_EEEENSA_INSB_IiSD_SE_SE_EEEEZNS1_13binary_searchIS3_S5_PySG_SI_NS1_16binary_search_opENS9_16wrapped_functionINS8_6system6detail7generic6detail18binary_search_lessEbEEEE10hipError_tPvRmT1_T2_T3_mmT4_T5_P12ihipStream_tbEUlRKyE_EEST_SX_SY_mSZ_S12_bEUlT_E_NS1_11comp_targetILNS1_3genE10ELNS1_11target_archE1201ELNS1_3gpuE5ELNS1_3repE0EEENS1_30default_config_static_selectorELNS0_4arch9wavefront6targetE1EEEvSW_
	.globl	_ZN7rocprim17ROCPRIM_400000_NS6detail17trampoline_kernelINS0_14default_configENS1_29binary_search_config_selectorIyiEEZNS1_14transform_implILb0ES3_S5_N6thrust23THRUST_200600_302600_NS6detail15normal_iteratorINS8_7pointerIyNS8_11hip_rocprim5par_tENS8_11use_defaultESE_EEEENSA_INSB_IiSD_SE_SE_EEEEZNS1_13binary_searchIS3_S5_PySG_SI_NS1_16binary_search_opENS9_16wrapped_functionINS8_6system6detail7generic6detail18binary_search_lessEbEEEE10hipError_tPvRmT1_T2_T3_mmT4_T5_P12ihipStream_tbEUlRKyE_EEST_SX_SY_mSZ_S12_bEUlT_E_NS1_11comp_targetILNS1_3genE10ELNS1_11target_archE1201ELNS1_3gpuE5ELNS1_3repE0EEENS1_30default_config_static_selectorELNS0_4arch9wavefront6targetE1EEEvSW_
	.p2align	8
	.type	_ZN7rocprim17ROCPRIM_400000_NS6detail17trampoline_kernelINS0_14default_configENS1_29binary_search_config_selectorIyiEEZNS1_14transform_implILb0ES3_S5_N6thrust23THRUST_200600_302600_NS6detail15normal_iteratorINS8_7pointerIyNS8_11hip_rocprim5par_tENS8_11use_defaultESE_EEEENSA_INSB_IiSD_SE_SE_EEEEZNS1_13binary_searchIS3_S5_PySG_SI_NS1_16binary_search_opENS9_16wrapped_functionINS8_6system6detail7generic6detail18binary_search_lessEbEEEE10hipError_tPvRmT1_T2_T3_mmT4_T5_P12ihipStream_tbEUlRKyE_EEST_SX_SY_mSZ_S12_bEUlT_E_NS1_11comp_targetILNS1_3genE10ELNS1_11target_archE1201ELNS1_3gpuE5ELNS1_3repE0EEENS1_30default_config_static_selectorELNS0_4arch9wavefront6targetE1EEEvSW_,@function
_ZN7rocprim17ROCPRIM_400000_NS6detail17trampoline_kernelINS0_14default_configENS1_29binary_search_config_selectorIyiEEZNS1_14transform_implILb0ES3_S5_N6thrust23THRUST_200600_302600_NS6detail15normal_iteratorINS8_7pointerIyNS8_11hip_rocprim5par_tENS8_11use_defaultESE_EEEENSA_INSB_IiSD_SE_SE_EEEEZNS1_13binary_searchIS3_S5_PySG_SI_NS1_16binary_search_opENS9_16wrapped_functionINS8_6system6detail7generic6detail18binary_search_lessEbEEEE10hipError_tPvRmT1_T2_T3_mmT4_T5_P12ihipStream_tbEUlRKyE_EEST_SX_SY_mSZ_S12_bEUlT_E_NS1_11comp_targetILNS1_3genE10ELNS1_11target_archE1201ELNS1_3gpuE5ELNS1_3repE0EEENS1_30default_config_static_selectorELNS0_4arch9wavefront6targetE1EEEvSW_: ; @_ZN7rocprim17ROCPRIM_400000_NS6detail17trampoline_kernelINS0_14default_configENS1_29binary_search_config_selectorIyiEEZNS1_14transform_implILb0ES3_S5_N6thrust23THRUST_200600_302600_NS6detail15normal_iteratorINS8_7pointerIyNS8_11hip_rocprim5par_tENS8_11use_defaultESE_EEEENSA_INSB_IiSD_SE_SE_EEEEZNS1_13binary_searchIS3_S5_PySG_SI_NS1_16binary_search_opENS9_16wrapped_functionINS8_6system6detail7generic6detail18binary_search_lessEbEEEE10hipError_tPvRmT1_T2_T3_mmT4_T5_P12ihipStream_tbEUlRKyE_EEST_SX_SY_mSZ_S12_bEUlT_E_NS1_11comp_targetILNS1_3genE10ELNS1_11target_archE1201ELNS1_3gpuE5ELNS1_3repE0EEENS1_30default_config_static_selectorELNS0_4arch9wavefront6targetE1EEEvSW_
; %bb.0:
	.section	.rodata,"a",@progbits
	.p2align	6, 0x0
	.amdhsa_kernel _ZN7rocprim17ROCPRIM_400000_NS6detail17trampoline_kernelINS0_14default_configENS1_29binary_search_config_selectorIyiEEZNS1_14transform_implILb0ES3_S5_N6thrust23THRUST_200600_302600_NS6detail15normal_iteratorINS8_7pointerIyNS8_11hip_rocprim5par_tENS8_11use_defaultESE_EEEENSA_INSB_IiSD_SE_SE_EEEEZNS1_13binary_searchIS3_S5_PySG_SI_NS1_16binary_search_opENS9_16wrapped_functionINS8_6system6detail7generic6detail18binary_search_lessEbEEEE10hipError_tPvRmT1_T2_T3_mmT4_T5_P12ihipStream_tbEUlRKyE_EEST_SX_SY_mSZ_S12_bEUlT_E_NS1_11comp_targetILNS1_3genE10ELNS1_11target_archE1201ELNS1_3gpuE5ELNS1_3repE0EEENS1_30default_config_static_selectorELNS0_4arch9wavefront6targetE1EEEvSW_
		.amdhsa_group_segment_fixed_size 0
		.amdhsa_private_segment_fixed_size 0
		.amdhsa_kernarg_size 56
		.amdhsa_user_sgpr_count 6
		.amdhsa_user_sgpr_private_segment_buffer 1
		.amdhsa_user_sgpr_dispatch_ptr 0
		.amdhsa_user_sgpr_queue_ptr 0
		.amdhsa_user_sgpr_kernarg_segment_ptr 1
		.amdhsa_user_sgpr_dispatch_id 0
		.amdhsa_user_sgpr_flat_scratch_init 0
		.amdhsa_user_sgpr_private_segment_size 0
		.amdhsa_uses_dynamic_stack 0
		.amdhsa_system_sgpr_private_segment_wavefront_offset 0
		.amdhsa_system_sgpr_workgroup_id_x 1
		.amdhsa_system_sgpr_workgroup_id_y 0
		.amdhsa_system_sgpr_workgroup_id_z 0
		.amdhsa_system_sgpr_workgroup_info 0
		.amdhsa_system_vgpr_workitem_id 0
		.amdhsa_next_free_vgpr 1
		.amdhsa_next_free_sgpr 0
		.amdhsa_reserve_vcc 0
		.amdhsa_reserve_flat_scratch 0
		.amdhsa_float_round_mode_32 0
		.amdhsa_float_round_mode_16_64 0
		.amdhsa_float_denorm_mode_32 3
		.amdhsa_float_denorm_mode_16_64 3
		.amdhsa_dx10_clamp 1
		.amdhsa_ieee_mode 1
		.amdhsa_fp16_overflow 0
		.amdhsa_exception_fp_ieee_invalid_op 0
		.amdhsa_exception_fp_denorm_src 0
		.amdhsa_exception_fp_ieee_div_zero 0
		.amdhsa_exception_fp_ieee_overflow 0
		.amdhsa_exception_fp_ieee_underflow 0
		.amdhsa_exception_fp_ieee_inexact 0
		.amdhsa_exception_int_div_zero 0
	.end_amdhsa_kernel
	.section	.text._ZN7rocprim17ROCPRIM_400000_NS6detail17trampoline_kernelINS0_14default_configENS1_29binary_search_config_selectorIyiEEZNS1_14transform_implILb0ES3_S5_N6thrust23THRUST_200600_302600_NS6detail15normal_iteratorINS8_7pointerIyNS8_11hip_rocprim5par_tENS8_11use_defaultESE_EEEENSA_INSB_IiSD_SE_SE_EEEEZNS1_13binary_searchIS3_S5_PySG_SI_NS1_16binary_search_opENS9_16wrapped_functionINS8_6system6detail7generic6detail18binary_search_lessEbEEEE10hipError_tPvRmT1_T2_T3_mmT4_T5_P12ihipStream_tbEUlRKyE_EEST_SX_SY_mSZ_S12_bEUlT_E_NS1_11comp_targetILNS1_3genE10ELNS1_11target_archE1201ELNS1_3gpuE5ELNS1_3repE0EEENS1_30default_config_static_selectorELNS0_4arch9wavefront6targetE1EEEvSW_,"axG",@progbits,_ZN7rocprim17ROCPRIM_400000_NS6detail17trampoline_kernelINS0_14default_configENS1_29binary_search_config_selectorIyiEEZNS1_14transform_implILb0ES3_S5_N6thrust23THRUST_200600_302600_NS6detail15normal_iteratorINS8_7pointerIyNS8_11hip_rocprim5par_tENS8_11use_defaultESE_EEEENSA_INSB_IiSD_SE_SE_EEEEZNS1_13binary_searchIS3_S5_PySG_SI_NS1_16binary_search_opENS9_16wrapped_functionINS8_6system6detail7generic6detail18binary_search_lessEbEEEE10hipError_tPvRmT1_T2_T3_mmT4_T5_P12ihipStream_tbEUlRKyE_EEST_SX_SY_mSZ_S12_bEUlT_E_NS1_11comp_targetILNS1_3genE10ELNS1_11target_archE1201ELNS1_3gpuE5ELNS1_3repE0EEENS1_30default_config_static_selectorELNS0_4arch9wavefront6targetE1EEEvSW_,comdat
.Lfunc_end268:
	.size	_ZN7rocprim17ROCPRIM_400000_NS6detail17trampoline_kernelINS0_14default_configENS1_29binary_search_config_selectorIyiEEZNS1_14transform_implILb0ES3_S5_N6thrust23THRUST_200600_302600_NS6detail15normal_iteratorINS8_7pointerIyNS8_11hip_rocprim5par_tENS8_11use_defaultESE_EEEENSA_INSB_IiSD_SE_SE_EEEEZNS1_13binary_searchIS3_S5_PySG_SI_NS1_16binary_search_opENS9_16wrapped_functionINS8_6system6detail7generic6detail18binary_search_lessEbEEEE10hipError_tPvRmT1_T2_T3_mmT4_T5_P12ihipStream_tbEUlRKyE_EEST_SX_SY_mSZ_S12_bEUlT_E_NS1_11comp_targetILNS1_3genE10ELNS1_11target_archE1201ELNS1_3gpuE5ELNS1_3repE0EEENS1_30default_config_static_selectorELNS0_4arch9wavefront6targetE1EEEvSW_, .Lfunc_end268-_ZN7rocprim17ROCPRIM_400000_NS6detail17trampoline_kernelINS0_14default_configENS1_29binary_search_config_selectorIyiEEZNS1_14transform_implILb0ES3_S5_N6thrust23THRUST_200600_302600_NS6detail15normal_iteratorINS8_7pointerIyNS8_11hip_rocprim5par_tENS8_11use_defaultESE_EEEENSA_INSB_IiSD_SE_SE_EEEEZNS1_13binary_searchIS3_S5_PySG_SI_NS1_16binary_search_opENS9_16wrapped_functionINS8_6system6detail7generic6detail18binary_search_lessEbEEEE10hipError_tPvRmT1_T2_T3_mmT4_T5_P12ihipStream_tbEUlRKyE_EEST_SX_SY_mSZ_S12_bEUlT_E_NS1_11comp_targetILNS1_3genE10ELNS1_11target_archE1201ELNS1_3gpuE5ELNS1_3repE0EEENS1_30default_config_static_selectorELNS0_4arch9wavefront6targetE1EEEvSW_
                                        ; -- End function
	.set _ZN7rocprim17ROCPRIM_400000_NS6detail17trampoline_kernelINS0_14default_configENS1_29binary_search_config_selectorIyiEEZNS1_14transform_implILb0ES3_S5_N6thrust23THRUST_200600_302600_NS6detail15normal_iteratorINS8_7pointerIyNS8_11hip_rocprim5par_tENS8_11use_defaultESE_EEEENSA_INSB_IiSD_SE_SE_EEEEZNS1_13binary_searchIS3_S5_PySG_SI_NS1_16binary_search_opENS9_16wrapped_functionINS8_6system6detail7generic6detail18binary_search_lessEbEEEE10hipError_tPvRmT1_T2_T3_mmT4_T5_P12ihipStream_tbEUlRKyE_EEST_SX_SY_mSZ_S12_bEUlT_E_NS1_11comp_targetILNS1_3genE10ELNS1_11target_archE1201ELNS1_3gpuE5ELNS1_3repE0EEENS1_30default_config_static_selectorELNS0_4arch9wavefront6targetE1EEEvSW_.num_vgpr, 0
	.set _ZN7rocprim17ROCPRIM_400000_NS6detail17trampoline_kernelINS0_14default_configENS1_29binary_search_config_selectorIyiEEZNS1_14transform_implILb0ES3_S5_N6thrust23THRUST_200600_302600_NS6detail15normal_iteratorINS8_7pointerIyNS8_11hip_rocprim5par_tENS8_11use_defaultESE_EEEENSA_INSB_IiSD_SE_SE_EEEEZNS1_13binary_searchIS3_S5_PySG_SI_NS1_16binary_search_opENS9_16wrapped_functionINS8_6system6detail7generic6detail18binary_search_lessEbEEEE10hipError_tPvRmT1_T2_T3_mmT4_T5_P12ihipStream_tbEUlRKyE_EEST_SX_SY_mSZ_S12_bEUlT_E_NS1_11comp_targetILNS1_3genE10ELNS1_11target_archE1201ELNS1_3gpuE5ELNS1_3repE0EEENS1_30default_config_static_selectorELNS0_4arch9wavefront6targetE1EEEvSW_.num_agpr, 0
	.set _ZN7rocprim17ROCPRIM_400000_NS6detail17trampoline_kernelINS0_14default_configENS1_29binary_search_config_selectorIyiEEZNS1_14transform_implILb0ES3_S5_N6thrust23THRUST_200600_302600_NS6detail15normal_iteratorINS8_7pointerIyNS8_11hip_rocprim5par_tENS8_11use_defaultESE_EEEENSA_INSB_IiSD_SE_SE_EEEEZNS1_13binary_searchIS3_S5_PySG_SI_NS1_16binary_search_opENS9_16wrapped_functionINS8_6system6detail7generic6detail18binary_search_lessEbEEEE10hipError_tPvRmT1_T2_T3_mmT4_T5_P12ihipStream_tbEUlRKyE_EEST_SX_SY_mSZ_S12_bEUlT_E_NS1_11comp_targetILNS1_3genE10ELNS1_11target_archE1201ELNS1_3gpuE5ELNS1_3repE0EEENS1_30default_config_static_selectorELNS0_4arch9wavefront6targetE1EEEvSW_.numbered_sgpr, 0
	.set _ZN7rocprim17ROCPRIM_400000_NS6detail17trampoline_kernelINS0_14default_configENS1_29binary_search_config_selectorIyiEEZNS1_14transform_implILb0ES3_S5_N6thrust23THRUST_200600_302600_NS6detail15normal_iteratorINS8_7pointerIyNS8_11hip_rocprim5par_tENS8_11use_defaultESE_EEEENSA_INSB_IiSD_SE_SE_EEEEZNS1_13binary_searchIS3_S5_PySG_SI_NS1_16binary_search_opENS9_16wrapped_functionINS8_6system6detail7generic6detail18binary_search_lessEbEEEE10hipError_tPvRmT1_T2_T3_mmT4_T5_P12ihipStream_tbEUlRKyE_EEST_SX_SY_mSZ_S12_bEUlT_E_NS1_11comp_targetILNS1_3genE10ELNS1_11target_archE1201ELNS1_3gpuE5ELNS1_3repE0EEENS1_30default_config_static_selectorELNS0_4arch9wavefront6targetE1EEEvSW_.num_named_barrier, 0
	.set _ZN7rocprim17ROCPRIM_400000_NS6detail17trampoline_kernelINS0_14default_configENS1_29binary_search_config_selectorIyiEEZNS1_14transform_implILb0ES3_S5_N6thrust23THRUST_200600_302600_NS6detail15normal_iteratorINS8_7pointerIyNS8_11hip_rocprim5par_tENS8_11use_defaultESE_EEEENSA_INSB_IiSD_SE_SE_EEEEZNS1_13binary_searchIS3_S5_PySG_SI_NS1_16binary_search_opENS9_16wrapped_functionINS8_6system6detail7generic6detail18binary_search_lessEbEEEE10hipError_tPvRmT1_T2_T3_mmT4_T5_P12ihipStream_tbEUlRKyE_EEST_SX_SY_mSZ_S12_bEUlT_E_NS1_11comp_targetILNS1_3genE10ELNS1_11target_archE1201ELNS1_3gpuE5ELNS1_3repE0EEENS1_30default_config_static_selectorELNS0_4arch9wavefront6targetE1EEEvSW_.private_seg_size, 0
	.set _ZN7rocprim17ROCPRIM_400000_NS6detail17trampoline_kernelINS0_14default_configENS1_29binary_search_config_selectorIyiEEZNS1_14transform_implILb0ES3_S5_N6thrust23THRUST_200600_302600_NS6detail15normal_iteratorINS8_7pointerIyNS8_11hip_rocprim5par_tENS8_11use_defaultESE_EEEENSA_INSB_IiSD_SE_SE_EEEEZNS1_13binary_searchIS3_S5_PySG_SI_NS1_16binary_search_opENS9_16wrapped_functionINS8_6system6detail7generic6detail18binary_search_lessEbEEEE10hipError_tPvRmT1_T2_T3_mmT4_T5_P12ihipStream_tbEUlRKyE_EEST_SX_SY_mSZ_S12_bEUlT_E_NS1_11comp_targetILNS1_3genE10ELNS1_11target_archE1201ELNS1_3gpuE5ELNS1_3repE0EEENS1_30default_config_static_selectorELNS0_4arch9wavefront6targetE1EEEvSW_.uses_vcc, 0
	.set _ZN7rocprim17ROCPRIM_400000_NS6detail17trampoline_kernelINS0_14default_configENS1_29binary_search_config_selectorIyiEEZNS1_14transform_implILb0ES3_S5_N6thrust23THRUST_200600_302600_NS6detail15normal_iteratorINS8_7pointerIyNS8_11hip_rocprim5par_tENS8_11use_defaultESE_EEEENSA_INSB_IiSD_SE_SE_EEEEZNS1_13binary_searchIS3_S5_PySG_SI_NS1_16binary_search_opENS9_16wrapped_functionINS8_6system6detail7generic6detail18binary_search_lessEbEEEE10hipError_tPvRmT1_T2_T3_mmT4_T5_P12ihipStream_tbEUlRKyE_EEST_SX_SY_mSZ_S12_bEUlT_E_NS1_11comp_targetILNS1_3genE10ELNS1_11target_archE1201ELNS1_3gpuE5ELNS1_3repE0EEENS1_30default_config_static_selectorELNS0_4arch9wavefront6targetE1EEEvSW_.uses_flat_scratch, 0
	.set _ZN7rocprim17ROCPRIM_400000_NS6detail17trampoline_kernelINS0_14default_configENS1_29binary_search_config_selectorIyiEEZNS1_14transform_implILb0ES3_S5_N6thrust23THRUST_200600_302600_NS6detail15normal_iteratorINS8_7pointerIyNS8_11hip_rocprim5par_tENS8_11use_defaultESE_EEEENSA_INSB_IiSD_SE_SE_EEEEZNS1_13binary_searchIS3_S5_PySG_SI_NS1_16binary_search_opENS9_16wrapped_functionINS8_6system6detail7generic6detail18binary_search_lessEbEEEE10hipError_tPvRmT1_T2_T3_mmT4_T5_P12ihipStream_tbEUlRKyE_EEST_SX_SY_mSZ_S12_bEUlT_E_NS1_11comp_targetILNS1_3genE10ELNS1_11target_archE1201ELNS1_3gpuE5ELNS1_3repE0EEENS1_30default_config_static_selectorELNS0_4arch9wavefront6targetE1EEEvSW_.has_dyn_sized_stack, 0
	.set _ZN7rocprim17ROCPRIM_400000_NS6detail17trampoline_kernelINS0_14default_configENS1_29binary_search_config_selectorIyiEEZNS1_14transform_implILb0ES3_S5_N6thrust23THRUST_200600_302600_NS6detail15normal_iteratorINS8_7pointerIyNS8_11hip_rocprim5par_tENS8_11use_defaultESE_EEEENSA_INSB_IiSD_SE_SE_EEEEZNS1_13binary_searchIS3_S5_PySG_SI_NS1_16binary_search_opENS9_16wrapped_functionINS8_6system6detail7generic6detail18binary_search_lessEbEEEE10hipError_tPvRmT1_T2_T3_mmT4_T5_P12ihipStream_tbEUlRKyE_EEST_SX_SY_mSZ_S12_bEUlT_E_NS1_11comp_targetILNS1_3genE10ELNS1_11target_archE1201ELNS1_3gpuE5ELNS1_3repE0EEENS1_30default_config_static_selectorELNS0_4arch9wavefront6targetE1EEEvSW_.has_recursion, 0
	.set _ZN7rocprim17ROCPRIM_400000_NS6detail17trampoline_kernelINS0_14default_configENS1_29binary_search_config_selectorIyiEEZNS1_14transform_implILb0ES3_S5_N6thrust23THRUST_200600_302600_NS6detail15normal_iteratorINS8_7pointerIyNS8_11hip_rocprim5par_tENS8_11use_defaultESE_EEEENSA_INSB_IiSD_SE_SE_EEEEZNS1_13binary_searchIS3_S5_PySG_SI_NS1_16binary_search_opENS9_16wrapped_functionINS8_6system6detail7generic6detail18binary_search_lessEbEEEE10hipError_tPvRmT1_T2_T3_mmT4_T5_P12ihipStream_tbEUlRKyE_EEST_SX_SY_mSZ_S12_bEUlT_E_NS1_11comp_targetILNS1_3genE10ELNS1_11target_archE1201ELNS1_3gpuE5ELNS1_3repE0EEENS1_30default_config_static_selectorELNS0_4arch9wavefront6targetE1EEEvSW_.has_indirect_call, 0
	.section	.AMDGPU.csdata,"",@progbits
; Kernel info:
; codeLenInByte = 0
; TotalNumSgprs: 4
; NumVgprs: 0
; ScratchSize: 0
; MemoryBound: 0
; FloatMode: 240
; IeeeMode: 1
; LDSByteSize: 0 bytes/workgroup (compile time only)
; SGPRBlocks: 0
; VGPRBlocks: 0
; NumSGPRsForWavesPerEU: 4
; NumVGPRsForWavesPerEU: 1
; Occupancy: 10
; WaveLimiterHint : 0
; COMPUTE_PGM_RSRC2:SCRATCH_EN: 0
; COMPUTE_PGM_RSRC2:USER_SGPR: 6
; COMPUTE_PGM_RSRC2:TRAP_HANDLER: 0
; COMPUTE_PGM_RSRC2:TGID_X_EN: 1
; COMPUTE_PGM_RSRC2:TGID_Y_EN: 0
; COMPUTE_PGM_RSRC2:TGID_Z_EN: 0
; COMPUTE_PGM_RSRC2:TIDIG_COMP_CNT: 0
	.section	.text._ZN7rocprim17ROCPRIM_400000_NS6detail17trampoline_kernelINS0_14default_configENS1_29binary_search_config_selectorIyiEEZNS1_14transform_implILb0ES3_S5_N6thrust23THRUST_200600_302600_NS6detail15normal_iteratorINS8_7pointerIyNS8_11hip_rocprim5par_tENS8_11use_defaultESE_EEEENSA_INSB_IiSD_SE_SE_EEEEZNS1_13binary_searchIS3_S5_PySG_SI_NS1_16binary_search_opENS9_16wrapped_functionINS8_6system6detail7generic6detail18binary_search_lessEbEEEE10hipError_tPvRmT1_T2_T3_mmT4_T5_P12ihipStream_tbEUlRKyE_EEST_SX_SY_mSZ_S12_bEUlT_E_NS1_11comp_targetILNS1_3genE10ELNS1_11target_archE1200ELNS1_3gpuE4ELNS1_3repE0EEENS1_30default_config_static_selectorELNS0_4arch9wavefront6targetE1EEEvSW_,"axG",@progbits,_ZN7rocprim17ROCPRIM_400000_NS6detail17trampoline_kernelINS0_14default_configENS1_29binary_search_config_selectorIyiEEZNS1_14transform_implILb0ES3_S5_N6thrust23THRUST_200600_302600_NS6detail15normal_iteratorINS8_7pointerIyNS8_11hip_rocprim5par_tENS8_11use_defaultESE_EEEENSA_INSB_IiSD_SE_SE_EEEEZNS1_13binary_searchIS3_S5_PySG_SI_NS1_16binary_search_opENS9_16wrapped_functionINS8_6system6detail7generic6detail18binary_search_lessEbEEEE10hipError_tPvRmT1_T2_T3_mmT4_T5_P12ihipStream_tbEUlRKyE_EEST_SX_SY_mSZ_S12_bEUlT_E_NS1_11comp_targetILNS1_3genE10ELNS1_11target_archE1200ELNS1_3gpuE4ELNS1_3repE0EEENS1_30default_config_static_selectorELNS0_4arch9wavefront6targetE1EEEvSW_,comdat
	.protected	_ZN7rocprim17ROCPRIM_400000_NS6detail17trampoline_kernelINS0_14default_configENS1_29binary_search_config_selectorIyiEEZNS1_14transform_implILb0ES3_S5_N6thrust23THRUST_200600_302600_NS6detail15normal_iteratorINS8_7pointerIyNS8_11hip_rocprim5par_tENS8_11use_defaultESE_EEEENSA_INSB_IiSD_SE_SE_EEEEZNS1_13binary_searchIS3_S5_PySG_SI_NS1_16binary_search_opENS9_16wrapped_functionINS8_6system6detail7generic6detail18binary_search_lessEbEEEE10hipError_tPvRmT1_T2_T3_mmT4_T5_P12ihipStream_tbEUlRKyE_EEST_SX_SY_mSZ_S12_bEUlT_E_NS1_11comp_targetILNS1_3genE10ELNS1_11target_archE1200ELNS1_3gpuE4ELNS1_3repE0EEENS1_30default_config_static_selectorELNS0_4arch9wavefront6targetE1EEEvSW_ ; -- Begin function _ZN7rocprim17ROCPRIM_400000_NS6detail17trampoline_kernelINS0_14default_configENS1_29binary_search_config_selectorIyiEEZNS1_14transform_implILb0ES3_S5_N6thrust23THRUST_200600_302600_NS6detail15normal_iteratorINS8_7pointerIyNS8_11hip_rocprim5par_tENS8_11use_defaultESE_EEEENSA_INSB_IiSD_SE_SE_EEEEZNS1_13binary_searchIS3_S5_PySG_SI_NS1_16binary_search_opENS9_16wrapped_functionINS8_6system6detail7generic6detail18binary_search_lessEbEEEE10hipError_tPvRmT1_T2_T3_mmT4_T5_P12ihipStream_tbEUlRKyE_EEST_SX_SY_mSZ_S12_bEUlT_E_NS1_11comp_targetILNS1_3genE10ELNS1_11target_archE1200ELNS1_3gpuE4ELNS1_3repE0EEENS1_30default_config_static_selectorELNS0_4arch9wavefront6targetE1EEEvSW_
	.globl	_ZN7rocprim17ROCPRIM_400000_NS6detail17trampoline_kernelINS0_14default_configENS1_29binary_search_config_selectorIyiEEZNS1_14transform_implILb0ES3_S5_N6thrust23THRUST_200600_302600_NS6detail15normal_iteratorINS8_7pointerIyNS8_11hip_rocprim5par_tENS8_11use_defaultESE_EEEENSA_INSB_IiSD_SE_SE_EEEEZNS1_13binary_searchIS3_S5_PySG_SI_NS1_16binary_search_opENS9_16wrapped_functionINS8_6system6detail7generic6detail18binary_search_lessEbEEEE10hipError_tPvRmT1_T2_T3_mmT4_T5_P12ihipStream_tbEUlRKyE_EEST_SX_SY_mSZ_S12_bEUlT_E_NS1_11comp_targetILNS1_3genE10ELNS1_11target_archE1200ELNS1_3gpuE4ELNS1_3repE0EEENS1_30default_config_static_selectorELNS0_4arch9wavefront6targetE1EEEvSW_
	.p2align	8
	.type	_ZN7rocprim17ROCPRIM_400000_NS6detail17trampoline_kernelINS0_14default_configENS1_29binary_search_config_selectorIyiEEZNS1_14transform_implILb0ES3_S5_N6thrust23THRUST_200600_302600_NS6detail15normal_iteratorINS8_7pointerIyNS8_11hip_rocprim5par_tENS8_11use_defaultESE_EEEENSA_INSB_IiSD_SE_SE_EEEEZNS1_13binary_searchIS3_S5_PySG_SI_NS1_16binary_search_opENS9_16wrapped_functionINS8_6system6detail7generic6detail18binary_search_lessEbEEEE10hipError_tPvRmT1_T2_T3_mmT4_T5_P12ihipStream_tbEUlRKyE_EEST_SX_SY_mSZ_S12_bEUlT_E_NS1_11comp_targetILNS1_3genE10ELNS1_11target_archE1200ELNS1_3gpuE4ELNS1_3repE0EEENS1_30default_config_static_selectorELNS0_4arch9wavefront6targetE1EEEvSW_,@function
_ZN7rocprim17ROCPRIM_400000_NS6detail17trampoline_kernelINS0_14default_configENS1_29binary_search_config_selectorIyiEEZNS1_14transform_implILb0ES3_S5_N6thrust23THRUST_200600_302600_NS6detail15normal_iteratorINS8_7pointerIyNS8_11hip_rocprim5par_tENS8_11use_defaultESE_EEEENSA_INSB_IiSD_SE_SE_EEEEZNS1_13binary_searchIS3_S5_PySG_SI_NS1_16binary_search_opENS9_16wrapped_functionINS8_6system6detail7generic6detail18binary_search_lessEbEEEE10hipError_tPvRmT1_T2_T3_mmT4_T5_P12ihipStream_tbEUlRKyE_EEST_SX_SY_mSZ_S12_bEUlT_E_NS1_11comp_targetILNS1_3genE10ELNS1_11target_archE1200ELNS1_3gpuE4ELNS1_3repE0EEENS1_30default_config_static_selectorELNS0_4arch9wavefront6targetE1EEEvSW_: ; @_ZN7rocprim17ROCPRIM_400000_NS6detail17trampoline_kernelINS0_14default_configENS1_29binary_search_config_selectorIyiEEZNS1_14transform_implILb0ES3_S5_N6thrust23THRUST_200600_302600_NS6detail15normal_iteratorINS8_7pointerIyNS8_11hip_rocprim5par_tENS8_11use_defaultESE_EEEENSA_INSB_IiSD_SE_SE_EEEEZNS1_13binary_searchIS3_S5_PySG_SI_NS1_16binary_search_opENS9_16wrapped_functionINS8_6system6detail7generic6detail18binary_search_lessEbEEEE10hipError_tPvRmT1_T2_T3_mmT4_T5_P12ihipStream_tbEUlRKyE_EEST_SX_SY_mSZ_S12_bEUlT_E_NS1_11comp_targetILNS1_3genE10ELNS1_11target_archE1200ELNS1_3gpuE4ELNS1_3repE0EEENS1_30default_config_static_selectorELNS0_4arch9wavefront6targetE1EEEvSW_
; %bb.0:
	.section	.rodata,"a",@progbits
	.p2align	6, 0x0
	.amdhsa_kernel _ZN7rocprim17ROCPRIM_400000_NS6detail17trampoline_kernelINS0_14default_configENS1_29binary_search_config_selectorIyiEEZNS1_14transform_implILb0ES3_S5_N6thrust23THRUST_200600_302600_NS6detail15normal_iteratorINS8_7pointerIyNS8_11hip_rocprim5par_tENS8_11use_defaultESE_EEEENSA_INSB_IiSD_SE_SE_EEEEZNS1_13binary_searchIS3_S5_PySG_SI_NS1_16binary_search_opENS9_16wrapped_functionINS8_6system6detail7generic6detail18binary_search_lessEbEEEE10hipError_tPvRmT1_T2_T3_mmT4_T5_P12ihipStream_tbEUlRKyE_EEST_SX_SY_mSZ_S12_bEUlT_E_NS1_11comp_targetILNS1_3genE10ELNS1_11target_archE1200ELNS1_3gpuE4ELNS1_3repE0EEENS1_30default_config_static_selectorELNS0_4arch9wavefront6targetE1EEEvSW_
		.amdhsa_group_segment_fixed_size 0
		.amdhsa_private_segment_fixed_size 0
		.amdhsa_kernarg_size 56
		.amdhsa_user_sgpr_count 6
		.amdhsa_user_sgpr_private_segment_buffer 1
		.amdhsa_user_sgpr_dispatch_ptr 0
		.amdhsa_user_sgpr_queue_ptr 0
		.amdhsa_user_sgpr_kernarg_segment_ptr 1
		.amdhsa_user_sgpr_dispatch_id 0
		.amdhsa_user_sgpr_flat_scratch_init 0
		.amdhsa_user_sgpr_private_segment_size 0
		.amdhsa_uses_dynamic_stack 0
		.amdhsa_system_sgpr_private_segment_wavefront_offset 0
		.amdhsa_system_sgpr_workgroup_id_x 1
		.amdhsa_system_sgpr_workgroup_id_y 0
		.amdhsa_system_sgpr_workgroup_id_z 0
		.amdhsa_system_sgpr_workgroup_info 0
		.amdhsa_system_vgpr_workitem_id 0
		.amdhsa_next_free_vgpr 1
		.amdhsa_next_free_sgpr 0
		.amdhsa_reserve_vcc 0
		.amdhsa_reserve_flat_scratch 0
		.amdhsa_float_round_mode_32 0
		.amdhsa_float_round_mode_16_64 0
		.amdhsa_float_denorm_mode_32 3
		.amdhsa_float_denorm_mode_16_64 3
		.amdhsa_dx10_clamp 1
		.amdhsa_ieee_mode 1
		.amdhsa_fp16_overflow 0
		.amdhsa_exception_fp_ieee_invalid_op 0
		.amdhsa_exception_fp_denorm_src 0
		.amdhsa_exception_fp_ieee_div_zero 0
		.amdhsa_exception_fp_ieee_overflow 0
		.amdhsa_exception_fp_ieee_underflow 0
		.amdhsa_exception_fp_ieee_inexact 0
		.amdhsa_exception_int_div_zero 0
	.end_amdhsa_kernel
	.section	.text._ZN7rocprim17ROCPRIM_400000_NS6detail17trampoline_kernelINS0_14default_configENS1_29binary_search_config_selectorIyiEEZNS1_14transform_implILb0ES3_S5_N6thrust23THRUST_200600_302600_NS6detail15normal_iteratorINS8_7pointerIyNS8_11hip_rocprim5par_tENS8_11use_defaultESE_EEEENSA_INSB_IiSD_SE_SE_EEEEZNS1_13binary_searchIS3_S5_PySG_SI_NS1_16binary_search_opENS9_16wrapped_functionINS8_6system6detail7generic6detail18binary_search_lessEbEEEE10hipError_tPvRmT1_T2_T3_mmT4_T5_P12ihipStream_tbEUlRKyE_EEST_SX_SY_mSZ_S12_bEUlT_E_NS1_11comp_targetILNS1_3genE10ELNS1_11target_archE1200ELNS1_3gpuE4ELNS1_3repE0EEENS1_30default_config_static_selectorELNS0_4arch9wavefront6targetE1EEEvSW_,"axG",@progbits,_ZN7rocprim17ROCPRIM_400000_NS6detail17trampoline_kernelINS0_14default_configENS1_29binary_search_config_selectorIyiEEZNS1_14transform_implILb0ES3_S5_N6thrust23THRUST_200600_302600_NS6detail15normal_iteratorINS8_7pointerIyNS8_11hip_rocprim5par_tENS8_11use_defaultESE_EEEENSA_INSB_IiSD_SE_SE_EEEEZNS1_13binary_searchIS3_S5_PySG_SI_NS1_16binary_search_opENS9_16wrapped_functionINS8_6system6detail7generic6detail18binary_search_lessEbEEEE10hipError_tPvRmT1_T2_T3_mmT4_T5_P12ihipStream_tbEUlRKyE_EEST_SX_SY_mSZ_S12_bEUlT_E_NS1_11comp_targetILNS1_3genE10ELNS1_11target_archE1200ELNS1_3gpuE4ELNS1_3repE0EEENS1_30default_config_static_selectorELNS0_4arch9wavefront6targetE1EEEvSW_,comdat
.Lfunc_end269:
	.size	_ZN7rocprim17ROCPRIM_400000_NS6detail17trampoline_kernelINS0_14default_configENS1_29binary_search_config_selectorIyiEEZNS1_14transform_implILb0ES3_S5_N6thrust23THRUST_200600_302600_NS6detail15normal_iteratorINS8_7pointerIyNS8_11hip_rocprim5par_tENS8_11use_defaultESE_EEEENSA_INSB_IiSD_SE_SE_EEEEZNS1_13binary_searchIS3_S5_PySG_SI_NS1_16binary_search_opENS9_16wrapped_functionINS8_6system6detail7generic6detail18binary_search_lessEbEEEE10hipError_tPvRmT1_T2_T3_mmT4_T5_P12ihipStream_tbEUlRKyE_EEST_SX_SY_mSZ_S12_bEUlT_E_NS1_11comp_targetILNS1_3genE10ELNS1_11target_archE1200ELNS1_3gpuE4ELNS1_3repE0EEENS1_30default_config_static_selectorELNS0_4arch9wavefront6targetE1EEEvSW_, .Lfunc_end269-_ZN7rocprim17ROCPRIM_400000_NS6detail17trampoline_kernelINS0_14default_configENS1_29binary_search_config_selectorIyiEEZNS1_14transform_implILb0ES3_S5_N6thrust23THRUST_200600_302600_NS6detail15normal_iteratorINS8_7pointerIyNS8_11hip_rocprim5par_tENS8_11use_defaultESE_EEEENSA_INSB_IiSD_SE_SE_EEEEZNS1_13binary_searchIS3_S5_PySG_SI_NS1_16binary_search_opENS9_16wrapped_functionINS8_6system6detail7generic6detail18binary_search_lessEbEEEE10hipError_tPvRmT1_T2_T3_mmT4_T5_P12ihipStream_tbEUlRKyE_EEST_SX_SY_mSZ_S12_bEUlT_E_NS1_11comp_targetILNS1_3genE10ELNS1_11target_archE1200ELNS1_3gpuE4ELNS1_3repE0EEENS1_30default_config_static_selectorELNS0_4arch9wavefront6targetE1EEEvSW_
                                        ; -- End function
	.set _ZN7rocprim17ROCPRIM_400000_NS6detail17trampoline_kernelINS0_14default_configENS1_29binary_search_config_selectorIyiEEZNS1_14transform_implILb0ES3_S5_N6thrust23THRUST_200600_302600_NS6detail15normal_iteratorINS8_7pointerIyNS8_11hip_rocprim5par_tENS8_11use_defaultESE_EEEENSA_INSB_IiSD_SE_SE_EEEEZNS1_13binary_searchIS3_S5_PySG_SI_NS1_16binary_search_opENS9_16wrapped_functionINS8_6system6detail7generic6detail18binary_search_lessEbEEEE10hipError_tPvRmT1_T2_T3_mmT4_T5_P12ihipStream_tbEUlRKyE_EEST_SX_SY_mSZ_S12_bEUlT_E_NS1_11comp_targetILNS1_3genE10ELNS1_11target_archE1200ELNS1_3gpuE4ELNS1_3repE0EEENS1_30default_config_static_selectorELNS0_4arch9wavefront6targetE1EEEvSW_.num_vgpr, 0
	.set _ZN7rocprim17ROCPRIM_400000_NS6detail17trampoline_kernelINS0_14default_configENS1_29binary_search_config_selectorIyiEEZNS1_14transform_implILb0ES3_S5_N6thrust23THRUST_200600_302600_NS6detail15normal_iteratorINS8_7pointerIyNS8_11hip_rocprim5par_tENS8_11use_defaultESE_EEEENSA_INSB_IiSD_SE_SE_EEEEZNS1_13binary_searchIS3_S5_PySG_SI_NS1_16binary_search_opENS9_16wrapped_functionINS8_6system6detail7generic6detail18binary_search_lessEbEEEE10hipError_tPvRmT1_T2_T3_mmT4_T5_P12ihipStream_tbEUlRKyE_EEST_SX_SY_mSZ_S12_bEUlT_E_NS1_11comp_targetILNS1_3genE10ELNS1_11target_archE1200ELNS1_3gpuE4ELNS1_3repE0EEENS1_30default_config_static_selectorELNS0_4arch9wavefront6targetE1EEEvSW_.num_agpr, 0
	.set _ZN7rocprim17ROCPRIM_400000_NS6detail17trampoline_kernelINS0_14default_configENS1_29binary_search_config_selectorIyiEEZNS1_14transform_implILb0ES3_S5_N6thrust23THRUST_200600_302600_NS6detail15normal_iteratorINS8_7pointerIyNS8_11hip_rocprim5par_tENS8_11use_defaultESE_EEEENSA_INSB_IiSD_SE_SE_EEEEZNS1_13binary_searchIS3_S5_PySG_SI_NS1_16binary_search_opENS9_16wrapped_functionINS8_6system6detail7generic6detail18binary_search_lessEbEEEE10hipError_tPvRmT1_T2_T3_mmT4_T5_P12ihipStream_tbEUlRKyE_EEST_SX_SY_mSZ_S12_bEUlT_E_NS1_11comp_targetILNS1_3genE10ELNS1_11target_archE1200ELNS1_3gpuE4ELNS1_3repE0EEENS1_30default_config_static_selectorELNS0_4arch9wavefront6targetE1EEEvSW_.numbered_sgpr, 0
	.set _ZN7rocprim17ROCPRIM_400000_NS6detail17trampoline_kernelINS0_14default_configENS1_29binary_search_config_selectorIyiEEZNS1_14transform_implILb0ES3_S5_N6thrust23THRUST_200600_302600_NS6detail15normal_iteratorINS8_7pointerIyNS8_11hip_rocprim5par_tENS8_11use_defaultESE_EEEENSA_INSB_IiSD_SE_SE_EEEEZNS1_13binary_searchIS3_S5_PySG_SI_NS1_16binary_search_opENS9_16wrapped_functionINS8_6system6detail7generic6detail18binary_search_lessEbEEEE10hipError_tPvRmT1_T2_T3_mmT4_T5_P12ihipStream_tbEUlRKyE_EEST_SX_SY_mSZ_S12_bEUlT_E_NS1_11comp_targetILNS1_3genE10ELNS1_11target_archE1200ELNS1_3gpuE4ELNS1_3repE0EEENS1_30default_config_static_selectorELNS0_4arch9wavefront6targetE1EEEvSW_.num_named_barrier, 0
	.set _ZN7rocprim17ROCPRIM_400000_NS6detail17trampoline_kernelINS0_14default_configENS1_29binary_search_config_selectorIyiEEZNS1_14transform_implILb0ES3_S5_N6thrust23THRUST_200600_302600_NS6detail15normal_iteratorINS8_7pointerIyNS8_11hip_rocprim5par_tENS8_11use_defaultESE_EEEENSA_INSB_IiSD_SE_SE_EEEEZNS1_13binary_searchIS3_S5_PySG_SI_NS1_16binary_search_opENS9_16wrapped_functionINS8_6system6detail7generic6detail18binary_search_lessEbEEEE10hipError_tPvRmT1_T2_T3_mmT4_T5_P12ihipStream_tbEUlRKyE_EEST_SX_SY_mSZ_S12_bEUlT_E_NS1_11comp_targetILNS1_3genE10ELNS1_11target_archE1200ELNS1_3gpuE4ELNS1_3repE0EEENS1_30default_config_static_selectorELNS0_4arch9wavefront6targetE1EEEvSW_.private_seg_size, 0
	.set _ZN7rocprim17ROCPRIM_400000_NS6detail17trampoline_kernelINS0_14default_configENS1_29binary_search_config_selectorIyiEEZNS1_14transform_implILb0ES3_S5_N6thrust23THRUST_200600_302600_NS6detail15normal_iteratorINS8_7pointerIyNS8_11hip_rocprim5par_tENS8_11use_defaultESE_EEEENSA_INSB_IiSD_SE_SE_EEEEZNS1_13binary_searchIS3_S5_PySG_SI_NS1_16binary_search_opENS9_16wrapped_functionINS8_6system6detail7generic6detail18binary_search_lessEbEEEE10hipError_tPvRmT1_T2_T3_mmT4_T5_P12ihipStream_tbEUlRKyE_EEST_SX_SY_mSZ_S12_bEUlT_E_NS1_11comp_targetILNS1_3genE10ELNS1_11target_archE1200ELNS1_3gpuE4ELNS1_3repE0EEENS1_30default_config_static_selectorELNS0_4arch9wavefront6targetE1EEEvSW_.uses_vcc, 0
	.set _ZN7rocprim17ROCPRIM_400000_NS6detail17trampoline_kernelINS0_14default_configENS1_29binary_search_config_selectorIyiEEZNS1_14transform_implILb0ES3_S5_N6thrust23THRUST_200600_302600_NS6detail15normal_iteratorINS8_7pointerIyNS8_11hip_rocprim5par_tENS8_11use_defaultESE_EEEENSA_INSB_IiSD_SE_SE_EEEEZNS1_13binary_searchIS3_S5_PySG_SI_NS1_16binary_search_opENS9_16wrapped_functionINS8_6system6detail7generic6detail18binary_search_lessEbEEEE10hipError_tPvRmT1_T2_T3_mmT4_T5_P12ihipStream_tbEUlRKyE_EEST_SX_SY_mSZ_S12_bEUlT_E_NS1_11comp_targetILNS1_3genE10ELNS1_11target_archE1200ELNS1_3gpuE4ELNS1_3repE0EEENS1_30default_config_static_selectorELNS0_4arch9wavefront6targetE1EEEvSW_.uses_flat_scratch, 0
	.set _ZN7rocprim17ROCPRIM_400000_NS6detail17trampoline_kernelINS0_14default_configENS1_29binary_search_config_selectorIyiEEZNS1_14transform_implILb0ES3_S5_N6thrust23THRUST_200600_302600_NS6detail15normal_iteratorINS8_7pointerIyNS8_11hip_rocprim5par_tENS8_11use_defaultESE_EEEENSA_INSB_IiSD_SE_SE_EEEEZNS1_13binary_searchIS3_S5_PySG_SI_NS1_16binary_search_opENS9_16wrapped_functionINS8_6system6detail7generic6detail18binary_search_lessEbEEEE10hipError_tPvRmT1_T2_T3_mmT4_T5_P12ihipStream_tbEUlRKyE_EEST_SX_SY_mSZ_S12_bEUlT_E_NS1_11comp_targetILNS1_3genE10ELNS1_11target_archE1200ELNS1_3gpuE4ELNS1_3repE0EEENS1_30default_config_static_selectorELNS0_4arch9wavefront6targetE1EEEvSW_.has_dyn_sized_stack, 0
	.set _ZN7rocprim17ROCPRIM_400000_NS6detail17trampoline_kernelINS0_14default_configENS1_29binary_search_config_selectorIyiEEZNS1_14transform_implILb0ES3_S5_N6thrust23THRUST_200600_302600_NS6detail15normal_iteratorINS8_7pointerIyNS8_11hip_rocprim5par_tENS8_11use_defaultESE_EEEENSA_INSB_IiSD_SE_SE_EEEEZNS1_13binary_searchIS3_S5_PySG_SI_NS1_16binary_search_opENS9_16wrapped_functionINS8_6system6detail7generic6detail18binary_search_lessEbEEEE10hipError_tPvRmT1_T2_T3_mmT4_T5_P12ihipStream_tbEUlRKyE_EEST_SX_SY_mSZ_S12_bEUlT_E_NS1_11comp_targetILNS1_3genE10ELNS1_11target_archE1200ELNS1_3gpuE4ELNS1_3repE0EEENS1_30default_config_static_selectorELNS0_4arch9wavefront6targetE1EEEvSW_.has_recursion, 0
	.set _ZN7rocprim17ROCPRIM_400000_NS6detail17trampoline_kernelINS0_14default_configENS1_29binary_search_config_selectorIyiEEZNS1_14transform_implILb0ES3_S5_N6thrust23THRUST_200600_302600_NS6detail15normal_iteratorINS8_7pointerIyNS8_11hip_rocprim5par_tENS8_11use_defaultESE_EEEENSA_INSB_IiSD_SE_SE_EEEEZNS1_13binary_searchIS3_S5_PySG_SI_NS1_16binary_search_opENS9_16wrapped_functionINS8_6system6detail7generic6detail18binary_search_lessEbEEEE10hipError_tPvRmT1_T2_T3_mmT4_T5_P12ihipStream_tbEUlRKyE_EEST_SX_SY_mSZ_S12_bEUlT_E_NS1_11comp_targetILNS1_3genE10ELNS1_11target_archE1200ELNS1_3gpuE4ELNS1_3repE0EEENS1_30default_config_static_selectorELNS0_4arch9wavefront6targetE1EEEvSW_.has_indirect_call, 0
	.section	.AMDGPU.csdata,"",@progbits
; Kernel info:
; codeLenInByte = 0
; TotalNumSgprs: 4
; NumVgprs: 0
; ScratchSize: 0
; MemoryBound: 0
; FloatMode: 240
; IeeeMode: 1
; LDSByteSize: 0 bytes/workgroup (compile time only)
; SGPRBlocks: 0
; VGPRBlocks: 0
; NumSGPRsForWavesPerEU: 4
; NumVGPRsForWavesPerEU: 1
; Occupancy: 10
; WaveLimiterHint : 0
; COMPUTE_PGM_RSRC2:SCRATCH_EN: 0
; COMPUTE_PGM_RSRC2:USER_SGPR: 6
; COMPUTE_PGM_RSRC2:TRAP_HANDLER: 0
; COMPUTE_PGM_RSRC2:TGID_X_EN: 1
; COMPUTE_PGM_RSRC2:TGID_Y_EN: 0
; COMPUTE_PGM_RSRC2:TGID_Z_EN: 0
; COMPUTE_PGM_RSRC2:TIDIG_COMP_CNT: 0
	.section	.text._ZN7rocprim17ROCPRIM_400000_NS6detail17trampoline_kernelINS0_14default_configENS1_29binary_search_config_selectorIyiEEZNS1_14transform_implILb0ES3_S5_N6thrust23THRUST_200600_302600_NS6detail15normal_iteratorINS8_7pointerIyNS8_11hip_rocprim5par_tENS8_11use_defaultESE_EEEENSA_INSB_IiSD_SE_SE_EEEEZNS1_13binary_searchIS3_S5_PySG_SI_NS1_16binary_search_opENS9_16wrapped_functionINS8_6system6detail7generic6detail18binary_search_lessEbEEEE10hipError_tPvRmT1_T2_T3_mmT4_T5_P12ihipStream_tbEUlRKyE_EEST_SX_SY_mSZ_S12_bEUlT_E_NS1_11comp_targetILNS1_3genE9ELNS1_11target_archE1100ELNS1_3gpuE3ELNS1_3repE0EEENS1_30default_config_static_selectorELNS0_4arch9wavefront6targetE1EEEvSW_,"axG",@progbits,_ZN7rocprim17ROCPRIM_400000_NS6detail17trampoline_kernelINS0_14default_configENS1_29binary_search_config_selectorIyiEEZNS1_14transform_implILb0ES3_S5_N6thrust23THRUST_200600_302600_NS6detail15normal_iteratorINS8_7pointerIyNS8_11hip_rocprim5par_tENS8_11use_defaultESE_EEEENSA_INSB_IiSD_SE_SE_EEEEZNS1_13binary_searchIS3_S5_PySG_SI_NS1_16binary_search_opENS9_16wrapped_functionINS8_6system6detail7generic6detail18binary_search_lessEbEEEE10hipError_tPvRmT1_T2_T3_mmT4_T5_P12ihipStream_tbEUlRKyE_EEST_SX_SY_mSZ_S12_bEUlT_E_NS1_11comp_targetILNS1_3genE9ELNS1_11target_archE1100ELNS1_3gpuE3ELNS1_3repE0EEENS1_30default_config_static_selectorELNS0_4arch9wavefront6targetE1EEEvSW_,comdat
	.protected	_ZN7rocprim17ROCPRIM_400000_NS6detail17trampoline_kernelINS0_14default_configENS1_29binary_search_config_selectorIyiEEZNS1_14transform_implILb0ES3_S5_N6thrust23THRUST_200600_302600_NS6detail15normal_iteratorINS8_7pointerIyNS8_11hip_rocprim5par_tENS8_11use_defaultESE_EEEENSA_INSB_IiSD_SE_SE_EEEEZNS1_13binary_searchIS3_S5_PySG_SI_NS1_16binary_search_opENS9_16wrapped_functionINS8_6system6detail7generic6detail18binary_search_lessEbEEEE10hipError_tPvRmT1_T2_T3_mmT4_T5_P12ihipStream_tbEUlRKyE_EEST_SX_SY_mSZ_S12_bEUlT_E_NS1_11comp_targetILNS1_3genE9ELNS1_11target_archE1100ELNS1_3gpuE3ELNS1_3repE0EEENS1_30default_config_static_selectorELNS0_4arch9wavefront6targetE1EEEvSW_ ; -- Begin function _ZN7rocprim17ROCPRIM_400000_NS6detail17trampoline_kernelINS0_14default_configENS1_29binary_search_config_selectorIyiEEZNS1_14transform_implILb0ES3_S5_N6thrust23THRUST_200600_302600_NS6detail15normal_iteratorINS8_7pointerIyNS8_11hip_rocprim5par_tENS8_11use_defaultESE_EEEENSA_INSB_IiSD_SE_SE_EEEEZNS1_13binary_searchIS3_S5_PySG_SI_NS1_16binary_search_opENS9_16wrapped_functionINS8_6system6detail7generic6detail18binary_search_lessEbEEEE10hipError_tPvRmT1_T2_T3_mmT4_T5_P12ihipStream_tbEUlRKyE_EEST_SX_SY_mSZ_S12_bEUlT_E_NS1_11comp_targetILNS1_3genE9ELNS1_11target_archE1100ELNS1_3gpuE3ELNS1_3repE0EEENS1_30default_config_static_selectorELNS0_4arch9wavefront6targetE1EEEvSW_
	.globl	_ZN7rocprim17ROCPRIM_400000_NS6detail17trampoline_kernelINS0_14default_configENS1_29binary_search_config_selectorIyiEEZNS1_14transform_implILb0ES3_S5_N6thrust23THRUST_200600_302600_NS6detail15normal_iteratorINS8_7pointerIyNS8_11hip_rocprim5par_tENS8_11use_defaultESE_EEEENSA_INSB_IiSD_SE_SE_EEEEZNS1_13binary_searchIS3_S5_PySG_SI_NS1_16binary_search_opENS9_16wrapped_functionINS8_6system6detail7generic6detail18binary_search_lessEbEEEE10hipError_tPvRmT1_T2_T3_mmT4_T5_P12ihipStream_tbEUlRKyE_EEST_SX_SY_mSZ_S12_bEUlT_E_NS1_11comp_targetILNS1_3genE9ELNS1_11target_archE1100ELNS1_3gpuE3ELNS1_3repE0EEENS1_30default_config_static_selectorELNS0_4arch9wavefront6targetE1EEEvSW_
	.p2align	8
	.type	_ZN7rocprim17ROCPRIM_400000_NS6detail17trampoline_kernelINS0_14default_configENS1_29binary_search_config_selectorIyiEEZNS1_14transform_implILb0ES3_S5_N6thrust23THRUST_200600_302600_NS6detail15normal_iteratorINS8_7pointerIyNS8_11hip_rocprim5par_tENS8_11use_defaultESE_EEEENSA_INSB_IiSD_SE_SE_EEEEZNS1_13binary_searchIS3_S5_PySG_SI_NS1_16binary_search_opENS9_16wrapped_functionINS8_6system6detail7generic6detail18binary_search_lessEbEEEE10hipError_tPvRmT1_T2_T3_mmT4_T5_P12ihipStream_tbEUlRKyE_EEST_SX_SY_mSZ_S12_bEUlT_E_NS1_11comp_targetILNS1_3genE9ELNS1_11target_archE1100ELNS1_3gpuE3ELNS1_3repE0EEENS1_30default_config_static_selectorELNS0_4arch9wavefront6targetE1EEEvSW_,@function
_ZN7rocprim17ROCPRIM_400000_NS6detail17trampoline_kernelINS0_14default_configENS1_29binary_search_config_selectorIyiEEZNS1_14transform_implILb0ES3_S5_N6thrust23THRUST_200600_302600_NS6detail15normal_iteratorINS8_7pointerIyNS8_11hip_rocprim5par_tENS8_11use_defaultESE_EEEENSA_INSB_IiSD_SE_SE_EEEEZNS1_13binary_searchIS3_S5_PySG_SI_NS1_16binary_search_opENS9_16wrapped_functionINS8_6system6detail7generic6detail18binary_search_lessEbEEEE10hipError_tPvRmT1_T2_T3_mmT4_T5_P12ihipStream_tbEUlRKyE_EEST_SX_SY_mSZ_S12_bEUlT_E_NS1_11comp_targetILNS1_3genE9ELNS1_11target_archE1100ELNS1_3gpuE3ELNS1_3repE0EEENS1_30default_config_static_selectorELNS0_4arch9wavefront6targetE1EEEvSW_: ; @_ZN7rocprim17ROCPRIM_400000_NS6detail17trampoline_kernelINS0_14default_configENS1_29binary_search_config_selectorIyiEEZNS1_14transform_implILb0ES3_S5_N6thrust23THRUST_200600_302600_NS6detail15normal_iteratorINS8_7pointerIyNS8_11hip_rocprim5par_tENS8_11use_defaultESE_EEEENSA_INSB_IiSD_SE_SE_EEEEZNS1_13binary_searchIS3_S5_PySG_SI_NS1_16binary_search_opENS9_16wrapped_functionINS8_6system6detail7generic6detail18binary_search_lessEbEEEE10hipError_tPvRmT1_T2_T3_mmT4_T5_P12ihipStream_tbEUlRKyE_EEST_SX_SY_mSZ_S12_bEUlT_E_NS1_11comp_targetILNS1_3genE9ELNS1_11target_archE1100ELNS1_3gpuE3ELNS1_3repE0EEENS1_30default_config_static_selectorELNS0_4arch9wavefront6targetE1EEEvSW_
; %bb.0:
	.section	.rodata,"a",@progbits
	.p2align	6, 0x0
	.amdhsa_kernel _ZN7rocprim17ROCPRIM_400000_NS6detail17trampoline_kernelINS0_14default_configENS1_29binary_search_config_selectorIyiEEZNS1_14transform_implILb0ES3_S5_N6thrust23THRUST_200600_302600_NS6detail15normal_iteratorINS8_7pointerIyNS8_11hip_rocprim5par_tENS8_11use_defaultESE_EEEENSA_INSB_IiSD_SE_SE_EEEEZNS1_13binary_searchIS3_S5_PySG_SI_NS1_16binary_search_opENS9_16wrapped_functionINS8_6system6detail7generic6detail18binary_search_lessEbEEEE10hipError_tPvRmT1_T2_T3_mmT4_T5_P12ihipStream_tbEUlRKyE_EEST_SX_SY_mSZ_S12_bEUlT_E_NS1_11comp_targetILNS1_3genE9ELNS1_11target_archE1100ELNS1_3gpuE3ELNS1_3repE0EEENS1_30default_config_static_selectorELNS0_4arch9wavefront6targetE1EEEvSW_
		.amdhsa_group_segment_fixed_size 0
		.amdhsa_private_segment_fixed_size 0
		.amdhsa_kernarg_size 56
		.amdhsa_user_sgpr_count 6
		.amdhsa_user_sgpr_private_segment_buffer 1
		.amdhsa_user_sgpr_dispatch_ptr 0
		.amdhsa_user_sgpr_queue_ptr 0
		.amdhsa_user_sgpr_kernarg_segment_ptr 1
		.amdhsa_user_sgpr_dispatch_id 0
		.amdhsa_user_sgpr_flat_scratch_init 0
		.amdhsa_user_sgpr_private_segment_size 0
		.amdhsa_uses_dynamic_stack 0
		.amdhsa_system_sgpr_private_segment_wavefront_offset 0
		.amdhsa_system_sgpr_workgroup_id_x 1
		.amdhsa_system_sgpr_workgroup_id_y 0
		.amdhsa_system_sgpr_workgroup_id_z 0
		.amdhsa_system_sgpr_workgroup_info 0
		.amdhsa_system_vgpr_workitem_id 0
		.amdhsa_next_free_vgpr 1
		.amdhsa_next_free_sgpr 0
		.amdhsa_reserve_vcc 0
		.amdhsa_reserve_flat_scratch 0
		.amdhsa_float_round_mode_32 0
		.amdhsa_float_round_mode_16_64 0
		.amdhsa_float_denorm_mode_32 3
		.amdhsa_float_denorm_mode_16_64 3
		.amdhsa_dx10_clamp 1
		.amdhsa_ieee_mode 1
		.amdhsa_fp16_overflow 0
		.amdhsa_exception_fp_ieee_invalid_op 0
		.amdhsa_exception_fp_denorm_src 0
		.amdhsa_exception_fp_ieee_div_zero 0
		.amdhsa_exception_fp_ieee_overflow 0
		.amdhsa_exception_fp_ieee_underflow 0
		.amdhsa_exception_fp_ieee_inexact 0
		.amdhsa_exception_int_div_zero 0
	.end_amdhsa_kernel
	.section	.text._ZN7rocprim17ROCPRIM_400000_NS6detail17trampoline_kernelINS0_14default_configENS1_29binary_search_config_selectorIyiEEZNS1_14transform_implILb0ES3_S5_N6thrust23THRUST_200600_302600_NS6detail15normal_iteratorINS8_7pointerIyNS8_11hip_rocprim5par_tENS8_11use_defaultESE_EEEENSA_INSB_IiSD_SE_SE_EEEEZNS1_13binary_searchIS3_S5_PySG_SI_NS1_16binary_search_opENS9_16wrapped_functionINS8_6system6detail7generic6detail18binary_search_lessEbEEEE10hipError_tPvRmT1_T2_T3_mmT4_T5_P12ihipStream_tbEUlRKyE_EEST_SX_SY_mSZ_S12_bEUlT_E_NS1_11comp_targetILNS1_3genE9ELNS1_11target_archE1100ELNS1_3gpuE3ELNS1_3repE0EEENS1_30default_config_static_selectorELNS0_4arch9wavefront6targetE1EEEvSW_,"axG",@progbits,_ZN7rocprim17ROCPRIM_400000_NS6detail17trampoline_kernelINS0_14default_configENS1_29binary_search_config_selectorIyiEEZNS1_14transform_implILb0ES3_S5_N6thrust23THRUST_200600_302600_NS6detail15normal_iteratorINS8_7pointerIyNS8_11hip_rocprim5par_tENS8_11use_defaultESE_EEEENSA_INSB_IiSD_SE_SE_EEEEZNS1_13binary_searchIS3_S5_PySG_SI_NS1_16binary_search_opENS9_16wrapped_functionINS8_6system6detail7generic6detail18binary_search_lessEbEEEE10hipError_tPvRmT1_T2_T3_mmT4_T5_P12ihipStream_tbEUlRKyE_EEST_SX_SY_mSZ_S12_bEUlT_E_NS1_11comp_targetILNS1_3genE9ELNS1_11target_archE1100ELNS1_3gpuE3ELNS1_3repE0EEENS1_30default_config_static_selectorELNS0_4arch9wavefront6targetE1EEEvSW_,comdat
.Lfunc_end270:
	.size	_ZN7rocprim17ROCPRIM_400000_NS6detail17trampoline_kernelINS0_14default_configENS1_29binary_search_config_selectorIyiEEZNS1_14transform_implILb0ES3_S5_N6thrust23THRUST_200600_302600_NS6detail15normal_iteratorINS8_7pointerIyNS8_11hip_rocprim5par_tENS8_11use_defaultESE_EEEENSA_INSB_IiSD_SE_SE_EEEEZNS1_13binary_searchIS3_S5_PySG_SI_NS1_16binary_search_opENS9_16wrapped_functionINS8_6system6detail7generic6detail18binary_search_lessEbEEEE10hipError_tPvRmT1_T2_T3_mmT4_T5_P12ihipStream_tbEUlRKyE_EEST_SX_SY_mSZ_S12_bEUlT_E_NS1_11comp_targetILNS1_3genE9ELNS1_11target_archE1100ELNS1_3gpuE3ELNS1_3repE0EEENS1_30default_config_static_selectorELNS0_4arch9wavefront6targetE1EEEvSW_, .Lfunc_end270-_ZN7rocprim17ROCPRIM_400000_NS6detail17trampoline_kernelINS0_14default_configENS1_29binary_search_config_selectorIyiEEZNS1_14transform_implILb0ES3_S5_N6thrust23THRUST_200600_302600_NS6detail15normal_iteratorINS8_7pointerIyNS8_11hip_rocprim5par_tENS8_11use_defaultESE_EEEENSA_INSB_IiSD_SE_SE_EEEEZNS1_13binary_searchIS3_S5_PySG_SI_NS1_16binary_search_opENS9_16wrapped_functionINS8_6system6detail7generic6detail18binary_search_lessEbEEEE10hipError_tPvRmT1_T2_T3_mmT4_T5_P12ihipStream_tbEUlRKyE_EEST_SX_SY_mSZ_S12_bEUlT_E_NS1_11comp_targetILNS1_3genE9ELNS1_11target_archE1100ELNS1_3gpuE3ELNS1_3repE0EEENS1_30default_config_static_selectorELNS0_4arch9wavefront6targetE1EEEvSW_
                                        ; -- End function
	.set _ZN7rocprim17ROCPRIM_400000_NS6detail17trampoline_kernelINS0_14default_configENS1_29binary_search_config_selectorIyiEEZNS1_14transform_implILb0ES3_S5_N6thrust23THRUST_200600_302600_NS6detail15normal_iteratorINS8_7pointerIyNS8_11hip_rocprim5par_tENS8_11use_defaultESE_EEEENSA_INSB_IiSD_SE_SE_EEEEZNS1_13binary_searchIS3_S5_PySG_SI_NS1_16binary_search_opENS9_16wrapped_functionINS8_6system6detail7generic6detail18binary_search_lessEbEEEE10hipError_tPvRmT1_T2_T3_mmT4_T5_P12ihipStream_tbEUlRKyE_EEST_SX_SY_mSZ_S12_bEUlT_E_NS1_11comp_targetILNS1_3genE9ELNS1_11target_archE1100ELNS1_3gpuE3ELNS1_3repE0EEENS1_30default_config_static_selectorELNS0_4arch9wavefront6targetE1EEEvSW_.num_vgpr, 0
	.set _ZN7rocprim17ROCPRIM_400000_NS6detail17trampoline_kernelINS0_14default_configENS1_29binary_search_config_selectorIyiEEZNS1_14transform_implILb0ES3_S5_N6thrust23THRUST_200600_302600_NS6detail15normal_iteratorINS8_7pointerIyNS8_11hip_rocprim5par_tENS8_11use_defaultESE_EEEENSA_INSB_IiSD_SE_SE_EEEEZNS1_13binary_searchIS3_S5_PySG_SI_NS1_16binary_search_opENS9_16wrapped_functionINS8_6system6detail7generic6detail18binary_search_lessEbEEEE10hipError_tPvRmT1_T2_T3_mmT4_T5_P12ihipStream_tbEUlRKyE_EEST_SX_SY_mSZ_S12_bEUlT_E_NS1_11comp_targetILNS1_3genE9ELNS1_11target_archE1100ELNS1_3gpuE3ELNS1_3repE0EEENS1_30default_config_static_selectorELNS0_4arch9wavefront6targetE1EEEvSW_.num_agpr, 0
	.set _ZN7rocprim17ROCPRIM_400000_NS6detail17trampoline_kernelINS0_14default_configENS1_29binary_search_config_selectorIyiEEZNS1_14transform_implILb0ES3_S5_N6thrust23THRUST_200600_302600_NS6detail15normal_iteratorINS8_7pointerIyNS8_11hip_rocprim5par_tENS8_11use_defaultESE_EEEENSA_INSB_IiSD_SE_SE_EEEEZNS1_13binary_searchIS3_S5_PySG_SI_NS1_16binary_search_opENS9_16wrapped_functionINS8_6system6detail7generic6detail18binary_search_lessEbEEEE10hipError_tPvRmT1_T2_T3_mmT4_T5_P12ihipStream_tbEUlRKyE_EEST_SX_SY_mSZ_S12_bEUlT_E_NS1_11comp_targetILNS1_3genE9ELNS1_11target_archE1100ELNS1_3gpuE3ELNS1_3repE0EEENS1_30default_config_static_selectorELNS0_4arch9wavefront6targetE1EEEvSW_.numbered_sgpr, 0
	.set _ZN7rocprim17ROCPRIM_400000_NS6detail17trampoline_kernelINS0_14default_configENS1_29binary_search_config_selectorIyiEEZNS1_14transform_implILb0ES3_S5_N6thrust23THRUST_200600_302600_NS6detail15normal_iteratorINS8_7pointerIyNS8_11hip_rocprim5par_tENS8_11use_defaultESE_EEEENSA_INSB_IiSD_SE_SE_EEEEZNS1_13binary_searchIS3_S5_PySG_SI_NS1_16binary_search_opENS9_16wrapped_functionINS8_6system6detail7generic6detail18binary_search_lessEbEEEE10hipError_tPvRmT1_T2_T3_mmT4_T5_P12ihipStream_tbEUlRKyE_EEST_SX_SY_mSZ_S12_bEUlT_E_NS1_11comp_targetILNS1_3genE9ELNS1_11target_archE1100ELNS1_3gpuE3ELNS1_3repE0EEENS1_30default_config_static_selectorELNS0_4arch9wavefront6targetE1EEEvSW_.num_named_barrier, 0
	.set _ZN7rocprim17ROCPRIM_400000_NS6detail17trampoline_kernelINS0_14default_configENS1_29binary_search_config_selectorIyiEEZNS1_14transform_implILb0ES3_S5_N6thrust23THRUST_200600_302600_NS6detail15normal_iteratorINS8_7pointerIyNS8_11hip_rocprim5par_tENS8_11use_defaultESE_EEEENSA_INSB_IiSD_SE_SE_EEEEZNS1_13binary_searchIS3_S5_PySG_SI_NS1_16binary_search_opENS9_16wrapped_functionINS8_6system6detail7generic6detail18binary_search_lessEbEEEE10hipError_tPvRmT1_T2_T3_mmT4_T5_P12ihipStream_tbEUlRKyE_EEST_SX_SY_mSZ_S12_bEUlT_E_NS1_11comp_targetILNS1_3genE9ELNS1_11target_archE1100ELNS1_3gpuE3ELNS1_3repE0EEENS1_30default_config_static_selectorELNS0_4arch9wavefront6targetE1EEEvSW_.private_seg_size, 0
	.set _ZN7rocprim17ROCPRIM_400000_NS6detail17trampoline_kernelINS0_14default_configENS1_29binary_search_config_selectorIyiEEZNS1_14transform_implILb0ES3_S5_N6thrust23THRUST_200600_302600_NS6detail15normal_iteratorINS8_7pointerIyNS8_11hip_rocprim5par_tENS8_11use_defaultESE_EEEENSA_INSB_IiSD_SE_SE_EEEEZNS1_13binary_searchIS3_S5_PySG_SI_NS1_16binary_search_opENS9_16wrapped_functionINS8_6system6detail7generic6detail18binary_search_lessEbEEEE10hipError_tPvRmT1_T2_T3_mmT4_T5_P12ihipStream_tbEUlRKyE_EEST_SX_SY_mSZ_S12_bEUlT_E_NS1_11comp_targetILNS1_3genE9ELNS1_11target_archE1100ELNS1_3gpuE3ELNS1_3repE0EEENS1_30default_config_static_selectorELNS0_4arch9wavefront6targetE1EEEvSW_.uses_vcc, 0
	.set _ZN7rocprim17ROCPRIM_400000_NS6detail17trampoline_kernelINS0_14default_configENS1_29binary_search_config_selectorIyiEEZNS1_14transform_implILb0ES3_S5_N6thrust23THRUST_200600_302600_NS6detail15normal_iteratorINS8_7pointerIyNS8_11hip_rocprim5par_tENS8_11use_defaultESE_EEEENSA_INSB_IiSD_SE_SE_EEEEZNS1_13binary_searchIS3_S5_PySG_SI_NS1_16binary_search_opENS9_16wrapped_functionINS8_6system6detail7generic6detail18binary_search_lessEbEEEE10hipError_tPvRmT1_T2_T3_mmT4_T5_P12ihipStream_tbEUlRKyE_EEST_SX_SY_mSZ_S12_bEUlT_E_NS1_11comp_targetILNS1_3genE9ELNS1_11target_archE1100ELNS1_3gpuE3ELNS1_3repE0EEENS1_30default_config_static_selectorELNS0_4arch9wavefront6targetE1EEEvSW_.uses_flat_scratch, 0
	.set _ZN7rocprim17ROCPRIM_400000_NS6detail17trampoline_kernelINS0_14default_configENS1_29binary_search_config_selectorIyiEEZNS1_14transform_implILb0ES3_S5_N6thrust23THRUST_200600_302600_NS6detail15normal_iteratorINS8_7pointerIyNS8_11hip_rocprim5par_tENS8_11use_defaultESE_EEEENSA_INSB_IiSD_SE_SE_EEEEZNS1_13binary_searchIS3_S5_PySG_SI_NS1_16binary_search_opENS9_16wrapped_functionINS8_6system6detail7generic6detail18binary_search_lessEbEEEE10hipError_tPvRmT1_T2_T3_mmT4_T5_P12ihipStream_tbEUlRKyE_EEST_SX_SY_mSZ_S12_bEUlT_E_NS1_11comp_targetILNS1_3genE9ELNS1_11target_archE1100ELNS1_3gpuE3ELNS1_3repE0EEENS1_30default_config_static_selectorELNS0_4arch9wavefront6targetE1EEEvSW_.has_dyn_sized_stack, 0
	.set _ZN7rocprim17ROCPRIM_400000_NS6detail17trampoline_kernelINS0_14default_configENS1_29binary_search_config_selectorIyiEEZNS1_14transform_implILb0ES3_S5_N6thrust23THRUST_200600_302600_NS6detail15normal_iteratorINS8_7pointerIyNS8_11hip_rocprim5par_tENS8_11use_defaultESE_EEEENSA_INSB_IiSD_SE_SE_EEEEZNS1_13binary_searchIS3_S5_PySG_SI_NS1_16binary_search_opENS9_16wrapped_functionINS8_6system6detail7generic6detail18binary_search_lessEbEEEE10hipError_tPvRmT1_T2_T3_mmT4_T5_P12ihipStream_tbEUlRKyE_EEST_SX_SY_mSZ_S12_bEUlT_E_NS1_11comp_targetILNS1_3genE9ELNS1_11target_archE1100ELNS1_3gpuE3ELNS1_3repE0EEENS1_30default_config_static_selectorELNS0_4arch9wavefront6targetE1EEEvSW_.has_recursion, 0
	.set _ZN7rocprim17ROCPRIM_400000_NS6detail17trampoline_kernelINS0_14default_configENS1_29binary_search_config_selectorIyiEEZNS1_14transform_implILb0ES3_S5_N6thrust23THRUST_200600_302600_NS6detail15normal_iteratorINS8_7pointerIyNS8_11hip_rocprim5par_tENS8_11use_defaultESE_EEEENSA_INSB_IiSD_SE_SE_EEEEZNS1_13binary_searchIS3_S5_PySG_SI_NS1_16binary_search_opENS9_16wrapped_functionINS8_6system6detail7generic6detail18binary_search_lessEbEEEE10hipError_tPvRmT1_T2_T3_mmT4_T5_P12ihipStream_tbEUlRKyE_EEST_SX_SY_mSZ_S12_bEUlT_E_NS1_11comp_targetILNS1_3genE9ELNS1_11target_archE1100ELNS1_3gpuE3ELNS1_3repE0EEENS1_30default_config_static_selectorELNS0_4arch9wavefront6targetE1EEEvSW_.has_indirect_call, 0
	.section	.AMDGPU.csdata,"",@progbits
; Kernel info:
; codeLenInByte = 0
; TotalNumSgprs: 4
; NumVgprs: 0
; ScratchSize: 0
; MemoryBound: 0
; FloatMode: 240
; IeeeMode: 1
; LDSByteSize: 0 bytes/workgroup (compile time only)
; SGPRBlocks: 0
; VGPRBlocks: 0
; NumSGPRsForWavesPerEU: 4
; NumVGPRsForWavesPerEU: 1
; Occupancy: 10
; WaveLimiterHint : 0
; COMPUTE_PGM_RSRC2:SCRATCH_EN: 0
; COMPUTE_PGM_RSRC2:USER_SGPR: 6
; COMPUTE_PGM_RSRC2:TRAP_HANDLER: 0
; COMPUTE_PGM_RSRC2:TGID_X_EN: 1
; COMPUTE_PGM_RSRC2:TGID_Y_EN: 0
; COMPUTE_PGM_RSRC2:TGID_Z_EN: 0
; COMPUTE_PGM_RSRC2:TIDIG_COMP_CNT: 0
	.section	.text._ZN7rocprim17ROCPRIM_400000_NS6detail17trampoline_kernelINS0_14default_configENS1_29binary_search_config_selectorIyiEEZNS1_14transform_implILb0ES3_S5_N6thrust23THRUST_200600_302600_NS6detail15normal_iteratorINS8_7pointerIyNS8_11hip_rocprim5par_tENS8_11use_defaultESE_EEEENSA_INSB_IiSD_SE_SE_EEEEZNS1_13binary_searchIS3_S5_PySG_SI_NS1_16binary_search_opENS9_16wrapped_functionINS8_6system6detail7generic6detail18binary_search_lessEbEEEE10hipError_tPvRmT1_T2_T3_mmT4_T5_P12ihipStream_tbEUlRKyE_EEST_SX_SY_mSZ_S12_bEUlT_E_NS1_11comp_targetILNS1_3genE8ELNS1_11target_archE1030ELNS1_3gpuE2ELNS1_3repE0EEENS1_30default_config_static_selectorELNS0_4arch9wavefront6targetE1EEEvSW_,"axG",@progbits,_ZN7rocprim17ROCPRIM_400000_NS6detail17trampoline_kernelINS0_14default_configENS1_29binary_search_config_selectorIyiEEZNS1_14transform_implILb0ES3_S5_N6thrust23THRUST_200600_302600_NS6detail15normal_iteratorINS8_7pointerIyNS8_11hip_rocprim5par_tENS8_11use_defaultESE_EEEENSA_INSB_IiSD_SE_SE_EEEEZNS1_13binary_searchIS3_S5_PySG_SI_NS1_16binary_search_opENS9_16wrapped_functionINS8_6system6detail7generic6detail18binary_search_lessEbEEEE10hipError_tPvRmT1_T2_T3_mmT4_T5_P12ihipStream_tbEUlRKyE_EEST_SX_SY_mSZ_S12_bEUlT_E_NS1_11comp_targetILNS1_3genE8ELNS1_11target_archE1030ELNS1_3gpuE2ELNS1_3repE0EEENS1_30default_config_static_selectorELNS0_4arch9wavefront6targetE1EEEvSW_,comdat
	.protected	_ZN7rocprim17ROCPRIM_400000_NS6detail17trampoline_kernelINS0_14default_configENS1_29binary_search_config_selectorIyiEEZNS1_14transform_implILb0ES3_S5_N6thrust23THRUST_200600_302600_NS6detail15normal_iteratorINS8_7pointerIyNS8_11hip_rocprim5par_tENS8_11use_defaultESE_EEEENSA_INSB_IiSD_SE_SE_EEEEZNS1_13binary_searchIS3_S5_PySG_SI_NS1_16binary_search_opENS9_16wrapped_functionINS8_6system6detail7generic6detail18binary_search_lessEbEEEE10hipError_tPvRmT1_T2_T3_mmT4_T5_P12ihipStream_tbEUlRKyE_EEST_SX_SY_mSZ_S12_bEUlT_E_NS1_11comp_targetILNS1_3genE8ELNS1_11target_archE1030ELNS1_3gpuE2ELNS1_3repE0EEENS1_30default_config_static_selectorELNS0_4arch9wavefront6targetE1EEEvSW_ ; -- Begin function _ZN7rocprim17ROCPRIM_400000_NS6detail17trampoline_kernelINS0_14default_configENS1_29binary_search_config_selectorIyiEEZNS1_14transform_implILb0ES3_S5_N6thrust23THRUST_200600_302600_NS6detail15normal_iteratorINS8_7pointerIyNS8_11hip_rocprim5par_tENS8_11use_defaultESE_EEEENSA_INSB_IiSD_SE_SE_EEEEZNS1_13binary_searchIS3_S5_PySG_SI_NS1_16binary_search_opENS9_16wrapped_functionINS8_6system6detail7generic6detail18binary_search_lessEbEEEE10hipError_tPvRmT1_T2_T3_mmT4_T5_P12ihipStream_tbEUlRKyE_EEST_SX_SY_mSZ_S12_bEUlT_E_NS1_11comp_targetILNS1_3genE8ELNS1_11target_archE1030ELNS1_3gpuE2ELNS1_3repE0EEENS1_30default_config_static_selectorELNS0_4arch9wavefront6targetE1EEEvSW_
	.globl	_ZN7rocprim17ROCPRIM_400000_NS6detail17trampoline_kernelINS0_14default_configENS1_29binary_search_config_selectorIyiEEZNS1_14transform_implILb0ES3_S5_N6thrust23THRUST_200600_302600_NS6detail15normal_iteratorINS8_7pointerIyNS8_11hip_rocprim5par_tENS8_11use_defaultESE_EEEENSA_INSB_IiSD_SE_SE_EEEEZNS1_13binary_searchIS3_S5_PySG_SI_NS1_16binary_search_opENS9_16wrapped_functionINS8_6system6detail7generic6detail18binary_search_lessEbEEEE10hipError_tPvRmT1_T2_T3_mmT4_T5_P12ihipStream_tbEUlRKyE_EEST_SX_SY_mSZ_S12_bEUlT_E_NS1_11comp_targetILNS1_3genE8ELNS1_11target_archE1030ELNS1_3gpuE2ELNS1_3repE0EEENS1_30default_config_static_selectorELNS0_4arch9wavefront6targetE1EEEvSW_
	.p2align	8
	.type	_ZN7rocprim17ROCPRIM_400000_NS6detail17trampoline_kernelINS0_14default_configENS1_29binary_search_config_selectorIyiEEZNS1_14transform_implILb0ES3_S5_N6thrust23THRUST_200600_302600_NS6detail15normal_iteratorINS8_7pointerIyNS8_11hip_rocprim5par_tENS8_11use_defaultESE_EEEENSA_INSB_IiSD_SE_SE_EEEEZNS1_13binary_searchIS3_S5_PySG_SI_NS1_16binary_search_opENS9_16wrapped_functionINS8_6system6detail7generic6detail18binary_search_lessEbEEEE10hipError_tPvRmT1_T2_T3_mmT4_T5_P12ihipStream_tbEUlRKyE_EEST_SX_SY_mSZ_S12_bEUlT_E_NS1_11comp_targetILNS1_3genE8ELNS1_11target_archE1030ELNS1_3gpuE2ELNS1_3repE0EEENS1_30default_config_static_selectorELNS0_4arch9wavefront6targetE1EEEvSW_,@function
_ZN7rocprim17ROCPRIM_400000_NS6detail17trampoline_kernelINS0_14default_configENS1_29binary_search_config_selectorIyiEEZNS1_14transform_implILb0ES3_S5_N6thrust23THRUST_200600_302600_NS6detail15normal_iteratorINS8_7pointerIyNS8_11hip_rocprim5par_tENS8_11use_defaultESE_EEEENSA_INSB_IiSD_SE_SE_EEEEZNS1_13binary_searchIS3_S5_PySG_SI_NS1_16binary_search_opENS9_16wrapped_functionINS8_6system6detail7generic6detail18binary_search_lessEbEEEE10hipError_tPvRmT1_T2_T3_mmT4_T5_P12ihipStream_tbEUlRKyE_EEST_SX_SY_mSZ_S12_bEUlT_E_NS1_11comp_targetILNS1_3genE8ELNS1_11target_archE1030ELNS1_3gpuE2ELNS1_3repE0EEENS1_30default_config_static_selectorELNS0_4arch9wavefront6targetE1EEEvSW_: ; @_ZN7rocprim17ROCPRIM_400000_NS6detail17trampoline_kernelINS0_14default_configENS1_29binary_search_config_selectorIyiEEZNS1_14transform_implILb0ES3_S5_N6thrust23THRUST_200600_302600_NS6detail15normal_iteratorINS8_7pointerIyNS8_11hip_rocprim5par_tENS8_11use_defaultESE_EEEENSA_INSB_IiSD_SE_SE_EEEEZNS1_13binary_searchIS3_S5_PySG_SI_NS1_16binary_search_opENS9_16wrapped_functionINS8_6system6detail7generic6detail18binary_search_lessEbEEEE10hipError_tPvRmT1_T2_T3_mmT4_T5_P12ihipStream_tbEUlRKyE_EEST_SX_SY_mSZ_S12_bEUlT_E_NS1_11comp_targetILNS1_3genE8ELNS1_11target_archE1030ELNS1_3gpuE2ELNS1_3repE0EEENS1_30default_config_static_selectorELNS0_4arch9wavefront6targetE1EEEvSW_
; %bb.0:
	.section	.rodata,"a",@progbits
	.p2align	6, 0x0
	.amdhsa_kernel _ZN7rocprim17ROCPRIM_400000_NS6detail17trampoline_kernelINS0_14default_configENS1_29binary_search_config_selectorIyiEEZNS1_14transform_implILb0ES3_S5_N6thrust23THRUST_200600_302600_NS6detail15normal_iteratorINS8_7pointerIyNS8_11hip_rocprim5par_tENS8_11use_defaultESE_EEEENSA_INSB_IiSD_SE_SE_EEEEZNS1_13binary_searchIS3_S5_PySG_SI_NS1_16binary_search_opENS9_16wrapped_functionINS8_6system6detail7generic6detail18binary_search_lessEbEEEE10hipError_tPvRmT1_T2_T3_mmT4_T5_P12ihipStream_tbEUlRKyE_EEST_SX_SY_mSZ_S12_bEUlT_E_NS1_11comp_targetILNS1_3genE8ELNS1_11target_archE1030ELNS1_3gpuE2ELNS1_3repE0EEENS1_30default_config_static_selectorELNS0_4arch9wavefront6targetE1EEEvSW_
		.amdhsa_group_segment_fixed_size 0
		.amdhsa_private_segment_fixed_size 0
		.amdhsa_kernarg_size 56
		.amdhsa_user_sgpr_count 6
		.amdhsa_user_sgpr_private_segment_buffer 1
		.amdhsa_user_sgpr_dispatch_ptr 0
		.amdhsa_user_sgpr_queue_ptr 0
		.amdhsa_user_sgpr_kernarg_segment_ptr 1
		.amdhsa_user_sgpr_dispatch_id 0
		.amdhsa_user_sgpr_flat_scratch_init 0
		.amdhsa_user_sgpr_private_segment_size 0
		.amdhsa_uses_dynamic_stack 0
		.amdhsa_system_sgpr_private_segment_wavefront_offset 0
		.amdhsa_system_sgpr_workgroup_id_x 1
		.amdhsa_system_sgpr_workgroup_id_y 0
		.amdhsa_system_sgpr_workgroup_id_z 0
		.amdhsa_system_sgpr_workgroup_info 0
		.amdhsa_system_vgpr_workitem_id 0
		.amdhsa_next_free_vgpr 1
		.amdhsa_next_free_sgpr 0
		.amdhsa_reserve_vcc 0
		.amdhsa_reserve_flat_scratch 0
		.amdhsa_float_round_mode_32 0
		.amdhsa_float_round_mode_16_64 0
		.amdhsa_float_denorm_mode_32 3
		.amdhsa_float_denorm_mode_16_64 3
		.amdhsa_dx10_clamp 1
		.amdhsa_ieee_mode 1
		.amdhsa_fp16_overflow 0
		.amdhsa_exception_fp_ieee_invalid_op 0
		.amdhsa_exception_fp_denorm_src 0
		.amdhsa_exception_fp_ieee_div_zero 0
		.amdhsa_exception_fp_ieee_overflow 0
		.amdhsa_exception_fp_ieee_underflow 0
		.amdhsa_exception_fp_ieee_inexact 0
		.amdhsa_exception_int_div_zero 0
	.end_amdhsa_kernel
	.section	.text._ZN7rocprim17ROCPRIM_400000_NS6detail17trampoline_kernelINS0_14default_configENS1_29binary_search_config_selectorIyiEEZNS1_14transform_implILb0ES3_S5_N6thrust23THRUST_200600_302600_NS6detail15normal_iteratorINS8_7pointerIyNS8_11hip_rocprim5par_tENS8_11use_defaultESE_EEEENSA_INSB_IiSD_SE_SE_EEEEZNS1_13binary_searchIS3_S5_PySG_SI_NS1_16binary_search_opENS9_16wrapped_functionINS8_6system6detail7generic6detail18binary_search_lessEbEEEE10hipError_tPvRmT1_T2_T3_mmT4_T5_P12ihipStream_tbEUlRKyE_EEST_SX_SY_mSZ_S12_bEUlT_E_NS1_11comp_targetILNS1_3genE8ELNS1_11target_archE1030ELNS1_3gpuE2ELNS1_3repE0EEENS1_30default_config_static_selectorELNS0_4arch9wavefront6targetE1EEEvSW_,"axG",@progbits,_ZN7rocprim17ROCPRIM_400000_NS6detail17trampoline_kernelINS0_14default_configENS1_29binary_search_config_selectorIyiEEZNS1_14transform_implILb0ES3_S5_N6thrust23THRUST_200600_302600_NS6detail15normal_iteratorINS8_7pointerIyNS8_11hip_rocprim5par_tENS8_11use_defaultESE_EEEENSA_INSB_IiSD_SE_SE_EEEEZNS1_13binary_searchIS3_S5_PySG_SI_NS1_16binary_search_opENS9_16wrapped_functionINS8_6system6detail7generic6detail18binary_search_lessEbEEEE10hipError_tPvRmT1_T2_T3_mmT4_T5_P12ihipStream_tbEUlRKyE_EEST_SX_SY_mSZ_S12_bEUlT_E_NS1_11comp_targetILNS1_3genE8ELNS1_11target_archE1030ELNS1_3gpuE2ELNS1_3repE0EEENS1_30default_config_static_selectorELNS0_4arch9wavefront6targetE1EEEvSW_,comdat
.Lfunc_end271:
	.size	_ZN7rocprim17ROCPRIM_400000_NS6detail17trampoline_kernelINS0_14default_configENS1_29binary_search_config_selectorIyiEEZNS1_14transform_implILb0ES3_S5_N6thrust23THRUST_200600_302600_NS6detail15normal_iteratorINS8_7pointerIyNS8_11hip_rocprim5par_tENS8_11use_defaultESE_EEEENSA_INSB_IiSD_SE_SE_EEEEZNS1_13binary_searchIS3_S5_PySG_SI_NS1_16binary_search_opENS9_16wrapped_functionINS8_6system6detail7generic6detail18binary_search_lessEbEEEE10hipError_tPvRmT1_T2_T3_mmT4_T5_P12ihipStream_tbEUlRKyE_EEST_SX_SY_mSZ_S12_bEUlT_E_NS1_11comp_targetILNS1_3genE8ELNS1_11target_archE1030ELNS1_3gpuE2ELNS1_3repE0EEENS1_30default_config_static_selectorELNS0_4arch9wavefront6targetE1EEEvSW_, .Lfunc_end271-_ZN7rocprim17ROCPRIM_400000_NS6detail17trampoline_kernelINS0_14default_configENS1_29binary_search_config_selectorIyiEEZNS1_14transform_implILb0ES3_S5_N6thrust23THRUST_200600_302600_NS6detail15normal_iteratorINS8_7pointerIyNS8_11hip_rocprim5par_tENS8_11use_defaultESE_EEEENSA_INSB_IiSD_SE_SE_EEEEZNS1_13binary_searchIS3_S5_PySG_SI_NS1_16binary_search_opENS9_16wrapped_functionINS8_6system6detail7generic6detail18binary_search_lessEbEEEE10hipError_tPvRmT1_T2_T3_mmT4_T5_P12ihipStream_tbEUlRKyE_EEST_SX_SY_mSZ_S12_bEUlT_E_NS1_11comp_targetILNS1_3genE8ELNS1_11target_archE1030ELNS1_3gpuE2ELNS1_3repE0EEENS1_30default_config_static_selectorELNS0_4arch9wavefront6targetE1EEEvSW_
                                        ; -- End function
	.set _ZN7rocprim17ROCPRIM_400000_NS6detail17trampoline_kernelINS0_14default_configENS1_29binary_search_config_selectorIyiEEZNS1_14transform_implILb0ES3_S5_N6thrust23THRUST_200600_302600_NS6detail15normal_iteratorINS8_7pointerIyNS8_11hip_rocprim5par_tENS8_11use_defaultESE_EEEENSA_INSB_IiSD_SE_SE_EEEEZNS1_13binary_searchIS3_S5_PySG_SI_NS1_16binary_search_opENS9_16wrapped_functionINS8_6system6detail7generic6detail18binary_search_lessEbEEEE10hipError_tPvRmT1_T2_T3_mmT4_T5_P12ihipStream_tbEUlRKyE_EEST_SX_SY_mSZ_S12_bEUlT_E_NS1_11comp_targetILNS1_3genE8ELNS1_11target_archE1030ELNS1_3gpuE2ELNS1_3repE0EEENS1_30default_config_static_selectorELNS0_4arch9wavefront6targetE1EEEvSW_.num_vgpr, 0
	.set _ZN7rocprim17ROCPRIM_400000_NS6detail17trampoline_kernelINS0_14default_configENS1_29binary_search_config_selectorIyiEEZNS1_14transform_implILb0ES3_S5_N6thrust23THRUST_200600_302600_NS6detail15normal_iteratorINS8_7pointerIyNS8_11hip_rocprim5par_tENS8_11use_defaultESE_EEEENSA_INSB_IiSD_SE_SE_EEEEZNS1_13binary_searchIS3_S5_PySG_SI_NS1_16binary_search_opENS9_16wrapped_functionINS8_6system6detail7generic6detail18binary_search_lessEbEEEE10hipError_tPvRmT1_T2_T3_mmT4_T5_P12ihipStream_tbEUlRKyE_EEST_SX_SY_mSZ_S12_bEUlT_E_NS1_11comp_targetILNS1_3genE8ELNS1_11target_archE1030ELNS1_3gpuE2ELNS1_3repE0EEENS1_30default_config_static_selectorELNS0_4arch9wavefront6targetE1EEEvSW_.num_agpr, 0
	.set _ZN7rocprim17ROCPRIM_400000_NS6detail17trampoline_kernelINS0_14default_configENS1_29binary_search_config_selectorIyiEEZNS1_14transform_implILb0ES3_S5_N6thrust23THRUST_200600_302600_NS6detail15normal_iteratorINS8_7pointerIyNS8_11hip_rocprim5par_tENS8_11use_defaultESE_EEEENSA_INSB_IiSD_SE_SE_EEEEZNS1_13binary_searchIS3_S5_PySG_SI_NS1_16binary_search_opENS9_16wrapped_functionINS8_6system6detail7generic6detail18binary_search_lessEbEEEE10hipError_tPvRmT1_T2_T3_mmT4_T5_P12ihipStream_tbEUlRKyE_EEST_SX_SY_mSZ_S12_bEUlT_E_NS1_11comp_targetILNS1_3genE8ELNS1_11target_archE1030ELNS1_3gpuE2ELNS1_3repE0EEENS1_30default_config_static_selectorELNS0_4arch9wavefront6targetE1EEEvSW_.numbered_sgpr, 0
	.set _ZN7rocprim17ROCPRIM_400000_NS6detail17trampoline_kernelINS0_14default_configENS1_29binary_search_config_selectorIyiEEZNS1_14transform_implILb0ES3_S5_N6thrust23THRUST_200600_302600_NS6detail15normal_iteratorINS8_7pointerIyNS8_11hip_rocprim5par_tENS8_11use_defaultESE_EEEENSA_INSB_IiSD_SE_SE_EEEEZNS1_13binary_searchIS3_S5_PySG_SI_NS1_16binary_search_opENS9_16wrapped_functionINS8_6system6detail7generic6detail18binary_search_lessEbEEEE10hipError_tPvRmT1_T2_T3_mmT4_T5_P12ihipStream_tbEUlRKyE_EEST_SX_SY_mSZ_S12_bEUlT_E_NS1_11comp_targetILNS1_3genE8ELNS1_11target_archE1030ELNS1_3gpuE2ELNS1_3repE0EEENS1_30default_config_static_selectorELNS0_4arch9wavefront6targetE1EEEvSW_.num_named_barrier, 0
	.set _ZN7rocprim17ROCPRIM_400000_NS6detail17trampoline_kernelINS0_14default_configENS1_29binary_search_config_selectorIyiEEZNS1_14transform_implILb0ES3_S5_N6thrust23THRUST_200600_302600_NS6detail15normal_iteratorINS8_7pointerIyNS8_11hip_rocprim5par_tENS8_11use_defaultESE_EEEENSA_INSB_IiSD_SE_SE_EEEEZNS1_13binary_searchIS3_S5_PySG_SI_NS1_16binary_search_opENS9_16wrapped_functionINS8_6system6detail7generic6detail18binary_search_lessEbEEEE10hipError_tPvRmT1_T2_T3_mmT4_T5_P12ihipStream_tbEUlRKyE_EEST_SX_SY_mSZ_S12_bEUlT_E_NS1_11comp_targetILNS1_3genE8ELNS1_11target_archE1030ELNS1_3gpuE2ELNS1_3repE0EEENS1_30default_config_static_selectorELNS0_4arch9wavefront6targetE1EEEvSW_.private_seg_size, 0
	.set _ZN7rocprim17ROCPRIM_400000_NS6detail17trampoline_kernelINS0_14default_configENS1_29binary_search_config_selectorIyiEEZNS1_14transform_implILb0ES3_S5_N6thrust23THRUST_200600_302600_NS6detail15normal_iteratorINS8_7pointerIyNS8_11hip_rocprim5par_tENS8_11use_defaultESE_EEEENSA_INSB_IiSD_SE_SE_EEEEZNS1_13binary_searchIS3_S5_PySG_SI_NS1_16binary_search_opENS9_16wrapped_functionINS8_6system6detail7generic6detail18binary_search_lessEbEEEE10hipError_tPvRmT1_T2_T3_mmT4_T5_P12ihipStream_tbEUlRKyE_EEST_SX_SY_mSZ_S12_bEUlT_E_NS1_11comp_targetILNS1_3genE8ELNS1_11target_archE1030ELNS1_3gpuE2ELNS1_3repE0EEENS1_30default_config_static_selectorELNS0_4arch9wavefront6targetE1EEEvSW_.uses_vcc, 0
	.set _ZN7rocprim17ROCPRIM_400000_NS6detail17trampoline_kernelINS0_14default_configENS1_29binary_search_config_selectorIyiEEZNS1_14transform_implILb0ES3_S5_N6thrust23THRUST_200600_302600_NS6detail15normal_iteratorINS8_7pointerIyNS8_11hip_rocprim5par_tENS8_11use_defaultESE_EEEENSA_INSB_IiSD_SE_SE_EEEEZNS1_13binary_searchIS3_S5_PySG_SI_NS1_16binary_search_opENS9_16wrapped_functionINS8_6system6detail7generic6detail18binary_search_lessEbEEEE10hipError_tPvRmT1_T2_T3_mmT4_T5_P12ihipStream_tbEUlRKyE_EEST_SX_SY_mSZ_S12_bEUlT_E_NS1_11comp_targetILNS1_3genE8ELNS1_11target_archE1030ELNS1_3gpuE2ELNS1_3repE0EEENS1_30default_config_static_selectorELNS0_4arch9wavefront6targetE1EEEvSW_.uses_flat_scratch, 0
	.set _ZN7rocprim17ROCPRIM_400000_NS6detail17trampoline_kernelINS0_14default_configENS1_29binary_search_config_selectorIyiEEZNS1_14transform_implILb0ES3_S5_N6thrust23THRUST_200600_302600_NS6detail15normal_iteratorINS8_7pointerIyNS8_11hip_rocprim5par_tENS8_11use_defaultESE_EEEENSA_INSB_IiSD_SE_SE_EEEEZNS1_13binary_searchIS3_S5_PySG_SI_NS1_16binary_search_opENS9_16wrapped_functionINS8_6system6detail7generic6detail18binary_search_lessEbEEEE10hipError_tPvRmT1_T2_T3_mmT4_T5_P12ihipStream_tbEUlRKyE_EEST_SX_SY_mSZ_S12_bEUlT_E_NS1_11comp_targetILNS1_3genE8ELNS1_11target_archE1030ELNS1_3gpuE2ELNS1_3repE0EEENS1_30default_config_static_selectorELNS0_4arch9wavefront6targetE1EEEvSW_.has_dyn_sized_stack, 0
	.set _ZN7rocprim17ROCPRIM_400000_NS6detail17trampoline_kernelINS0_14default_configENS1_29binary_search_config_selectorIyiEEZNS1_14transform_implILb0ES3_S5_N6thrust23THRUST_200600_302600_NS6detail15normal_iteratorINS8_7pointerIyNS8_11hip_rocprim5par_tENS8_11use_defaultESE_EEEENSA_INSB_IiSD_SE_SE_EEEEZNS1_13binary_searchIS3_S5_PySG_SI_NS1_16binary_search_opENS9_16wrapped_functionINS8_6system6detail7generic6detail18binary_search_lessEbEEEE10hipError_tPvRmT1_T2_T3_mmT4_T5_P12ihipStream_tbEUlRKyE_EEST_SX_SY_mSZ_S12_bEUlT_E_NS1_11comp_targetILNS1_3genE8ELNS1_11target_archE1030ELNS1_3gpuE2ELNS1_3repE0EEENS1_30default_config_static_selectorELNS0_4arch9wavefront6targetE1EEEvSW_.has_recursion, 0
	.set _ZN7rocprim17ROCPRIM_400000_NS6detail17trampoline_kernelINS0_14default_configENS1_29binary_search_config_selectorIyiEEZNS1_14transform_implILb0ES3_S5_N6thrust23THRUST_200600_302600_NS6detail15normal_iteratorINS8_7pointerIyNS8_11hip_rocprim5par_tENS8_11use_defaultESE_EEEENSA_INSB_IiSD_SE_SE_EEEEZNS1_13binary_searchIS3_S5_PySG_SI_NS1_16binary_search_opENS9_16wrapped_functionINS8_6system6detail7generic6detail18binary_search_lessEbEEEE10hipError_tPvRmT1_T2_T3_mmT4_T5_P12ihipStream_tbEUlRKyE_EEST_SX_SY_mSZ_S12_bEUlT_E_NS1_11comp_targetILNS1_3genE8ELNS1_11target_archE1030ELNS1_3gpuE2ELNS1_3repE0EEENS1_30default_config_static_selectorELNS0_4arch9wavefront6targetE1EEEvSW_.has_indirect_call, 0
	.section	.AMDGPU.csdata,"",@progbits
; Kernel info:
; codeLenInByte = 0
; TotalNumSgprs: 4
; NumVgprs: 0
; ScratchSize: 0
; MemoryBound: 0
; FloatMode: 240
; IeeeMode: 1
; LDSByteSize: 0 bytes/workgroup (compile time only)
; SGPRBlocks: 0
; VGPRBlocks: 0
; NumSGPRsForWavesPerEU: 4
; NumVGPRsForWavesPerEU: 1
; Occupancy: 10
; WaveLimiterHint : 0
; COMPUTE_PGM_RSRC2:SCRATCH_EN: 0
; COMPUTE_PGM_RSRC2:USER_SGPR: 6
; COMPUTE_PGM_RSRC2:TRAP_HANDLER: 0
; COMPUTE_PGM_RSRC2:TGID_X_EN: 1
; COMPUTE_PGM_RSRC2:TGID_Y_EN: 0
; COMPUTE_PGM_RSRC2:TGID_Z_EN: 0
; COMPUTE_PGM_RSRC2:TIDIG_COMP_CNT: 0
	.section	.text._Z20binary_search_kernelIjEvmPT_Pb,"axG",@progbits,_Z20binary_search_kernelIjEvmPT_Pb,comdat
	.protected	_Z20binary_search_kernelIjEvmPT_Pb ; -- Begin function _Z20binary_search_kernelIjEvmPT_Pb
	.globl	_Z20binary_search_kernelIjEvmPT_Pb
	.p2align	8
	.type	_Z20binary_search_kernelIjEvmPT_Pb,@function
_Z20binary_search_kernelIjEvmPT_Pb:     ; @_Z20binary_search_kernelIjEvmPT_Pb
; %bb.0:
	s_load_dwordx4 s[0:3], s[4:5], 0x0
	s_load_dwordx2 s[6:7], s[4:5], 0x10
	s_mov_b64 s[10:11], 0
	s_waitcnt lgkmcnt(0)
	s_cmp_eq_u64 s[0:1], 0
	s_cbranch_scc1 .LBB272_2
; %bb.1:
	s_load_dword s4, s[2:3], 0x0
	s_waitcnt lgkmcnt(0)
	s_cmp_eq_u32 s4, 0
	s_cselect_b64 s[12:13], -1, 0
	s_branch .LBB272_3
.LBB272_2:
	s_mov_b64 s[12:13], 0
.LBB272_3:
	s_lshl_b64 s[4:5], s[0:1], 2
	s_add_u32 s0, s2, s4
	s_addc_u32 s1, s3, s5
	s_sub_u32 s0, s0, s2
	s_subb_u32 s1, s1, s3
	s_ashr_i64 s[8:9], s[0:1], 2
	v_cmp_lt_i64_e64 s[0:1], s[8:9], 1
	v_mov_b32_e32 v0, 0
	v_cndmask_b32_e64 v1, 0, 1, s[12:13]
	s_and_b64 vcc, exec, s[0:1]
	global_store_byte v0, v1, s[6:7]
	s_cbranch_vccnz .LBB272_7
; %bb.4:
	s_mov_b64 s[0:1], 0
	s_mov_b64 s[10:11], s[8:9]
.LBB272_5:                              ; =>This Inner Loop Header: Depth=1
	s_sub_u32 s12, s10, s0
	s_subb_u32 s13, s11, s1
	s_lshr_b64 s[12:13], s[12:13], 1
	s_add_u32 s12, s12, s0
	s_addc_u32 s13, s13, s1
	s_lshl_b64 s[14:15], s[12:13], 2
	s_add_u32 s14, s2, s14
	s_addc_u32 s15, s3, s15
	s_load_dword s14, s[14:15], 0x0
	s_add_u32 s15, s12, 1
	s_addc_u32 s16, s13, 0
	s_waitcnt lgkmcnt(0)
	s_cmp_eq_u32 s14, 0
	s_cselect_b32 s10, s10, s12
	s_cselect_b32 s11, s11, s13
	v_mov_b32_e32 v0, s10
	s_cselect_b32 s1, s16, s1
	s_cselect_b32 s0, s15, s0
	v_mov_b32_e32 v1, s11
	v_cmp_lt_i64_e32 vcc, s[0:1], v[0:1]
	s_cbranch_vccnz .LBB272_5
; %bb.6:
	s_lshl_b64 s[10:11], s[0:1], 2
.LBB272_7:
	v_cmp_gt_i64_e64 s[14:15], s[8:9], 0
	s_mov_b64 s[12:13], 0
	s_cmp_eq_u64 s[10:11], s[4:5]
	s_mov_b64 s[0:1], 0
	s_cbranch_scc1 .LBB272_9
; %bb.8:
	s_add_u32 s0, s2, s10
	s_addc_u32 s1, s3, s11
	s_load_dword s0, s[0:1], 0x0
	s_waitcnt lgkmcnt(0)
	s_cmp_lt_u32 s0, 2
	s_cselect_b64 s[0:1], -1, 0
.LBB272_9:
	v_cndmask_b32_e64 v2, 0, 1, s[14:15]
	v_mov_b32_e32 v0, 0
	v_cndmask_b32_e64 v1, 0, 1, s[0:1]
	v_cmp_ne_u32_e64 s[0:1], 1, v2
	s_andn2_b64 vcc, exec, s[14:15]
	global_store_byte v0, v1, s[6:7] offset:1
	s_cbranch_vccnz .LBB272_13
; %bb.10:
	s_mov_b64 s[10:11], 0
	s_mov_b64 s[12:13], s[8:9]
.LBB272_11:                             ; =>This Inner Loop Header: Depth=1
	s_sub_u32 s14, s12, s10
	s_subb_u32 s15, s13, s11
	s_lshr_b64 s[14:15], s[14:15], 1
	s_add_u32 s14, s14, s10
	s_addc_u32 s15, s15, s11
	s_lshl_b64 s[16:17], s[14:15], 2
	s_add_u32 s16, s2, s16
	s_addc_u32 s17, s3, s17
	s_load_dword s16, s[16:17], 0x0
	s_add_u32 s17, s14, 1
	s_addc_u32 s18, s15, 0
	s_waitcnt lgkmcnt(0)
	s_cmp_lt_u32 s16, 2
	s_cselect_b32 s12, s12, s14
	s_cselect_b32 s13, s13, s15
	v_mov_b32_e32 v0, s12
	s_cselect_b32 s11, s18, s11
	s_cselect_b32 s10, s17, s10
	v_mov_b32_e32 v1, s13
	v_cmp_lt_i64_e32 vcc, s[10:11], v[0:1]
	s_cbranch_vccnz .LBB272_11
; %bb.12:
	s_lshl_b64 s[12:13], s[10:11], 2
.LBB272_13:
	s_mov_b64 s[10:11], 0
	s_cmp_eq_u64 s[12:13], s[4:5]
	s_mov_b64 s[14:15], 0
	s_cbranch_scc1 .LBB272_15
; %bb.14:
	s_add_u32 s12, s2, s12
	s_addc_u32 s13, s3, s13
	s_load_dword s12, s[12:13], 0x0
	s_waitcnt lgkmcnt(0)
	s_cmp_lt_u32 s12, 3
	s_cselect_b64 s[14:15], -1, 0
.LBB272_15:
	v_mov_b32_e32 v0, 0
	v_cndmask_b32_e64 v1, 0, 1, s[14:15]
	s_and_b64 vcc, exec, s[0:1]
	global_store_byte v0, v1, s[6:7] offset:2
	s_cbranch_vccnz .LBB272_19
; %bb.16:
	s_mov_b64 s[12:13], s[8:9]
.LBB272_17:                             ; =>This Inner Loop Header: Depth=1
	s_sub_u32 s14, s12, s10
	s_subb_u32 s15, s13, s11
	s_lshr_b64 s[14:15], s[14:15], 1
	s_add_u32 s14, s14, s10
	s_addc_u32 s15, s15, s11
	s_lshl_b64 s[16:17], s[14:15], 2
	s_add_u32 s16, s2, s16
	s_addc_u32 s17, s3, s17
	s_load_dword s16, s[16:17], 0x0
	s_add_u32 s17, s14, 1
	s_addc_u32 s18, s15, 0
	s_waitcnt lgkmcnt(0)
	s_cmp_lt_u32 s16, 3
	s_cselect_b32 s12, s12, s14
	s_cselect_b32 s13, s13, s15
	v_mov_b32_e32 v0, s12
	s_cselect_b32 s11, s18, s11
	s_cselect_b32 s10, s17, s10
	v_mov_b32_e32 v1, s13
	v_cmp_lt_i64_e32 vcc, s[10:11], v[0:1]
	s_cbranch_vccnz .LBB272_17
; %bb.18:
	s_lshl_b64 s[10:11], s[10:11], 2
.LBB272_19:
	s_mov_b64 s[12:13], 0
	s_cmp_eq_u64 s[10:11], s[4:5]
	s_mov_b64 s[14:15], 0
	s_cbranch_scc1 .LBB272_21
; %bb.20:
	s_add_u32 s10, s2, s10
	s_addc_u32 s11, s3, s11
	s_load_dword s10, s[10:11], 0x0
	s_waitcnt lgkmcnt(0)
	s_cmp_lt_u32 s10, 4
	s_cselect_b64 s[14:15], -1, 0
.LBB272_21:
	v_mov_b32_e32 v0, 0
	v_cndmask_b32_e64 v1, 0, 1, s[14:15]
	s_and_b64 vcc, exec, s[0:1]
	global_store_byte v0, v1, s[6:7] offset:3
	s_cbranch_vccnz .LBB272_25
; %bb.22:
	s_mov_b64 s[10:11], 0
	s_mov_b64 s[12:13], s[8:9]
.LBB272_23:                             ; =>This Inner Loop Header: Depth=1
	s_sub_u32 s14, s12, s10
	s_subb_u32 s15, s13, s11
	s_lshr_b64 s[14:15], s[14:15], 1
	s_add_u32 s14, s14, s10
	s_addc_u32 s15, s15, s11
	s_lshl_b64 s[16:17], s[14:15], 2
	s_add_u32 s16, s2, s16
	s_addc_u32 s17, s3, s17
	s_load_dword s16, s[16:17], 0x0
	s_add_u32 s17, s14, 1
	s_addc_u32 s18, s15, 0
	s_waitcnt lgkmcnt(0)
	s_cmp_lt_u32 s16, 4
	s_cselect_b32 s12, s12, s14
	s_cselect_b32 s13, s13, s15
	v_mov_b32_e32 v0, s12
	s_cselect_b32 s11, s18, s11
	s_cselect_b32 s10, s17, s10
	v_mov_b32_e32 v1, s13
	v_cmp_lt_i64_e32 vcc, s[10:11], v[0:1]
	s_cbranch_vccnz .LBB272_23
; %bb.24:
	s_lshl_b64 s[12:13], s[10:11], 2
.LBB272_25:
	s_mov_b64 s[10:11], 0
	s_cmp_eq_u64 s[12:13], s[4:5]
	s_mov_b64 s[14:15], 0
	s_cbranch_scc1 .LBB272_27
; %bb.26:
	s_add_u32 s12, s2, s12
	s_addc_u32 s13, s3, s13
	s_load_dword s12, s[12:13], 0x0
	s_waitcnt lgkmcnt(0)
	s_cmp_lt_u32 s12, 5
	s_cselect_b64 s[14:15], -1, 0
.LBB272_27:
	v_mov_b32_e32 v0, 0
	v_cndmask_b32_e64 v1, 0, 1, s[14:15]
	s_and_b64 vcc, exec, s[0:1]
	global_store_byte v0, v1, s[6:7] offset:4
	s_cbranch_vccnz .LBB272_31
; %bb.28:
	s_mov_b64 s[12:13], s[8:9]
.LBB272_29:                             ; =>This Inner Loop Header: Depth=1
	s_sub_u32 s14, s12, s10
	s_subb_u32 s15, s13, s11
	s_lshr_b64 s[14:15], s[14:15], 1
	s_add_u32 s14, s14, s10
	s_addc_u32 s15, s15, s11
	s_lshl_b64 s[16:17], s[14:15], 2
	s_add_u32 s16, s2, s16
	s_addc_u32 s17, s3, s17
	s_load_dword s16, s[16:17], 0x0
	s_add_u32 s17, s14, 1
	s_addc_u32 s18, s15, 0
	s_waitcnt lgkmcnt(0)
	s_cmp_lt_u32 s16, 5
	s_cselect_b32 s12, s12, s14
	s_cselect_b32 s13, s13, s15
	v_mov_b32_e32 v0, s12
	s_cselect_b32 s11, s18, s11
	s_cselect_b32 s10, s17, s10
	v_mov_b32_e32 v1, s13
	v_cmp_lt_i64_e32 vcc, s[10:11], v[0:1]
	s_cbranch_vccnz .LBB272_29
; %bb.30:
	s_lshl_b64 s[10:11], s[10:11], 2
.LBB272_31:
	s_mov_b64 s[12:13], 0
	s_cmp_eq_u64 s[10:11], s[4:5]
	s_mov_b64 s[14:15], 0
	s_cbranch_scc1 .LBB272_33
; %bb.32:
	s_add_u32 s10, s2, s10
	s_addc_u32 s11, s3, s11
	s_load_dword s10, s[10:11], 0x0
	s_waitcnt lgkmcnt(0)
	s_cmp_lt_u32 s10, 6
	s_cselect_b64 s[14:15], -1, 0
.LBB272_33:
	v_mov_b32_e32 v0, 0
	v_cndmask_b32_e64 v1, 0, 1, s[14:15]
	s_and_b64 vcc, exec, s[0:1]
	global_store_byte v0, v1, s[6:7] offset:5
	s_cbranch_vccnz .LBB272_37
; %bb.34:
	s_mov_b64 s[10:11], 0
	s_mov_b64 s[12:13], s[8:9]
.LBB272_35:                             ; =>This Inner Loop Header: Depth=1
	s_sub_u32 s14, s12, s10
	s_subb_u32 s15, s13, s11
	s_lshr_b64 s[14:15], s[14:15], 1
	s_add_u32 s14, s14, s10
	s_addc_u32 s15, s15, s11
	s_lshl_b64 s[16:17], s[14:15], 2
	s_add_u32 s16, s2, s16
	s_addc_u32 s17, s3, s17
	s_load_dword s16, s[16:17], 0x0
	s_add_u32 s17, s14, 1
	s_addc_u32 s18, s15, 0
	s_waitcnt lgkmcnt(0)
	s_cmp_lt_u32 s16, 6
	s_cselect_b32 s12, s12, s14
	s_cselect_b32 s13, s13, s15
	v_mov_b32_e32 v0, s12
	s_cselect_b32 s11, s18, s11
	s_cselect_b32 s10, s17, s10
	v_mov_b32_e32 v1, s13
	v_cmp_lt_i64_e32 vcc, s[10:11], v[0:1]
	s_cbranch_vccnz .LBB272_35
; %bb.36:
	s_lshl_b64 s[12:13], s[10:11], 2
.LBB272_37:
	s_mov_b64 s[10:11], 0
	s_cmp_eq_u64 s[12:13], s[4:5]
	s_mov_b64 s[14:15], 0
	s_cbranch_scc1 .LBB272_39
; %bb.38:
	s_add_u32 s12, s2, s12
	s_addc_u32 s13, s3, s13
	s_load_dword s12, s[12:13], 0x0
	s_waitcnt lgkmcnt(0)
	s_cmp_lt_u32 s12, 7
	s_cselect_b64 s[14:15], -1, 0
.LBB272_39:
	v_mov_b32_e32 v0, 0
	v_cndmask_b32_e64 v1, 0, 1, s[14:15]
	s_and_b64 vcc, exec, s[0:1]
	global_store_byte v0, v1, s[6:7] offset:6
	s_cbranch_vccnz .LBB272_43
; %bb.40:
	s_mov_b64 s[12:13], s[8:9]
.LBB272_41:                             ; =>This Inner Loop Header: Depth=1
	s_sub_u32 s14, s12, s10
	s_subb_u32 s15, s13, s11
	s_lshr_b64 s[14:15], s[14:15], 1
	s_add_u32 s14, s14, s10
	s_addc_u32 s15, s15, s11
	s_lshl_b64 s[16:17], s[14:15], 2
	s_add_u32 s16, s2, s16
	s_addc_u32 s17, s3, s17
	s_load_dword s16, s[16:17], 0x0
	s_add_u32 s17, s14, 1
	s_addc_u32 s18, s15, 0
	s_waitcnt lgkmcnt(0)
	s_cmp_lt_u32 s16, 7
	s_cselect_b32 s12, s12, s14
	s_cselect_b32 s13, s13, s15
	v_mov_b32_e32 v0, s12
	s_cselect_b32 s11, s18, s11
	s_cselect_b32 s10, s17, s10
	v_mov_b32_e32 v1, s13
	v_cmp_lt_i64_e32 vcc, s[10:11], v[0:1]
	s_cbranch_vccnz .LBB272_41
; %bb.42:
	s_lshl_b64 s[10:11], s[10:11], 2
.LBB272_43:
	s_mov_b64 s[12:13], 0
	s_cmp_eq_u64 s[10:11], s[4:5]
	s_mov_b64 s[14:15], 0
	s_cbranch_scc1 .LBB272_45
; %bb.44:
	s_add_u32 s10, s2, s10
	s_addc_u32 s11, s3, s11
	s_load_dword s10, s[10:11], 0x0
	s_waitcnt lgkmcnt(0)
	s_cmp_lt_u32 s10, 8
	s_cselect_b64 s[14:15], -1, 0
.LBB272_45:
	v_mov_b32_e32 v0, 0
	v_cndmask_b32_e64 v1, 0, 1, s[14:15]
	s_and_b64 vcc, exec, s[0:1]
	global_store_byte v0, v1, s[6:7] offset:7
	s_cbranch_vccnz .LBB272_49
; %bb.46:
	s_mov_b64 s[10:11], 0
	s_mov_b64 s[12:13], s[8:9]
.LBB272_47:                             ; =>This Inner Loop Header: Depth=1
	s_sub_u32 s14, s12, s10
	s_subb_u32 s15, s13, s11
	s_lshr_b64 s[14:15], s[14:15], 1
	s_add_u32 s14, s14, s10
	s_addc_u32 s15, s15, s11
	s_lshl_b64 s[16:17], s[14:15], 2
	s_add_u32 s16, s2, s16
	s_addc_u32 s17, s3, s17
	s_load_dword s16, s[16:17], 0x0
	s_add_u32 s17, s14, 1
	s_addc_u32 s18, s15, 0
	s_waitcnt lgkmcnt(0)
	s_cmp_lt_u32 s16, 8
	s_cselect_b32 s12, s12, s14
	s_cselect_b32 s13, s13, s15
	v_mov_b32_e32 v0, s12
	s_cselect_b32 s11, s18, s11
	s_cselect_b32 s10, s17, s10
	v_mov_b32_e32 v1, s13
	v_cmp_lt_i64_e32 vcc, s[10:11], v[0:1]
	s_cbranch_vccnz .LBB272_47
; %bb.48:
	s_lshl_b64 s[12:13], s[10:11], 2
.LBB272_49:
	s_mov_b64 s[10:11], 0
	s_cmp_eq_u64 s[12:13], s[4:5]
	s_mov_b64 s[14:15], 0
	s_cbranch_scc1 .LBB272_51
; %bb.50:
	s_add_u32 s12, s2, s12
	s_addc_u32 s13, s3, s13
	s_load_dword s12, s[12:13], 0x0
	s_waitcnt lgkmcnt(0)
	s_cmp_lt_u32 s12, 9
	s_cselect_b64 s[14:15], -1, 0
.LBB272_51:
	v_mov_b32_e32 v0, 0
	v_cndmask_b32_e64 v1, 0, 1, s[14:15]
	s_and_b64 vcc, exec, s[0:1]
	global_store_byte v0, v1, s[6:7] offset:8
	s_cbranch_vccnz .LBB272_55
; %bb.52:
	s_mov_b64 s[0:1], 0
.LBB272_53:                             ; =>This Inner Loop Header: Depth=1
	s_sub_u32 s10, s8, s0
	s_subb_u32 s11, s9, s1
	s_lshr_b64 s[10:11], s[10:11], 1
	s_add_u32 s10, s10, s0
	s_addc_u32 s11, s11, s1
	s_lshl_b64 s[12:13], s[10:11], 2
	s_add_u32 s12, s2, s12
	s_addc_u32 s13, s3, s13
	s_load_dword s12, s[12:13], 0x0
	s_add_u32 s13, s10, 1
	s_addc_u32 s14, s11, 0
	s_waitcnt lgkmcnt(0)
	s_cmp_lt_u32 s12, 9
	s_cselect_b32 s8, s8, s10
	s_cselect_b32 s9, s9, s11
	v_mov_b32_e32 v0, s8
	s_cselect_b32 s1, s14, s1
	s_cselect_b32 s0, s13, s0
	v_mov_b32_e32 v1, s9
	v_cmp_lt_i64_e32 vcc, s[0:1], v[0:1]
	s_cbranch_vccnz .LBB272_53
; %bb.54:
	s_lshl_b64 s[10:11], s[0:1], 2
.LBB272_55:
	s_cmp_eq_u64 s[10:11], s[4:5]
	s_mov_b64 s[0:1], 0
	s_cbranch_scc1 .LBB272_57
; %bb.56:
	s_add_u32 s0, s2, s10
	s_addc_u32 s1, s3, s11
	s_load_dword s0, s[0:1], 0x0
	s_waitcnt lgkmcnt(0)
	s_cmp_lt_u32 s0, 10
	s_cselect_b64 s[0:1], -1, 0
.LBB272_57:
	v_mov_b32_e32 v0, 0
	v_cndmask_b32_e64 v1, 0, 1, s[0:1]
	global_store_byte v0, v1, s[6:7] offset:9
	s_endpgm
	.section	.rodata,"a",@progbits
	.p2align	6, 0x0
	.amdhsa_kernel _Z20binary_search_kernelIjEvmPT_Pb
		.amdhsa_group_segment_fixed_size 0
		.amdhsa_private_segment_fixed_size 0
		.amdhsa_kernarg_size 24
		.amdhsa_user_sgpr_count 6
		.amdhsa_user_sgpr_private_segment_buffer 1
		.amdhsa_user_sgpr_dispatch_ptr 0
		.amdhsa_user_sgpr_queue_ptr 0
		.amdhsa_user_sgpr_kernarg_segment_ptr 1
		.amdhsa_user_sgpr_dispatch_id 0
		.amdhsa_user_sgpr_flat_scratch_init 0
		.amdhsa_user_sgpr_private_segment_size 0
		.amdhsa_uses_dynamic_stack 0
		.amdhsa_system_sgpr_private_segment_wavefront_offset 0
		.amdhsa_system_sgpr_workgroup_id_x 1
		.amdhsa_system_sgpr_workgroup_id_y 0
		.amdhsa_system_sgpr_workgroup_id_z 0
		.amdhsa_system_sgpr_workgroup_info 0
		.amdhsa_system_vgpr_workitem_id 0
		.amdhsa_next_free_vgpr 3
		.amdhsa_next_free_sgpr 19
		.amdhsa_reserve_vcc 1
		.amdhsa_reserve_flat_scratch 0
		.amdhsa_float_round_mode_32 0
		.amdhsa_float_round_mode_16_64 0
		.amdhsa_float_denorm_mode_32 3
		.amdhsa_float_denorm_mode_16_64 3
		.amdhsa_dx10_clamp 1
		.amdhsa_ieee_mode 1
		.amdhsa_fp16_overflow 0
		.amdhsa_exception_fp_ieee_invalid_op 0
		.amdhsa_exception_fp_denorm_src 0
		.amdhsa_exception_fp_ieee_div_zero 0
		.amdhsa_exception_fp_ieee_overflow 0
		.amdhsa_exception_fp_ieee_underflow 0
		.amdhsa_exception_fp_ieee_inexact 0
		.amdhsa_exception_int_div_zero 0
	.end_amdhsa_kernel
	.section	.text._Z20binary_search_kernelIjEvmPT_Pb,"axG",@progbits,_Z20binary_search_kernelIjEvmPT_Pb,comdat
.Lfunc_end272:
	.size	_Z20binary_search_kernelIjEvmPT_Pb, .Lfunc_end272-_Z20binary_search_kernelIjEvmPT_Pb
                                        ; -- End function
	.set _Z20binary_search_kernelIjEvmPT_Pb.num_vgpr, 3
	.set _Z20binary_search_kernelIjEvmPT_Pb.num_agpr, 0
	.set _Z20binary_search_kernelIjEvmPT_Pb.numbered_sgpr, 19
	.set _Z20binary_search_kernelIjEvmPT_Pb.num_named_barrier, 0
	.set _Z20binary_search_kernelIjEvmPT_Pb.private_seg_size, 0
	.set _Z20binary_search_kernelIjEvmPT_Pb.uses_vcc, 1
	.set _Z20binary_search_kernelIjEvmPT_Pb.uses_flat_scratch, 0
	.set _Z20binary_search_kernelIjEvmPT_Pb.has_dyn_sized_stack, 0
	.set _Z20binary_search_kernelIjEvmPT_Pb.has_recursion, 0
	.set _Z20binary_search_kernelIjEvmPT_Pb.has_indirect_call, 0
	.section	.AMDGPU.csdata,"",@progbits
; Kernel info:
; codeLenInByte = 1668
; TotalNumSgprs: 23
; NumVgprs: 3
; ScratchSize: 0
; MemoryBound: 0
; FloatMode: 240
; IeeeMode: 1
; LDSByteSize: 0 bytes/workgroup (compile time only)
; SGPRBlocks: 2
; VGPRBlocks: 0
; NumSGPRsForWavesPerEU: 23
; NumVGPRsForWavesPerEU: 3
; Occupancy: 10
; WaveLimiterHint : 0
; COMPUTE_PGM_RSRC2:SCRATCH_EN: 0
; COMPUTE_PGM_RSRC2:USER_SGPR: 6
; COMPUTE_PGM_RSRC2:TRAP_HANDLER: 0
; COMPUTE_PGM_RSRC2:TGID_X_EN: 1
; COMPUTE_PGM_RSRC2:TGID_Y_EN: 0
; COMPUTE_PGM_RSRC2:TGID_Z_EN: 0
; COMPUTE_PGM_RSRC2:TIDIG_COMP_CNT: 0
	.section	.text._ZN7rocprim17ROCPRIM_400000_NS6detail17trampoline_kernelINS0_14default_configENS1_29binary_search_config_selectorIjiEEZNS1_14transform_implILb0ES3_S5_N6thrust23THRUST_200600_302600_NS6detail15normal_iteratorINS8_7pointerIjNS8_11hip_rocprim5par_tENS8_11use_defaultESE_EEEENSA_INSB_IiSD_SE_SE_EEEEZNS1_13binary_searchIS3_S5_PjSG_SI_NS1_16binary_search_opENS9_16wrapped_functionINS8_6system6detail7generic6detail18binary_search_lessEbEEEE10hipError_tPvRmT1_T2_T3_mmT4_T5_P12ihipStream_tbEUlRKjE_EEST_SX_SY_mSZ_S12_bEUlT_E_NS1_11comp_targetILNS1_3genE0ELNS1_11target_archE4294967295ELNS1_3gpuE0ELNS1_3repE0EEENS1_30default_config_static_selectorELNS0_4arch9wavefront6targetE1EEEvSW_,"axG",@progbits,_ZN7rocprim17ROCPRIM_400000_NS6detail17trampoline_kernelINS0_14default_configENS1_29binary_search_config_selectorIjiEEZNS1_14transform_implILb0ES3_S5_N6thrust23THRUST_200600_302600_NS6detail15normal_iteratorINS8_7pointerIjNS8_11hip_rocprim5par_tENS8_11use_defaultESE_EEEENSA_INSB_IiSD_SE_SE_EEEEZNS1_13binary_searchIS3_S5_PjSG_SI_NS1_16binary_search_opENS9_16wrapped_functionINS8_6system6detail7generic6detail18binary_search_lessEbEEEE10hipError_tPvRmT1_T2_T3_mmT4_T5_P12ihipStream_tbEUlRKjE_EEST_SX_SY_mSZ_S12_bEUlT_E_NS1_11comp_targetILNS1_3genE0ELNS1_11target_archE4294967295ELNS1_3gpuE0ELNS1_3repE0EEENS1_30default_config_static_selectorELNS0_4arch9wavefront6targetE1EEEvSW_,comdat
	.protected	_ZN7rocprim17ROCPRIM_400000_NS6detail17trampoline_kernelINS0_14default_configENS1_29binary_search_config_selectorIjiEEZNS1_14transform_implILb0ES3_S5_N6thrust23THRUST_200600_302600_NS6detail15normal_iteratorINS8_7pointerIjNS8_11hip_rocprim5par_tENS8_11use_defaultESE_EEEENSA_INSB_IiSD_SE_SE_EEEEZNS1_13binary_searchIS3_S5_PjSG_SI_NS1_16binary_search_opENS9_16wrapped_functionINS8_6system6detail7generic6detail18binary_search_lessEbEEEE10hipError_tPvRmT1_T2_T3_mmT4_T5_P12ihipStream_tbEUlRKjE_EEST_SX_SY_mSZ_S12_bEUlT_E_NS1_11comp_targetILNS1_3genE0ELNS1_11target_archE4294967295ELNS1_3gpuE0ELNS1_3repE0EEENS1_30default_config_static_selectorELNS0_4arch9wavefront6targetE1EEEvSW_ ; -- Begin function _ZN7rocprim17ROCPRIM_400000_NS6detail17trampoline_kernelINS0_14default_configENS1_29binary_search_config_selectorIjiEEZNS1_14transform_implILb0ES3_S5_N6thrust23THRUST_200600_302600_NS6detail15normal_iteratorINS8_7pointerIjNS8_11hip_rocprim5par_tENS8_11use_defaultESE_EEEENSA_INSB_IiSD_SE_SE_EEEEZNS1_13binary_searchIS3_S5_PjSG_SI_NS1_16binary_search_opENS9_16wrapped_functionINS8_6system6detail7generic6detail18binary_search_lessEbEEEE10hipError_tPvRmT1_T2_T3_mmT4_T5_P12ihipStream_tbEUlRKjE_EEST_SX_SY_mSZ_S12_bEUlT_E_NS1_11comp_targetILNS1_3genE0ELNS1_11target_archE4294967295ELNS1_3gpuE0ELNS1_3repE0EEENS1_30default_config_static_selectorELNS0_4arch9wavefront6targetE1EEEvSW_
	.globl	_ZN7rocprim17ROCPRIM_400000_NS6detail17trampoline_kernelINS0_14default_configENS1_29binary_search_config_selectorIjiEEZNS1_14transform_implILb0ES3_S5_N6thrust23THRUST_200600_302600_NS6detail15normal_iteratorINS8_7pointerIjNS8_11hip_rocprim5par_tENS8_11use_defaultESE_EEEENSA_INSB_IiSD_SE_SE_EEEEZNS1_13binary_searchIS3_S5_PjSG_SI_NS1_16binary_search_opENS9_16wrapped_functionINS8_6system6detail7generic6detail18binary_search_lessEbEEEE10hipError_tPvRmT1_T2_T3_mmT4_T5_P12ihipStream_tbEUlRKjE_EEST_SX_SY_mSZ_S12_bEUlT_E_NS1_11comp_targetILNS1_3genE0ELNS1_11target_archE4294967295ELNS1_3gpuE0ELNS1_3repE0EEENS1_30default_config_static_selectorELNS0_4arch9wavefront6targetE1EEEvSW_
	.p2align	8
	.type	_ZN7rocprim17ROCPRIM_400000_NS6detail17trampoline_kernelINS0_14default_configENS1_29binary_search_config_selectorIjiEEZNS1_14transform_implILb0ES3_S5_N6thrust23THRUST_200600_302600_NS6detail15normal_iteratorINS8_7pointerIjNS8_11hip_rocprim5par_tENS8_11use_defaultESE_EEEENSA_INSB_IiSD_SE_SE_EEEEZNS1_13binary_searchIS3_S5_PjSG_SI_NS1_16binary_search_opENS9_16wrapped_functionINS8_6system6detail7generic6detail18binary_search_lessEbEEEE10hipError_tPvRmT1_T2_T3_mmT4_T5_P12ihipStream_tbEUlRKjE_EEST_SX_SY_mSZ_S12_bEUlT_E_NS1_11comp_targetILNS1_3genE0ELNS1_11target_archE4294967295ELNS1_3gpuE0ELNS1_3repE0EEENS1_30default_config_static_selectorELNS0_4arch9wavefront6targetE1EEEvSW_,@function
_ZN7rocprim17ROCPRIM_400000_NS6detail17trampoline_kernelINS0_14default_configENS1_29binary_search_config_selectorIjiEEZNS1_14transform_implILb0ES3_S5_N6thrust23THRUST_200600_302600_NS6detail15normal_iteratorINS8_7pointerIjNS8_11hip_rocprim5par_tENS8_11use_defaultESE_EEEENSA_INSB_IiSD_SE_SE_EEEEZNS1_13binary_searchIS3_S5_PjSG_SI_NS1_16binary_search_opENS9_16wrapped_functionINS8_6system6detail7generic6detail18binary_search_lessEbEEEE10hipError_tPvRmT1_T2_T3_mmT4_T5_P12ihipStream_tbEUlRKjE_EEST_SX_SY_mSZ_S12_bEUlT_E_NS1_11comp_targetILNS1_3genE0ELNS1_11target_archE4294967295ELNS1_3gpuE0ELNS1_3repE0EEENS1_30default_config_static_selectorELNS0_4arch9wavefront6targetE1EEEvSW_: ; @_ZN7rocprim17ROCPRIM_400000_NS6detail17trampoline_kernelINS0_14default_configENS1_29binary_search_config_selectorIjiEEZNS1_14transform_implILb0ES3_S5_N6thrust23THRUST_200600_302600_NS6detail15normal_iteratorINS8_7pointerIjNS8_11hip_rocprim5par_tENS8_11use_defaultESE_EEEENSA_INSB_IiSD_SE_SE_EEEEZNS1_13binary_searchIS3_S5_PjSG_SI_NS1_16binary_search_opENS9_16wrapped_functionINS8_6system6detail7generic6detail18binary_search_lessEbEEEE10hipError_tPvRmT1_T2_T3_mmT4_T5_P12ihipStream_tbEUlRKjE_EEST_SX_SY_mSZ_S12_bEUlT_E_NS1_11comp_targetILNS1_3genE0ELNS1_11target_archE4294967295ELNS1_3gpuE0ELNS1_3repE0EEENS1_30default_config_static_selectorELNS0_4arch9wavefront6targetE1EEEvSW_
; %bb.0:
	.section	.rodata,"a",@progbits
	.p2align	6, 0x0
	.amdhsa_kernel _ZN7rocprim17ROCPRIM_400000_NS6detail17trampoline_kernelINS0_14default_configENS1_29binary_search_config_selectorIjiEEZNS1_14transform_implILb0ES3_S5_N6thrust23THRUST_200600_302600_NS6detail15normal_iteratorINS8_7pointerIjNS8_11hip_rocprim5par_tENS8_11use_defaultESE_EEEENSA_INSB_IiSD_SE_SE_EEEEZNS1_13binary_searchIS3_S5_PjSG_SI_NS1_16binary_search_opENS9_16wrapped_functionINS8_6system6detail7generic6detail18binary_search_lessEbEEEE10hipError_tPvRmT1_T2_T3_mmT4_T5_P12ihipStream_tbEUlRKjE_EEST_SX_SY_mSZ_S12_bEUlT_E_NS1_11comp_targetILNS1_3genE0ELNS1_11target_archE4294967295ELNS1_3gpuE0ELNS1_3repE0EEENS1_30default_config_static_selectorELNS0_4arch9wavefront6targetE1EEEvSW_
		.amdhsa_group_segment_fixed_size 0
		.amdhsa_private_segment_fixed_size 0
		.amdhsa_kernarg_size 56
		.amdhsa_user_sgpr_count 6
		.amdhsa_user_sgpr_private_segment_buffer 1
		.amdhsa_user_sgpr_dispatch_ptr 0
		.amdhsa_user_sgpr_queue_ptr 0
		.amdhsa_user_sgpr_kernarg_segment_ptr 1
		.amdhsa_user_sgpr_dispatch_id 0
		.amdhsa_user_sgpr_flat_scratch_init 0
		.amdhsa_user_sgpr_private_segment_size 0
		.amdhsa_uses_dynamic_stack 0
		.amdhsa_system_sgpr_private_segment_wavefront_offset 0
		.amdhsa_system_sgpr_workgroup_id_x 1
		.amdhsa_system_sgpr_workgroup_id_y 0
		.amdhsa_system_sgpr_workgroup_id_z 0
		.amdhsa_system_sgpr_workgroup_info 0
		.amdhsa_system_vgpr_workitem_id 0
		.amdhsa_next_free_vgpr 1
		.amdhsa_next_free_sgpr 0
		.amdhsa_reserve_vcc 0
		.amdhsa_reserve_flat_scratch 0
		.amdhsa_float_round_mode_32 0
		.amdhsa_float_round_mode_16_64 0
		.amdhsa_float_denorm_mode_32 3
		.amdhsa_float_denorm_mode_16_64 3
		.amdhsa_dx10_clamp 1
		.amdhsa_ieee_mode 1
		.amdhsa_fp16_overflow 0
		.amdhsa_exception_fp_ieee_invalid_op 0
		.amdhsa_exception_fp_denorm_src 0
		.amdhsa_exception_fp_ieee_div_zero 0
		.amdhsa_exception_fp_ieee_overflow 0
		.amdhsa_exception_fp_ieee_underflow 0
		.amdhsa_exception_fp_ieee_inexact 0
		.amdhsa_exception_int_div_zero 0
	.end_amdhsa_kernel
	.section	.text._ZN7rocprim17ROCPRIM_400000_NS6detail17trampoline_kernelINS0_14default_configENS1_29binary_search_config_selectorIjiEEZNS1_14transform_implILb0ES3_S5_N6thrust23THRUST_200600_302600_NS6detail15normal_iteratorINS8_7pointerIjNS8_11hip_rocprim5par_tENS8_11use_defaultESE_EEEENSA_INSB_IiSD_SE_SE_EEEEZNS1_13binary_searchIS3_S5_PjSG_SI_NS1_16binary_search_opENS9_16wrapped_functionINS8_6system6detail7generic6detail18binary_search_lessEbEEEE10hipError_tPvRmT1_T2_T3_mmT4_T5_P12ihipStream_tbEUlRKjE_EEST_SX_SY_mSZ_S12_bEUlT_E_NS1_11comp_targetILNS1_3genE0ELNS1_11target_archE4294967295ELNS1_3gpuE0ELNS1_3repE0EEENS1_30default_config_static_selectorELNS0_4arch9wavefront6targetE1EEEvSW_,"axG",@progbits,_ZN7rocprim17ROCPRIM_400000_NS6detail17trampoline_kernelINS0_14default_configENS1_29binary_search_config_selectorIjiEEZNS1_14transform_implILb0ES3_S5_N6thrust23THRUST_200600_302600_NS6detail15normal_iteratorINS8_7pointerIjNS8_11hip_rocprim5par_tENS8_11use_defaultESE_EEEENSA_INSB_IiSD_SE_SE_EEEEZNS1_13binary_searchIS3_S5_PjSG_SI_NS1_16binary_search_opENS9_16wrapped_functionINS8_6system6detail7generic6detail18binary_search_lessEbEEEE10hipError_tPvRmT1_T2_T3_mmT4_T5_P12ihipStream_tbEUlRKjE_EEST_SX_SY_mSZ_S12_bEUlT_E_NS1_11comp_targetILNS1_3genE0ELNS1_11target_archE4294967295ELNS1_3gpuE0ELNS1_3repE0EEENS1_30default_config_static_selectorELNS0_4arch9wavefront6targetE1EEEvSW_,comdat
.Lfunc_end273:
	.size	_ZN7rocprim17ROCPRIM_400000_NS6detail17trampoline_kernelINS0_14default_configENS1_29binary_search_config_selectorIjiEEZNS1_14transform_implILb0ES3_S5_N6thrust23THRUST_200600_302600_NS6detail15normal_iteratorINS8_7pointerIjNS8_11hip_rocprim5par_tENS8_11use_defaultESE_EEEENSA_INSB_IiSD_SE_SE_EEEEZNS1_13binary_searchIS3_S5_PjSG_SI_NS1_16binary_search_opENS9_16wrapped_functionINS8_6system6detail7generic6detail18binary_search_lessEbEEEE10hipError_tPvRmT1_T2_T3_mmT4_T5_P12ihipStream_tbEUlRKjE_EEST_SX_SY_mSZ_S12_bEUlT_E_NS1_11comp_targetILNS1_3genE0ELNS1_11target_archE4294967295ELNS1_3gpuE0ELNS1_3repE0EEENS1_30default_config_static_selectorELNS0_4arch9wavefront6targetE1EEEvSW_, .Lfunc_end273-_ZN7rocprim17ROCPRIM_400000_NS6detail17trampoline_kernelINS0_14default_configENS1_29binary_search_config_selectorIjiEEZNS1_14transform_implILb0ES3_S5_N6thrust23THRUST_200600_302600_NS6detail15normal_iteratorINS8_7pointerIjNS8_11hip_rocprim5par_tENS8_11use_defaultESE_EEEENSA_INSB_IiSD_SE_SE_EEEEZNS1_13binary_searchIS3_S5_PjSG_SI_NS1_16binary_search_opENS9_16wrapped_functionINS8_6system6detail7generic6detail18binary_search_lessEbEEEE10hipError_tPvRmT1_T2_T3_mmT4_T5_P12ihipStream_tbEUlRKjE_EEST_SX_SY_mSZ_S12_bEUlT_E_NS1_11comp_targetILNS1_3genE0ELNS1_11target_archE4294967295ELNS1_3gpuE0ELNS1_3repE0EEENS1_30default_config_static_selectorELNS0_4arch9wavefront6targetE1EEEvSW_
                                        ; -- End function
	.set _ZN7rocprim17ROCPRIM_400000_NS6detail17trampoline_kernelINS0_14default_configENS1_29binary_search_config_selectorIjiEEZNS1_14transform_implILb0ES3_S5_N6thrust23THRUST_200600_302600_NS6detail15normal_iteratorINS8_7pointerIjNS8_11hip_rocprim5par_tENS8_11use_defaultESE_EEEENSA_INSB_IiSD_SE_SE_EEEEZNS1_13binary_searchIS3_S5_PjSG_SI_NS1_16binary_search_opENS9_16wrapped_functionINS8_6system6detail7generic6detail18binary_search_lessEbEEEE10hipError_tPvRmT1_T2_T3_mmT4_T5_P12ihipStream_tbEUlRKjE_EEST_SX_SY_mSZ_S12_bEUlT_E_NS1_11comp_targetILNS1_3genE0ELNS1_11target_archE4294967295ELNS1_3gpuE0ELNS1_3repE0EEENS1_30default_config_static_selectorELNS0_4arch9wavefront6targetE1EEEvSW_.num_vgpr, 0
	.set _ZN7rocprim17ROCPRIM_400000_NS6detail17trampoline_kernelINS0_14default_configENS1_29binary_search_config_selectorIjiEEZNS1_14transform_implILb0ES3_S5_N6thrust23THRUST_200600_302600_NS6detail15normal_iteratorINS8_7pointerIjNS8_11hip_rocprim5par_tENS8_11use_defaultESE_EEEENSA_INSB_IiSD_SE_SE_EEEEZNS1_13binary_searchIS3_S5_PjSG_SI_NS1_16binary_search_opENS9_16wrapped_functionINS8_6system6detail7generic6detail18binary_search_lessEbEEEE10hipError_tPvRmT1_T2_T3_mmT4_T5_P12ihipStream_tbEUlRKjE_EEST_SX_SY_mSZ_S12_bEUlT_E_NS1_11comp_targetILNS1_3genE0ELNS1_11target_archE4294967295ELNS1_3gpuE0ELNS1_3repE0EEENS1_30default_config_static_selectorELNS0_4arch9wavefront6targetE1EEEvSW_.num_agpr, 0
	.set _ZN7rocprim17ROCPRIM_400000_NS6detail17trampoline_kernelINS0_14default_configENS1_29binary_search_config_selectorIjiEEZNS1_14transform_implILb0ES3_S5_N6thrust23THRUST_200600_302600_NS6detail15normal_iteratorINS8_7pointerIjNS8_11hip_rocprim5par_tENS8_11use_defaultESE_EEEENSA_INSB_IiSD_SE_SE_EEEEZNS1_13binary_searchIS3_S5_PjSG_SI_NS1_16binary_search_opENS9_16wrapped_functionINS8_6system6detail7generic6detail18binary_search_lessEbEEEE10hipError_tPvRmT1_T2_T3_mmT4_T5_P12ihipStream_tbEUlRKjE_EEST_SX_SY_mSZ_S12_bEUlT_E_NS1_11comp_targetILNS1_3genE0ELNS1_11target_archE4294967295ELNS1_3gpuE0ELNS1_3repE0EEENS1_30default_config_static_selectorELNS0_4arch9wavefront6targetE1EEEvSW_.numbered_sgpr, 0
	.set _ZN7rocprim17ROCPRIM_400000_NS6detail17trampoline_kernelINS0_14default_configENS1_29binary_search_config_selectorIjiEEZNS1_14transform_implILb0ES3_S5_N6thrust23THRUST_200600_302600_NS6detail15normal_iteratorINS8_7pointerIjNS8_11hip_rocprim5par_tENS8_11use_defaultESE_EEEENSA_INSB_IiSD_SE_SE_EEEEZNS1_13binary_searchIS3_S5_PjSG_SI_NS1_16binary_search_opENS9_16wrapped_functionINS8_6system6detail7generic6detail18binary_search_lessEbEEEE10hipError_tPvRmT1_T2_T3_mmT4_T5_P12ihipStream_tbEUlRKjE_EEST_SX_SY_mSZ_S12_bEUlT_E_NS1_11comp_targetILNS1_3genE0ELNS1_11target_archE4294967295ELNS1_3gpuE0ELNS1_3repE0EEENS1_30default_config_static_selectorELNS0_4arch9wavefront6targetE1EEEvSW_.num_named_barrier, 0
	.set _ZN7rocprim17ROCPRIM_400000_NS6detail17trampoline_kernelINS0_14default_configENS1_29binary_search_config_selectorIjiEEZNS1_14transform_implILb0ES3_S5_N6thrust23THRUST_200600_302600_NS6detail15normal_iteratorINS8_7pointerIjNS8_11hip_rocprim5par_tENS8_11use_defaultESE_EEEENSA_INSB_IiSD_SE_SE_EEEEZNS1_13binary_searchIS3_S5_PjSG_SI_NS1_16binary_search_opENS9_16wrapped_functionINS8_6system6detail7generic6detail18binary_search_lessEbEEEE10hipError_tPvRmT1_T2_T3_mmT4_T5_P12ihipStream_tbEUlRKjE_EEST_SX_SY_mSZ_S12_bEUlT_E_NS1_11comp_targetILNS1_3genE0ELNS1_11target_archE4294967295ELNS1_3gpuE0ELNS1_3repE0EEENS1_30default_config_static_selectorELNS0_4arch9wavefront6targetE1EEEvSW_.private_seg_size, 0
	.set _ZN7rocprim17ROCPRIM_400000_NS6detail17trampoline_kernelINS0_14default_configENS1_29binary_search_config_selectorIjiEEZNS1_14transform_implILb0ES3_S5_N6thrust23THRUST_200600_302600_NS6detail15normal_iteratorINS8_7pointerIjNS8_11hip_rocprim5par_tENS8_11use_defaultESE_EEEENSA_INSB_IiSD_SE_SE_EEEEZNS1_13binary_searchIS3_S5_PjSG_SI_NS1_16binary_search_opENS9_16wrapped_functionINS8_6system6detail7generic6detail18binary_search_lessEbEEEE10hipError_tPvRmT1_T2_T3_mmT4_T5_P12ihipStream_tbEUlRKjE_EEST_SX_SY_mSZ_S12_bEUlT_E_NS1_11comp_targetILNS1_3genE0ELNS1_11target_archE4294967295ELNS1_3gpuE0ELNS1_3repE0EEENS1_30default_config_static_selectorELNS0_4arch9wavefront6targetE1EEEvSW_.uses_vcc, 0
	.set _ZN7rocprim17ROCPRIM_400000_NS6detail17trampoline_kernelINS0_14default_configENS1_29binary_search_config_selectorIjiEEZNS1_14transform_implILb0ES3_S5_N6thrust23THRUST_200600_302600_NS6detail15normal_iteratorINS8_7pointerIjNS8_11hip_rocprim5par_tENS8_11use_defaultESE_EEEENSA_INSB_IiSD_SE_SE_EEEEZNS1_13binary_searchIS3_S5_PjSG_SI_NS1_16binary_search_opENS9_16wrapped_functionINS8_6system6detail7generic6detail18binary_search_lessEbEEEE10hipError_tPvRmT1_T2_T3_mmT4_T5_P12ihipStream_tbEUlRKjE_EEST_SX_SY_mSZ_S12_bEUlT_E_NS1_11comp_targetILNS1_3genE0ELNS1_11target_archE4294967295ELNS1_3gpuE0ELNS1_3repE0EEENS1_30default_config_static_selectorELNS0_4arch9wavefront6targetE1EEEvSW_.uses_flat_scratch, 0
	.set _ZN7rocprim17ROCPRIM_400000_NS6detail17trampoline_kernelINS0_14default_configENS1_29binary_search_config_selectorIjiEEZNS1_14transform_implILb0ES3_S5_N6thrust23THRUST_200600_302600_NS6detail15normal_iteratorINS8_7pointerIjNS8_11hip_rocprim5par_tENS8_11use_defaultESE_EEEENSA_INSB_IiSD_SE_SE_EEEEZNS1_13binary_searchIS3_S5_PjSG_SI_NS1_16binary_search_opENS9_16wrapped_functionINS8_6system6detail7generic6detail18binary_search_lessEbEEEE10hipError_tPvRmT1_T2_T3_mmT4_T5_P12ihipStream_tbEUlRKjE_EEST_SX_SY_mSZ_S12_bEUlT_E_NS1_11comp_targetILNS1_3genE0ELNS1_11target_archE4294967295ELNS1_3gpuE0ELNS1_3repE0EEENS1_30default_config_static_selectorELNS0_4arch9wavefront6targetE1EEEvSW_.has_dyn_sized_stack, 0
	.set _ZN7rocprim17ROCPRIM_400000_NS6detail17trampoline_kernelINS0_14default_configENS1_29binary_search_config_selectorIjiEEZNS1_14transform_implILb0ES3_S5_N6thrust23THRUST_200600_302600_NS6detail15normal_iteratorINS8_7pointerIjNS8_11hip_rocprim5par_tENS8_11use_defaultESE_EEEENSA_INSB_IiSD_SE_SE_EEEEZNS1_13binary_searchIS3_S5_PjSG_SI_NS1_16binary_search_opENS9_16wrapped_functionINS8_6system6detail7generic6detail18binary_search_lessEbEEEE10hipError_tPvRmT1_T2_T3_mmT4_T5_P12ihipStream_tbEUlRKjE_EEST_SX_SY_mSZ_S12_bEUlT_E_NS1_11comp_targetILNS1_3genE0ELNS1_11target_archE4294967295ELNS1_3gpuE0ELNS1_3repE0EEENS1_30default_config_static_selectorELNS0_4arch9wavefront6targetE1EEEvSW_.has_recursion, 0
	.set _ZN7rocprim17ROCPRIM_400000_NS6detail17trampoline_kernelINS0_14default_configENS1_29binary_search_config_selectorIjiEEZNS1_14transform_implILb0ES3_S5_N6thrust23THRUST_200600_302600_NS6detail15normal_iteratorINS8_7pointerIjNS8_11hip_rocprim5par_tENS8_11use_defaultESE_EEEENSA_INSB_IiSD_SE_SE_EEEEZNS1_13binary_searchIS3_S5_PjSG_SI_NS1_16binary_search_opENS9_16wrapped_functionINS8_6system6detail7generic6detail18binary_search_lessEbEEEE10hipError_tPvRmT1_T2_T3_mmT4_T5_P12ihipStream_tbEUlRKjE_EEST_SX_SY_mSZ_S12_bEUlT_E_NS1_11comp_targetILNS1_3genE0ELNS1_11target_archE4294967295ELNS1_3gpuE0ELNS1_3repE0EEENS1_30default_config_static_selectorELNS0_4arch9wavefront6targetE1EEEvSW_.has_indirect_call, 0
	.section	.AMDGPU.csdata,"",@progbits
; Kernel info:
; codeLenInByte = 0
; TotalNumSgprs: 4
; NumVgprs: 0
; ScratchSize: 0
; MemoryBound: 0
; FloatMode: 240
; IeeeMode: 1
; LDSByteSize: 0 bytes/workgroup (compile time only)
; SGPRBlocks: 0
; VGPRBlocks: 0
; NumSGPRsForWavesPerEU: 4
; NumVGPRsForWavesPerEU: 1
; Occupancy: 10
; WaveLimiterHint : 0
; COMPUTE_PGM_RSRC2:SCRATCH_EN: 0
; COMPUTE_PGM_RSRC2:USER_SGPR: 6
; COMPUTE_PGM_RSRC2:TRAP_HANDLER: 0
; COMPUTE_PGM_RSRC2:TGID_X_EN: 1
; COMPUTE_PGM_RSRC2:TGID_Y_EN: 0
; COMPUTE_PGM_RSRC2:TGID_Z_EN: 0
; COMPUTE_PGM_RSRC2:TIDIG_COMP_CNT: 0
	.section	.text._ZN7rocprim17ROCPRIM_400000_NS6detail17trampoline_kernelINS0_14default_configENS1_29binary_search_config_selectorIjiEEZNS1_14transform_implILb0ES3_S5_N6thrust23THRUST_200600_302600_NS6detail15normal_iteratorINS8_7pointerIjNS8_11hip_rocprim5par_tENS8_11use_defaultESE_EEEENSA_INSB_IiSD_SE_SE_EEEEZNS1_13binary_searchIS3_S5_PjSG_SI_NS1_16binary_search_opENS9_16wrapped_functionINS8_6system6detail7generic6detail18binary_search_lessEbEEEE10hipError_tPvRmT1_T2_T3_mmT4_T5_P12ihipStream_tbEUlRKjE_EEST_SX_SY_mSZ_S12_bEUlT_E_NS1_11comp_targetILNS1_3genE5ELNS1_11target_archE942ELNS1_3gpuE9ELNS1_3repE0EEENS1_30default_config_static_selectorELNS0_4arch9wavefront6targetE1EEEvSW_,"axG",@progbits,_ZN7rocprim17ROCPRIM_400000_NS6detail17trampoline_kernelINS0_14default_configENS1_29binary_search_config_selectorIjiEEZNS1_14transform_implILb0ES3_S5_N6thrust23THRUST_200600_302600_NS6detail15normal_iteratorINS8_7pointerIjNS8_11hip_rocprim5par_tENS8_11use_defaultESE_EEEENSA_INSB_IiSD_SE_SE_EEEEZNS1_13binary_searchIS3_S5_PjSG_SI_NS1_16binary_search_opENS9_16wrapped_functionINS8_6system6detail7generic6detail18binary_search_lessEbEEEE10hipError_tPvRmT1_T2_T3_mmT4_T5_P12ihipStream_tbEUlRKjE_EEST_SX_SY_mSZ_S12_bEUlT_E_NS1_11comp_targetILNS1_3genE5ELNS1_11target_archE942ELNS1_3gpuE9ELNS1_3repE0EEENS1_30default_config_static_selectorELNS0_4arch9wavefront6targetE1EEEvSW_,comdat
	.protected	_ZN7rocprim17ROCPRIM_400000_NS6detail17trampoline_kernelINS0_14default_configENS1_29binary_search_config_selectorIjiEEZNS1_14transform_implILb0ES3_S5_N6thrust23THRUST_200600_302600_NS6detail15normal_iteratorINS8_7pointerIjNS8_11hip_rocprim5par_tENS8_11use_defaultESE_EEEENSA_INSB_IiSD_SE_SE_EEEEZNS1_13binary_searchIS3_S5_PjSG_SI_NS1_16binary_search_opENS9_16wrapped_functionINS8_6system6detail7generic6detail18binary_search_lessEbEEEE10hipError_tPvRmT1_T2_T3_mmT4_T5_P12ihipStream_tbEUlRKjE_EEST_SX_SY_mSZ_S12_bEUlT_E_NS1_11comp_targetILNS1_3genE5ELNS1_11target_archE942ELNS1_3gpuE9ELNS1_3repE0EEENS1_30default_config_static_selectorELNS0_4arch9wavefront6targetE1EEEvSW_ ; -- Begin function _ZN7rocprim17ROCPRIM_400000_NS6detail17trampoline_kernelINS0_14default_configENS1_29binary_search_config_selectorIjiEEZNS1_14transform_implILb0ES3_S5_N6thrust23THRUST_200600_302600_NS6detail15normal_iteratorINS8_7pointerIjNS8_11hip_rocprim5par_tENS8_11use_defaultESE_EEEENSA_INSB_IiSD_SE_SE_EEEEZNS1_13binary_searchIS3_S5_PjSG_SI_NS1_16binary_search_opENS9_16wrapped_functionINS8_6system6detail7generic6detail18binary_search_lessEbEEEE10hipError_tPvRmT1_T2_T3_mmT4_T5_P12ihipStream_tbEUlRKjE_EEST_SX_SY_mSZ_S12_bEUlT_E_NS1_11comp_targetILNS1_3genE5ELNS1_11target_archE942ELNS1_3gpuE9ELNS1_3repE0EEENS1_30default_config_static_selectorELNS0_4arch9wavefront6targetE1EEEvSW_
	.globl	_ZN7rocprim17ROCPRIM_400000_NS6detail17trampoline_kernelINS0_14default_configENS1_29binary_search_config_selectorIjiEEZNS1_14transform_implILb0ES3_S5_N6thrust23THRUST_200600_302600_NS6detail15normal_iteratorINS8_7pointerIjNS8_11hip_rocprim5par_tENS8_11use_defaultESE_EEEENSA_INSB_IiSD_SE_SE_EEEEZNS1_13binary_searchIS3_S5_PjSG_SI_NS1_16binary_search_opENS9_16wrapped_functionINS8_6system6detail7generic6detail18binary_search_lessEbEEEE10hipError_tPvRmT1_T2_T3_mmT4_T5_P12ihipStream_tbEUlRKjE_EEST_SX_SY_mSZ_S12_bEUlT_E_NS1_11comp_targetILNS1_3genE5ELNS1_11target_archE942ELNS1_3gpuE9ELNS1_3repE0EEENS1_30default_config_static_selectorELNS0_4arch9wavefront6targetE1EEEvSW_
	.p2align	8
	.type	_ZN7rocprim17ROCPRIM_400000_NS6detail17trampoline_kernelINS0_14default_configENS1_29binary_search_config_selectorIjiEEZNS1_14transform_implILb0ES3_S5_N6thrust23THRUST_200600_302600_NS6detail15normal_iteratorINS8_7pointerIjNS8_11hip_rocprim5par_tENS8_11use_defaultESE_EEEENSA_INSB_IiSD_SE_SE_EEEEZNS1_13binary_searchIS3_S5_PjSG_SI_NS1_16binary_search_opENS9_16wrapped_functionINS8_6system6detail7generic6detail18binary_search_lessEbEEEE10hipError_tPvRmT1_T2_T3_mmT4_T5_P12ihipStream_tbEUlRKjE_EEST_SX_SY_mSZ_S12_bEUlT_E_NS1_11comp_targetILNS1_3genE5ELNS1_11target_archE942ELNS1_3gpuE9ELNS1_3repE0EEENS1_30default_config_static_selectorELNS0_4arch9wavefront6targetE1EEEvSW_,@function
_ZN7rocprim17ROCPRIM_400000_NS6detail17trampoline_kernelINS0_14default_configENS1_29binary_search_config_selectorIjiEEZNS1_14transform_implILb0ES3_S5_N6thrust23THRUST_200600_302600_NS6detail15normal_iteratorINS8_7pointerIjNS8_11hip_rocprim5par_tENS8_11use_defaultESE_EEEENSA_INSB_IiSD_SE_SE_EEEEZNS1_13binary_searchIS3_S5_PjSG_SI_NS1_16binary_search_opENS9_16wrapped_functionINS8_6system6detail7generic6detail18binary_search_lessEbEEEE10hipError_tPvRmT1_T2_T3_mmT4_T5_P12ihipStream_tbEUlRKjE_EEST_SX_SY_mSZ_S12_bEUlT_E_NS1_11comp_targetILNS1_3genE5ELNS1_11target_archE942ELNS1_3gpuE9ELNS1_3repE0EEENS1_30default_config_static_selectorELNS0_4arch9wavefront6targetE1EEEvSW_: ; @_ZN7rocprim17ROCPRIM_400000_NS6detail17trampoline_kernelINS0_14default_configENS1_29binary_search_config_selectorIjiEEZNS1_14transform_implILb0ES3_S5_N6thrust23THRUST_200600_302600_NS6detail15normal_iteratorINS8_7pointerIjNS8_11hip_rocprim5par_tENS8_11use_defaultESE_EEEENSA_INSB_IiSD_SE_SE_EEEEZNS1_13binary_searchIS3_S5_PjSG_SI_NS1_16binary_search_opENS9_16wrapped_functionINS8_6system6detail7generic6detail18binary_search_lessEbEEEE10hipError_tPvRmT1_T2_T3_mmT4_T5_P12ihipStream_tbEUlRKjE_EEST_SX_SY_mSZ_S12_bEUlT_E_NS1_11comp_targetILNS1_3genE5ELNS1_11target_archE942ELNS1_3gpuE9ELNS1_3repE0EEENS1_30default_config_static_selectorELNS0_4arch9wavefront6targetE1EEEvSW_
; %bb.0:
	.section	.rodata,"a",@progbits
	.p2align	6, 0x0
	.amdhsa_kernel _ZN7rocprim17ROCPRIM_400000_NS6detail17trampoline_kernelINS0_14default_configENS1_29binary_search_config_selectorIjiEEZNS1_14transform_implILb0ES3_S5_N6thrust23THRUST_200600_302600_NS6detail15normal_iteratorINS8_7pointerIjNS8_11hip_rocprim5par_tENS8_11use_defaultESE_EEEENSA_INSB_IiSD_SE_SE_EEEEZNS1_13binary_searchIS3_S5_PjSG_SI_NS1_16binary_search_opENS9_16wrapped_functionINS8_6system6detail7generic6detail18binary_search_lessEbEEEE10hipError_tPvRmT1_T2_T3_mmT4_T5_P12ihipStream_tbEUlRKjE_EEST_SX_SY_mSZ_S12_bEUlT_E_NS1_11comp_targetILNS1_3genE5ELNS1_11target_archE942ELNS1_3gpuE9ELNS1_3repE0EEENS1_30default_config_static_selectorELNS0_4arch9wavefront6targetE1EEEvSW_
		.amdhsa_group_segment_fixed_size 0
		.amdhsa_private_segment_fixed_size 0
		.amdhsa_kernarg_size 56
		.amdhsa_user_sgpr_count 6
		.amdhsa_user_sgpr_private_segment_buffer 1
		.amdhsa_user_sgpr_dispatch_ptr 0
		.amdhsa_user_sgpr_queue_ptr 0
		.amdhsa_user_sgpr_kernarg_segment_ptr 1
		.amdhsa_user_sgpr_dispatch_id 0
		.amdhsa_user_sgpr_flat_scratch_init 0
		.amdhsa_user_sgpr_private_segment_size 0
		.amdhsa_uses_dynamic_stack 0
		.amdhsa_system_sgpr_private_segment_wavefront_offset 0
		.amdhsa_system_sgpr_workgroup_id_x 1
		.amdhsa_system_sgpr_workgroup_id_y 0
		.amdhsa_system_sgpr_workgroup_id_z 0
		.amdhsa_system_sgpr_workgroup_info 0
		.amdhsa_system_vgpr_workitem_id 0
		.amdhsa_next_free_vgpr 1
		.amdhsa_next_free_sgpr 0
		.amdhsa_reserve_vcc 0
		.amdhsa_reserve_flat_scratch 0
		.amdhsa_float_round_mode_32 0
		.amdhsa_float_round_mode_16_64 0
		.amdhsa_float_denorm_mode_32 3
		.amdhsa_float_denorm_mode_16_64 3
		.amdhsa_dx10_clamp 1
		.amdhsa_ieee_mode 1
		.amdhsa_fp16_overflow 0
		.amdhsa_exception_fp_ieee_invalid_op 0
		.amdhsa_exception_fp_denorm_src 0
		.amdhsa_exception_fp_ieee_div_zero 0
		.amdhsa_exception_fp_ieee_overflow 0
		.amdhsa_exception_fp_ieee_underflow 0
		.amdhsa_exception_fp_ieee_inexact 0
		.amdhsa_exception_int_div_zero 0
	.end_amdhsa_kernel
	.section	.text._ZN7rocprim17ROCPRIM_400000_NS6detail17trampoline_kernelINS0_14default_configENS1_29binary_search_config_selectorIjiEEZNS1_14transform_implILb0ES3_S5_N6thrust23THRUST_200600_302600_NS6detail15normal_iteratorINS8_7pointerIjNS8_11hip_rocprim5par_tENS8_11use_defaultESE_EEEENSA_INSB_IiSD_SE_SE_EEEEZNS1_13binary_searchIS3_S5_PjSG_SI_NS1_16binary_search_opENS9_16wrapped_functionINS8_6system6detail7generic6detail18binary_search_lessEbEEEE10hipError_tPvRmT1_T2_T3_mmT4_T5_P12ihipStream_tbEUlRKjE_EEST_SX_SY_mSZ_S12_bEUlT_E_NS1_11comp_targetILNS1_3genE5ELNS1_11target_archE942ELNS1_3gpuE9ELNS1_3repE0EEENS1_30default_config_static_selectorELNS0_4arch9wavefront6targetE1EEEvSW_,"axG",@progbits,_ZN7rocprim17ROCPRIM_400000_NS6detail17trampoline_kernelINS0_14default_configENS1_29binary_search_config_selectorIjiEEZNS1_14transform_implILb0ES3_S5_N6thrust23THRUST_200600_302600_NS6detail15normal_iteratorINS8_7pointerIjNS8_11hip_rocprim5par_tENS8_11use_defaultESE_EEEENSA_INSB_IiSD_SE_SE_EEEEZNS1_13binary_searchIS3_S5_PjSG_SI_NS1_16binary_search_opENS9_16wrapped_functionINS8_6system6detail7generic6detail18binary_search_lessEbEEEE10hipError_tPvRmT1_T2_T3_mmT4_T5_P12ihipStream_tbEUlRKjE_EEST_SX_SY_mSZ_S12_bEUlT_E_NS1_11comp_targetILNS1_3genE5ELNS1_11target_archE942ELNS1_3gpuE9ELNS1_3repE0EEENS1_30default_config_static_selectorELNS0_4arch9wavefront6targetE1EEEvSW_,comdat
.Lfunc_end274:
	.size	_ZN7rocprim17ROCPRIM_400000_NS6detail17trampoline_kernelINS0_14default_configENS1_29binary_search_config_selectorIjiEEZNS1_14transform_implILb0ES3_S5_N6thrust23THRUST_200600_302600_NS6detail15normal_iteratorINS8_7pointerIjNS8_11hip_rocprim5par_tENS8_11use_defaultESE_EEEENSA_INSB_IiSD_SE_SE_EEEEZNS1_13binary_searchIS3_S5_PjSG_SI_NS1_16binary_search_opENS9_16wrapped_functionINS8_6system6detail7generic6detail18binary_search_lessEbEEEE10hipError_tPvRmT1_T2_T3_mmT4_T5_P12ihipStream_tbEUlRKjE_EEST_SX_SY_mSZ_S12_bEUlT_E_NS1_11comp_targetILNS1_3genE5ELNS1_11target_archE942ELNS1_3gpuE9ELNS1_3repE0EEENS1_30default_config_static_selectorELNS0_4arch9wavefront6targetE1EEEvSW_, .Lfunc_end274-_ZN7rocprim17ROCPRIM_400000_NS6detail17trampoline_kernelINS0_14default_configENS1_29binary_search_config_selectorIjiEEZNS1_14transform_implILb0ES3_S5_N6thrust23THRUST_200600_302600_NS6detail15normal_iteratorINS8_7pointerIjNS8_11hip_rocprim5par_tENS8_11use_defaultESE_EEEENSA_INSB_IiSD_SE_SE_EEEEZNS1_13binary_searchIS3_S5_PjSG_SI_NS1_16binary_search_opENS9_16wrapped_functionINS8_6system6detail7generic6detail18binary_search_lessEbEEEE10hipError_tPvRmT1_T2_T3_mmT4_T5_P12ihipStream_tbEUlRKjE_EEST_SX_SY_mSZ_S12_bEUlT_E_NS1_11comp_targetILNS1_3genE5ELNS1_11target_archE942ELNS1_3gpuE9ELNS1_3repE0EEENS1_30default_config_static_selectorELNS0_4arch9wavefront6targetE1EEEvSW_
                                        ; -- End function
	.set _ZN7rocprim17ROCPRIM_400000_NS6detail17trampoline_kernelINS0_14default_configENS1_29binary_search_config_selectorIjiEEZNS1_14transform_implILb0ES3_S5_N6thrust23THRUST_200600_302600_NS6detail15normal_iteratorINS8_7pointerIjNS8_11hip_rocprim5par_tENS8_11use_defaultESE_EEEENSA_INSB_IiSD_SE_SE_EEEEZNS1_13binary_searchIS3_S5_PjSG_SI_NS1_16binary_search_opENS9_16wrapped_functionINS8_6system6detail7generic6detail18binary_search_lessEbEEEE10hipError_tPvRmT1_T2_T3_mmT4_T5_P12ihipStream_tbEUlRKjE_EEST_SX_SY_mSZ_S12_bEUlT_E_NS1_11comp_targetILNS1_3genE5ELNS1_11target_archE942ELNS1_3gpuE9ELNS1_3repE0EEENS1_30default_config_static_selectorELNS0_4arch9wavefront6targetE1EEEvSW_.num_vgpr, 0
	.set _ZN7rocprim17ROCPRIM_400000_NS6detail17trampoline_kernelINS0_14default_configENS1_29binary_search_config_selectorIjiEEZNS1_14transform_implILb0ES3_S5_N6thrust23THRUST_200600_302600_NS6detail15normal_iteratorINS8_7pointerIjNS8_11hip_rocprim5par_tENS8_11use_defaultESE_EEEENSA_INSB_IiSD_SE_SE_EEEEZNS1_13binary_searchIS3_S5_PjSG_SI_NS1_16binary_search_opENS9_16wrapped_functionINS8_6system6detail7generic6detail18binary_search_lessEbEEEE10hipError_tPvRmT1_T2_T3_mmT4_T5_P12ihipStream_tbEUlRKjE_EEST_SX_SY_mSZ_S12_bEUlT_E_NS1_11comp_targetILNS1_3genE5ELNS1_11target_archE942ELNS1_3gpuE9ELNS1_3repE0EEENS1_30default_config_static_selectorELNS0_4arch9wavefront6targetE1EEEvSW_.num_agpr, 0
	.set _ZN7rocprim17ROCPRIM_400000_NS6detail17trampoline_kernelINS0_14default_configENS1_29binary_search_config_selectorIjiEEZNS1_14transform_implILb0ES3_S5_N6thrust23THRUST_200600_302600_NS6detail15normal_iteratorINS8_7pointerIjNS8_11hip_rocprim5par_tENS8_11use_defaultESE_EEEENSA_INSB_IiSD_SE_SE_EEEEZNS1_13binary_searchIS3_S5_PjSG_SI_NS1_16binary_search_opENS9_16wrapped_functionINS8_6system6detail7generic6detail18binary_search_lessEbEEEE10hipError_tPvRmT1_T2_T3_mmT4_T5_P12ihipStream_tbEUlRKjE_EEST_SX_SY_mSZ_S12_bEUlT_E_NS1_11comp_targetILNS1_3genE5ELNS1_11target_archE942ELNS1_3gpuE9ELNS1_3repE0EEENS1_30default_config_static_selectorELNS0_4arch9wavefront6targetE1EEEvSW_.numbered_sgpr, 0
	.set _ZN7rocprim17ROCPRIM_400000_NS6detail17trampoline_kernelINS0_14default_configENS1_29binary_search_config_selectorIjiEEZNS1_14transform_implILb0ES3_S5_N6thrust23THRUST_200600_302600_NS6detail15normal_iteratorINS8_7pointerIjNS8_11hip_rocprim5par_tENS8_11use_defaultESE_EEEENSA_INSB_IiSD_SE_SE_EEEEZNS1_13binary_searchIS3_S5_PjSG_SI_NS1_16binary_search_opENS9_16wrapped_functionINS8_6system6detail7generic6detail18binary_search_lessEbEEEE10hipError_tPvRmT1_T2_T3_mmT4_T5_P12ihipStream_tbEUlRKjE_EEST_SX_SY_mSZ_S12_bEUlT_E_NS1_11comp_targetILNS1_3genE5ELNS1_11target_archE942ELNS1_3gpuE9ELNS1_3repE0EEENS1_30default_config_static_selectorELNS0_4arch9wavefront6targetE1EEEvSW_.num_named_barrier, 0
	.set _ZN7rocprim17ROCPRIM_400000_NS6detail17trampoline_kernelINS0_14default_configENS1_29binary_search_config_selectorIjiEEZNS1_14transform_implILb0ES3_S5_N6thrust23THRUST_200600_302600_NS6detail15normal_iteratorINS8_7pointerIjNS8_11hip_rocprim5par_tENS8_11use_defaultESE_EEEENSA_INSB_IiSD_SE_SE_EEEEZNS1_13binary_searchIS3_S5_PjSG_SI_NS1_16binary_search_opENS9_16wrapped_functionINS8_6system6detail7generic6detail18binary_search_lessEbEEEE10hipError_tPvRmT1_T2_T3_mmT4_T5_P12ihipStream_tbEUlRKjE_EEST_SX_SY_mSZ_S12_bEUlT_E_NS1_11comp_targetILNS1_3genE5ELNS1_11target_archE942ELNS1_3gpuE9ELNS1_3repE0EEENS1_30default_config_static_selectorELNS0_4arch9wavefront6targetE1EEEvSW_.private_seg_size, 0
	.set _ZN7rocprim17ROCPRIM_400000_NS6detail17trampoline_kernelINS0_14default_configENS1_29binary_search_config_selectorIjiEEZNS1_14transform_implILb0ES3_S5_N6thrust23THRUST_200600_302600_NS6detail15normal_iteratorINS8_7pointerIjNS8_11hip_rocprim5par_tENS8_11use_defaultESE_EEEENSA_INSB_IiSD_SE_SE_EEEEZNS1_13binary_searchIS3_S5_PjSG_SI_NS1_16binary_search_opENS9_16wrapped_functionINS8_6system6detail7generic6detail18binary_search_lessEbEEEE10hipError_tPvRmT1_T2_T3_mmT4_T5_P12ihipStream_tbEUlRKjE_EEST_SX_SY_mSZ_S12_bEUlT_E_NS1_11comp_targetILNS1_3genE5ELNS1_11target_archE942ELNS1_3gpuE9ELNS1_3repE0EEENS1_30default_config_static_selectorELNS0_4arch9wavefront6targetE1EEEvSW_.uses_vcc, 0
	.set _ZN7rocprim17ROCPRIM_400000_NS6detail17trampoline_kernelINS0_14default_configENS1_29binary_search_config_selectorIjiEEZNS1_14transform_implILb0ES3_S5_N6thrust23THRUST_200600_302600_NS6detail15normal_iteratorINS8_7pointerIjNS8_11hip_rocprim5par_tENS8_11use_defaultESE_EEEENSA_INSB_IiSD_SE_SE_EEEEZNS1_13binary_searchIS3_S5_PjSG_SI_NS1_16binary_search_opENS9_16wrapped_functionINS8_6system6detail7generic6detail18binary_search_lessEbEEEE10hipError_tPvRmT1_T2_T3_mmT4_T5_P12ihipStream_tbEUlRKjE_EEST_SX_SY_mSZ_S12_bEUlT_E_NS1_11comp_targetILNS1_3genE5ELNS1_11target_archE942ELNS1_3gpuE9ELNS1_3repE0EEENS1_30default_config_static_selectorELNS0_4arch9wavefront6targetE1EEEvSW_.uses_flat_scratch, 0
	.set _ZN7rocprim17ROCPRIM_400000_NS6detail17trampoline_kernelINS0_14default_configENS1_29binary_search_config_selectorIjiEEZNS1_14transform_implILb0ES3_S5_N6thrust23THRUST_200600_302600_NS6detail15normal_iteratorINS8_7pointerIjNS8_11hip_rocprim5par_tENS8_11use_defaultESE_EEEENSA_INSB_IiSD_SE_SE_EEEEZNS1_13binary_searchIS3_S5_PjSG_SI_NS1_16binary_search_opENS9_16wrapped_functionINS8_6system6detail7generic6detail18binary_search_lessEbEEEE10hipError_tPvRmT1_T2_T3_mmT4_T5_P12ihipStream_tbEUlRKjE_EEST_SX_SY_mSZ_S12_bEUlT_E_NS1_11comp_targetILNS1_3genE5ELNS1_11target_archE942ELNS1_3gpuE9ELNS1_3repE0EEENS1_30default_config_static_selectorELNS0_4arch9wavefront6targetE1EEEvSW_.has_dyn_sized_stack, 0
	.set _ZN7rocprim17ROCPRIM_400000_NS6detail17trampoline_kernelINS0_14default_configENS1_29binary_search_config_selectorIjiEEZNS1_14transform_implILb0ES3_S5_N6thrust23THRUST_200600_302600_NS6detail15normal_iteratorINS8_7pointerIjNS8_11hip_rocprim5par_tENS8_11use_defaultESE_EEEENSA_INSB_IiSD_SE_SE_EEEEZNS1_13binary_searchIS3_S5_PjSG_SI_NS1_16binary_search_opENS9_16wrapped_functionINS8_6system6detail7generic6detail18binary_search_lessEbEEEE10hipError_tPvRmT1_T2_T3_mmT4_T5_P12ihipStream_tbEUlRKjE_EEST_SX_SY_mSZ_S12_bEUlT_E_NS1_11comp_targetILNS1_3genE5ELNS1_11target_archE942ELNS1_3gpuE9ELNS1_3repE0EEENS1_30default_config_static_selectorELNS0_4arch9wavefront6targetE1EEEvSW_.has_recursion, 0
	.set _ZN7rocprim17ROCPRIM_400000_NS6detail17trampoline_kernelINS0_14default_configENS1_29binary_search_config_selectorIjiEEZNS1_14transform_implILb0ES3_S5_N6thrust23THRUST_200600_302600_NS6detail15normal_iteratorINS8_7pointerIjNS8_11hip_rocprim5par_tENS8_11use_defaultESE_EEEENSA_INSB_IiSD_SE_SE_EEEEZNS1_13binary_searchIS3_S5_PjSG_SI_NS1_16binary_search_opENS9_16wrapped_functionINS8_6system6detail7generic6detail18binary_search_lessEbEEEE10hipError_tPvRmT1_T2_T3_mmT4_T5_P12ihipStream_tbEUlRKjE_EEST_SX_SY_mSZ_S12_bEUlT_E_NS1_11comp_targetILNS1_3genE5ELNS1_11target_archE942ELNS1_3gpuE9ELNS1_3repE0EEENS1_30default_config_static_selectorELNS0_4arch9wavefront6targetE1EEEvSW_.has_indirect_call, 0
	.section	.AMDGPU.csdata,"",@progbits
; Kernel info:
; codeLenInByte = 0
; TotalNumSgprs: 4
; NumVgprs: 0
; ScratchSize: 0
; MemoryBound: 0
; FloatMode: 240
; IeeeMode: 1
; LDSByteSize: 0 bytes/workgroup (compile time only)
; SGPRBlocks: 0
; VGPRBlocks: 0
; NumSGPRsForWavesPerEU: 4
; NumVGPRsForWavesPerEU: 1
; Occupancy: 10
; WaveLimiterHint : 0
; COMPUTE_PGM_RSRC2:SCRATCH_EN: 0
; COMPUTE_PGM_RSRC2:USER_SGPR: 6
; COMPUTE_PGM_RSRC2:TRAP_HANDLER: 0
; COMPUTE_PGM_RSRC2:TGID_X_EN: 1
; COMPUTE_PGM_RSRC2:TGID_Y_EN: 0
; COMPUTE_PGM_RSRC2:TGID_Z_EN: 0
; COMPUTE_PGM_RSRC2:TIDIG_COMP_CNT: 0
	.section	.text._ZN7rocprim17ROCPRIM_400000_NS6detail17trampoline_kernelINS0_14default_configENS1_29binary_search_config_selectorIjiEEZNS1_14transform_implILb0ES3_S5_N6thrust23THRUST_200600_302600_NS6detail15normal_iteratorINS8_7pointerIjNS8_11hip_rocprim5par_tENS8_11use_defaultESE_EEEENSA_INSB_IiSD_SE_SE_EEEEZNS1_13binary_searchIS3_S5_PjSG_SI_NS1_16binary_search_opENS9_16wrapped_functionINS8_6system6detail7generic6detail18binary_search_lessEbEEEE10hipError_tPvRmT1_T2_T3_mmT4_T5_P12ihipStream_tbEUlRKjE_EEST_SX_SY_mSZ_S12_bEUlT_E_NS1_11comp_targetILNS1_3genE4ELNS1_11target_archE910ELNS1_3gpuE8ELNS1_3repE0EEENS1_30default_config_static_selectorELNS0_4arch9wavefront6targetE1EEEvSW_,"axG",@progbits,_ZN7rocprim17ROCPRIM_400000_NS6detail17trampoline_kernelINS0_14default_configENS1_29binary_search_config_selectorIjiEEZNS1_14transform_implILb0ES3_S5_N6thrust23THRUST_200600_302600_NS6detail15normal_iteratorINS8_7pointerIjNS8_11hip_rocprim5par_tENS8_11use_defaultESE_EEEENSA_INSB_IiSD_SE_SE_EEEEZNS1_13binary_searchIS3_S5_PjSG_SI_NS1_16binary_search_opENS9_16wrapped_functionINS8_6system6detail7generic6detail18binary_search_lessEbEEEE10hipError_tPvRmT1_T2_T3_mmT4_T5_P12ihipStream_tbEUlRKjE_EEST_SX_SY_mSZ_S12_bEUlT_E_NS1_11comp_targetILNS1_3genE4ELNS1_11target_archE910ELNS1_3gpuE8ELNS1_3repE0EEENS1_30default_config_static_selectorELNS0_4arch9wavefront6targetE1EEEvSW_,comdat
	.protected	_ZN7rocprim17ROCPRIM_400000_NS6detail17trampoline_kernelINS0_14default_configENS1_29binary_search_config_selectorIjiEEZNS1_14transform_implILb0ES3_S5_N6thrust23THRUST_200600_302600_NS6detail15normal_iteratorINS8_7pointerIjNS8_11hip_rocprim5par_tENS8_11use_defaultESE_EEEENSA_INSB_IiSD_SE_SE_EEEEZNS1_13binary_searchIS3_S5_PjSG_SI_NS1_16binary_search_opENS9_16wrapped_functionINS8_6system6detail7generic6detail18binary_search_lessEbEEEE10hipError_tPvRmT1_T2_T3_mmT4_T5_P12ihipStream_tbEUlRKjE_EEST_SX_SY_mSZ_S12_bEUlT_E_NS1_11comp_targetILNS1_3genE4ELNS1_11target_archE910ELNS1_3gpuE8ELNS1_3repE0EEENS1_30default_config_static_selectorELNS0_4arch9wavefront6targetE1EEEvSW_ ; -- Begin function _ZN7rocprim17ROCPRIM_400000_NS6detail17trampoline_kernelINS0_14default_configENS1_29binary_search_config_selectorIjiEEZNS1_14transform_implILb0ES3_S5_N6thrust23THRUST_200600_302600_NS6detail15normal_iteratorINS8_7pointerIjNS8_11hip_rocprim5par_tENS8_11use_defaultESE_EEEENSA_INSB_IiSD_SE_SE_EEEEZNS1_13binary_searchIS3_S5_PjSG_SI_NS1_16binary_search_opENS9_16wrapped_functionINS8_6system6detail7generic6detail18binary_search_lessEbEEEE10hipError_tPvRmT1_T2_T3_mmT4_T5_P12ihipStream_tbEUlRKjE_EEST_SX_SY_mSZ_S12_bEUlT_E_NS1_11comp_targetILNS1_3genE4ELNS1_11target_archE910ELNS1_3gpuE8ELNS1_3repE0EEENS1_30default_config_static_selectorELNS0_4arch9wavefront6targetE1EEEvSW_
	.globl	_ZN7rocprim17ROCPRIM_400000_NS6detail17trampoline_kernelINS0_14default_configENS1_29binary_search_config_selectorIjiEEZNS1_14transform_implILb0ES3_S5_N6thrust23THRUST_200600_302600_NS6detail15normal_iteratorINS8_7pointerIjNS8_11hip_rocprim5par_tENS8_11use_defaultESE_EEEENSA_INSB_IiSD_SE_SE_EEEEZNS1_13binary_searchIS3_S5_PjSG_SI_NS1_16binary_search_opENS9_16wrapped_functionINS8_6system6detail7generic6detail18binary_search_lessEbEEEE10hipError_tPvRmT1_T2_T3_mmT4_T5_P12ihipStream_tbEUlRKjE_EEST_SX_SY_mSZ_S12_bEUlT_E_NS1_11comp_targetILNS1_3genE4ELNS1_11target_archE910ELNS1_3gpuE8ELNS1_3repE0EEENS1_30default_config_static_selectorELNS0_4arch9wavefront6targetE1EEEvSW_
	.p2align	8
	.type	_ZN7rocprim17ROCPRIM_400000_NS6detail17trampoline_kernelINS0_14default_configENS1_29binary_search_config_selectorIjiEEZNS1_14transform_implILb0ES3_S5_N6thrust23THRUST_200600_302600_NS6detail15normal_iteratorINS8_7pointerIjNS8_11hip_rocprim5par_tENS8_11use_defaultESE_EEEENSA_INSB_IiSD_SE_SE_EEEEZNS1_13binary_searchIS3_S5_PjSG_SI_NS1_16binary_search_opENS9_16wrapped_functionINS8_6system6detail7generic6detail18binary_search_lessEbEEEE10hipError_tPvRmT1_T2_T3_mmT4_T5_P12ihipStream_tbEUlRKjE_EEST_SX_SY_mSZ_S12_bEUlT_E_NS1_11comp_targetILNS1_3genE4ELNS1_11target_archE910ELNS1_3gpuE8ELNS1_3repE0EEENS1_30default_config_static_selectorELNS0_4arch9wavefront6targetE1EEEvSW_,@function
_ZN7rocprim17ROCPRIM_400000_NS6detail17trampoline_kernelINS0_14default_configENS1_29binary_search_config_selectorIjiEEZNS1_14transform_implILb0ES3_S5_N6thrust23THRUST_200600_302600_NS6detail15normal_iteratorINS8_7pointerIjNS8_11hip_rocprim5par_tENS8_11use_defaultESE_EEEENSA_INSB_IiSD_SE_SE_EEEEZNS1_13binary_searchIS3_S5_PjSG_SI_NS1_16binary_search_opENS9_16wrapped_functionINS8_6system6detail7generic6detail18binary_search_lessEbEEEE10hipError_tPvRmT1_T2_T3_mmT4_T5_P12ihipStream_tbEUlRKjE_EEST_SX_SY_mSZ_S12_bEUlT_E_NS1_11comp_targetILNS1_3genE4ELNS1_11target_archE910ELNS1_3gpuE8ELNS1_3repE0EEENS1_30default_config_static_selectorELNS0_4arch9wavefront6targetE1EEEvSW_: ; @_ZN7rocprim17ROCPRIM_400000_NS6detail17trampoline_kernelINS0_14default_configENS1_29binary_search_config_selectorIjiEEZNS1_14transform_implILb0ES3_S5_N6thrust23THRUST_200600_302600_NS6detail15normal_iteratorINS8_7pointerIjNS8_11hip_rocprim5par_tENS8_11use_defaultESE_EEEENSA_INSB_IiSD_SE_SE_EEEEZNS1_13binary_searchIS3_S5_PjSG_SI_NS1_16binary_search_opENS9_16wrapped_functionINS8_6system6detail7generic6detail18binary_search_lessEbEEEE10hipError_tPvRmT1_T2_T3_mmT4_T5_P12ihipStream_tbEUlRKjE_EEST_SX_SY_mSZ_S12_bEUlT_E_NS1_11comp_targetILNS1_3genE4ELNS1_11target_archE910ELNS1_3gpuE8ELNS1_3repE0EEENS1_30default_config_static_selectorELNS0_4arch9wavefront6targetE1EEEvSW_
; %bb.0:
	.section	.rodata,"a",@progbits
	.p2align	6, 0x0
	.amdhsa_kernel _ZN7rocprim17ROCPRIM_400000_NS6detail17trampoline_kernelINS0_14default_configENS1_29binary_search_config_selectorIjiEEZNS1_14transform_implILb0ES3_S5_N6thrust23THRUST_200600_302600_NS6detail15normal_iteratorINS8_7pointerIjNS8_11hip_rocprim5par_tENS8_11use_defaultESE_EEEENSA_INSB_IiSD_SE_SE_EEEEZNS1_13binary_searchIS3_S5_PjSG_SI_NS1_16binary_search_opENS9_16wrapped_functionINS8_6system6detail7generic6detail18binary_search_lessEbEEEE10hipError_tPvRmT1_T2_T3_mmT4_T5_P12ihipStream_tbEUlRKjE_EEST_SX_SY_mSZ_S12_bEUlT_E_NS1_11comp_targetILNS1_3genE4ELNS1_11target_archE910ELNS1_3gpuE8ELNS1_3repE0EEENS1_30default_config_static_selectorELNS0_4arch9wavefront6targetE1EEEvSW_
		.amdhsa_group_segment_fixed_size 0
		.amdhsa_private_segment_fixed_size 0
		.amdhsa_kernarg_size 56
		.amdhsa_user_sgpr_count 6
		.amdhsa_user_sgpr_private_segment_buffer 1
		.amdhsa_user_sgpr_dispatch_ptr 0
		.amdhsa_user_sgpr_queue_ptr 0
		.amdhsa_user_sgpr_kernarg_segment_ptr 1
		.amdhsa_user_sgpr_dispatch_id 0
		.amdhsa_user_sgpr_flat_scratch_init 0
		.amdhsa_user_sgpr_private_segment_size 0
		.amdhsa_uses_dynamic_stack 0
		.amdhsa_system_sgpr_private_segment_wavefront_offset 0
		.amdhsa_system_sgpr_workgroup_id_x 1
		.amdhsa_system_sgpr_workgroup_id_y 0
		.amdhsa_system_sgpr_workgroup_id_z 0
		.amdhsa_system_sgpr_workgroup_info 0
		.amdhsa_system_vgpr_workitem_id 0
		.amdhsa_next_free_vgpr 1
		.amdhsa_next_free_sgpr 0
		.amdhsa_reserve_vcc 0
		.amdhsa_reserve_flat_scratch 0
		.amdhsa_float_round_mode_32 0
		.amdhsa_float_round_mode_16_64 0
		.amdhsa_float_denorm_mode_32 3
		.amdhsa_float_denorm_mode_16_64 3
		.amdhsa_dx10_clamp 1
		.amdhsa_ieee_mode 1
		.amdhsa_fp16_overflow 0
		.amdhsa_exception_fp_ieee_invalid_op 0
		.amdhsa_exception_fp_denorm_src 0
		.amdhsa_exception_fp_ieee_div_zero 0
		.amdhsa_exception_fp_ieee_overflow 0
		.amdhsa_exception_fp_ieee_underflow 0
		.amdhsa_exception_fp_ieee_inexact 0
		.amdhsa_exception_int_div_zero 0
	.end_amdhsa_kernel
	.section	.text._ZN7rocprim17ROCPRIM_400000_NS6detail17trampoline_kernelINS0_14default_configENS1_29binary_search_config_selectorIjiEEZNS1_14transform_implILb0ES3_S5_N6thrust23THRUST_200600_302600_NS6detail15normal_iteratorINS8_7pointerIjNS8_11hip_rocprim5par_tENS8_11use_defaultESE_EEEENSA_INSB_IiSD_SE_SE_EEEEZNS1_13binary_searchIS3_S5_PjSG_SI_NS1_16binary_search_opENS9_16wrapped_functionINS8_6system6detail7generic6detail18binary_search_lessEbEEEE10hipError_tPvRmT1_T2_T3_mmT4_T5_P12ihipStream_tbEUlRKjE_EEST_SX_SY_mSZ_S12_bEUlT_E_NS1_11comp_targetILNS1_3genE4ELNS1_11target_archE910ELNS1_3gpuE8ELNS1_3repE0EEENS1_30default_config_static_selectorELNS0_4arch9wavefront6targetE1EEEvSW_,"axG",@progbits,_ZN7rocprim17ROCPRIM_400000_NS6detail17trampoline_kernelINS0_14default_configENS1_29binary_search_config_selectorIjiEEZNS1_14transform_implILb0ES3_S5_N6thrust23THRUST_200600_302600_NS6detail15normal_iteratorINS8_7pointerIjNS8_11hip_rocprim5par_tENS8_11use_defaultESE_EEEENSA_INSB_IiSD_SE_SE_EEEEZNS1_13binary_searchIS3_S5_PjSG_SI_NS1_16binary_search_opENS9_16wrapped_functionINS8_6system6detail7generic6detail18binary_search_lessEbEEEE10hipError_tPvRmT1_T2_T3_mmT4_T5_P12ihipStream_tbEUlRKjE_EEST_SX_SY_mSZ_S12_bEUlT_E_NS1_11comp_targetILNS1_3genE4ELNS1_11target_archE910ELNS1_3gpuE8ELNS1_3repE0EEENS1_30default_config_static_selectorELNS0_4arch9wavefront6targetE1EEEvSW_,comdat
.Lfunc_end275:
	.size	_ZN7rocprim17ROCPRIM_400000_NS6detail17trampoline_kernelINS0_14default_configENS1_29binary_search_config_selectorIjiEEZNS1_14transform_implILb0ES3_S5_N6thrust23THRUST_200600_302600_NS6detail15normal_iteratorINS8_7pointerIjNS8_11hip_rocprim5par_tENS8_11use_defaultESE_EEEENSA_INSB_IiSD_SE_SE_EEEEZNS1_13binary_searchIS3_S5_PjSG_SI_NS1_16binary_search_opENS9_16wrapped_functionINS8_6system6detail7generic6detail18binary_search_lessEbEEEE10hipError_tPvRmT1_T2_T3_mmT4_T5_P12ihipStream_tbEUlRKjE_EEST_SX_SY_mSZ_S12_bEUlT_E_NS1_11comp_targetILNS1_3genE4ELNS1_11target_archE910ELNS1_3gpuE8ELNS1_3repE0EEENS1_30default_config_static_selectorELNS0_4arch9wavefront6targetE1EEEvSW_, .Lfunc_end275-_ZN7rocprim17ROCPRIM_400000_NS6detail17trampoline_kernelINS0_14default_configENS1_29binary_search_config_selectorIjiEEZNS1_14transform_implILb0ES3_S5_N6thrust23THRUST_200600_302600_NS6detail15normal_iteratorINS8_7pointerIjNS8_11hip_rocprim5par_tENS8_11use_defaultESE_EEEENSA_INSB_IiSD_SE_SE_EEEEZNS1_13binary_searchIS3_S5_PjSG_SI_NS1_16binary_search_opENS9_16wrapped_functionINS8_6system6detail7generic6detail18binary_search_lessEbEEEE10hipError_tPvRmT1_T2_T3_mmT4_T5_P12ihipStream_tbEUlRKjE_EEST_SX_SY_mSZ_S12_bEUlT_E_NS1_11comp_targetILNS1_3genE4ELNS1_11target_archE910ELNS1_3gpuE8ELNS1_3repE0EEENS1_30default_config_static_selectorELNS0_4arch9wavefront6targetE1EEEvSW_
                                        ; -- End function
	.set _ZN7rocprim17ROCPRIM_400000_NS6detail17trampoline_kernelINS0_14default_configENS1_29binary_search_config_selectorIjiEEZNS1_14transform_implILb0ES3_S5_N6thrust23THRUST_200600_302600_NS6detail15normal_iteratorINS8_7pointerIjNS8_11hip_rocprim5par_tENS8_11use_defaultESE_EEEENSA_INSB_IiSD_SE_SE_EEEEZNS1_13binary_searchIS3_S5_PjSG_SI_NS1_16binary_search_opENS9_16wrapped_functionINS8_6system6detail7generic6detail18binary_search_lessEbEEEE10hipError_tPvRmT1_T2_T3_mmT4_T5_P12ihipStream_tbEUlRKjE_EEST_SX_SY_mSZ_S12_bEUlT_E_NS1_11comp_targetILNS1_3genE4ELNS1_11target_archE910ELNS1_3gpuE8ELNS1_3repE0EEENS1_30default_config_static_selectorELNS0_4arch9wavefront6targetE1EEEvSW_.num_vgpr, 0
	.set _ZN7rocprim17ROCPRIM_400000_NS6detail17trampoline_kernelINS0_14default_configENS1_29binary_search_config_selectorIjiEEZNS1_14transform_implILb0ES3_S5_N6thrust23THRUST_200600_302600_NS6detail15normal_iteratorINS8_7pointerIjNS8_11hip_rocprim5par_tENS8_11use_defaultESE_EEEENSA_INSB_IiSD_SE_SE_EEEEZNS1_13binary_searchIS3_S5_PjSG_SI_NS1_16binary_search_opENS9_16wrapped_functionINS8_6system6detail7generic6detail18binary_search_lessEbEEEE10hipError_tPvRmT1_T2_T3_mmT4_T5_P12ihipStream_tbEUlRKjE_EEST_SX_SY_mSZ_S12_bEUlT_E_NS1_11comp_targetILNS1_3genE4ELNS1_11target_archE910ELNS1_3gpuE8ELNS1_3repE0EEENS1_30default_config_static_selectorELNS0_4arch9wavefront6targetE1EEEvSW_.num_agpr, 0
	.set _ZN7rocprim17ROCPRIM_400000_NS6detail17trampoline_kernelINS0_14default_configENS1_29binary_search_config_selectorIjiEEZNS1_14transform_implILb0ES3_S5_N6thrust23THRUST_200600_302600_NS6detail15normal_iteratorINS8_7pointerIjNS8_11hip_rocprim5par_tENS8_11use_defaultESE_EEEENSA_INSB_IiSD_SE_SE_EEEEZNS1_13binary_searchIS3_S5_PjSG_SI_NS1_16binary_search_opENS9_16wrapped_functionINS8_6system6detail7generic6detail18binary_search_lessEbEEEE10hipError_tPvRmT1_T2_T3_mmT4_T5_P12ihipStream_tbEUlRKjE_EEST_SX_SY_mSZ_S12_bEUlT_E_NS1_11comp_targetILNS1_3genE4ELNS1_11target_archE910ELNS1_3gpuE8ELNS1_3repE0EEENS1_30default_config_static_selectorELNS0_4arch9wavefront6targetE1EEEvSW_.numbered_sgpr, 0
	.set _ZN7rocprim17ROCPRIM_400000_NS6detail17trampoline_kernelINS0_14default_configENS1_29binary_search_config_selectorIjiEEZNS1_14transform_implILb0ES3_S5_N6thrust23THRUST_200600_302600_NS6detail15normal_iteratorINS8_7pointerIjNS8_11hip_rocprim5par_tENS8_11use_defaultESE_EEEENSA_INSB_IiSD_SE_SE_EEEEZNS1_13binary_searchIS3_S5_PjSG_SI_NS1_16binary_search_opENS9_16wrapped_functionINS8_6system6detail7generic6detail18binary_search_lessEbEEEE10hipError_tPvRmT1_T2_T3_mmT4_T5_P12ihipStream_tbEUlRKjE_EEST_SX_SY_mSZ_S12_bEUlT_E_NS1_11comp_targetILNS1_3genE4ELNS1_11target_archE910ELNS1_3gpuE8ELNS1_3repE0EEENS1_30default_config_static_selectorELNS0_4arch9wavefront6targetE1EEEvSW_.num_named_barrier, 0
	.set _ZN7rocprim17ROCPRIM_400000_NS6detail17trampoline_kernelINS0_14default_configENS1_29binary_search_config_selectorIjiEEZNS1_14transform_implILb0ES3_S5_N6thrust23THRUST_200600_302600_NS6detail15normal_iteratorINS8_7pointerIjNS8_11hip_rocprim5par_tENS8_11use_defaultESE_EEEENSA_INSB_IiSD_SE_SE_EEEEZNS1_13binary_searchIS3_S5_PjSG_SI_NS1_16binary_search_opENS9_16wrapped_functionINS8_6system6detail7generic6detail18binary_search_lessEbEEEE10hipError_tPvRmT1_T2_T3_mmT4_T5_P12ihipStream_tbEUlRKjE_EEST_SX_SY_mSZ_S12_bEUlT_E_NS1_11comp_targetILNS1_3genE4ELNS1_11target_archE910ELNS1_3gpuE8ELNS1_3repE0EEENS1_30default_config_static_selectorELNS0_4arch9wavefront6targetE1EEEvSW_.private_seg_size, 0
	.set _ZN7rocprim17ROCPRIM_400000_NS6detail17trampoline_kernelINS0_14default_configENS1_29binary_search_config_selectorIjiEEZNS1_14transform_implILb0ES3_S5_N6thrust23THRUST_200600_302600_NS6detail15normal_iteratorINS8_7pointerIjNS8_11hip_rocprim5par_tENS8_11use_defaultESE_EEEENSA_INSB_IiSD_SE_SE_EEEEZNS1_13binary_searchIS3_S5_PjSG_SI_NS1_16binary_search_opENS9_16wrapped_functionINS8_6system6detail7generic6detail18binary_search_lessEbEEEE10hipError_tPvRmT1_T2_T3_mmT4_T5_P12ihipStream_tbEUlRKjE_EEST_SX_SY_mSZ_S12_bEUlT_E_NS1_11comp_targetILNS1_3genE4ELNS1_11target_archE910ELNS1_3gpuE8ELNS1_3repE0EEENS1_30default_config_static_selectorELNS0_4arch9wavefront6targetE1EEEvSW_.uses_vcc, 0
	.set _ZN7rocprim17ROCPRIM_400000_NS6detail17trampoline_kernelINS0_14default_configENS1_29binary_search_config_selectorIjiEEZNS1_14transform_implILb0ES3_S5_N6thrust23THRUST_200600_302600_NS6detail15normal_iteratorINS8_7pointerIjNS8_11hip_rocprim5par_tENS8_11use_defaultESE_EEEENSA_INSB_IiSD_SE_SE_EEEEZNS1_13binary_searchIS3_S5_PjSG_SI_NS1_16binary_search_opENS9_16wrapped_functionINS8_6system6detail7generic6detail18binary_search_lessEbEEEE10hipError_tPvRmT1_T2_T3_mmT4_T5_P12ihipStream_tbEUlRKjE_EEST_SX_SY_mSZ_S12_bEUlT_E_NS1_11comp_targetILNS1_3genE4ELNS1_11target_archE910ELNS1_3gpuE8ELNS1_3repE0EEENS1_30default_config_static_selectorELNS0_4arch9wavefront6targetE1EEEvSW_.uses_flat_scratch, 0
	.set _ZN7rocprim17ROCPRIM_400000_NS6detail17trampoline_kernelINS0_14default_configENS1_29binary_search_config_selectorIjiEEZNS1_14transform_implILb0ES3_S5_N6thrust23THRUST_200600_302600_NS6detail15normal_iteratorINS8_7pointerIjNS8_11hip_rocprim5par_tENS8_11use_defaultESE_EEEENSA_INSB_IiSD_SE_SE_EEEEZNS1_13binary_searchIS3_S5_PjSG_SI_NS1_16binary_search_opENS9_16wrapped_functionINS8_6system6detail7generic6detail18binary_search_lessEbEEEE10hipError_tPvRmT1_T2_T3_mmT4_T5_P12ihipStream_tbEUlRKjE_EEST_SX_SY_mSZ_S12_bEUlT_E_NS1_11comp_targetILNS1_3genE4ELNS1_11target_archE910ELNS1_3gpuE8ELNS1_3repE0EEENS1_30default_config_static_selectorELNS0_4arch9wavefront6targetE1EEEvSW_.has_dyn_sized_stack, 0
	.set _ZN7rocprim17ROCPRIM_400000_NS6detail17trampoline_kernelINS0_14default_configENS1_29binary_search_config_selectorIjiEEZNS1_14transform_implILb0ES3_S5_N6thrust23THRUST_200600_302600_NS6detail15normal_iteratorINS8_7pointerIjNS8_11hip_rocprim5par_tENS8_11use_defaultESE_EEEENSA_INSB_IiSD_SE_SE_EEEEZNS1_13binary_searchIS3_S5_PjSG_SI_NS1_16binary_search_opENS9_16wrapped_functionINS8_6system6detail7generic6detail18binary_search_lessEbEEEE10hipError_tPvRmT1_T2_T3_mmT4_T5_P12ihipStream_tbEUlRKjE_EEST_SX_SY_mSZ_S12_bEUlT_E_NS1_11comp_targetILNS1_3genE4ELNS1_11target_archE910ELNS1_3gpuE8ELNS1_3repE0EEENS1_30default_config_static_selectorELNS0_4arch9wavefront6targetE1EEEvSW_.has_recursion, 0
	.set _ZN7rocprim17ROCPRIM_400000_NS6detail17trampoline_kernelINS0_14default_configENS1_29binary_search_config_selectorIjiEEZNS1_14transform_implILb0ES3_S5_N6thrust23THRUST_200600_302600_NS6detail15normal_iteratorINS8_7pointerIjNS8_11hip_rocprim5par_tENS8_11use_defaultESE_EEEENSA_INSB_IiSD_SE_SE_EEEEZNS1_13binary_searchIS3_S5_PjSG_SI_NS1_16binary_search_opENS9_16wrapped_functionINS8_6system6detail7generic6detail18binary_search_lessEbEEEE10hipError_tPvRmT1_T2_T3_mmT4_T5_P12ihipStream_tbEUlRKjE_EEST_SX_SY_mSZ_S12_bEUlT_E_NS1_11comp_targetILNS1_3genE4ELNS1_11target_archE910ELNS1_3gpuE8ELNS1_3repE0EEENS1_30default_config_static_selectorELNS0_4arch9wavefront6targetE1EEEvSW_.has_indirect_call, 0
	.section	.AMDGPU.csdata,"",@progbits
; Kernel info:
; codeLenInByte = 0
; TotalNumSgprs: 4
; NumVgprs: 0
; ScratchSize: 0
; MemoryBound: 0
; FloatMode: 240
; IeeeMode: 1
; LDSByteSize: 0 bytes/workgroup (compile time only)
; SGPRBlocks: 0
; VGPRBlocks: 0
; NumSGPRsForWavesPerEU: 4
; NumVGPRsForWavesPerEU: 1
; Occupancy: 10
; WaveLimiterHint : 0
; COMPUTE_PGM_RSRC2:SCRATCH_EN: 0
; COMPUTE_PGM_RSRC2:USER_SGPR: 6
; COMPUTE_PGM_RSRC2:TRAP_HANDLER: 0
; COMPUTE_PGM_RSRC2:TGID_X_EN: 1
; COMPUTE_PGM_RSRC2:TGID_Y_EN: 0
; COMPUTE_PGM_RSRC2:TGID_Z_EN: 0
; COMPUTE_PGM_RSRC2:TIDIG_COMP_CNT: 0
	.section	.text._ZN7rocprim17ROCPRIM_400000_NS6detail17trampoline_kernelINS0_14default_configENS1_29binary_search_config_selectorIjiEEZNS1_14transform_implILb0ES3_S5_N6thrust23THRUST_200600_302600_NS6detail15normal_iteratorINS8_7pointerIjNS8_11hip_rocprim5par_tENS8_11use_defaultESE_EEEENSA_INSB_IiSD_SE_SE_EEEEZNS1_13binary_searchIS3_S5_PjSG_SI_NS1_16binary_search_opENS9_16wrapped_functionINS8_6system6detail7generic6detail18binary_search_lessEbEEEE10hipError_tPvRmT1_T2_T3_mmT4_T5_P12ihipStream_tbEUlRKjE_EEST_SX_SY_mSZ_S12_bEUlT_E_NS1_11comp_targetILNS1_3genE3ELNS1_11target_archE908ELNS1_3gpuE7ELNS1_3repE0EEENS1_30default_config_static_selectorELNS0_4arch9wavefront6targetE1EEEvSW_,"axG",@progbits,_ZN7rocprim17ROCPRIM_400000_NS6detail17trampoline_kernelINS0_14default_configENS1_29binary_search_config_selectorIjiEEZNS1_14transform_implILb0ES3_S5_N6thrust23THRUST_200600_302600_NS6detail15normal_iteratorINS8_7pointerIjNS8_11hip_rocprim5par_tENS8_11use_defaultESE_EEEENSA_INSB_IiSD_SE_SE_EEEEZNS1_13binary_searchIS3_S5_PjSG_SI_NS1_16binary_search_opENS9_16wrapped_functionINS8_6system6detail7generic6detail18binary_search_lessEbEEEE10hipError_tPvRmT1_T2_T3_mmT4_T5_P12ihipStream_tbEUlRKjE_EEST_SX_SY_mSZ_S12_bEUlT_E_NS1_11comp_targetILNS1_3genE3ELNS1_11target_archE908ELNS1_3gpuE7ELNS1_3repE0EEENS1_30default_config_static_selectorELNS0_4arch9wavefront6targetE1EEEvSW_,comdat
	.protected	_ZN7rocprim17ROCPRIM_400000_NS6detail17trampoline_kernelINS0_14default_configENS1_29binary_search_config_selectorIjiEEZNS1_14transform_implILb0ES3_S5_N6thrust23THRUST_200600_302600_NS6detail15normal_iteratorINS8_7pointerIjNS8_11hip_rocprim5par_tENS8_11use_defaultESE_EEEENSA_INSB_IiSD_SE_SE_EEEEZNS1_13binary_searchIS3_S5_PjSG_SI_NS1_16binary_search_opENS9_16wrapped_functionINS8_6system6detail7generic6detail18binary_search_lessEbEEEE10hipError_tPvRmT1_T2_T3_mmT4_T5_P12ihipStream_tbEUlRKjE_EEST_SX_SY_mSZ_S12_bEUlT_E_NS1_11comp_targetILNS1_3genE3ELNS1_11target_archE908ELNS1_3gpuE7ELNS1_3repE0EEENS1_30default_config_static_selectorELNS0_4arch9wavefront6targetE1EEEvSW_ ; -- Begin function _ZN7rocprim17ROCPRIM_400000_NS6detail17trampoline_kernelINS0_14default_configENS1_29binary_search_config_selectorIjiEEZNS1_14transform_implILb0ES3_S5_N6thrust23THRUST_200600_302600_NS6detail15normal_iteratorINS8_7pointerIjNS8_11hip_rocprim5par_tENS8_11use_defaultESE_EEEENSA_INSB_IiSD_SE_SE_EEEEZNS1_13binary_searchIS3_S5_PjSG_SI_NS1_16binary_search_opENS9_16wrapped_functionINS8_6system6detail7generic6detail18binary_search_lessEbEEEE10hipError_tPvRmT1_T2_T3_mmT4_T5_P12ihipStream_tbEUlRKjE_EEST_SX_SY_mSZ_S12_bEUlT_E_NS1_11comp_targetILNS1_3genE3ELNS1_11target_archE908ELNS1_3gpuE7ELNS1_3repE0EEENS1_30default_config_static_selectorELNS0_4arch9wavefront6targetE1EEEvSW_
	.globl	_ZN7rocprim17ROCPRIM_400000_NS6detail17trampoline_kernelINS0_14default_configENS1_29binary_search_config_selectorIjiEEZNS1_14transform_implILb0ES3_S5_N6thrust23THRUST_200600_302600_NS6detail15normal_iteratorINS8_7pointerIjNS8_11hip_rocprim5par_tENS8_11use_defaultESE_EEEENSA_INSB_IiSD_SE_SE_EEEEZNS1_13binary_searchIS3_S5_PjSG_SI_NS1_16binary_search_opENS9_16wrapped_functionINS8_6system6detail7generic6detail18binary_search_lessEbEEEE10hipError_tPvRmT1_T2_T3_mmT4_T5_P12ihipStream_tbEUlRKjE_EEST_SX_SY_mSZ_S12_bEUlT_E_NS1_11comp_targetILNS1_3genE3ELNS1_11target_archE908ELNS1_3gpuE7ELNS1_3repE0EEENS1_30default_config_static_selectorELNS0_4arch9wavefront6targetE1EEEvSW_
	.p2align	8
	.type	_ZN7rocprim17ROCPRIM_400000_NS6detail17trampoline_kernelINS0_14default_configENS1_29binary_search_config_selectorIjiEEZNS1_14transform_implILb0ES3_S5_N6thrust23THRUST_200600_302600_NS6detail15normal_iteratorINS8_7pointerIjNS8_11hip_rocprim5par_tENS8_11use_defaultESE_EEEENSA_INSB_IiSD_SE_SE_EEEEZNS1_13binary_searchIS3_S5_PjSG_SI_NS1_16binary_search_opENS9_16wrapped_functionINS8_6system6detail7generic6detail18binary_search_lessEbEEEE10hipError_tPvRmT1_T2_T3_mmT4_T5_P12ihipStream_tbEUlRKjE_EEST_SX_SY_mSZ_S12_bEUlT_E_NS1_11comp_targetILNS1_3genE3ELNS1_11target_archE908ELNS1_3gpuE7ELNS1_3repE0EEENS1_30default_config_static_selectorELNS0_4arch9wavefront6targetE1EEEvSW_,@function
_ZN7rocprim17ROCPRIM_400000_NS6detail17trampoline_kernelINS0_14default_configENS1_29binary_search_config_selectorIjiEEZNS1_14transform_implILb0ES3_S5_N6thrust23THRUST_200600_302600_NS6detail15normal_iteratorINS8_7pointerIjNS8_11hip_rocprim5par_tENS8_11use_defaultESE_EEEENSA_INSB_IiSD_SE_SE_EEEEZNS1_13binary_searchIS3_S5_PjSG_SI_NS1_16binary_search_opENS9_16wrapped_functionINS8_6system6detail7generic6detail18binary_search_lessEbEEEE10hipError_tPvRmT1_T2_T3_mmT4_T5_P12ihipStream_tbEUlRKjE_EEST_SX_SY_mSZ_S12_bEUlT_E_NS1_11comp_targetILNS1_3genE3ELNS1_11target_archE908ELNS1_3gpuE7ELNS1_3repE0EEENS1_30default_config_static_selectorELNS0_4arch9wavefront6targetE1EEEvSW_: ; @_ZN7rocprim17ROCPRIM_400000_NS6detail17trampoline_kernelINS0_14default_configENS1_29binary_search_config_selectorIjiEEZNS1_14transform_implILb0ES3_S5_N6thrust23THRUST_200600_302600_NS6detail15normal_iteratorINS8_7pointerIjNS8_11hip_rocprim5par_tENS8_11use_defaultESE_EEEENSA_INSB_IiSD_SE_SE_EEEEZNS1_13binary_searchIS3_S5_PjSG_SI_NS1_16binary_search_opENS9_16wrapped_functionINS8_6system6detail7generic6detail18binary_search_lessEbEEEE10hipError_tPvRmT1_T2_T3_mmT4_T5_P12ihipStream_tbEUlRKjE_EEST_SX_SY_mSZ_S12_bEUlT_E_NS1_11comp_targetILNS1_3genE3ELNS1_11target_archE908ELNS1_3gpuE7ELNS1_3repE0EEENS1_30default_config_static_selectorELNS0_4arch9wavefront6targetE1EEEvSW_
; %bb.0:
	.section	.rodata,"a",@progbits
	.p2align	6, 0x0
	.amdhsa_kernel _ZN7rocprim17ROCPRIM_400000_NS6detail17trampoline_kernelINS0_14default_configENS1_29binary_search_config_selectorIjiEEZNS1_14transform_implILb0ES3_S5_N6thrust23THRUST_200600_302600_NS6detail15normal_iteratorINS8_7pointerIjNS8_11hip_rocprim5par_tENS8_11use_defaultESE_EEEENSA_INSB_IiSD_SE_SE_EEEEZNS1_13binary_searchIS3_S5_PjSG_SI_NS1_16binary_search_opENS9_16wrapped_functionINS8_6system6detail7generic6detail18binary_search_lessEbEEEE10hipError_tPvRmT1_T2_T3_mmT4_T5_P12ihipStream_tbEUlRKjE_EEST_SX_SY_mSZ_S12_bEUlT_E_NS1_11comp_targetILNS1_3genE3ELNS1_11target_archE908ELNS1_3gpuE7ELNS1_3repE0EEENS1_30default_config_static_selectorELNS0_4arch9wavefront6targetE1EEEvSW_
		.amdhsa_group_segment_fixed_size 0
		.amdhsa_private_segment_fixed_size 0
		.amdhsa_kernarg_size 56
		.amdhsa_user_sgpr_count 6
		.amdhsa_user_sgpr_private_segment_buffer 1
		.amdhsa_user_sgpr_dispatch_ptr 0
		.amdhsa_user_sgpr_queue_ptr 0
		.amdhsa_user_sgpr_kernarg_segment_ptr 1
		.amdhsa_user_sgpr_dispatch_id 0
		.amdhsa_user_sgpr_flat_scratch_init 0
		.amdhsa_user_sgpr_private_segment_size 0
		.amdhsa_uses_dynamic_stack 0
		.amdhsa_system_sgpr_private_segment_wavefront_offset 0
		.amdhsa_system_sgpr_workgroup_id_x 1
		.amdhsa_system_sgpr_workgroup_id_y 0
		.amdhsa_system_sgpr_workgroup_id_z 0
		.amdhsa_system_sgpr_workgroup_info 0
		.amdhsa_system_vgpr_workitem_id 0
		.amdhsa_next_free_vgpr 1
		.amdhsa_next_free_sgpr 0
		.amdhsa_reserve_vcc 0
		.amdhsa_reserve_flat_scratch 0
		.amdhsa_float_round_mode_32 0
		.amdhsa_float_round_mode_16_64 0
		.amdhsa_float_denorm_mode_32 3
		.amdhsa_float_denorm_mode_16_64 3
		.amdhsa_dx10_clamp 1
		.amdhsa_ieee_mode 1
		.amdhsa_fp16_overflow 0
		.amdhsa_exception_fp_ieee_invalid_op 0
		.amdhsa_exception_fp_denorm_src 0
		.amdhsa_exception_fp_ieee_div_zero 0
		.amdhsa_exception_fp_ieee_overflow 0
		.amdhsa_exception_fp_ieee_underflow 0
		.amdhsa_exception_fp_ieee_inexact 0
		.amdhsa_exception_int_div_zero 0
	.end_amdhsa_kernel
	.section	.text._ZN7rocprim17ROCPRIM_400000_NS6detail17trampoline_kernelINS0_14default_configENS1_29binary_search_config_selectorIjiEEZNS1_14transform_implILb0ES3_S5_N6thrust23THRUST_200600_302600_NS6detail15normal_iteratorINS8_7pointerIjNS8_11hip_rocprim5par_tENS8_11use_defaultESE_EEEENSA_INSB_IiSD_SE_SE_EEEEZNS1_13binary_searchIS3_S5_PjSG_SI_NS1_16binary_search_opENS9_16wrapped_functionINS8_6system6detail7generic6detail18binary_search_lessEbEEEE10hipError_tPvRmT1_T2_T3_mmT4_T5_P12ihipStream_tbEUlRKjE_EEST_SX_SY_mSZ_S12_bEUlT_E_NS1_11comp_targetILNS1_3genE3ELNS1_11target_archE908ELNS1_3gpuE7ELNS1_3repE0EEENS1_30default_config_static_selectorELNS0_4arch9wavefront6targetE1EEEvSW_,"axG",@progbits,_ZN7rocprim17ROCPRIM_400000_NS6detail17trampoline_kernelINS0_14default_configENS1_29binary_search_config_selectorIjiEEZNS1_14transform_implILb0ES3_S5_N6thrust23THRUST_200600_302600_NS6detail15normal_iteratorINS8_7pointerIjNS8_11hip_rocprim5par_tENS8_11use_defaultESE_EEEENSA_INSB_IiSD_SE_SE_EEEEZNS1_13binary_searchIS3_S5_PjSG_SI_NS1_16binary_search_opENS9_16wrapped_functionINS8_6system6detail7generic6detail18binary_search_lessEbEEEE10hipError_tPvRmT1_T2_T3_mmT4_T5_P12ihipStream_tbEUlRKjE_EEST_SX_SY_mSZ_S12_bEUlT_E_NS1_11comp_targetILNS1_3genE3ELNS1_11target_archE908ELNS1_3gpuE7ELNS1_3repE0EEENS1_30default_config_static_selectorELNS0_4arch9wavefront6targetE1EEEvSW_,comdat
.Lfunc_end276:
	.size	_ZN7rocprim17ROCPRIM_400000_NS6detail17trampoline_kernelINS0_14default_configENS1_29binary_search_config_selectorIjiEEZNS1_14transform_implILb0ES3_S5_N6thrust23THRUST_200600_302600_NS6detail15normal_iteratorINS8_7pointerIjNS8_11hip_rocprim5par_tENS8_11use_defaultESE_EEEENSA_INSB_IiSD_SE_SE_EEEEZNS1_13binary_searchIS3_S5_PjSG_SI_NS1_16binary_search_opENS9_16wrapped_functionINS8_6system6detail7generic6detail18binary_search_lessEbEEEE10hipError_tPvRmT1_T2_T3_mmT4_T5_P12ihipStream_tbEUlRKjE_EEST_SX_SY_mSZ_S12_bEUlT_E_NS1_11comp_targetILNS1_3genE3ELNS1_11target_archE908ELNS1_3gpuE7ELNS1_3repE0EEENS1_30default_config_static_selectorELNS0_4arch9wavefront6targetE1EEEvSW_, .Lfunc_end276-_ZN7rocprim17ROCPRIM_400000_NS6detail17trampoline_kernelINS0_14default_configENS1_29binary_search_config_selectorIjiEEZNS1_14transform_implILb0ES3_S5_N6thrust23THRUST_200600_302600_NS6detail15normal_iteratorINS8_7pointerIjNS8_11hip_rocprim5par_tENS8_11use_defaultESE_EEEENSA_INSB_IiSD_SE_SE_EEEEZNS1_13binary_searchIS3_S5_PjSG_SI_NS1_16binary_search_opENS9_16wrapped_functionINS8_6system6detail7generic6detail18binary_search_lessEbEEEE10hipError_tPvRmT1_T2_T3_mmT4_T5_P12ihipStream_tbEUlRKjE_EEST_SX_SY_mSZ_S12_bEUlT_E_NS1_11comp_targetILNS1_3genE3ELNS1_11target_archE908ELNS1_3gpuE7ELNS1_3repE0EEENS1_30default_config_static_selectorELNS0_4arch9wavefront6targetE1EEEvSW_
                                        ; -- End function
	.set _ZN7rocprim17ROCPRIM_400000_NS6detail17trampoline_kernelINS0_14default_configENS1_29binary_search_config_selectorIjiEEZNS1_14transform_implILb0ES3_S5_N6thrust23THRUST_200600_302600_NS6detail15normal_iteratorINS8_7pointerIjNS8_11hip_rocprim5par_tENS8_11use_defaultESE_EEEENSA_INSB_IiSD_SE_SE_EEEEZNS1_13binary_searchIS3_S5_PjSG_SI_NS1_16binary_search_opENS9_16wrapped_functionINS8_6system6detail7generic6detail18binary_search_lessEbEEEE10hipError_tPvRmT1_T2_T3_mmT4_T5_P12ihipStream_tbEUlRKjE_EEST_SX_SY_mSZ_S12_bEUlT_E_NS1_11comp_targetILNS1_3genE3ELNS1_11target_archE908ELNS1_3gpuE7ELNS1_3repE0EEENS1_30default_config_static_selectorELNS0_4arch9wavefront6targetE1EEEvSW_.num_vgpr, 0
	.set _ZN7rocprim17ROCPRIM_400000_NS6detail17trampoline_kernelINS0_14default_configENS1_29binary_search_config_selectorIjiEEZNS1_14transform_implILb0ES3_S5_N6thrust23THRUST_200600_302600_NS6detail15normal_iteratorINS8_7pointerIjNS8_11hip_rocprim5par_tENS8_11use_defaultESE_EEEENSA_INSB_IiSD_SE_SE_EEEEZNS1_13binary_searchIS3_S5_PjSG_SI_NS1_16binary_search_opENS9_16wrapped_functionINS8_6system6detail7generic6detail18binary_search_lessEbEEEE10hipError_tPvRmT1_T2_T3_mmT4_T5_P12ihipStream_tbEUlRKjE_EEST_SX_SY_mSZ_S12_bEUlT_E_NS1_11comp_targetILNS1_3genE3ELNS1_11target_archE908ELNS1_3gpuE7ELNS1_3repE0EEENS1_30default_config_static_selectorELNS0_4arch9wavefront6targetE1EEEvSW_.num_agpr, 0
	.set _ZN7rocprim17ROCPRIM_400000_NS6detail17trampoline_kernelINS0_14default_configENS1_29binary_search_config_selectorIjiEEZNS1_14transform_implILb0ES3_S5_N6thrust23THRUST_200600_302600_NS6detail15normal_iteratorINS8_7pointerIjNS8_11hip_rocprim5par_tENS8_11use_defaultESE_EEEENSA_INSB_IiSD_SE_SE_EEEEZNS1_13binary_searchIS3_S5_PjSG_SI_NS1_16binary_search_opENS9_16wrapped_functionINS8_6system6detail7generic6detail18binary_search_lessEbEEEE10hipError_tPvRmT1_T2_T3_mmT4_T5_P12ihipStream_tbEUlRKjE_EEST_SX_SY_mSZ_S12_bEUlT_E_NS1_11comp_targetILNS1_3genE3ELNS1_11target_archE908ELNS1_3gpuE7ELNS1_3repE0EEENS1_30default_config_static_selectorELNS0_4arch9wavefront6targetE1EEEvSW_.numbered_sgpr, 0
	.set _ZN7rocprim17ROCPRIM_400000_NS6detail17trampoline_kernelINS0_14default_configENS1_29binary_search_config_selectorIjiEEZNS1_14transform_implILb0ES3_S5_N6thrust23THRUST_200600_302600_NS6detail15normal_iteratorINS8_7pointerIjNS8_11hip_rocprim5par_tENS8_11use_defaultESE_EEEENSA_INSB_IiSD_SE_SE_EEEEZNS1_13binary_searchIS3_S5_PjSG_SI_NS1_16binary_search_opENS9_16wrapped_functionINS8_6system6detail7generic6detail18binary_search_lessEbEEEE10hipError_tPvRmT1_T2_T3_mmT4_T5_P12ihipStream_tbEUlRKjE_EEST_SX_SY_mSZ_S12_bEUlT_E_NS1_11comp_targetILNS1_3genE3ELNS1_11target_archE908ELNS1_3gpuE7ELNS1_3repE0EEENS1_30default_config_static_selectorELNS0_4arch9wavefront6targetE1EEEvSW_.num_named_barrier, 0
	.set _ZN7rocprim17ROCPRIM_400000_NS6detail17trampoline_kernelINS0_14default_configENS1_29binary_search_config_selectorIjiEEZNS1_14transform_implILb0ES3_S5_N6thrust23THRUST_200600_302600_NS6detail15normal_iteratorINS8_7pointerIjNS8_11hip_rocprim5par_tENS8_11use_defaultESE_EEEENSA_INSB_IiSD_SE_SE_EEEEZNS1_13binary_searchIS3_S5_PjSG_SI_NS1_16binary_search_opENS9_16wrapped_functionINS8_6system6detail7generic6detail18binary_search_lessEbEEEE10hipError_tPvRmT1_T2_T3_mmT4_T5_P12ihipStream_tbEUlRKjE_EEST_SX_SY_mSZ_S12_bEUlT_E_NS1_11comp_targetILNS1_3genE3ELNS1_11target_archE908ELNS1_3gpuE7ELNS1_3repE0EEENS1_30default_config_static_selectorELNS0_4arch9wavefront6targetE1EEEvSW_.private_seg_size, 0
	.set _ZN7rocprim17ROCPRIM_400000_NS6detail17trampoline_kernelINS0_14default_configENS1_29binary_search_config_selectorIjiEEZNS1_14transform_implILb0ES3_S5_N6thrust23THRUST_200600_302600_NS6detail15normal_iteratorINS8_7pointerIjNS8_11hip_rocprim5par_tENS8_11use_defaultESE_EEEENSA_INSB_IiSD_SE_SE_EEEEZNS1_13binary_searchIS3_S5_PjSG_SI_NS1_16binary_search_opENS9_16wrapped_functionINS8_6system6detail7generic6detail18binary_search_lessEbEEEE10hipError_tPvRmT1_T2_T3_mmT4_T5_P12ihipStream_tbEUlRKjE_EEST_SX_SY_mSZ_S12_bEUlT_E_NS1_11comp_targetILNS1_3genE3ELNS1_11target_archE908ELNS1_3gpuE7ELNS1_3repE0EEENS1_30default_config_static_selectorELNS0_4arch9wavefront6targetE1EEEvSW_.uses_vcc, 0
	.set _ZN7rocprim17ROCPRIM_400000_NS6detail17trampoline_kernelINS0_14default_configENS1_29binary_search_config_selectorIjiEEZNS1_14transform_implILb0ES3_S5_N6thrust23THRUST_200600_302600_NS6detail15normal_iteratorINS8_7pointerIjNS8_11hip_rocprim5par_tENS8_11use_defaultESE_EEEENSA_INSB_IiSD_SE_SE_EEEEZNS1_13binary_searchIS3_S5_PjSG_SI_NS1_16binary_search_opENS9_16wrapped_functionINS8_6system6detail7generic6detail18binary_search_lessEbEEEE10hipError_tPvRmT1_T2_T3_mmT4_T5_P12ihipStream_tbEUlRKjE_EEST_SX_SY_mSZ_S12_bEUlT_E_NS1_11comp_targetILNS1_3genE3ELNS1_11target_archE908ELNS1_3gpuE7ELNS1_3repE0EEENS1_30default_config_static_selectorELNS0_4arch9wavefront6targetE1EEEvSW_.uses_flat_scratch, 0
	.set _ZN7rocprim17ROCPRIM_400000_NS6detail17trampoline_kernelINS0_14default_configENS1_29binary_search_config_selectorIjiEEZNS1_14transform_implILb0ES3_S5_N6thrust23THRUST_200600_302600_NS6detail15normal_iteratorINS8_7pointerIjNS8_11hip_rocprim5par_tENS8_11use_defaultESE_EEEENSA_INSB_IiSD_SE_SE_EEEEZNS1_13binary_searchIS3_S5_PjSG_SI_NS1_16binary_search_opENS9_16wrapped_functionINS8_6system6detail7generic6detail18binary_search_lessEbEEEE10hipError_tPvRmT1_T2_T3_mmT4_T5_P12ihipStream_tbEUlRKjE_EEST_SX_SY_mSZ_S12_bEUlT_E_NS1_11comp_targetILNS1_3genE3ELNS1_11target_archE908ELNS1_3gpuE7ELNS1_3repE0EEENS1_30default_config_static_selectorELNS0_4arch9wavefront6targetE1EEEvSW_.has_dyn_sized_stack, 0
	.set _ZN7rocprim17ROCPRIM_400000_NS6detail17trampoline_kernelINS0_14default_configENS1_29binary_search_config_selectorIjiEEZNS1_14transform_implILb0ES3_S5_N6thrust23THRUST_200600_302600_NS6detail15normal_iteratorINS8_7pointerIjNS8_11hip_rocprim5par_tENS8_11use_defaultESE_EEEENSA_INSB_IiSD_SE_SE_EEEEZNS1_13binary_searchIS3_S5_PjSG_SI_NS1_16binary_search_opENS9_16wrapped_functionINS8_6system6detail7generic6detail18binary_search_lessEbEEEE10hipError_tPvRmT1_T2_T3_mmT4_T5_P12ihipStream_tbEUlRKjE_EEST_SX_SY_mSZ_S12_bEUlT_E_NS1_11comp_targetILNS1_3genE3ELNS1_11target_archE908ELNS1_3gpuE7ELNS1_3repE0EEENS1_30default_config_static_selectorELNS0_4arch9wavefront6targetE1EEEvSW_.has_recursion, 0
	.set _ZN7rocprim17ROCPRIM_400000_NS6detail17trampoline_kernelINS0_14default_configENS1_29binary_search_config_selectorIjiEEZNS1_14transform_implILb0ES3_S5_N6thrust23THRUST_200600_302600_NS6detail15normal_iteratorINS8_7pointerIjNS8_11hip_rocprim5par_tENS8_11use_defaultESE_EEEENSA_INSB_IiSD_SE_SE_EEEEZNS1_13binary_searchIS3_S5_PjSG_SI_NS1_16binary_search_opENS9_16wrapped_functionINS8_6system6detail7generic6detail18binary_search_lessEbEEEE10hipError_tPvRmT1_T2_T3_mmT4_T5_P12ihipStream_tbEUlRKjE_EEST_SX_SY_mSZ_S12_bEUlT_E_NS1_11comp_targetILNS1_3genE3ELNS1_11target_archE908ELNS1_3gpuE7ELNS1_3repE0EEENS1_30default_config_static_selectorELNS0_4arch9wavefront6targetE1EEEvSW_.has_indirect_call, 0
	.section	.AMDGPU.csdata,"",@progbits
; Kernel info:
; codeLenInByte = 0
; TotalNumSgprs: 4
; NumVgprs: 0
; ScratchSize: 0
; MemoryBound: 0
; FloatMode: 240
; IeeeMode: 1
; LDSByteSize: 0 bytes/workgroup (compile time only)
; SGPRBlocks: 0
; VGPRBlocks: 0
; NumSGPRsForWavesPerEU: 4
; NumVGPRsForWavesPerEU: 1
; Occupancy: 10
; WaveLimiterHint : 0
; COMPUTE_PGM_RSRC2:SCRATCH_EN: 0
; COMPUTE_PGM_RSRC2:USER_SGPR: 6
; COMPUTE_PGM_RSRC2:TRAP_HANDLER: 0
; COMPUTE_PGM_RSRC2:TGID_X_EN: 1
; COMPUTE_PGM_RSRC2:TGID_Y_EN: 0
; COMPUTE_PGM_RSRC2:TGID_Z_EN: 0
; COMPUTE_PGM_RSRC2:TIDIG_COMP_CNT: 0
	.section	.text._ZN7rocprim17ROCPRIM_400000_NS6detail17trampoline_kernelINS0_14default_configENS1_29binary_search_config_selectorIjiEEZNS1_14transform_implILb0ES3_S5_N6thrust23THRUST_200600_302600_NS6detail15normal_iteratorINS8_7pointerIjNS8_11hip_rocprim5par_tENS8_11use_defaultESE_EEEENSA_INSB_IiSD_SE_SE_EEEEZNS1_13binary_searchIS3_S5_PjSG_SI_NS1_16binary_search_opENS9_16wrapped_functionINS8_6system6detail7generic6detail18binary_search_lessEbEEEE10hipError_tPvRmT1_T2_T3_mmT4_T5_P12ihipStream_tbEUlRKjE_EEST_SX_SY_mSZ_S12_bEUlT_E_NS1_11comp_targetILNS1_3genE2ELNS1_11target_archE906ELNS1_3gpuE6ELNS1_3repE0EEENS1_30default_config_static_selectorELNS0_4arch9wavefront6targetE1EEEvSW_,"axG",@progbits,_ZN7rocprim17ROCPRIM_400000_NS6detail17trampoline_kernelINS0_14default_configENS1_29binary_search_config_selectorIjiEEZNS1_14transform_implILb0ES3_S5_N6thrust23THRUST_200600_302600_NS6detail15normal_iteratorINS8_7pointerIjNS8_11hip_rocprim5par_tENS8_11use_defaultESE_EEEENSA_INSB_IiSD_SE_SE_EEEEZNS1_13binary_searchIS3_S5_PjSG_SI_NS1_16binary_search_opENS9_16wrapped_functionINS8_6system6detail7generic6detail18binary_search_lessEbEEEE10hipError_tPvRmT1_T2_T3_mmT4_T5_P12ihipStream_tbEUlRKjE_EEST_SX_SY_mSZ_S12_bEUlT_E_NS1_11comp_targetILNS1_3genE2ELNS1_11target_archE906ELNS1_3gpuE6ELNS1_3repE0EEENS1_30default_config_static_selectorELNS0_4arch9wavefront6targetE1EEEvSW_,comdat
	.protected	_ZN7rocprim17ROCPRIM_400000_NS6detail17trampoline_kernelINS0_14default_configENS1_29binary_search_config_selectorIjiEEZNS1_14transform_implILb0ES3_S5_N6thrust23THRUST_200600_302600_NS6detail15normal_iteratorINS8_7pointerIjNS8_11hip_rocprim5par_tENS8_11use_defaultESE_EEEENSA_INSB_IiSD_SE_SE_EEEEZNS1_13binary_searchIS3_S5_PjSG_SI_NS1_16binary_search_opENS9_16wrapped_functionINS8_6system6detail7generic6detail18binary_search_lessEbEEEE10hipError_tPvRmT1_T2_T3_mmT4_T5_P12ihipStream_tbEUlRKjE_EEST_SX_SY_mSZ_S12_bEUlT_E_NS1_11comp_targetILNS1_3genE2ELNS1_11target_archE906ELNS1_3gpuE6ELNS1_3repE0EEENS1_30default_config_static_selectorELNS0_4arch9wavefront6targetE1EEEvSW_ ; -- Begin function _ZN7rocprim17ROCPRIM_400000_NS6detail17trampoline_kernelINS0_14default_configENS1_29binary_search_config_selectorIjiEEZNS1_14transform_implILb0ES3_S5_N6thrust23THRUST_200600_302600_NS6detail15normal_iteratorINS8_7pointerIjNS8_11hip_rocprim5par_tENS8_11use_defaultESE_EEEENSA_INSB_IiSD_SE_SE_EEEEZNS1_13binary_searchIS3_S5_PjSG_SI_NS1_16binary_search_opENS9_16wrapped_functionINS8_6system6detail7generic6detail18binary_search_lessEbEEEE10hipError_tPvRmT1_T2_T3_mmT4_T5_P12ihipStream_tbEUlRKjE_EEST_SX_SY_mSZ_S12_bEUlT_E_NS1_11comp_targetILNS1_3genE2ELNS1_11target_archE906ELNS1_3gpuE6ELNS1_3repE0EEENS1_30default_config_static_selectorELNS0_4arch9wavefront6targetE1EEEvSW_
	.globl	_ZN7rocprim17ROCPRIM_400000_NS6detail17trampoline_kernelINS0_14default_configENS1_29binary_search_config_selectorIjiEEZNS1_14transform_implILb0ES3_S5_N6thrust23THRUST_200600_302600_NS6detail15normal_iteratorINS8_7pointerIjNS8_11hip_rocprim5par_tENS8_11use_defaultESE_EEEENSA_INSB_IiSD_SE_SE_EEEEZNS1_13binary_searchIS3_S5_PjSG_SI_NS1_16binary_search_opENS9_16wrapped_functionINS8_6system6detail7generic6detail18binary_search_lessEbEEEE10hipError_tPvRmT1_T2_T3_mmT4_T5_P12ihipStream_tbEUlRKjE_EEST_SX_SY_mSZ_S12_bEUlT_E_NS1_11comp_targetILNS1_3genE2ELNS1_11target_archE906ELNS1_3gpuE6ELNS1_3repE0EEENS1_30default_config_static_selectorELNS0_4arch9wavefront6targetE1EEEvSW_
	.p2align	8
	.type	_ZN7rocprim17ROCPRIM_400000_NS6detail17trampoline_kernelINS0_14default_configENS1_29binary_search_config_selectorIjiEEZNS1_14transform_implILb0ES3_S5_N6thrust23THRUST_200600_302600_NS6detail15normal_iteratorINS8_7pointerIjNS8_11hip_rocprim5par_tENS8_11use_defaultESE_EEEENSA_INSB_IiSD_SE_SE_EEEEZNS1_13binary_searchIS3_S5_PjSG_SI_NS1_16binary_search_opENS9_16wrapped_functionINS8_6system6detail7generic6detail18binary_search_lessEbEEEE10hipError_tPvRmT1_T2_T3_mmT4_T5_P12ihipStream_tbEUlRKjE_EEST_SX_SY_mSZ_S12_bEUlT_E_NS1_11comp_targetILNS1_3genE2ELNS1_11target_archE906ELNS1_3gpuE6ELNS1_3repE0EEENS1_30default_config_static_selectorELNS0_4arch9wavefront6targetE1EEEvSW_,@function
_ZN7rocprim17ROCPRIM_400000_NS6detail17trampoline_kernelINS0_14default_configENS1_29binary_search_config_selectorIjiEEZNS1_14transform_implILb0ES3_S5_N6thrust23THRUST_200600_302600_NS6detail15normal_iteratorINS8_7pointerIjNS8_11hip_rocprim5par_tENS8_11use_defaultESE_EEEENSA_INSB_IiSD_SE_SE_EEEEZNS1_13binary_searchIS3_S5_PjSG_SI_NS1_16binary_search_opENS9_16wrapped_functionINS8_6system6detail7generic6detail18binary_search_lessEbEEEE10hipError_tPvRmT1_T2_T3_mmT4_T5_P12ihipStream_tbEUlRKjE_EEST_SX_SY_mSZ_S12_bEUlT_E_NS1_11comp_targetILNS1_3genE2ELNS1_11target_archE906ELNS1_3gpuE6ELNS1_3repE0EEENS1_30default_config_static_selectorELNS0_4arch9wavefront6targetE1EEEvSW_: ; @_ZN7rocprim17ROCPRIM_400000_NS6detail17trampoline_kernelINS0_14default_configENS1_29binary_search_config_selectorIjiEEZNS1_14transform_implILb0ES3_S5_N6thrust23THRUST_200600_302600_NS6detail15normal_iteratorINS8_7pointerIjNS8_11hip_rocprim5par_tENS8_11use_defaultESE_EEEENSA_INSB_IiSD_SE_SE_EEEEZNS1_13binary_searchIS3_S5_PjSG_SI_NS1_16binary_search_opENS9_16wrapped_functionINS8_6system6detail7generic6detail18binary_search_lessEbEEEE10hipError_tPvRmT1_T2_T3_mmT4_T5_P12ihipStream_tbEUlRKjE_EEST_SX_SY_mSZ_S12_bEUlT_E_NS1_11comp_targetILNS1_3genE2ELNS1_11target_archE906ELNS1_3gpuE6ELNS1_3repE0EEENS1_30default_config_static_selectorELNS0_4arch9wavefront6targetE1EEEvSW_
; %bb.0:
	s_load_dwordx4 s[12:15], s[4:5], 0x0
	s_load_dwordx4 s[8:11], s[4:5], 0x18
	s_load_dwordx2 s[0:1], s[4:5], 0x28
	s_load_dword s7, s[4:5], 0x38
	s_waitcnt lgkmcnt(0)
	s_lshl_b64 s[2:3], s[14:15], 2
	s_add_u32 s18, s12, s2
	s_addc_u32 s19, s13, s3
	s_lshl_b32 s12, s6, 8
	s_add_i32 s7, s7, -1
	s_cmp_lg_u32 s6, s7
	s_mov_b32 s13, 0
	s_cbranch_scc0 .LBB277_6
; %bb.1:
	s_lshl_b64 s[6:7], s[12:13], 2
	s_add_u32 s6, s18, s6
	s_addc_u32 s7, s19, s7
	v_lshlrev_b32_e32 v1, 2, v0
	v_mov_b32_e32 v2, s7
	v_add_co_u32_e32 v1, vcc, s6, v1
	v_addc_co_u32_e32 v2, vcc, 0, v2, vcc
	flat_load_dword v6, v[1:2]
	v_mov_b32_e32 v2, 0
	v_mov_b32_e32 v1, 0
	s_cmp_eq_u64 s[0:1], 0
	s_mov_b64 s[6:7], 0
	v_mov_b32_e32 v3, 0
	s_cbranch_scc1 .LBB277_5
; %bb.2:
	v_mov_b32_e32 v5, s1
	v_mov_b32_e32 v4, s0
	;; [unrolled: 1-line block ×3, first 2 shown]
.LBB277_3:                              ; =>This Inner Loop Header: Depth=1
	v_sub_co_u32_e32 v8, vcc, v4, v2
	v_subb_co_u32_e32 v9, vcc, v5, v3, vcc
	v_lshrrev_b64 v[10:11], 1, v[8:9]
	v_lshrrev_b64 v[8:9], 6, v[8:9]
	v_add_co_u32_e32 v10, vcc, v10, v2
	v_addc_co_u32_e32 v11, vcc, v11, v3, vcc
	v_add_co_u32_e32 v8, vcc, v10, v8
	v_addc_co_u32_e32 v9, vcc, v11, v9, vcc
	v_lshlrev_b64 v[10:11], 2, v[8:9]
	v_add_co_u32_e32 v10, vcc, s10, v10
	v_addc_co_u32_e32 v11, vcc, v7, v11, vcc
	global_load_dword v10, v[10:11], off
	v_add_co_u32_e32 v11, vcc, 1, v8
	v_addc_co_u32_e32 v12, vcc, 0, v9, vcc
	s_waitcnt vmcnt(0) lgkmcnt(0)
	v_cmp_lt_u32_e32 vcc, v10, v6
	v_cndmask_b32_e32 v5, v9, v5, vcc
	v_cndmask_b32_e32 v4, v8, v4, vcc
	v_cndmask_b32_e32 v3, v3, v12, vcc
	v_cndmask_b32_e32 v2, v2, v11, vcc
	v_cmp_ge_u64_e32 vcc, v[2:3], v[4:5]
	s_or_b64 s[6:7], vcc, s[6:7]
	s_andn2_b64 exec, exec, s[6:7]
	s_cbranch_execnz .LBB277_3
; %bb.4:
	s_or_b64 exec, exec, s[6:7]
.LBB277_5:
	v_cmp_eq_u64_e64 s[6:7], s[0:1], v[2:3]
	v_cmp_ne_u64_e64 s[14:15], s[0:1], v[2:3]
	s_branch .LBB277_14
.LBB277_6:
	s_mov_b64 s[14:15], 0
	s_mov_b64 s[6:7], 0
                                        ; implicit-def: $vgpr6
                                        ; implicit-def: $vgpr2_vgpr3
	s_cbranch_execz .LBB277_14
; %bb.7:
	s_load_dword s4, s[4:5], 0x10
                                        ; implicit-def: $vgpr6
                                        ; implicit-def: $vgpr2_vgpr3
	s_waitcnt lgkmcnt(0)
	s_sub_i32 s4, s4, s12
	v_cmp_gt_u32_e32 vcc, s4, v0
	s_and_saveexec_b64 s[4:5], vcc
	s_cbranch_execz .LBB277_13
; %bb.8:
	s_lshl_b64 s[16:17], s[12:13], 2
	s_add_u32 s16, s18, s16
	s_addc_u32 s17, s19, s17
	v_lshlrev_b32_e32 v1, 2, v0
	v_mov_b32_e32 v2, s17
	v_add_co_u32_e32 v1, vcc, s16, v1
	v_addc_co_u32_e32 v2, vcc, 0, v2, vcc
	s_waitcnt vmcnt(0)
	flat_load_dword v6, v[1:2]
	v_mov_b32_e32 v2, 0
	v_mov_b32_e32 v1, 0
	s_cmp_eq_u64 s[0:1], 0
	s_mov_b64 s[16:17], 0
	v_mov_b32_e32 v3, 0
	s_cbranch_scc1 .LBB277_12
; %bb.9:
	v_mov_b32_e32 v5, s1
	v_mov_b32_e32 v4, s0
	v_mov_b32_e32 v7, s11
.LBB277_10:                             ; =>This Inner Loop Header: Depth=1
	v_sub_co_u32_e32 v8, vcc, v4, v2
	v_subb_co_u32_e32 v9, vcc, v5, v3, vcc
	v_lshrrev_b64 v[10:11], 1, v[8:9]
	v_lshrrev_b64 v[8:9], 6, v[8:9]
	v_add_co_u32_e32 v10, vcc, v10, v2
	v_addc_co_u32_e32 v11, vcc, v11, v3, vcc
	v_add_co_u32_e32 v8, vcc, v10, v8
	v_addc_co_u32_e32 v9, vcc, v11, v9, vcc
	v_lshlrev_b64 v[10:11], 2, v[8:9]
	v_add_co_u32_e32 v10, vcc, s10, v10
	v_addc_co_u32_e32 v11, vcc, v7, v11, vcc
	global_load_dword v10, v[10:11], off
	v_add_co_u32_e32 v11, vcc, 1, v8
	v_addc_co_u32_e32 v12, vcc, 0, v9, vcc
	s_waitcnt vmcnt(0) lgkmcnt(0)
	v_cmp_lt_u32_e32 vcc, v10, v6
	v_cndmask_b32_e32 v5, v9, v5, vcc
	v_cndmask_b32_e32 v4, v8, v4, vcc
	;; [unrolled: 1-line block ×4, first 2 shown]
	v_cmp_ge_u64_e32 vcc, v[2:3], v[4:5]
	s_or_b64 s[16:17], vcc, s[16:17]
	s_andn2_b64 exec, exec, s[16:17]
	s_cbranch_execnz .LBB277_10
; %bb.11:
	s_or_b64 exec, exec, s[16:17]
.LBB277_12:
	v_cmp_eq_u64_e32 vcc, s[0:1], v[2:3]
	v_cmp_ne_u64_e64 s[0:1], s[0:1], v[2:3]
	s_andn2_b64 s[6:7], s[6:7], exec
	s_and_b64 s[16:17], vcc, exec
	s_andn2_b64 s[14:15], s[14:15], exec
	s_and_b64 s[0:1], s[0:1], exec
	s_or_b64 s[6:7], s[6:7], s[16:17]
	s_or_b64 s[14:15], s[14:15], s[0:1]
.LBB277_13:
	s_or_b64 exec, exec, s[4:5]
.LBB277_14:
	v_mov_b32_e32 v4, 0
	s_and_saveexec_b64 s[0:1], s[14:15]
	s_cbranch_execnz .LBB277_17
; %bb.15:
	s_or_b64 exec, exec, s[0:1]
	s_and_saveexec_b64 s[0:1], s[6:7]
	s_cbranch_execnz .LBB277_18
.LBB277_16:
	s_endpgm
.LBB277_17:
	v_lshlrev_b64 v[2:3], 2, v[2:3]
	v_mov_b32_e32 v4, s11
	v_add_co_u32_e32 v2, vcc, s10, v2
	v_addc_co_u32_e32 v3, vcc, v4, v3, vcc
	global_load_dword v2, v[2:3], off
	s_or_b64 s[6:7], s[6:7], exec
	s_waitcnt vmcnt(0) lgkmcnt(0)
	v_cmp_ge_u32_e32 vcc, v6, v2
	v_cndmask_b32_e64 v4, 0, 1, vcc
	s_or_b64 exec, exec, s[0:1]
	s_and_saveexec_b64 s[0:1], s[6:7]
	s_cbranch_execz .LBB277_16
.LBB277_18:
	s_add_u32 s2, s8, s2
	s_addc_u32 s3, s9, s3
	s_lshl_b64 s[0:1], s[12:13], 2
	s_add_u32 s0, s2, s0
	v_lshlrev_b64 v[0:1], 2, v[0:1]
	s_addc_u32 s1, s3, s1
	v_mov_b32_e32 v2, s1
	v_add_co_u32_e32 v0, vcc, s0, v0
	v_addc_co_u32_e32 v1, vcc, v2, v1, vcc
	flat_store_dword v[0:1], v4
	s_endpgm
	.section	.rodata,"a",@progbits
	.p2align	6, 0x0
	.amdhsa_kernel _ZN7rocprim17ROCPRIM_400000_NS6detail17trampoline_kernelINS0_14default_configENS1_29binary_search_config_selectorIjiEEZNS1_14transform_implILb0ES3_S5_N6thrust23THRUST_200600_302600_NS6detail15normal_iteratorINS8_7pointerIjNS8_11hip_rocprim5par_tENS8_11use_defaultESE_EEEENSA_INSB_IiSD_SE_SE_EEEEZNS1_13binary_searchIS3_S5_PjSG_SI_NS1_16binary_search_opENS9_16wrapped_functionINS8_6system6detail7generic6detail18binary_search_lessEbEEEE10hipError_tPvRmT1_T2_T3_mmT4_T5_P12ihipStream_tbEUlRKjE_EEST_SX_SY_mSZ_S12_bEUlT_E_NS1_11comp_targetILNS1_3genE2ELNS1_11target_archE906ELNS1_3gpuE6ELNS1_3repE0EEENS1_30default_config_static_selectorELNS0_4arch9wavefront6targetE1EEEvSW_
		.amdhsa_group_segment_fixed_size 0
		.amdhsa_private_segment_fixed_size 0
		.amdhsa_kernarg_size 312
		.amdhsa_user_sgpr_count 6
		.amdhsa_user_sgpr_private_segment_buffer 1
		.amdhsa_user_sgpr_dispatch_ptr 0
		.amdhsa_user_sgpr_queue_ptr 0
		.amdhsa_user_sgpr_kernarg_segment_ptr 1
		.amdhsa_user_sgpr_dispatch_id 0
		.amdhsa_user_sgpr_flat_scratch_init 0
		.amdhsa_user_sgpr_private_segment_size 0
		.amdhsa_uses_dynamic_stack 0
		.amdhsa_system_sgpr_private_segment_wavefront_offset 0
		.amdhsa_system_sgpr_workgroup_id_x 1
		.amdhsa_system_sgpr_workgroup_id_y 0
		.amdhsa_system_sgpr_workgroup_id_z 0
		.amdhsa_system_sgpr_workgroup_info 0
		.amdhsa_system_vgpr_workitem_id 0
		.amdhsa_next_free_vgpr 13
		.amdhsa_next_free_sgpr 20
		.amdhsa_reserve_vcc 1
		.amdhsa_reserve_flat_scratch 0
		.amdhsa_float_round_mode_32 0
		.amdhsa_float_round_mode_16_64 0
		.amdhsa_float_denorm_mode_32 3
		.amdhsa_float_denorm_mode_16_64 3
		.amdhsa_dx10_clamp 1
		.amdhsa_ieee_mode 1
		.amdhsa_fp16_overflow 0
		.amdhsa_exception_fp_ieee_invalid_op 0
		.amdhsa_exception_fp_denorm_src 0
		.amdhsa_exception_fp_ieee_div_zero 0
		.amdhsa_exception_fp_ieee_overflow 0
		.amdhsa_exception_fp_ieee_underflow 0
		.amdhsa_exception_fp_ieee_inexact 0
		.amdhsa_exception_int_div_zero 0
	.end_amdhsa_kernel
	.section	.text._ZN7rocprim17ROCPRIM_400000_NS6detail17trampoline_kernelINS0_14default_configENS1_29binary_search_config_selectorIjiEEZNS1_14transform_implILb0ES3_S5_N6thrust23THRUST_200600_302600_NS6detail15normal_iteratorINS8_7pointerIjNS8_11hip_rocprim5par_tENS8_11use_defaultESE_EEEENSA_INSB_IiSD_SE_SE_EEEEZNS1_13binary_searchIS3_S5_PjSG_SI_NS1_16binary_search_opENS9_16wrapped_functionINS8_6system6detail7generic6detail18binary_search_lessEbEEEE10hipError_tPvRmT1_T2_T3_mmT4_T5_P12ihipStream_tbEUlRKjE_EEST_SX_SY_mSZ_S12_bEUlT_E_NS1_11comp_targetILNS1_3genE2ELNS1_11target_archE906ELNS1_3gpuE6ELNS1_3repE0EEENS1_30default_config_static_selectorELNS0_4arch9wavefront6targetE1EEEvSW_,"axG",@progbits,_ZN7rocprim17ROCPRIM_400000_NS6detail17trampoline_kernelINS0_14default_configENS1_29binary_search_config_selectorIjiEEZNS1_14transform_implILb0ES3_S5_N6thrust23THRUST_200600_302600_NS6detail15normal_iteratorINS8_7pointerIjNS8_11hip_rocprim5par_tENS8_11use_defaultESE_EEEENSA_INSB_IiSD_SE_SE_EEEEZNS1_13binary_searchIS3_S5_PjSG_SI_NS1_16binary_search_opENS9_16wrapped_functionINS8_6system6detail7generic6detail18binary_search_lessEbEEEE10hipError_tPvRmT1_T2_T3_mmT4_T5_P12ihipStream_tbEUlRKjE_EEST_SX_SY_mSZ_S12_bEUlT_E_NS1_11comp_targetILNS1_3genE2ELNS1_11target_archE906ELNS1_3gpuE6ELNS1_3repE0EEENS1_30default_config_static_selectorELNS0_4arch9wavefront6targetE1EEEvSW_,comdat
.Lfunc_end277:
	.size	_ZN7rocprim17ROCPRIM_400000_NS6detail17trampoline_kernelINS0_14default_configENS1_29binary_search_config_selectorIjiEEZNS1_14transform_implILb0ES3_S5_N6thrust23THRUST_200600_302600_NS6detail15normal_iteratorINS8_7pointerIjNS8_11hip_rocprim5par_tENS8_11use_defaultESE_EEEENSA_INSB_IiSD_SE_SE_EEEEZNS1_13binary_searchIS3_S5_PjSG_SI_NS1_16binary_search_opENS9_16wrapped_functionINS8_6system6detail7generic6detail18binary_search_lessEbEEEE10hipError_tPvRmT1_T2_T3_mmT4_T5_P12ihipStream_tbEUlRKjE_EEST_SX_SY_mSZ_S12_bEUlT_E_NS1_11comp_targetILNS1_3genE2ELNS1_11target_archE906ELNS1_3gpuE6ELNS1_3repE0EEENS1_30default_config_static_selectorELNS0_4arch9wavefront6targetE1EEEvSW_, .Lfunc_end277-_ZN7rocprim17ROCPRIM_400000_NS6detail17trampoline_kernelINS0_14default_configENS1_29binary_search_config_selectorIjiEEZNS1_14transform_implILb0ES3_S5_N6thrust23THRUST_200600_302600_NS6detail15normal_iteratorINS8_7pointerIjNS8_11hip_rocprim5par_tENS8_11use_defaultESE_EEEENSA_INSB_IiSD_SE_SE_EEEEZNS1_13binary_searchIS3_S5_PjSG_SI_NS1_16binary_search_opENS9_16wrapped_functionINS8_6system6detail7generic6detail18binary_search_lessEbEEEE10hipError_tPvRmT1_T2_T3_mmT4_T5_P12ihipStream_tbEUlRKjE_EEST_SX_SY_mSZ_S12_bEUlT_E_NS1_11comp_targetILNS1_3genE2ELNS1_11target_archE906ELNS1_3gpuE6ELNS1_3repE0EEENS1_30default_config_static_selectorELNS0_4arch9wavefront6targetE1EEEvSW_
                                        ; -- End function
	.set _ZN7rocprim17ROCPRIM_400000_NS6detail17trampoline_kernelINS0_14default_configENS1_29binary_search_config_selectorIjiEEZNS1_14transform_implILb0ES3_S5_N6thrust23THRUST_200600_302600_NS6detail15normal_iteratorINS8_7pointerIjNS8_11hip_rocprim5par_tENS8_11use_defaultESE_EEEENSA_INSB_IiSD_SE_SE_EEEEZNS1_13binary_searchIS3_S5_PjSG_SI_NS1_16binary_search_opENS9_16wrapped_functionINS8_6system6detail7generic6detail18binary_search_lessEbEEEE10hipError_tPvRmT1_T2_T3_mmT4_T5_P12ihipStream_tbEUlRKjE_EEST_SX_SY_mSZ_S12_bEUlT_E_NS1_11comp_targetILNS1_3genE2ELNS1_11target_archE906ELNS1_3gpuE6ELNS1_3repE0EEENS1_30default_config_static_selectorELNS0_4arch9wavefront6targetE1EEEvSW_.num_vgpr, 13
	.set _ZN7rocprim17ROCPRIM_400000_NS6detail17trampoline_kernelINS0_14default_configENS1_29binary_search_config_selectorIjiEEZNS1_14transform_implILb0ES3_S5_N6thrust23THRUST_200600_302600_NS6detail15normal_iteratorINS8_7pointerIjNS8_11hip_rocprim5par_tENS8_11use_defaultESE_EEEENSA_INSB_IiSD_SE_SE_EEEEZNS1_13binary_searchIS3_S5_PjSG_SI_NS1_16binary_search_opENS9_16wrapped_functionINS8_6system6detail7generic6detail18binary_search_lessEbEEEE10hipError_tPvRmT1_T2_T3_mmT4_T5_P12ihipStream_tbEUlRKjE_EEST_SX_SY_mSZ_S12_bEUlT_E_NS1_11comp_targetILNS1_3genE2ELNS1_11target_archE906ELNS1_3gpuE6ELNS1_3repE0EEENS1_30default_config_static_selectorELNS0_4arch9wavefront6targetE1EEEvSW_.num_agpr, 0
	.set _ZN7rocprim17ROCPRIM_400000_NS6detail17trampoline_kernelINS0_14default_configENS1_29binary_search_config_selectorIjiEEZNS1_14transform_implILb0ES3_S5_N6thrust23THRUST_200600_302600_NS6detail15normal_iteratorINS8_7pointerIjNS8_11hip_rocprim5par_tENS8_11use_defaultESE_EEEENSA_INSB_IiSD_SE_SE_EEEEZNS1_13binary_searchIS3_S5_PjSG_SI_NS1_16binary_search_opENS9_16wrapped_functionINS8_6system6detail7generic6detail18binary_search_lessEbEEEE10hipError_tPvRmT1_T2_T3_mmT4_T5_P12ihipStream_tbEUlRKjE_EEST_SX_SY_mSZ_S12_bEUlT_E_NS1_11comp_targetILNS1_3genE2ELNS1_11target_archE906ELNS1_3gpuE6ELNS1_3repE0EEENS1_30default_config_static_selectorELNS0_4arch9wavefront6targetE1EEEvSW_.numbered_sgpr, 20
	.set _ZN7rocprim17ROCPRIM_400000_NS6detail17trampoline_kernelINS0_14default_configENS1_29binary_search_config_selectorIjiEEZNS1_14transform_implILb0ES3_S5_N6thrust23THRUST_200600_302600_NS6detail15normal_iteratorINS8_7pointerIjNS8_11hip_rocprim5par_tENS8_11use_defaultESE_EEEENSA_INSB_IiSD_SE_SE_EEEEZNS1_13binary_searchIS3_S5_PjSG_SI_NS1_16binary_search_opENS9_16wrapped_functionINS8_6system6detail7generic6detail18binary_search_lessEbEEEE10hipError_tPvRmT1_T2_T3_mmT4_T5_P12ihipStream_tbEUlRKjE_EEST_SX_SY_mSZ_S12_bEUlT_E_NS1_11comp_targetILNS1_3genE2ELNS1_11target_archE906ELNS1_3gpuE6ELNS1_3repE0EEENS1_30default_config_static_selectorELNS0_4arch9wavefront6targetE1EEEvSW_.num_named_barrier, 0
	.set _ZN7rocprim17ROCPRIM_400000_NS6detail17trampoline_kernelINS0_14default_configENS1_29binary_search_config_selectorIjiEEZNS1_14transform_implILb0ES3_S5_N6thrust23THRUST_200600_302600_NS6detail15normal_iteratorINS8_7pointerIjNS8_11hip_rocprim5par_tENS8_11use_defaultESE_EEEENSA_INSB_IiSD_SE_SE_EEEEZNS1_13binary_searchIS3_S5_PjSG_SI_NS1_16binary_search_opENS9_16wrapped_functionINS8_6system6detail7generic6detail18binary_search_lessEbEEEE10hipError_tPvRmT1_T2_T3_mmT4_T5_P12ihipStream_tbEUlRKjE_EEST_SX_SY_mSZ_S12_bEUlT_E_NS1_11comp_targetILNS1_3genE2ELNS1_11target_archE906ELNS1_3gpuE6ELNS1_3repE0EEENS1_30default_config_static_selectorELNS0_4arch9wavefront6targetE1EEEvSW_.private_seg_size, 0
	.set _ZN7rocprim17ROCPRIM_400000_NS6detail17trampoline_kernelINS0_14default_configENS1_29binary_search_config_selectorIjiEEZNS1_14transform_implILb0ES3_S5_N6thrust23THRUST_200600_302600_NS6detail15normal_iteratorINS8_7pointerIjNS8_11hip_rocprim5par_tENS8_11use_defaultESE_EEEENSA_INSB_IiSD_SE_SE_EEEEZNS1_13binary_searchIS3_S5_PjSG_SI_NS1_16binary_search_opENS9_16wrapped_functionINS8_6system6detail7generic6detail18binary_search_lessEbEEEE10hipError_tPvRmT1_T2_T3_mmT4_T5_P12ihipStream_tbEUlRKjE_EEST_SX_SY_mSZ_S12_bEUlT_E_NS1_11comp_targetILNS1_3genE2ELNS1_11target_archE906ELNS1_3gpuE6ELNS1_3repE0EEENS1_30default_config_static_selectorELNS0_4arch9wavefront6targetE1EEEvSW_.uses_vcc, 1
	.set _ZN7rocprim17ROCPRIM_400000_NS6detail17trampoline_kernelINS0_14default_configENS1_29binary_search_config_selectorIjiEEZNS1_14transform_implILb0ES3_S5_N6thrust23THRUST_200600_302600_NS6detail15normal_iteratorINS8_7pointerIjNS8_11hip_rocprim5par_tENS8_11use_defaultESE_EEEENSA_INSB_IiSD_SE_SE_EEEEZNS1_13binary_searchIS3_S5_PjSG_SI_NS1_16binary_search_opENS9_16wrapped_functionINS8_6system6detail7generic6detail18binary_search_lessEbEEEE10hipError_tPvRmT1_T2_T3_mmT4_T5_P12ihipStream_tbEUlRKjE_EEST_SX_SY_mSZ_S12_bEUlT_E_NS1_11comp_targetILNS1_3genE2ELNS1_11target_archE906ELNS1_3gpuE6ELNS1_3repE0EEENS1_30default_config_static_selectorELNS0_4arch9wavefront6targetE1EEEvSW_.uses_flat_scratch, 0
	.set _ZN7rocprim17ROCPRIM_400000_NS6detail17trampoline_kernelINS0_14default_configENS1_29binary_search_config_selectorIjiEEZNS1_14transform_implILb0ES3_S5_N6thrust23THRUST_200600_302600_NS6detail15normal_iteratorINS8_7pointerIjNS8_11hip_rocprim5par_tENS8_11use_defaultESE_EEEENSA_INSB_IiSD_SE_SE_EEEEZNS1_13binary_searchIS3_S5_PjSG_SI_NS1_16binary_search_opENS9_16wrapped_functionINS8_6system6detail7generic6detail18binary_search_lessEbEEEE10hipError_tPvRmT1_T2_T3_mmT4_T5_P12ihipStream_tbEUlRKjE_EEST_SX_SY_mSZ_S12_bEUlT_E_NS1_11comp_targetILNS1_3genE2ELNS1_11target_archE906ELNS1_3gpuE6ELNS1_3repE0EEENS1_30default_config_static_selectorELNS0_4arch9wavefront6targetE1EEEvSW_.has_dyn_sized_stack, 0
	.set _ZN7rocprim17ROCPRIM_400000_NS6detail17trampoline_kernelINS0_14default_configENS1_29binary_search_config_selectorIjiEEZNS1_14transform_implILb0ES3_S5_N6thrust23THRUST_200600_302600_NS6detail15normal_iteratorINS8_7pointerIjNS8_11hip_rocprim5par_tENS8_11use_defaultESE_EEEENSA_INSB_IiSD_SE_SE_EEEEZNS1_13binary_searchIS3_S5_PjSG_SI_NS1_16binary_search_opENS9_16wrapped_functionINS8_6system6detail7generic6detail18binary_search_lessEbEEEE10hipError_tPvRmT1_T2_T3_mmT4_T5_P12ihipStream_tbEUlRKjE_EEST_SX_SY_mSZ_S12_bEUlT_E_NS1_11comp_targetILNS1_3genE2ELNS1_11target_archE906ELNS1_3gpuE6ELNS1_3repE0EEENS1_30default_config_static_selectorELNS0_4arch9wavefront6targetE1EEEvSW_.has_recursion, 0
	.set _ZN7rocprim17ROCPRIM_400000_NS6detail17trampoline_kernelINS0_14default_configENS1_29binary_search_config_selectorIjiEEZNS1_14transform_implILb0ES3_S5_N6thrust23THRUST_200600_302600_NS6detail15normal_iteratorINS8_7pointerIjNS8_11hip_rocprim5par_tENS8_11use_defaultESE_EEEENSA_INSB_IiSD_SE_SE_EEEEZNS1_13binary_searchIS3_S5_PjSG_SI_NS1_16binary_search_opENS9_16wrapped_functionINS8_6system6detail7generic6detail18binary_search_lessEbEEEE10hipError_tPvRmT1_T2_T3_mmT4_T5_P12ihipStream_tbEUlRKjE_EEST_SX_SY_mSZ_S12_bEUlT_E_NS1_11comp_targetILNS1_3genE2ELNS1_11target_archE906ELNS1_3gpuE6ELNS1_3repE0EEENS1_30default_config_static_selectorELNS0_4arch9wavefront6targetE1EEEvSW_.has_indirect_call, 0
	.section	.AMDGPU.csdata,"",@progbits
; Kernel info:
; codeLenInByte = 688
; TotalNumSgprs: 24
; NumVgprs: 13
; ScratchSize: 0
; MemoryBound: 0
; FloatMode: 240
; IeeeMode: 1
; LDSByteSize: 0 bytes/workgroup (compile time only)
; SGPRBlocks: 2
; VGPRBlocks: 3
; NumSGPRsForWavesPerEU: 24
; NumVGPRsForWavesPerEU: 13
; Occupancy: 10
; WaveLimiterHint : 0
; COMPUTE_PGM_RSRC2:SCRATCH_EN: 0
; COMPUTE_PGM_RSRC2:USER_SGPR: 6
; COMPUTE_PGM_RSRC2:TRAP_HANDLER: 0
; COMPUTE_PGM_RSRC2:TGID_X_EN: 1
; COMPUTE_PGM_RSRC2:TGID_Y_EN: 0
; COMPUTE_PGM_RSRC2:TGID_Z_EN: 0
; COMPUTE_PGM_RSRC2:TIDIG_COMP_CNT: 0
	.section	.text._ZN7rocprim17ROCPRIM_400000_NS6detail17trampoline_kernelINS0_14default_configENS1_29binary_search_config_selectorIjiEEZNS1_14transform_implILb0ES3_S5_N6thrust23THRUST_200600_302600_NS6detail15normal_iteratorINS8_7pointerIjNS8_11hip_rocprim5par_tENS8_11use_defaultESE_EEEENSA_INSB_IiSD_SE_SE_EEEEZNS1_13binary_searchIS3_S5_PjSG_SI_NS1_16binary_search_opENS9_16wrapped_functionINS8_6system6detail7generic6detail18binary_search_lessEbEEEE10hipError_tPvRmT1_T2_T3_mmT4_T5_P12ihipStream_tbEUlRKjE_EEST_SX_SY_mSZ_S12_bEUlT_E_NS1_11comp_targetILNS1_3genE10ELNS1_11target_archE1201ELNS1_3gpuE5ELNS1_3repE0EEENS1_30default_config_static_selectorELNS0_4arch9wavefront6targetE1EEEvSW_,"axG",@progbits,_ZN7rocprim17ROCPRIM_400000_NS6detail17trampoline_kernelINS0_14default_configENS1_29binary_search_config_selectorIjiEEZNS1_14transform_implILb0ES3_S5_N6thrust23THRUST_200600_302600_NS6detail15normal_iteratorINS8_7pointerIjNS8_11hip_rocprim5par_tENS8_11use_defaultESE_EEEENSA_INSB_IiSD_SE_SE_EEEEZNS1_13binary_searchIS3_S5_PjSG_SI_NS1_16binary_search_opENS9_16wrapped_functionINS8_6system6detail7generic6detail18binary_search_lessEbEEEE10hipError_tPvRmT1_T2_T3_mmT4_T5_P12ihipStream_tbEUlRKjE_EEST_SX_SY_mSZ_S12_bEUlT_E_NS1_11comp_targetILNS1_3genE10ELNS1_11target_archE1201ELNS1_3gpuE5ELNS1_3repE0EEENS1_30default_config_static_selectorELNS0_4arch9wavefront6targetE1EEEvSW_,comdat
	.protected	_ZN7rocprim17ROCPRIM_400000_NS6detail17trampoline_kernelINS0_14default_configENS1_29binary_search_config_selectorIjiEEZNS1_14transform_implILb0ES3_S5_N6thrust23THRUST_200600_302600_NS6detail15normal_iteratorINS8_7pointerIjNS8_11hip_rocprim5par_tENS8_11use_defaultESE_EEEENSA_INSB_IiSD_SE_SE_EEEEZNS1_13binary_searchIS3_S5_PjSG_SI_NS1_16binary_search_opENS9_16wrapped_functionINS8_6system6detail7generic6detail18binary_search_lessEbEEEE10hipError_tPvRmT1_T2_T3_mmT4_T5_P12ihipStream_tbEUlRKjE_EEST_SX_SY_mSZ_S12_bEUlT_E_NS1_11comp_targetILNS1_3genE10ELNS1_11target_archE1201ELNS1_3gpuE5ELNS1_3repE0EEENS1_30default_config_static_selectorELNS0_4arch9wavefront6targetE1EEEvSW_ ; -- Begin function _ZN7rocprim17ROCPRIM_400000_NS6detail17trampoline_kernelINS0_14default_configENS1_29binary_search_config_selectorIjiEEZNS1_14transform_implILb0ES3_S5_N6thrust23THRUST_200600_302600_NS6detail15normal_iteratorINS8_7pointerIjNS8_11hip_rocprim5par_tENS8_11use_defaultESE_EEEENSA_INSB_IiSD_SE_SE_EEEEZNS1_13binary_searchIS3_S5_PjSG_SI_NS1_16binary_search_opENS9_16wrapped_functionINS8_6system6detail7generic6detail18binary_search_lessEbEEEE10hipError_tPvRmT1_T2_T3_mmT4_T5_P12ihipStream_tbEUlRKjE_EEST_SX_SY_mSZ_S12_bEUlT_E_NS1_11comp_targetILNS1_3genE10ELNS1_11target_archE1201ELNS1_3gpuE5ELNS1_3repE0EEENS1_30default_config_static_selectorELNS0_4arch9wavefront6targetE1EEEvSW_
	.globl	_ZN7rocprim17ROCPRIM_400000_NS6detail17trampoline_kernelINS0_14default_configENS1_29binary_search_config_selectorIjiEEZNS1_14transform_implILb0ES3_S5_N6thrust23THRUST_200600_302600_NS6detail15normal_iteratorINS8_7pointerIjNS8_11hip_rocprim5par_tENS8_11use_defaultESE_EEEENSA_INSB_IiSD_SE_SE_EEEEZNS1_13binary_searchIS3_S5_PjSG_SI_NS1_16binary_search_opENS9_16wrapped_functionINS8_6system6detail7generic6detail18binary_search_lessEbEEEE10hipError_tPvRmT1_T2_T3_mmT4_T5_P12ihipStream_tbEUlRKjE_EEST_SX_SY_mSZ_S12_bEUlT_E_NS1_11comp_targetILNS1_3genE10ELNS1_11target_archE1201ELNS1_3gpuE5ELNS1_3repE0EEENS1_30default_config_static_selectorELNS0_4arch9wavefront6targetE1EEEvSW_
	.p2align	8
	.type	_ZN7rocprim17ROCPRIM_400000_NS6detail17trampoline_kernelINS0_14default_configENS1_29binary_search_config_selectorIjiEEZNS1_14transform_implILb0ES3_S5_N6thrust23THRUST_200600_302600_NS6detail15normal_iteratorINS8_7pointerIjNS8_11hip_rocprim5par_tENS8_11use_defaultESE_EEEENSA_INSB_IiSD_SE_SE_EEEEZNS1_13binary_searchIS3_S5_PjSG_SI_NS1_16binary_search_opENS9_16wrapped_functionINS8_6system6detail7generic6detail18binary_search_lessEbEEEE10hipError_tPvRmT1_T2_T3_mmT4_T5_P12ihipStream_tbEUlRKjE_EEST_SX_SY_mSZ_S12_bEUlT_E_NS1_11comp_targetILNS1_3genE10ELNS1_11target_archE1201ELNS1_3gpuE5ELNS1_3repE0EEENS1_30default_config_static_selectorELNS0_4arch9wavefront6targetE1EEEvSW_,@function
_ZN7rocprim17ROCPRIM_400000_NS6detail17trampoline_kernelINS0_14default_configENS1_29binary_search_config_selectorIjiEEZNS1_14transform_implILb0ES3_S5_N6thrust23THRUST_200600_302600_NS6detail15normal_iteratorINS8_7pointerIjNS8_11hip_rocprim5par_tENS8_11use_defaultESE_EEEENSA_INSB_IiSD_SE_SE_EEEEZNS1_13binary_searchIS3_S5_PjSG_SI_NS1_16binary_search_opENS9_16wrapped_functionINS8_6system6detail7generic6detail18binary_search_lessEbEEEE10hipError_tPvRmT1_T2_T3_mmT4_T5_P12ihipStream_tbEUlRKjE_EEST_SX_SY_mSZ_S12_bEUlT_E_NS1_11comp_targetILNS1_3genE10ELNS1_11target_archE1201ELNS1_3gpuE5ELNS1_3repE0EEENS1_30default_config_static_selectorELNS0_4arch9wavefront6targetE1EEEvSW_: ; @_ZN7rocprim17ROCPRIM_400000_NS6detail17trampoline_kernelINS0_14default_configENS1_29binary_search_config_selectorIjiEEZNS1_14transform_implILb0ES3_S5_N6thrust23THRUST_200600_302600_NS6detail15normal_iteratorINS8_7pointerIjNS8_11hip_rocprim5par_tENS8_11use_defaultESE_EEEENSA_INSB_IiSD_SE_SE_EEEEZNS1_13binary_searchIS3_S5_PjSG_SI_NS1_16binary_search_opENS9_16wrapped_functionINS8_6system6detail7generic6detail18binary_search_lessEbEEEE10hipError_tPvRmT1_T2_T3_mmT4_T5_P12ihipStream_tbEUlRKjE_EEST_SX_SY_mSZ_S12_bEUlT_E_NS1_11comp_targetILNS1_3genE10ELNS1_11target_archE1201ELNS1_3gpuE5ELNS1_3repE0EEENS1_30default_config_static_selectorELNS0_4arch9wavefront6targetE1EEEvSW_
; %bb.0:
	.section	.rodata,"a",@progbits
	.p2align	6, 0x0
	.amdhsa_kernel _ZN7rocprim17ROCPRIM_400000_NS6detail17trampoline_kernelINS0_14default_configENS1_29binary_search_config_selectorIjiEEZNS1_14transform_implILb0ES3_S5_N6thrust23THRUST_200600_302600_NS6detail15normal_iteratorINS8_7pointerIjNS8_11hip_rocprim5par_tENS8_11use_defaultESE_EEEENSA_INSB_IiSD_SE_SE_EEEEZNS1_13binary_searchIS3_S5_PjSG_SI_NS1_16binary_search_opENS9_16wrapped_functionINS8_6system6detail7generic6detail18binary_search_lessEbEEEE10hipError_tPvRmT1_T2_T3_mmT4_T5_P12ihipStream_tbEUlRKjE_EEST_SX_SY_mSZ_S12_bEUlT_E_NS1_11comp_targetILNS1_3genE10ELNS1_11target_archE1201ELNS1_3gpuE5ELNS1_3repE0EEENS1_30default_config_static_selectorELNS0_4arch9wavefront6targetE1EEEvSW_
		.amdhsa_group_segment_fixed_size 0
		.amdhsa_private_segment_fixed_size 0
		.amdhsa_kernarg_size 56
		.amdhsa_user_sgpr_count 6
		.amdhsa_user_sgpr_private_segment_buffer 1
		.amdhsa_user_sgpr_dispatch_ptr 0
		.amdhsa_user_sgpr_queue_ptr 0
		.amdhsa_user_sgpr_kernarg_segment_ptr 1
		.amdhsa_user_sgpr_dispatch_id 0
		.amdhsa_user_sgpr_flat_scratch_init 0
		.amdhsa_user_sgpr_private_segment_size 0
		.amdhsa_uses_dynamic_stack 0
		.amdhsa_system_sgpr_private_segment_wavefront_offset 0
		.amdhsa_system_sgpr_workgroup_id_x 1
		.amdhsa_system_sgpr_workgroup_id_y 0
		.amdhsa_system_sgpr_workgroup_id_z 0
		.amdhsa_system_sgpr_workgroup_info 0
		.amdhsa_system_vgpr_workitem_id 0
		.amdhsa_next_free_vgpr 1
		.amdhsa_next_free_sgpr 0
		.amdhsa_reserve_vcc 0
		.amdhsa_reserve_flat_scratch 0
		.amdhsa_float_round_mode_32 0
		.amdhsa_float_round_mode_16_64 0
		.amdhsa_float_denorm_mode_32 3
		.amdhsa_float_denorm_mode_16_64 3
		.amdhsa_dx10_clamp 1
		.amdhsa_ieee_mode 1
		.amdhsa_fp16_overflow 0
		.amdhsa_exception_fp_ieee_invalid_op 0
		.amdhsa_exception_fp_denorm_src 0
		.amdhsa_exception_fp_ieee_div_zero 0
		.amdhsa_exception_fp_ieee_overflow 0
		.amdhsa_exception_fp_ieee_underflow 0
		.amdhsa_exception_fp_ieee_inexact 0
		.amdhsa_exception_int_div_zero 0
	.end_amdhsa_kernel
	.section	.text._ZN7rocprim17ROCPRIM_400000_NS6detail17trampoline_kernelINS0_14default_configENS1_29binary_search_config_selectorIjiEEZNS1_14transform_implILb0ES3_S5_N6thrust23THRUST_200600_302600_NS6detail15normal_iteratorINS8_7pointerIjNS8_11hip_rocprim5par_tENS8_11use_defaultESE_EEEENSA_INSB_IiSD_SE_SE_EEEEZNS1_13binary_searchIS3_S5_PjSG_SI_NS1_16binary_search_opENS9_16wrapped_functionINS8_6system6detail7generic6detail18binary_search_lessEbEEEE10hipError_tPvRmT1_T2_T3_mmT4_T5_P12ihipStream_tbEUlRKjE_EEST_SX_SY_mSZ_S12_bEUlT_E_NS1_11comp_targetILNS1_3genE10ELNS1_11target_archE1201ELNS1_3gpuE5ELNS1_3repE0EEENS1_30default_config_static_selectorELNS0_4arch9wavefront6targetE1EEEvSW_,"axG",@progbits,_ZN7rocprim17ROCPRIM_400000_NS6detail17trampoline_kernelINS0_14default_configENS1_29binary_search_config_selectorIjiEEZNS1_14transform_implILb0ES3_S5_N6thrust23THRUST_200600_302600_NS6detail15normal_iteratorINS8_7pointerIjNS8_11hip_rocprim5par_tENS8_11use_defaultESE_EEEENSA_INSB_IiSD_SE_SE_EEEEZNS1_13binary_searchIS3_S5_PjSG_SI_NS1_16binary_search_opENS9_16wrapped_functionINS8_6system6detail7generic6detail18binary_search_lessEbEEEE10hipError_tPvRmT1_T2_T3_mmT4_T5_P12ihipStream_tbEUlRKjE_EEST_SX_SY_mSZ_S12_bEUlT_E_NS1_11comp_targetILNS1_3genE10ELNS1_11target_archE1201ELNS1_3gpuE5ELNS1_3repE0EEENS1_30default_config_static_selectorELNS0_4arch9wavefront6targetE1EEEvSW_,comdat
.Lfunc_end278:
	.size	_ZN7rocprim17ROCPRIM_400000_NS6detail17trampoline_kernelINS0_14default_configENS1_29binary_search_config_selectorIjiEEZNS1_14transform_implILb0ES3_S5_N6thrust23THRUST_200600_302600_NS6detail15normal_iteratorINS8_7pointerIjNS8_11hip_rocprim5par_tENS8_11use_defaultESE_EEEENSA_INSB_IiSD_SE_SE_EEEEZNS1_13binary_searchIS3_S5_PjSG_SI_NS1_16binary_search_opENS9_16wrapped_functionINS8_6system6detail7generic6detail18binary_search_lessEbEEEE10hipError_tPvRmT1_T2_T3_mmT4_T5_P12ihipStream_tbEUlRKjE_EEST_SX_SY_mSZ_S12_bEUlT_E_NS1_11comp_targetILNS1_3genE10ELNS1_11target_archE1201ELNS1_3gpuE5ELNS1_3repE0EEENS1_30default_config_static_selectorELNS0_4arch9wavefront6targetE1EEEvSW_, .Lfunc_end278-_ZN7rocprim17ROCPRIM_400000_NS6detail17trampoline_kernelINS0_14default_configENS1_29binary_search_config_selectorIjiEEZNS1_14transform_implILb0ES3_S5_N6thrust23THRUST_200600_302600_NS6detail15normal_iteratorINS8_7pointerIjNS8_11hip_rocprim5par_tENS8_11use_defaultESE_EEEENSA_INSB_IiSD_SE_SE_EEEEZNS1_13binary_searchIS3_S5_PjSG_SI_NS1_16binary_search_opENS9_16wrapped_functionINS8_6system6detail7generic6detail18binary_search_lessEbEEEE10hipError_tPvRmT1_T2_T3_mmT4_T5_P12ihipStream_tbEUlRKjE_EEST_SX_SY_mSZ_S12_bEUlT_E_NS1_11comp_targetILNS1_3genE10ELNS1_11target_archE1201ELNS1_3gpuE5ELNS1_3repE0EEENS1_30default_config_static_selectorELNS0_4arch9wavefront6targetE1EEEvSW_
                                        ; -- End function
	.set _ZN7rocprim17ROCPRIM_400000_NS6detail17trampoline_kernelINS0_14default_configENS1_29binary_search_config_selectorIjiEEZNS1_14transform_implILb0ES3_S5_N6thrust23THRUST_200600_302600_NS6detail15normal_iteratorINS8_7pointerIjNS8_11hip_rocprim5par_tENS8_11use_defaultESE_EEEENSA_INSB_IiSD_SE_SE_EEEEZNS1_13binary_searchIS3_S5_PjSG_SI_NS1_16binary_search_opENS9_16wrapped_functionINS8_6system6detail7generic6detail18binary_search_lessEbEEEE10hipError_tPvRmT1_T2_T3_mmT4_T5_P12ihipStream_tbEUlRKjE_EEST_SX_SY_mSZ_S12_bEUlT_E_NS1_11comp_targetILNS1_3genE10ELNS1_11target_archE1201ELNS1_3gpuE5ELNS1_3repE0EEENS1_30default_config_static_selectorELNS0_4arch9wavefront6targetE1EEEvSW_.num_vgpr, 0
	.set _ZN7rocprim17ROCPRIM_400000_NS6detail17trampoline_kernelINS0_14default_configENS1_29binary_search_config_selectorIjiEEZNS1_14transform_implILb0ES3_S5_N6thrust23THRUST_200600_302600_NS6detail15normal_iteratorINS8_7pointerIjNS8_11hip_rocprim5par_tENS8_11use_defaultESE_EEEENSA_INSB_IiSD_SE_SE_EEEEZNS1_13binary_searchIS3_S5_PjSG_SI_NS1_16binary_search_opENS9_16wrapped_functionINS8_6system6detail7generic6detail18binary_search_lessEbEEEE10hipError_tPvRmT1_T2_T3_mmT4_T5_P12ihipStream_tbEUlRKjE_EEST_SX_SY_mSZ_S12_bEUlT_E_NS1_11comp_targetILNS1_3genE10ELNS1_11target_archE1201ELNS1_3gpuE5ELNS1_3repE0EEENS1_30default_config_static_selectorELNS0_4arch9wavefront6targetE1EEEvSW_.num_agpr, 0
	.set _ZN7rocprim17ROCPRIM_400000_NS6detail17trampoline_kernelINS0_14default_configENS1_29binary_search_config_selectorIjiEEZNS1_14transform_implILb0ES3_S5_N6thrust23THRUST_200600_302600_NS6detail15normal_iteratorINS8_7pointerIjNS8_11hip_rocprim5par_tENS8_11use_defaultESE_EEEENSA_INSB_IiSD_SE_SE_EEEEZNS1_13binary_searchIS3_S5_PjSG_SI_NS1_16binary_search_opENS9_16wrapped_functionINS8_6system6detail7generic6detail18binary_search_lessEbEEEE10hipError_tPvRmT1_T2_T3_mmT4_T5_P12ihipStream_tbEUlRKjE_EEST_SX_SY_mSZ_S12_bEUlT_E_NS1_11comp_targetILNS1_3genE10ELNS1_11target_archE1201ELNS1_3gpuE5ELNS1_3repE0EEENS1_30default_config_static_selectorELNS0_4arch9wavefront6targetE1EEEvSW_.numbered_sgpr, 0
	.set _ZN7rocprim17ROCPRIM_400000_NS6detail17trampoline_kernelINS0_14default_configENS1_29binary_search_config_selectorIjiEEZNS1_14transform_implILb0ES3_S5_N6thrust23THRUST_200600_302600_NS6detail15normal_iteratorINS8_7pointerIjNS8_11hip_rocprim5par_tENS8_11use_defaultESE_EEEENSA_INSB_IiSD_SE_SE_EEEEZNS1_13binary_searchIS3_S5_PjSG_SI_NS1_16binary_search_opENS9_16wrapped_functionINS8_6system6detail7generic6detail18binary_search_lessEbEEEE10hipError_tPvRmT1_T2_T3_mmT4_T5_P12ihipStream_tbEUlRKjE_EEST_SX_SY_mSZ_S12_bEUlT_E_NS1_11comp_targetILNS1_3genE10ELNS1_11target_archE1201ELNS1_3gpuE5ELNS1_3repE0EEENS1_30default_config_static_selectorELNS0_4arch9wavefront6targetE1EEEvSW_.num_named_barrier, 0
	.set _ZN7rocprim17ROCPRIM_400000_NS6detail17trampoline_kernelINS0_14default_configENS1_29binary_search_config_selectorIjiEEZNS1_14transform_implILb0ES3_S5_N6thrust23THRUST_200600_302600_NS6detail15normal_iteratorINS8_7pointerIjNS8_11hip_rocprim5par_tENS8_11use_defaultESE_EEEENSA_INSB_IiSD_SE_SE_EEEEZNS1_13binary_searchIS3_S5_PjSG_SI_NS1_16binary_search_opENS9_16wrapped_functionINS8_6system6detail7generic6detail18binary_search_lessEbEEEE10hipError_tPvRmT1_T2_T3_mmT4_T5_P12ihipStream_tbEUlRKjE_EEST_SX_SY_mSZ_S12_bEUlT_E_NS1_11comp_targetILNS1_3genE10ELNS1_11target_archE1201ELNS1_3gpuE5ELNS1_3repE0EEENS1_30default_config_static_selectorELNS0_4arch9wavefront6targetE1EEEvSW_.private_seg_size, 0
	.set _ZN7rocprim17ROCPRIM_400000_NS6detail17trampoline_kernelINS0_14default_configENS1_29binary_search_config_selectorIjiEEZNS1_14transform_implILb0ES3_S5_N6thrust23THRUST_200600_302600_NS6detail15normal_iteratorINS8_7pointerIjNS8_11hip_rocprim5par_tENS8_11use_defaultESE_EEEENSA_INSB_IiSD_SE_SE_EEEEZNS1_13binary_searchIS3_S5_PjSG_SI_NS1_16binary_search_opENS9_16wrapped_functionINS8_6system6detail7generic6detail18binary_search_lessEbEEEE10hipError_tPvRmT1_T2_T3_mmT4_T5_P12ihipStream_tbEUlRKjE_EEST_SX_SY_mSZ_S12_bEUlT_E_NS1_11comp_targetILNS1_3genE10ELNS1_11target_archE1201ELNS1_3gpuE5ELNS1_3repE0EEENS1_30default_config_static_selectorELNS0_4arch9wavefront6targetE1EEEvSW_.uses_vcc, 0
	.set _ZN7rocprim17ROCPRIM_400000_NS6detail17trampoline_kernelINS0_14default_configENS1_29binary_search_config_selectorIjiEEZNS1_14transform_implILb0ES3_S5_N6thrust23THRUST_200600_302600_NS6detail15normal_iteratorINS8_7pointerIjNS8_11hip_rocprim5par_tENS8_11use_defaultESE_EEEENSA_INSB_IiSD_SE_SE_EEEEZNS1_13binary_searchIS3_S5_PjSG_SI_NS1_16binary_search_opENS9_16wrapped_functionINS8_6system6detail7generic6detail18binary_search_lessEbEEEE10hipError_tPvRmT1_T2_T3_mmT4_T5_P12ihipStream_tbEUlRKjE_EEST_SX_SY_mSZ_S12_bEUlT_E_NS1_11comp_targetILNS1_3genE10ELNS1_11target_archE1201ELNS1_3gpuE5ELNS1_3repE0EEENS1_30default_config_static_selectorELNS0_4arch9wavefront6targetE1EEEvSW_.uses_flat_scratch, 0
	.set _ZN7rocprim17ROCPRIM_400000_NS6detail17trampoline_kernelINS0_14default_configENS1_29binary_search_config_selectorIjiEEZNS1_14transform_implILb0ES3_S5_N6thrust23THRUST_200600_302600_NS6detail15normal_iteratorINS8_7pointerIjNS8_11hip_rocprim5par_tENS8_11use_defaultESE_EEEENSA_INSB_IiSD_SE_SE_EEEEZNS1_13binary_searchIS3_S5_PjSG_SI_NS1_16binary_search_opENS9_16wrapped_functionINS8_6system6detail7generic6detail18binary_search_lessEbEEEE10hipError_tPvRmT1_T2_T3_mmT4_T5_P12ihipStream_tbEUlRKjE_EEST_SX_SY_mSZ_S12_bEUlT_E_NS1_11comp_targetILNS1_3genE10ELNS1_11target_archE1201ELNS1_3gpuE5ELNS1_3repE0EEENS1_30default_config_static_selectorELNS0_4arch9wavefront6targetE1EEEvSW_.has_dyn_sized_stack, 0
	.set _ZN7rocprim17ROCPRIM_400000_NS6detail17trampoline_kernelINS0_14default_configENS1_29binary_search_config_selectorIjiEEZNS1_14transform_implILb0ES3_S5_N6thrust23THRUST_200600_302600_NS6detail15normal_iteratorINS8_7pointerIjNS8_11hip_rocprim5par_tENS8_11use_defaultESE_EEEENSA_INSB_IiSD_SE_SE_EEEEZNS1_13binary_searchIS3_S5_PjSG_SI_NS1_16binary_search_opENS9_16wrapped_functionINS8_6system6detail7generic6detail18binary_search_lessEbEEEE10hipError_tPvRmT1_T2_T3_mmT4_T5_P12ihipStream_tbEUlRKjE_EEST_SX_SY_mSZ_S12_bEUlT_E_NS1_11comp_targetILNS1_3genE10ELNS1_11target_archE1201ELNS1_3gpuE5ELNS1_3repE0EEENS1_30default_config_static_selectorELNS0_4arch9wavefront6targetE1EEEvSW_.has_recursion, 0
	.set _ZN7rocprim17ROCPRIM_400000_NS6detail17trampoline_kernelINS0_14default_configENS1_29binary_search_config_selectorIjiEEZNS1_14transform_implILb0ES3_S5_N6thrust23THRUST_200600_302600_NS6detail15normal_iteratorINS8_7pointerIjNS8_11hip_rocprim5par_tENS8_11use_defaultESE_EEEENSA_INSB_IiSD_SE_SE_EEEEZNS1_13binary_searchIS3_S5_PjSG_SI_NS1_16binary_search_opENS9_16wrapped_functionINS8_6system6detail7generic6detail18binary_search_lessEbEEEE10hipError_tPvRmT1_T2_T3_mmT4_T5_P12ihipStream_tbEUlRKjE_EEST_SX_SY_mSZ_S12_bEUlT_E_NS1_11comp_targetILNS1_3genE10ELNS1_11target_archE1201ELNS1_3gpuE5ELNS1_3repE0EEENS1_30default_config_static_selectorELNS0_4arch9wavefront6targetE1EEEvSW_.has_indirect_call, 0
	.section	.AMDGPU.csdata,"",@progbits
; Kernel info:
; codeLenInByte = 0
; TotalNumSgprs: 4
; NumVgprs: 0
; ScratchSize: 0
; MemoryBound: 0
; FloatMode: 240
; IeeeMode: 1
; LDSByteSize: 0 bytes/workgroup (compile time only)
; SGPRBlocks: 0
; VGPRBlocks: 0
; NumSGPRsForWavesPerEU: 4
; NumVGPRsForWavesPerEU: 1
; Occupancy: 10
; WaveLimiterHint : 0
; COMPUTE_PGM_RSRC2:SCRATCH_EN: 0
; COMPUTE_PGM_RSRC2:USER_SGPR: 6
; COMPUTE_PGM_RSRC2:TRAP_HANDLER: 0
; COMPUTE_PGM_RSRC2:TGID_X_EN: 1
; COMPUTE_PGM_RSRC2:TGID_Y_EN: 0
; COMPUTE_PGM_RSRC2:TGID_Z_EN: 0
; COMPUTE_PGM_RSRC2:TIDIG_COMP_CNT: 0
	.section	.text._ZN7rocprim17ROCPRIM_400000_NS6detail17trampoline_kernelINS0_14default_configENS1_29binary_search_config_selectorIjiEEZNS1_14transform_implILb0ES3_S5_N6thrust23THRUST_200600_302600_NS6detail15normal_iteratorINS8_7pointerIjNS8_11hip_rocprim5par_tENS8_11use_defaultESE_EEEENSA_INSB_IiSD_SE_SE_EEEEZNS1_13binary_searchIS3_S5_PjSG_SI_NS1_16binary_search_opENS9_16wrapped_functionINS8_6system6detail7generic6detail18binary_search_lessEbEEEE10hipError_tPvRmT1_T2_T3_mmT4_T5_P12ihipStream_tbEUlRKjE_EEST_SX_SY_mSZ_S12_bEUlT_E_NS1_11comp_targetILNS1_3genE10ELNS1_11target_archE1200ELNS1_3gpuE4ELNS1_3repE0EEENS1_30default_config_static_selectorELNS0_4arch9wavefront6targetE1EEEvSW_,"axG",@progbits,_ZN7rocprim17ROCPRIM_400000_NS6detail17trampoline_kernelINS0_14default_configENS1_29binary_search_config_selectorIjiEEZNS1_14transform_implILb0ES3_S5_N6thrust23THRUST_200600_302600_NS6detail15normal_iteratorINS8_7pointerIjNS8_11hip_rocprim5par_tENS8_11use_defaultESE_EEEENSA_INSB_IiSD_SE_SE_EEEEZNS1_13binary_searchIS3_S5_PjSG_SI_NS1_16binary_search_opENS9_16wrapped_functionINS8_6system6detail7generic6detail18binary_search_lessEbEEEE10hipError_tPvRmT1_T2_T3_mmT4_T5_P12ihipStream_tbEUlRKjE_EEST_SX_SY_mSZ_S12_bEUlT_E_NS1_11comp_targetILNS1_3genE10ELNS1_11target_archE1200ELNS1_3gpuE4ELNS1_3repE0EEENS1_30default_config_static_selectorELNS0_4arch9wavefront6targetE1EEEvSW_,comdat
	.protected	_ZN7rocprim17ROCPRIM_400000_NS6detail17trampoline_kernelINS0_14default_configENS1_29binary_search_config_selectorIjiEEZNS1_14transform_implILb0ES3_S5_N6thrust23THRUST_200600_302600_NS6detail15normal_iteratorINS8_7pointerIjNS8_11hip_rocprim5par_tENS8_11use_defaultESE_EEEENSA_INSB_IiSD_SE_SE_EEEEZNS1_13binary_searchIS3_S5_PjSG_SI_NS1_16binary_search_opENS9_16wrapped_functionINS8_6system6detail7generic6detail18binary_search_lessEbEEEE10hipError_tPvRmT1_T2_T3_mmT4_T5_P12ihipStream_tbEUlRKjE_EEST_SX_SY_mSZ_S12_bEUlT_E_NS1_11comp_targetILNS1_3genE10ELNS1_11target_archE1200ELNS1_3gpuE4ELNS1_3repE0EEENS1_30default_config_static_selectorELNS0_4arch9wavefront6targetE1EEEvSW_ ; -- Begin function _ZN7rocprim17ROCPRIM_400000_NS6detail17trampoline_kernelINS0_14default_configENS1_29binary_search_config_selectorIjiEEZNS1_14transform_implILb0ES3_S5_N6thrust23THRUST_200600_302600_NS6detail15normal_iteratorINS8_7pointerIjNS8_11hip_rocprim5par_tENS8_11use_defaultESE_EEEENSA_INSB_IiSD_SE_SE_EEEEZNS1_13binary_searchIS3_S5_PjSG_SI_NS1_16binary_search_opENS9_16wrapped_functionINS8_6system6detail7generic6detail18binary_search_lessEbEEEE10hipError_tPvRmT1_T2_T3_mmT4_T5_P12ihipStream_tbEUlRKjE_EEST_SX_SY_mSZ_S12_bEUlT_E_NS1_11comp_targetILNS1_3genE10ELNS1_11target_archE1200ELNS1_3gpuE4ELNS1_3repE0EEENS1_30default_config_static_selectorELNS0_4arch9wavefront6targetE1EEEvSW_
	.globl	_ZN7rocprim17ROCPRIM_400000_NS6detail17trampoline_kernelINS0_14default_configENS1_29binary_search_config_selectorIjiEEZNS1_14transform_implILb0ES3_S5_N6thrust23THRUST_200600_302600_NS6detail15normal_iteratorINS8_7pointerIjNS8_11hip_rocprim5par_tENS8_11use_defaultESE_EEEENSA_INSB_IiSD_SE_SE_EEEEZNS1_13binary_searchIS3_S5_PjSG_SI_NS1_16binary_search_opENS9_16wrapped_functionINS8_6system6detail7generic6detail18binary_search_lessEbEEEE10hipError_tPvRmT1_T2_T3_mmT4_T5_P12ihipStream_tbEUlRKjE_EEST_SX_SY_mSZ_S12_bEUlT_E_NS1_11comp_targetILNS1_3genE10ELNS1_11target_archE1200ELNS1_3gpuE4ELNS1_3repE0EEENS1_30default_config_static_selectorELNS0_4arch9wavefront6targetE1EEEvSW_
	.p2align	8
	.type	_ZN7rocprim17ROCPRIM_400000_NS6detail17trampoline_kernelINS0_14default_configENS1_29binary_search_config_selectorIjiEEZNS1_14transform_implILb0ES3_S5_N6thrust23THRUST_200600_302600_NS6detail15normal_iteratorINS8_7pointerIjNS8_11hip_rocprim5par_tENS8_11use_defaultESE_EEEENSA_INSB_IiSD_SE_SE_EEEEZNS1_13binary_searchIS3_S5_PjSG_SI_NS1_16binary_search_opENS9_16wrapped_functionINS8_6system6detail7generic6detail18binary_search_lessEbEEEE10hipError_tPvRmT1_T2_T3_mmT4_T5_P12ihipStream_tbEUlRKjE_EEST_SX_SY_mSZ_S12_bEUlT_E_NS1_11comp_targetILNS1_3genE10ELNS1_11target_archE1200ELNS1_3gpuE4ELNS1_3repE0EEENS1_30default_config_static_selectorELNS0_4arch9wavefront6targetE1EEEvSW_,@function
_ZN7rocprim17ROCPRIM_400000_NS6detail17trampoline_kernelINS0_14default_configENS1_29binary_search_config_selectorIjiEEZNS1_14transform_implILb0ES3_S5_N6thrust23THRUST_200600_302600_NS6detail15normal_iteratorINS8_7pointerIjNS8_11hip_rocprim5par_tENS8_11use_defaultESE_EEEENSA_INSB_IiSD_SE_SE_EEEEZNS1_13binary_searchIS3_S5_PjSG_SI_NS1_16binary_search_opENS9_16wrapped_functionINS8_6system6detail7generic6detail18binary_search_lessEbEEEE10hipError_tPvRmT1_T2_T3_mmT4_T5_P12ihipStream_tbEUlRKjE_EEST_SX_SY_mSZ_S12_bEUlT_E_NS1_11comp_targetILNS1_3genE10ELNS1_11target_archE1200ELNS1_3gpuE4ELNS1_3repE0EEENS1_30default_config_static_selectorELNS0_4arch9wavefront6targetE1EEEvSW_: ; @_ZN7rocprim17ROCPRIM_400000_NS6detail17trampoline_kernelINS0_14default_configENS1_29binary_search_config_selectorIjiEEZNS1_14transform_implILb0ES3_S5_N6thrust23THRUST_200600_302600_NS6detail15normal_iteratorINS8_7pointerIjNS8_11hip_rocprim5par_tENS8_11use_defaultESE_EEEENSA_INSB_IiSD_SE_SE_EEEEZNS1_13binary_searchIS3_S5_PjSG_SI_NS1_16binary_search_opENS9_16wrapped_functionINS8_6system6detail7generic6detail18binary_search_lessEbEEEE10hipError_tPvRmT1_T2_T3_mmT4_T5_P12ihipStream_tbEUlRKjE_EEST_SX_SY_mSZ_S12_bEUlT_E_NS1_11comp_targetILNS1_3genE10ELNS1_11target_archE1200ELNS1_3gpuE4ELNS1_3repE0EEENS1_30default_config_static_selectorELNS0_4arch9wavefront6targetE1EEEvSW_
; %bb.0:
	.section	.rodata,"a",@progbits
	.p2align	6, 0x0
	.amdhsa_kernel _ZN7rocprim17ROCPRIM_400000_NS6detail17trampoline_kernelINS0_14default_configENS1_29binary_search_config_selectorIjiEEZNS1_14transform_implILb0ES3_S5_N6thrust23THRUST_200600_302600_NS6detail15normal_iteratorINS8_7pointerIjNS8_11hip_rocprim5par_tENS8_11use_defaultESE_EEEENSA_INSB_IiSD_SE_SE_EEEEZNS1_13binary_searchIS3_S5_PjSG_SI_NS1_16binary_search_opENS9_16wrapped_functionINS8_6system6detail7generic6detail18binary_search_lessEbEEEE10hipError_tPvRmT1_T2_T3_mmT4_T5_P12ihipStream_tbEUlRKjE_EEST_SX_SY_mSZ_S12_bEUlT_E_NS1_11comp_targetILNS1_3genE10ELNS1_11target_archE1200ELNS1_3gpuE4ELNS1_3repE0EEENS1_30default_config_static_selectorELNS0_4arch9wavefront6targetE1EEEvSW_
		.amdhsa_group_segment_fixed_size 0
		.amdhsa_private_segment_fixed_size 0
		.amdhsa_kernarg_size 56
		.amdhsa_user_sgpr_count 6
		.amdhsa_user_sgpr_private_segment_buffer 1
		.amdhsa_user_sgpr_dispatch_ptr 0
		.amdhsa_user_sgpr_queue_ptr 0
		.amdhsa_user_sgpr_kernarg_segment_ptr 1
		.amdhsa_user_sgpr_dispatch_id 0
		.amdhsa_user_sgpr_flat_scratch_init 0
		.amdhsa_user_sgpr_private_segment_size 0
		.amdhsa_uses_dynamic_stack 0
		.amdhsa_system_sgpr_private_segment_wavefront_offset 0
		.amdhsa_system_sgpr_workgroup_id_x 1
		.amdhsa_system_sgpr_workgroup_id_y 0
		.amdhsa_system_sgpr_workgroup_id_z 0
		.amdhsa_system_sgpr_workgroup_info 0
		.amdhsa_system_vgpr_workitem_id 0
		.amdhsa_next_free_vgpr 1
		.amdhsa_next_free_sgpr 0
		.amdhsa_reserve_vcc 0
		.amdhsa_reserve_flat_scratch 0
		.amdhsa_float_round_mode_32 0
		.amdhsa_float_round_mode_16_64 0
		.amdhsa_float_denorm_mode_32 3
		.amdhsa_float_denorm_mode_16_64 3
		.amdhsa_dx10_clamp 1
		.amdhsa_ieee_mode 1
		.amdhsa_fp16_overflow 0
		.amdhsa_exception_fp_ieee_invalid_op 0
		.amdhsa_exception_fp_denorm_src 0
		.amdhsa_exception_fp_ieee_div_zero 0
		.amdhsa_exception_fp_ieee_overflow 0
		.amdhsa_exception_fp_ieee_underflow 0
		.amdhsa_exception_fp_ieee_inexact 0
		.amdhsa_exception_int_div_zero 0
	.end_amdhsa_kernel
	.section	.text._ZN7rocprim17ROCPRIM_400000_NS6detail17trampoline_kernelINS0_14default_configENS1_29binary_search_config_selectorIjiEEZNS1_14transform_implILb0ES3_S5_N6thrust23THRUST_200600_302600_NS6detail15normal_iteratorINS8_7pointerIjNS8_11hip_rocprim5par_tENS8_11use_defaultESE_EEEENSA_INSB_IiSD_SE_SE_EEEEZNS1_13binary_searchIS3_S5_PjSG_SI_NS1_16binary_search_opENS9_16wrapped_functionINS8_6system6detail7generic6detail18binary_search_lessEbEEEE10hipError_tPvRmT1_T2_T3_mmT4_T5_P12ihipStream_tbEUlRKjE_EEST_SX_SY_mSZ_S12_bEUlT_E_NS1_11comp_targetILNS1_3genE10ELNS1_11target_archE1200ELNS1_3gpuE4ELNS1_3repE0EEENS1_30default_config_static_selectorELNS0_4arch9wavefront6targetE1EEEvSW_,"axG",@progbits,_ZN7rocprim17ROCPRIM_400000_NS6detail17trampoline_kernelINS0_14default_configENS1_29binary_search_config_selectorIjiEEZNS1_14transform_implILb0ES3_S5_N6thrust23THRUST_200600_302600_NS6detail15normal_iteratorINS8_7pointerIjNS8_11hip_rocprim5par_tENS8_11use_defaultESE_EEEENSA_INSB_IiSD_SE_SE_EEEEZNS1_13binary_searchIS3_S5_PjSG_SI_NS1_16binary_search_opENS9_16wrapped_functionINS8_6system6detail7generic6detail18binary_search_lessEbEEEE10hipError_tPvRmT1_T2_T3_mmT4_T5_P12ihipStream_tbEUlRKjE_EEST_SX_SY_mSZ_S12_bEUlT_E_NS1_11comp_targetILNS1_3genE10ELNS1_11target_archE1200ELNS1_3gpuE4ELNS1_3repE0EEENS1_30default_config_static_selectorELNS0_4arch9wavefront6targetE1EEEvSW_,comdat
.Lfunc_end279:
	.size	_ZN7rocprim17ROCPRIM_400000_NS6detail17trampoline_kernelINS0_14default_configENS1_29binary_search_config_selectorIjiEEZNS1_14transform_implILb0ES3_S5_N6thrust23THRUST_200600_302600_NS6detail15normal_iteratorINS8_7pointerIjNS8_11hip_rocprim5par_tENS8_11use_defaultESE_EEEENSA_INSB_IiSD_SE_SE_EEEEZNS1_13binary_searchIS3_S5_PjSG_SI_NS1_16binary_search_opENS9_16wrapped_functionINS8_6system6detail7generic6detail18binary_search_lessEbEEEE10hipError_tPvRmT1_T2_T3_mmT4_T5_P12ihipStream_tbEUlRKjE_EEST_SX_SY_mSZ_S12_bEUlT_E_NS1_11comp_targetILNS1_3genE10ELNS1_11target_archE1200ELNS1_3gpuE4ELNS1_3repE0EEENS1_30default_config_static_selectorELNS0_4arch9wavefront6targetE1EEEvSW_, .Lfunc_end279-_ZN7rocprim17ROCPRIM_400000_NS6detail17trampoline_kernelINS0_14default_configENS1_29binary_search_config_selectorIjiEEZNS1_14transform_implILb0ES3_S5_N6thrust23THRUST_200600_302600_NS6detail15normal_iteratorINS8_7pointerIjNS8_11hip_rocprim5par_tENS8_11use_defaultESE_EEEENSA_INSB_IiSD_SE_SE_EEEEZNS1_13binary_searchIS3_S5_PjSG_SI_NS1_16binary_search_opENS9_16wrapped_functionINS8_6system6detail7generic6detail18binary_search_lessEbEEEE10hipError_tPvRmT1_T2_T3_mmT4_T5_P12ihipStream_tbEUlRKjE_EEST_SX_SY_mSZ_S12_bEUlT_E_NS1_11comp_targetILNS1_3genE10ELNS1_11target_archE1200ELNS1_3gpuE4ELNS1_3repE0EEENS1_30default_config_static_selectorELNS0_4arch9wavefront6targetE1EEEvSW_
                                        ; -- End function
	.set _ZN7rocprim17ROCPRIM_400000_NS6detail17trampoline_kernelINS0_14default_configENS1_29binary_search_config_selectorIjiEEZNS1_14transform_implILb0ES3_S5_N6thrust23THRUST_200600_302600_NS6detail15normal_iteratorINS8_7pointerIjNS8_11hip_rocprim5par_tENS8_11use_defaultESE_EEEENSA_INSB_IiSD_SE_SE_EEEEZNS1_13binary_searchIS3_S5_PjSG_SI_NS1_16binary_search_opENS9_16wrapped_functionINS8_6system6detail7generic6detail18binary_search_lessEbEEEE10hipError_tPvRmT1_T2_T3_mmT4_T5_P12ihipStream_tbEUlRKjE_EEST_SX_SY_mSZ_S12_bEUlT_E_NS1_11comp_targetILNS1_3genE10ELNS1_11target_archE1200ELNS1_3gpuE4ELNS1_3repE0EEENS1_30default_config_static_selectorELNS0_4arch9wavefront6targetE1EEEvSW_.num_vgpr, 0
	.set _ZN7rocprim17ROCPRIM_400000_NS6detail17trampoline_kernelINS0_14default_configENS1_29binary_search_config_selectorIjiEEZNS1_14transform_implILb0ES3_S5_N6thrust23THRUST_200600_302600_NS6detail15normal_iteratorINS8_7pointerIjNS8_11hip_rocprim5par_tENS8_11use_defaultESE_EEEENSA_INSB_IiSD_SE_SE_EEEEZNS1_13binary_searchIS3_S5_PjSG_SI_NS1_16binary_search_opENS9_16wrapped_functionINS8_6system6detail7generic6detail18binary_search_lessEbEEEE10hipError_tPvRmT1_T2_T3_mmT4_T5_P12ihipStream_tbEUlRKjE_EEST_SX_SY_mSZ_S12_bEUlT_E_NS1_11comp_targetILNS1_3genE10ELNS1_11target_archE1200ELNS1_3gpuE4ELNS1_3repE0EEENS1_30default_config_static_selectorELNS0_4arch9wavefront6targetE1EEEvSW_.num_agpr, 0
	.set _ZN7rocprim17ROCPRIM_400000_NS6detail17trampoline_kernelINS0_14default_configENS1_29binary_search_config_selectorIjiEEZNS1_14transform_implILb0ES3_S5_N6thrust23THRUST_200600_302600_NS6detail15normal_iteratorINS8_7pointerIjNS8_11hip_rocprim5par_tENS8_11use_defaultESE_EEEENSA_INSB_IiSD_SE_SE_EEEEZNS1_13binary_searchIS3_S5_PjSG_SI_NS1_16binary_search_opENS9_16wrapped_functionINS8_6system6detail7generic6detail18binary_search_lessEbEEEE10hipError_tPvRmT1_T2_T3_mmT4_T5_P12ihipStream_tbEUlRKjE_EEST_SX_SY_mSZ_S12_bEUlT_E_NS1_11comp_targetILNS1_3genE10ELNS1_11target_archE1200ELNS1_3gpuE4ELNS1_3repE0EEENS1_30default_config_static_selectorELNS0_4arch9wavefront6targetE1EEEvSW_.numbered_sgpr, 0
	.set _ZN7rocprim17ROCPRIM_400000_NS6detail17trampoline_kernelINS0_14default_configENS1_29binary_search_config_selectorIjiEEZNS1_14transform_implILb0ES3_S5_N6thrust23THRUST_200600_302600_NS6detail15normal_iteratorINS8_7pointerIjNS8_11hip_rocprim5par_tENS8_11use_defaultESE_EEEENSA_INSB_IiSD_SE_SE_EEEEZNS1_13binary_searchIS3_S5_PjSG_SI_NS1_16binary_search_opENS9_16wrapped_functionINS8_6system6detail7generic6detail18binary_search_lessEbEEEE10hipError_tPvRmT1_T2_T3_mmT4_T5_P12ihipStream_tbEUlRKjE_EEST_SX_SY_mSZ_S12_bEUlT_E_NS1_11comp_targetILNS1_3genE10ELNS1_11target_archE1200ELNS1_3gpuE4ELNS1_3repE0EEENS1_30default_config_static_selectorELNS0_4arch9wavefront6targetE1EEEvSW_.num_named_barrier, 0
	.set _ZN7rocprim17ROCPRIM_400000_NS6detail17trampoline_kernelINS0_14default_configENS1_29binary_search_config_selectorIjiEEZNS1_14transform_implILb0ES3_S5_N6thrust23THRUST_200600_302600_NS6detail15normal_iteratorINS8_7pointerIjNS8_11hip_rocprim5par_tENS8_11use_defaultESE_EEEENSA_INSB_IiSD_SE_SE_EEEEZNS1_13binary_searchIS3_S5_PjSG_SI_NS1_16binary_search_opENS9_16wrapped_functionINS8_6system6detail7generic6detail18binary_search_lessEbEEEE10hipError_tPvRmT1_T2_T3_mmT4_T5_P12ihipStream_tbEUlRKjE_EEST_SX_SY_mSZ_S12_bEUlT_E_NS1_11comp_targetILNS1_3genE10ELNS1_11target_archE1200ELNS1_3gpuE4ELNS1_3repE0EEENS1_30default_config_static_selectorELNS0_4arch9wavefront6targetE1EEEvSW_.private_seg_size, 0
	.set _ZN7rocprim17ROCPRIM_400000_NS6detail17trampoline_kernelINS0_14default_configENS1_29binary_search_config_selectorIjiEEZNS1_14transform_implILb0ES3_S5_N6thrust23THRUST_200600_302600_NS6detail15normal_iteratorINS8_7pointerIjNS8_11hip_rocprim5par_tENS8_11use_defaultESE_EEEENSA_INSB_IiSD_SE_SE_EEEEZNS1_13binary_searchIS3_S5_PjSG_SI_NS1_16binary_search_opENS9_16wrapped_functionINS8_6system6detail7generic6detail18binary_search_lessEbEEEE10hipError_tPvRmT1_T2_T3_mmT4_T5_P12ihipStream_tbEUlRKjE_EEST_SX_SY_mSZ_S12_bEUlT_E_NS1_11comp_targetILNS1_3genE10ELNS1_11target_archE1200ELNS1_3gpuE4ELNS1_3repE0EEENS1_30default_config_static_selectorELNS0_4arch9wavefront6targetE1EEEvSW_.uses_vcc, 0
	.set _ZN7rocprim17ROCPRIM_400000_NS6detail17trampoline_kernelINS0_14default_configENS1_29binary_search_config_selectorIjiEEZNS1_14transform_implILb0ES3_S5_N6thrust23THRUST_200600_302600_NS6detail15normal_iteratorINS8_7pointerIjNS8_11hip_rocprim5par_tENS8_11use_defaultESE_EEEENSA_INSB_IiSD_SE_SE_EEEEZNS1_13binary_searchIS3_S5_PjSG_SI_NS1_16binary_search_opENS9_16wrapped_functionINS8_6system6detail7generic6detail18binary_search_lessEbEEEE10hipError_tPvRmT1_T2_T3_mmT4_T5_P12ihipStream_tbEUlRKjE_EEST_SX_SY_mSZ_S12_bEUlT_E_NS1_11comp_targetILNS1_3genE10ELNS1_11target_archE1200ELNS1_3gpuE4ELNS1_3repE0EEENS1_30default_config_static_selectorELNS0_4arch9wavefront6targetE1EEEvSW_.uses_flat_scratch, 0
	.set _ZN7rocprim17ROCPRIM_400000_NS6detail17trampoline_kernelINS0_14default_configENS1_29binary_search_config_selectorIjiEEZNS1_14transform_implILb0ES3_S5_N6thrust23THRUST_200600_302600_NS6detail15normal_iteratorINS8_7pointerIjNS8_11hip_rocprim5par_tENS8_11use_defaultESE_EEEENSA_INSB_IiSD_SE_SE_EEEEZNS1_13binary_searchIS3_S5_PjSG_SI_NS1_16binary_search_opENS9_16wrapped_functionINS8_6system6detail7generic6detail18binary_search_lessEbEEEE10hipError_tPvRmT1_T2_T3_mmT4_T5_P12ihipStream_tbEUlRKjE_EEST_SX_SY_mSZ_S12_bEUlT_E_NS1_11comp_targetILNS1_3genE10ELNS1_11target_archE1200ELNS1_3gpuE4ELNS1_3repE0EEENS1_30default_config_static_selectorELNS0_4arch9wavefront6targetE1EEEvSW_.has_dyn_sized_stack, 0
	.set _ZN7rocprim17ROCPRIM_400000_NS6detail17trampoline_kernelINS0_14default_configENS1_29binary_search_config_selectorIjiEEZNS1_14transform_implILb0ES3_S5_N6thrust23THRUST_200600_302600_NS6detail15normal_iteratorINS8_7pointerIjNS8_11hip_rocprim5par_tENS8_11use_defaultESE_EEEENSA_INSB_IiSD_SE_SE_EEEEZNS1_13binary_searchIS3_S5_PjSG_SI_NS1_16binary_search_opENS9_16wrapped_functionINS8_6system6detail7generic6detail18binary_search_lessEbEEEE10hipError_tPvRmT1_T2_T3_mmT4_T5_P12ihipStream_tbEUlRKjE_EEST_SX_SY_mSZ_S12_bEUlT_E_NS1_11comp_targetILNS1_3genE10ELNS1_11target_archE1200ELNS1_3gpuE4ELNS1_3repE0EEENS1_30default_config_static_selectorELNS0_4arch9wavefront6targetE1EEEvSW_.has_recursion, 0
	.set _ZN7rocprim17ROCPRIM_400000_NS6detail17trampoline_kernelINS0_14default_configENS1_29binary_search_config_selectorIjiEEZNS1_14transform_implILb0ES3_S5_N6thrust23THRUST_200600_302600_NS6detail15normal_iteratorINS8_7pointerIjNS8_11hip_rocprim5par_tENS8_11use_defaultESE_EEEENSA_INSB_IiSD_SE_SE_EEEEZNS1_13binary_searchIS3_S5_PjSG_SI_NS1_16binary_search_opENS9_16wrapped_functionINS8_6system6detail7generic6detail18binary_search_lessEbEEEE10hipError_tPvRmT1_T2_T3_mmT4_T5_P12ihipStream_tbEUlRKjE_EEST_SX_SY_mSZ_S12_bEUlT_E_NS1_11comp_targetILNS1_3genE10ELNS1_11target_archE1200ELNS1_3gpuE4ELNS1_3repE0EEENS1_30default_config_static_selectorELNS0_4arch9wavefront6targetE1EEEvSW_.has_indirect_call, 0
	.section	.AMDGPU.csdata,"",@progbits
; Kernel info:
; codeLenInByte = 0
; TotalNumSgprs: 4
; NumVgprs: 0
; ScratchSize: 0
; MemoryBound: 0
; FloatMode: 240
; IeeeMode: 1
; LDSByteSize: 0 bytes/workgroup (compile time only)
; SGPRBlocks: 0
; VGPRBlocks: 0
; NumSGPRsForWavesPerEU: 4
; NumVGPRsForWavesPerEU: 1
; Occupancy: 10
; WaveLimiterHint : 0
; COMPUTE_PGM_RSRC2:SCRATCH_EN: 0
; COMPUTE_PGM_RSRC2:USER_SGPR: 6
; COMPUTE_PGM_RSRC2:TRAP_HANDLER: 0
; COMPUTE_PGM_RSRC2:TGID_X_EN: 1
; COMPUTE_PGM_RSRC2:TGID_Y_EN: 0
; COMPUTE_PGM_RSRC2:TGID_Z_EN: 0
; COMPUTE_PGM_RSRC2:TIDIG_COMP_CNT: 0
	.section	.text._ZN7rocprim17ROCPRIM_400000_NS6detail17trampoline_kernelINS0_14default_configENS1_29binary_search_config_selectorIjiEEZNS1_14transform_implILb0ES3_S5_N6thrust23THRUST_200600_302600_NS6detail15normal_iteratorINS8_7pointerIjNS8_11hip_rocprim5par_tENS8_11use_defaultESE_EEEENSA_INSB_IiSD_SE_SE_EEEEZNS1_13binary_searchIS3_S5_PjSG_SI_NS1_16binary_search_opENS9_16wrapped_functionINS8_6system6detail7generic6detail18binary_search_lessEbEEEE10hipError_tPvRmT1_T2_T3_mmT4_T5_P12ihipStream_tbEUlRKjE_EEST_SX_SY_mSZ_S12_bEUlT_E_NS1_11comp_targetILNS1_3genE9ELNS1_11target_archE1100ELNS1_3gpuE3ELNS1_3repE0EEENS1_30default_config_static_selectorELNS0_4arch9wavefront6targetE1EEEvSW_,"axG",@progbits,_ZN7rocprim17ROCPRIM_400000_NS6detail17trampoline_kernelINS0_14default_configENS1_29binary_search_config_selectorIjiEEZNS1_14transform_implILb0ES3_S5_N6thrust23THRUST_200600_302600_NS6detail15normal_iteratorINS8_7pointerIjNS8_11hip_rocprim5par_tENS8_11use_defaultESE_EEEENSA_INSB_IiSD_SE_SE_EEEEZNS1_13binary_searchIS3_S5_PjSG_SI_NS1_16binary_search_opENS9_16wrapped_functionINS8_6system6detail7generic6detail18binary_search_lessEbEEEE10hipError_tPvRmT1_T2_T3_mmT4_T5_P12ihipStream_tbEUlRKjE_EEST_SX_SY_mSZ_S12_bEUlT_E_NS1_11comp_targetILNS1_3genE9ELNS1_11target_archE1100ELNS1_3gpuE3ELNS1_3repE0EEENS1_30default_config_static_selectorELNS0_4arch9wavefront6targetE1EEEvSW_,comdat
	.protected	_ZN7rocprim17ROCPRIM_400000_NS6detail17trampoline_kernelINS0_14default_configENS1_29binary_search_config_selectorIjiEEZNS1_14transform_implILb0ES3_S5_N6thrust23THRUST_200600_302600_NS6detail15normal_iteratorINS8_7pointerIjNS8_11hip_rocprim5par_tENS8_11use_defaultESE_EEEENSA_INSB_IiSD_SE_SE_EEEEZNS1_13binary_searchIS3_S5_PjSG_SI_NS1_16binary_search_opENS9_16wrapped_functionINS8_6system6detail7generic6detail18binary_search_lessEbEEEE10hipError_tPvRmT1_T2_T3_mmT4_T5_P12ihipStream_tbEUlRKjE_EEST_SX_SY_mSZ_S12_bEUlT_E_NS1_11comp_targetILNS1_3genE9ELNS1_11target_archE1100ELNS1_3gpuE3ELNS1_3repE0EEENS1_30default_config_static_selectorELNS0_4arch9wavefront6targetE1EEEvSW_ ; -- Begin function _ZN7rocprim17ROCPRIM_400000_NS6detail17trampoline_kernelINS0_14default_configENS1_29binary_search_config_selectorIjiEEZNS1_14transform_implILb0ES3_S5_N6thrust23THRUST_200600_302600_NS6detail15normal_iteratorINS8_7pointerIjNS8_11hip_rocprim5par_tENS8_11use_defaultESE_EEEENSA_INSB_IiSD_SE_SE_EEEEZNS1_13binary_searchIS3_S5_PjSG_SI_NS1_16binary_search_opENS9_16wrapped_functionINS8_6system6detail7generic6detail18binary_search_lessEbEEEE10hipError_tPvRmT1_T2_T3_mmT4_T5_P12ihipStream_tbEUlRKjE_EEST_SX_SY_mSZ_S12_bEUlT_E_NS1_11comp_targetILNS1_3genE9ELNS1_11target_archE1100ELNS1_3gpuE3ELNS1_3repE0EEENS1_30default_config_static_selectorELNS0_4arch9wavefront6targetE1EEEvSW_
	.globl	_ZN7rocprim17ROCPRIM_400000_NS6detail17trampoline_kernelINS0_14default_configENS1_29binary_search_config_selectorIjiEEZNS1_14transform_implILb0ES3_S5_N6thrust23THRUST_200600_302600_NS6detail15normal_iteratorINS8_7pointerIjNS8_11hip_rocprim5par_tENS8_11use_defaultESE_EEEENSA_INSB_IiSD_SE_SE_EEEEZNS1_13binary_searchIS3_S5_PjSG_SI_NS1_16binary_search_opENS9_16wrapped_functionINS8_6system6detail7generic6detail18binary_search_lessEbEEEE10hipError_tPvRmT1_T2_T3_mmT4_T5_P12ihipStream_tbEUlRKjE_EEST_SX_SY_mSZ_S12_bEUlT_E_NS1_11comp_targetILNS1_3genE9ELNS1_11target_archE1100ELNS1_3gpuE3ELNS1_3repE0EEENS1_30default_config_static_selectorELNS0_4arch9wavefront6targetE1EEEvSW_
	.p2align	8
	.type	_ZN7rocprim17ROCPRIM_400000_NS6detail17trampoline_kernelINS0_14default_configENS1_29binary_search_config_selectorIjiEEZNS1_14transform_implILb0ES3_S5_N6thrust23THRUST_200600_302600_NS6detail15normal_iteratorINS8_7pointerIjNS8_11hip_rocprim5par_tENS8_11use_defaultESE_EEEENSA_INSB_IiSD_SE_SE_EEEEZNS1_13binary_searchIS3_S5_PjSG_SI_NS1_16binary_search_opENS9_16wrapped_functionINS8_6system6detail7generic6detail18binary_search_lessEbEEEE10hipError_tPvRmT1_T2_T3_mmT4_T5_P12ihipStream_tbEUlRKjE_EEST_SX_SY_mSZ_S12_bEUlT_E_NS1_11comp_targetILNS1_3genE9ELNS1_11target_archE1100ELNS1_3gpuE3ELNS1_3repE0EEENS1_30default_config_static_selectorELNS0_4arch9wavefront6targetE1EEEvSW_,@function
_ZN7rocprim17ROCPRIM_400000_NS6detail17trampoline_kernelINS0_14default_configENS1_29binary_search_config_selectorIjiEEZNS1_14transform_implILb0ES3_S5_N6thrust23THRUST_200600_302600_NS6detail15normal_iteratorINS8_7pointerIjNS8_11hip_rocprim5par_tENS8_11use_defaultESE_EEEENSA_INSB_IiSD_SE_SE_EEEEZNS1_13binary_searchIS3_S5_PjSG_SI_NS1_16binary_search_opENS9_16wrapped_functionINS8_6system6detail7generic6detail18binary_search_lessEbEEEE10hipError_tPvRmT1_T2_T3_mmT4_T5_P12ihipStream_tbEUlRKjE_EEST_SX_SY_mSZ_S12_bEUlT_E_NS1_11comp_targetILNS1_3genE9ELNS1_11target_archE1100ELNS1_3gpuE3ELNS1_3repE0EEENS1_30default_config_static_selectorELNS0_4arch9wavefront6targetE1EEEvSW_: ; @_ZN7rocprim17ROCPRIM_400000_NS6detail17trampoline_kernelINS0_14default_configENS1_29binary_search_config_selectorIjiEEZNS1_14transform_implILb0ES3_S5_N6thrust23THRUST_200600_302600_NS6detail15normal_iteratorINS8_7pointerIjNS8_11hip_rocprim5par_tENS8_11use_defaultESE_EEEENSA_INSB_IiSD_SE_SE_EEEEZNS1_13binary_searchIS3_S5_PjSG_SI_NS1_16binary_search_opENS9_16wrapped_functionINS8_6system6detail7generic6detail18binary_search_lessEbEEEE10hipError_tPvRmT1_T2_T3_mmT4_T5_P12ihipStream_tbEUlRKjE_EEST_SX_SY_mSZ_S12_bEUlT_E_NS1_11comp_targetILNS1_3genE9ELNS1_11target_archE1100ELNS1_3gpuE3ELNS1_3repE0EEENS1_30default_config_static_selectorELNS0_4arch9wavefront6targetE1EEEvSW_
; %bb.0:
	.section	.rodata,"a",@progbits
	.p2align	6, 0x0
	.amdhsa_kernel _ZN7rocprim17ROCPRIM_400000_NS6detail17trampoline_kernelINS0_14default_configENS1_29binary_search_config_selectorIjiEEZNS1_14transform_implILb0ES3_S5_N6thrust23THRUST_200600_302600_NS6detail15normal_iteratorINS8_7pointerIjNS8_11hip_rocprim5par_tENS8_11use_defaultESE_EEEENSA_INSB_IiSD_SE_SE_EEEEZNS1_13binary_searchIS3_S5_PjSG_SI_NS1_16binary_search_opENS9_16wrapped_functionINS8_6system6detail7generic6detail18binary_search_lessEbEEEE10hipError_tPvRmT1_T2_T3_mmT4_T5_P12ihipStream_tbEUlRKjE_EEST_SX_SY_mSZ_S12_bEUlT_E_NS1_11comp_targetILNS1_3genE9ELNS1_11target_archE1100ELNS1_3gpuE3ELNS1_3repE0EEENS1_30default_config_static_selectorELNS0_4arch9wavefront6targetE1EEEvSW_
		.amdhsa_group_segment_fixed_size 0
		.amdhsa_private_segment_fixed_size 0
		.amdhsa_kernarg_size 56
		.amdhsa_user_sgpr_count 6
		.amdhsa_user_sgpr_private_segment_buffer 1
		.amdhsa_user_sgpr_dispatch_ptr 0
		.amdhsa_user_sgpr_queue_ptr 0
		.amdhsa_user_sgpr_kernarg_segment_ptr 1
		.amdhsa_user_sgpr_dispatch_id 0
		.amdhsa_user_sgpr_flat_scratch_init 0
		.amdhsa_user_sgpr_private_segment_size 0
		.amdhsa_uses_dynamic_stack 0
		.amdhsa_system_sgpr_private_segment_wavefront_offset 0
		.amdhsa_system_sgpr_workgroup_id_x 1
		.amdhsa_system_sgpr_workgroup_id_y 0
		.amdhsa_system_sgpr_workgroup_id_z 0
		.amdhsa_system_sgpr_workgroup_info 0
		.amdhsa_system_vgpr_workitem_id 0
		.amdhsa_next_free_vgpr 1
		.amdhsa_next_free_sgpr 0
		.amdhsa_reserve_vcc 0
		.amdhsa_reserve_flat_scratch 0
		.amdhsa_float_round_mode_32 0
		.amdhsa_float_round_mode_16_64 0
		.amdhsa_float_denorm_mode_32 3
		.amdhsa_float_denorm_mode_16_64 3
		.amdhsa_dx10_clamp 1
		.amdhsa_ieee_mode 1
		.amdhsa_fp16_overflow 0
		.amdhsa_exception_fp_ieee_invalid_op 0
		.amdhsa_exception_fp_denorm_src 0
		.amdhsa_exception_fp_ieee_div_zero 0
		.amdhsa_exception_fp_ieee_overflow 0
		.amdhsa_exception_fp_ieee_underflow 0
		.amdhsa_exception_fp_ieee_inexact 0
		.amdhsa_exception_int_div_zero 0
	.end_amdhsa_kernel
	.section	.text._ZN7rocprim17ROCPRIM_400000_NS6detail17trampoline_kernelINS0_14default_configENS1_29binary_search_config_selectorIjiEEZNS1_14transform_implILb0ES3_S5_N6thrust23THRUST_200600_302600_NS6detail15normal_iteratorINS8_7pointerIjNS8_11hip_rocprim5par_tENS8_11use_defaultESE_EEEENSA_INSB_IiSD_SE_SE_EEEEZNS1_13binary_searchIS3_S5_PjSG_SI_NS1_16binary_search_opENS9_16wrapped_functionINS8_6system6detail7generic6detail18binary_search_lessEbEEEE10hipError_tPvRmT1_T2_T3_mmT4_T5_P12ihipStream_tbEUlRKjE_EEST_SX_SY_mSZ_S12_bEUlT_E_NS1_11comp_targetILNS1_3genE9ELNS1_11target_archE1100ELNS1_3gpuE3ELNS1_3repE0EEENS1_30default_config_static_selectorELNS0_4arch9wavefront6targetE1EEEvSW_,"axG",@progbits,_ZN7rocprim17ROCPRIM_400000_NS6detail17trampoline_kernelINS0_14default_configENS1_29binary_search_config_selectorIjiEEZNS1_14transform_implILb0ES3_S5_N6thrust23THRUST_200600_302600_NS6detail15normal_iteratorINS8_7pointerIjNS8_11hip_rocprim5par_tENS8_11use_defaultESE_EEEENSA_INSB_IiSD_SE_SE_EEEEZNS1_13binary_searchIS3_S5_PjSG_SI_NS1_16binary_search_opENS9_16wrapped_functionINS8_6system6detail7generic6detail18binary_search_lessEbEEEE10hipError_tPvRmT1_T2_T3_mmT4_T5_P12ihipStream_tbEUlRKjE_EEST_SX_SY_mSZ_S12_bEUlT_E_NS1_11comp_targetILNS1_3genE9ELNS1_11target_archE1100ELNS1_3gpuE3ELNS1_3repE0EEENS1_30default_config_static_selectorELNS0_4arch9wavefront6targetE1EEEvSW_,comdat
.Lfunc_end280:
	.size	_ZN7rocprim17ROCPRIM_400000_NS6detail17trampoline_kernelINS0_14default_configENS1_29binary_search_config_selectorIjiEEZNS1_14transform_implILb0ES3_S5_N6thrust23THRUST_200600_302600_NS6detail15normal_iteratorINS8_7pointerIjNS8_11hip_rocprim5par_tENS8_11use_defaultESE_EEEENSA_INSB_IiSD_SE_SE_EEEEZNS1_13binary_searchIS3_S5_PjSG_SI_NS1_16binary_search_opENS9_16wrapped_functionINS8_6system6detail7generic6detail18binary_search_lessEbEEEE10hipError_tPvRmT1_T2_T3_mmT4_T5_P12ihipStream_tbEUlRKjE_EEST_SX_SY_mSZ_S12_bEUlT_E_NS1_11comp_targetILNS1_3genE9ELNS1_11target_archE1100ELNS1_3gpuE3ELNS1_3repE0EEENS1_30default_config_static_selectorELNS0_4arch9wavefront6targetE1EEEvSW_, .Lfunc_end280-_ZN7rocprim17ROCPRIM_400000_NS6detail17trampoline_kernelINS0_14default_configENS1_29binary_search_config_selectorIjiEEZNS1_14transform_implILb0ES3_S5_N6thrust23THRUST_200600_302600_NS6detail15normal_iteratorINS8_7pointerIjNS8_11hip_rocprim5par_tENS8_11use_defaultESE_EEEENSA_INSB_IiSD_SE_SE_EEEEZNS1_13binary_searchIS3_S5_PjSG_SI_NS1_16binary_search_opENS9_16wrapped_functionINS8_6system6detail7generic6detail18binary_search_lessEbEEEE10hipError_tPvRmT1_T2_T3_mmT4_T5_P12ihipStream_tbEUlRKjE_EEST_SX_SY_mSZ_S12_bEUlT_E_NS1_11comp_targetILNS1_3genE9ELNS1_11target_archE1100ELNS1_3gpuE3ELNS1_3repE0EEENS1_30default_config_static_selectorELNS0_4arch9wavefront6targetE1EEEvSW_
                                        ; -- End function
	.set _ZN7rocprim17ROCPRIM_400000_NS6detail17trampoline_kernelINS0_14default_configENS1_29binary_search_config_selectorIjiEEZNS1_14transform_implILb0ES3_S5_N6thrust23THRUST_200600_302600_NS6detail15normal_iteratorINS8_7pointerIjNS8_11hip_rocprim5par_tENS8_11use_defaultESE_EEEENSA_INSB_IiSD_SE_SE_EEEEZNS1_13binary_searchIS3_S5_PjSG_SI_NS1_16binary_search_opENS9_16wrapped_functionINS8_6system6detail7generic6detail18binary_search_lessEbEEEE10hipError_tPvRmT1_T2_T3_mmT4_T5_P12ihipStream_tbEUlRKjE_EEST_SX_SY_mSZ_S12_bEUlT_E_NS1_11comp_targetILNS1_3genE9ELNS1_11target_archE1100ELNS1_3gpuE3ELNS1_3repE0EEENS1_30default_config_static_selectorELNS0_4arch9wavefront6targetE1EEEvSW_.num_vgpr, 0
	.set _ZN7rocprim17ROCPRIM_400000_NS6detail17trampoline_kernelINS0_14default_configENS1_29binary_search_config_selectorIjiEEZNS1_14transform_implILb0ES3_S5_N6thrust23THRUST_200600_302600_NS6detail15normal_iteratorINS8_7pointerIjNS8_11hip_rocprim5par_tENS8_11use_defaultESE_EEEENSA_INSB_IiSD_SE_SE_EEEEZNS1_13binary_searchIS3_S5_PjSG_SI_NS1_16binary_search_opENS9_16wrapped_functionINS8_6system6detail7generic6detail18binary_search_lessEbEEEE10hipError_tPvRmT1_T2_T3_mmT4_T5_P12ihipStream_tbEUlRKjE_EEST_SX_SY_mSZ_S12_bEUlT_E_NS1_11comp_targetILNS1_3genE9ELNS1_11target_archE1100ELNS1_3gpuE3ELNS1_3repE0EEENS1_30default_config_static_selectorELNS0_4arch9wavefront6targetE1EEEvSW_.num_agpr, 0
	.set _ZN7rocprim17ROCPRIM_400000_NS6detail17trampoline_kernelINS0_14default_configENS1_29binary_search_config_selectorIjiEEZNS1_14transform_implILb0ES3_S5_N6thrust23THRUST_200600_302600_NS6detail15normal_iteratorINS8_7pointerIjNS8_11hip_rocprim5par_tENS8_11use_defaultESE_EEEENSA_INSB_IiSD_SE_SE_EEEEZNS1_13binary_searchIS3_S5_PjSG_SI_NS1_16binary_search_opENS9_16wrapped_functionINS8_6system6detail7generic6detail18binary_search_lessEbEEEE10hipError_tPvRmT1_T2_T3_mmT4_T5_P12ihipStream_tbEUlRKjE_EEST_SX_SY_mSZ_S12_bEUlT_E_NS1_11comp_targetILNS1_3genE9ELNS1_11target_archE1100ELNS1_3gpuE3ELNS1_3repE0EEENS1_30default_config_static_selectorELNS0_4arch9wavefront6targetE1EEEvSW_.numbered_sgpr, 0
	.set _ZN7rocprim17ROCPRIM_400000_NS6detail17trampoline_kernelINS0_14default_configENS1_29binary_search_config_selectorIjiEEZNS1_14transform_implILb0ES3_S5_N6thrust23THRUST_200600_302600_NS6detail15normal_iteratorINS8_7pointerIjNS8_11hip_rocprim5par_tENS8_11use_defaultESE_EEEENSA_INSB_IiSD_SE_SE_EEEEZNS1_13binary_searchIS3_S5_PjSG_SI_NS1_16binary_search_opENS9_16wrapped_functionINS8_6system6detail7generic6detail18binary_search_lessEbEEEE10hipError_tPvRmT1_T2_T3_mmT4_T5_P12ihipStream_tbEUlRKjE_EEST_SX_SY_mSZ_S12_bEUlT_E_NS1_11comp_targetILNS1_3genE9ELNS1_11target_archE1100ELNS1_3gpuE3ELNS1_3repE0EEENS1_30default_config_static_selectorELNS0_4arch9wavefront6targetE1EEEvSW_.num_named_barrier, 0
	.set _ZN7rocprim17ROCPRIM_400000_NS6detail17trampoline_kernelINS0_14default_configENS1_29binary_search_config_selectorIjiEEZNS1_14transform_implILb0ES3_S5_N6thrust23THRUST_200600_302600_NS6detail15normal_iteratorINS8_7pointerIjNS8_11hip_rocprim5par_tENS8_11use_defaultESE_EEEENSA_INSB_IiSD_SE_SE_EEEEZNS1_13binary_searchIS3_S5_PjSG_SI_NS1_16binary_search_opENS9_16wrapped_functionINS8_6system6detail7generic6detail18binary_search_lessEbEEEE10hipError_tPvRmT1_T2_T3_mmT4_T5_P12ihipStream_tbEUlRKjE_EEST_SX_SY_mSZ_S12_bEUlT_E_NS1_11comp_targetILNS1_3genE9ELNS1_11target_archE1100ELNS1_3gpuE3ELNS1_3repE0EEENS1_30default_config_static_selectorELNS0_4arch9wavefront6targetE1EEEvSW_.private_seg_size, 0
	.set _ZN7rocprim17ROCPRIM_400000_NS6detail17trampoline_kernelINS0_14default_configENS1_29binary_search_config_selectorIjiEEZNS1_14transform_implILb0ES3_S5_N6thrust23THRUST_200600_302600_NS6detail15normal_iteratorINS8_7pointerIjNS8_11hip_rocprim5par_tENS8_11use_defaultESE_EEEENSA_INSB_IiSD_SE_SE_EEEEZNS1_13binary_searchIS3_S5_PjSG_SI_NS1_16binary_search_opENS9_16wrapped_functionINS8_6system6detail7generic6detail18binary_search_lessEbEEEE10hipError_tPvRmT1_T2_T3_mmT4_T5_P12ihipStream_tbEUlRKjE_EEST_SX_SY_mSZ_S12_bEUlT_E_NS1_11comp_targetILNS1_3genE9ELNS1_11target_archE1100ELNS1_3gpuE3ELNS1_3repE0EEENS1_30default_config_static_selectorELNS0_4arch9wavefront6targetE1EEEvSW_.uses_vcc, 0
	.set _ZN7rocprim17ROCPRIM_400000_NS6detail17trampoline_kernelINS0_14default_configENS1_29binary_search_config_selectorIjiEEZNS1_14transform_implILb0ES3_S5_N6thrust23THRUST_200600_302600_NS6detail15normal_iteratorINS8_7pointerIjNS8_11hip_rocprim5par_tENS8_11use_defaultESE_EEEENSA_INSB_IiSD_SE_SE_EEEEZNS1_13binary_searchIS3_S5_PjSG_SI_NS1_16binary_search_opENS9_16wrapped_functionINS8_6system6detail7generic6detail18binary_search_lessEbEEEE10hipError_tPvRmT1_T2_T3_mmT4_T5_P12ihipStream_tbEUlRKjE_EEST_SX_SY_mSZ_S12_bEUlT_E_NS1_11comp_targetILNS1_3genE9ELNS1_11target_archE1100ELNS1_3gpuE3ELNS1_3repE0EEENS1_30default_config_static_selectorELNS0_4arch9wavefront6targetE1EEEvSW_.uses_flat_scratch, 0
	.set _ZN7rocprim17ROCPRIM_400000_NS6detail17trampoline_kernelINS0_14default_configENS1_29binary_search_config_selectorIjiEEZNS1_14transform_implILb0ES3_S5_N6thrust23THRUST_200600_302600_NS6detail15normal_iteratorINS8_7pointerIjNS8_11hip_rocprim5par_tENS8_11use_defaultESE_EEEENSA_INSB_IiSD_SE_SE_EEEEZNS1_13binary_searchIS3_S5_PjSG_SI_NS1_16binary_search_opENS9_16wrapped_functionINS8_6system6detail7generic6detail18binary_search_lessEbEEEE10hipError_tPvRmT1_T2_T3_mmT4_T5_P12ihipStream_tbEUlRKjE_EEST_SX_SY_mSZ_S12_bEUlT_E_NS1_11comp_targetILNS1_3genE9ELNS1_11target_archE1100ELNS1_3gpuE3ELNS1_3repE0EEENS1_30default_config_static_selectorELNS0_4arch9wavefront6targetE1EEEvSW_.has_dyn_sized_stack, 0
	.set _ZN7rocprim17ROCPRIM_400000_NS6detail17trampoline_kernelINS0_14default_configENS1_29binary_search_config_selectorIjiEEZNS1_14transform_implILb0ES3_S5_N6thrust23THRUST_200600_302600_NS6detail15normal_iteratorINS8_7pointerIjNS8_11hip_rocprim5par_tENS8_11use_defaultESE_EEEENSA_INSB_IiSD_SE_SE_EEEEZNS1_13binary_searchIS3_S5_PjSG_SI_NS1_16binary_search_opENS9_16wrapped_functionINS8_6system6detail7generic6detail18binary_search_lessEbEEEE10hipError_tPvRmT1_T2_T3_mmT4_T5_P12ihipStream_tbEUlRKjE_EEST_SX_SY_mSZ_S12_bEUlT_E_NS1_11comp_targetILNS1_3genE9ELNS1_11target_archE1100ELNS1_3gpuE3ELNS1_3repE0EEENS1_30default_config_static_selectorELNS0_4arch9wavefront6targetE1EEEvSW_.has_recursion, 0
	.set _ZN7rocprim17ROCPRIM_400000_NS6detail17trampoline_kernelINS0_14default_configENS1_29binary_search_config_selectorIjiEEZNS1_14transform_implILb0ES3_S5_N6thrust23THRUST_200600_302600_NS6detail15normal_iteratorINS8_7pointerIjNS8_11hip_rocprim5par_tENS8_11use_defaultESE_EEEENSA_INSB_IiSD_SE_SE_EEEEZNS1_13binary_searchIS3_S5_PjSG_SI_NS1_16binary_search_opENS9_16wrapped_functionINS8_6system6detail7generic6detail18binary_search_lessEbEEEE10hipError_tPvRmT1_T2_T3_mmT4_T5_P12ihipStream_tbEUlRKjE_EEST_SX_SY_mSZ_S12_bEUlT_E_NS1_11comp_targetILNS1_3genE9ELNS1_11target_archE1100ELNS1_3gpuE3ELNS1_3repE0EEENS1_30default_config_static_selectorELNS0_4arch9wavefront6targetE1EEEvSW_.has_indirect_call, 0
	.section	.AMDGPU.csdata,"",@progbits
; Kernel info:
; codeLenInByte = 0
; TotalNumSgprs: 4
; NumVgprs: 0
; ScratchSize: 0
; MemoryBound: 0
; FloatMode: 240
; IeeeMode: 1
; LDSByteSize: 0 bytes/workgroup (compile time only)
; SGPRBlocks: 0
; VGPRBlocks: 0
; NumSGPRsForWavesPerEU: 4
; NumVGPRsForWavesPerEU: 1
; Occupancy: 10
; WaveLimiterHint : 0
; COMPUTE_PGM_RSRC2:SCRATCH_EN: 0
; COMPUTE_PGM_RSRC2:USER_SGPR: 6
; COMPUTE_PGM_RSRC2:TRAP_HANDLER: 0
; COMPUTE_PGM_RSRC2:TGID_X_EN: 1
; COMPUTE_PGM_RSRC2:TGID_Y_EN: 0
; COMPUTE_PGM_RSRC2:TGID_Z_EN: 0
; COMPUTE_PGM_RSRC2:TIDIG_COMP_CNT: 0
	.section	.text._ZN7rocprim17ROCPRIM_400000_NS6detail17trampoline_kernelINS0_14default_configENS1_29binary_search_config_selectorIjiEEZNS1_14transform_implILb0ES3_S5_N6thrust23THRUST_200600_302600_NS6detail15normal_iteratorINS8_7pointerIjNS8_11hip_rocprim5par_tENS8_11use_defaultESE_EEEENSA_INSB_IiSD_SE_SE_EEEEZNS1_13binary_searchIS3_S5_PjSG_SI_NS1_16binary_search_opENS9_16wrapped_functionINS8_6system6detail7generic6detail18binary_search_lessEbEEEE10hipError_tPvRmT1_T2_T3_mmT4_T5_P12ihipStream_tbEUlRKjE_EEST_SX_SY_mSZ_S12_bEUlT_E_NS1_11comp_targetILNS1_3genE8ELNS1_11target_archE1030ELNS1_3gpuE2ELNS1_3repE0EEENS1_30default_config_static_selectorELNS0_4arch9wavefront6targetE1EEEvSW_,"axG",@progbits,_ZN7rocprim17ROCPRIM_400000_NS6detail17trampoline_kernelINS0_14default_configENS1_29binary_search_config_selectorIjiEEZNS1_14transform_implILb0ES3_S5_N6thrust23THRUST_200600_302600_NS6detail15normal_iteratorINS8_7pointerIjNS8_11hip_rocprim5par_tENS8_11use_defaultESE_EEEENSA_INSB_IiSD_SE_SE_EEEEZNS1_13binary_searchIS3_S5_PjSG_SI_NS1_16binary_search_opENS9_16wrapped_functionINS8_6system6detail7generic6detail18binary_search_lessEbEEEE10hipError_tPvRmT1_T2_T3_mmT4_T5_P12ihipStream_tbEUlRKjE_EEST_SX_SY_mSZ_S12_bEUlT_E_NS1_11comp_targetILNS1_3genE8ELNS1_11target_archE1030ELNS1_3gpuE2ELNS1_3repE0EEENS1_30default_config_static_selectorELNS0_4arch9wavefront6targetE1EEEvSW_,comdat
	.protected	_ZN7rocprim17ROCPRIM_400000_NS6detail17trampoline_kernelINS0_14default_configENS1_29binary_search_config_selectorIjiEEZNS1_14transform_implILb0ES3_S5_N6thrust23THRUST_200600_302600_NS6detail15normal_iteratorINS8_7pointerIjNS8_11hip_rocprim5par_tENS8_11use_defaultESE_EEEENSA_INSB_IiSD_SE_SE_EEEEZNS1_13binary_searchIS3_S5_PjSG_SI_NS1_16binary_search_opENS9_16wrapped_functionINS8_6system6detail7generic6detail18binary_search_lessEbEEEE10hipError_tPvRmT1_T2_T3_mmT4_T5_P12ihipStream_tbEUlRKjE_EEST_SX_SY_mSZ_S12_bEUlT_E_NS1_11comp_targetILNS1_3genE8ELNS1_11target_archE1030ELNS1_3gpuE2ELNS1_3repE0EEENS1_30default_config_static_selectorELNS0_4arch9wavefront6targetE1EEEvSW_ ; -- Begin function _ZN7rocprim17ROCPRIM_400000_NS6detail17trampoline_kernelINS0_14default_configENS1_29binary_search_config_selectorIjiEEZNS1_14transform_implILb0ES3_S5_N6thrust23THRUST_200600_302600_NS6detail15normal_iteratorINS8_7pointerIjNS8_11hip_rocprim5par_tENS8_11use_defaultESE_EEEENSA_INSB_IiSD_SE_SE_EEEEZNS1_13binary_searchIS3_S5_PjSG_SI_NS1_16binary_search_opENS9_16wrapped_functionINS8_6system6detail7generic6detail18binary_search_lessEbEEEE10hipError_tPvRmT1_T2_T3_mmT4_T5_P12ihipStream_tbEUlRKjE_EEST_SX_SY_mSZ_S12_bEUlT_E_NS1_11comp_targetILNS1_3genE8ELNS1_11target_archE1030ELNS1_3gpuE2ELNS1_3repE0EEENS1_30default_config_static_selectorELNS0_4arch9wavefront6targetE1EEEvSW_
	.globl	_ZN7rocprim17ROCPRIM_400000_NS6detail17trampoline_kernelINS0_14default_configENS1_29binary_search_config_selectorIjiEEZNS1_14transform_implILb0ES3_S5_N6thrust23THRUST_200600_302600_NS6detail15normal_iteratorINS8_7pointerIjNS8_11hip_rocprim5par_tENS8_11use_defaultESE_EEEENSA_INSB_IiSD_SE_SE_EEEEZNS1_13binary_searchIS3_S5_PjSG_SI_NS1_16binary_search_opENS9_16wrapped_functionINS8_6system6detail7generic6detail18binary_search_lessEbEEEE10hipError_tPvRmT1_T2_T3_mmT4_T5_P12ihipStream_tbEUlRKjE_EEST_SX_SY_mSZ_S12_bEUlT_E_NS1_11comp_targetILNS1_3genE8ELNS1_11target_archE1030ELNS1_3gpuE2ELNS1_3repE0EEENS1_30default_config_static_selectorELNS0_4arch9wavefront6targetE1EEEvSW_
	.p2align	8
	.type	_ZN7rocprim17ROCPRIM_400000_NS6detail17trampoline_kernelINS0_14default_configENS1_29binary_search_config_selectorIjiEEZNS1_14transform_implILb0ES3_S5_N6thrust23THRUST_200600_302600_NS6detail15normal_iteratorINS8_7pointerIjNS8_11hip_rocprim5par_tENS8_11use_defaultESE_EEEENSA_INSB_IiSD_SE_SE_EEEEZNS1_13binary_searchIS3_S5_PjSG_SI_NS1_16binary_search_opENS9_16wrapped_functionINS8_6system6detail7generic6detail18binary_search_lessEbEEEE10hipError_tPvRmT1_T2_T3_mmT4_T5_P12ihipStream_tbEUlRKjE_EEST_SX_SY_mSZ_S12_bEUlT_E_NS1_11comp_targetILNS1_3genE8ELNS1_11target_archE1030ELNS1_3gpuE2ELNS1_3repE0EEENS1_30default_config_static_selectorELNS0_4arch9wavefront6targetE1EEEvSW_,@function
_ZN7rocprim17ROCPRIM_400000_NS6detail17trampoline_kernelINS0_14default_configENS1_29binary_search_config_selectorIjiEEZNS1_14transform_implILb0ES3_S5_N6thrust23THRUST_200600_302600_NS6detail15normal_iteratorINS8_7pointerIjNS8_11hip_rocprim5par_tENS8_11use_defaultESE_EEEENSA_INSB_IiSD_SE_SE_EEEEZNS1_13binary_searchIS3_S5_PjSG_SI_NS1_16binary_search_opENS9_16wrapped_functionINS8_6system6detail7generic6detail18binary_search_lessEbEEEE10hipError_tPvRmT1_T2_T3_mmT4_T5_P12ihipStream_tbEUlRKjE_EEST_SX_SY_mSZ_S12_bEUlT_E_NS1_11comp_targetILNS1_3genE8ELNS1_11target_archE1030ELNS1_3gpuE2ELNS1_3repE0EEENS1_30default_config_static_selectorELNS0_4arch9wavefront6targetE1EEEvSW_: ; @_ZN7rocprim17ROCPRIM_400000_NS6detail17trampoline_kernelINS0_14default_configENS1_29binary_search_config_selectorIjiEEZNS1_14transform_implILb0ES3_S5_N6thrust23THRUST_200600_302600_NS6detail15normal_iteratorINS8_7pointerIjNS8_11hip_rocprim5par_tENS8_11use_defaultESE_EEEENSA_INSB_IiSD_SE_SE_EEEEZNS1_13binary_searchIS3_S5_PjSG_SI_NS1_16binary_search_opENS9_16wrapped_functionINS8_6system6detail7generic6detail18binary_search_lessEbEEEE10hipError_tPvRmT1_T2_T3_mmT4_T5_P12ihipStream_tbEUlRKjE_EEST_SX_SY_mSZ_S12_bEUlT_E_NS1_11comp_targetILNS1_3genE8ELNS1_11target_archE1030ELNS1_3gpuE2ELNS1_3repE0EEENS1_30default_config_static_selectorELNS0_4arch9wavefront6targetE1EEEvSW_
; %bb.0:
	.section	.rodata,"a",@progbits
	.p2align	6, 0x0
	.amdhsa_kernel _ZN7rocprim17ROCPRIM_400000_NS6detail17trampoline_kernelINS0_14default_configENS1_29binary_search_config_selectorIjiEEZNS1_14transform_implILb0ES3_S5_N6thrust23THRUST_200600_302600_NS6detail15normal_iteratorINS8_7pointerIjNS8_11hip_rocprim5par_tENS8_11use_defaultESE_EEEENSA_INSB_IiSD_SE_SE_EEEEZNS1_13binary_searchIS3_S5_PjSG_SI_NS1_16binary_search_opENS9_16wrapped_functionINS8_6system6detail7generic6detail18binary_search_lessEbEEEE10hipError_tPvRmT1_T2_T3_mmT4_T5_P12ihipStream_tbEUlRKjE_EEST_SX_SY_mSZ_S12_bEUlT_E_NS1_11comp_targetILNS1_3genE8ELNS1_11target_archE1030ELNS1_3gpuE2ELNS1_3repE0EEENS1_30default_config_static_selectorELNS0_4arch9wavefront6targetE1EEEvSW_
		.amdhsa_group_segment_fixed_size 0
		.amdhsa_private_segment_fixed_size 0
		.amdhsa_kernarg_size 56
		.amdhsa_user_sgpr_count 6
		.amdhsa_user_sgpr_private_segment_buffer 1
		.amdhsa_user_sgpr_dispatch_ptr 0
		.amdhsa_user_sgpr_queue_ptr 0
		.amdhsa_user_sgpr_kernarg_segment_ptr 1
		.amdhsa_user_sgpr_dispatch_id 0
		.amdhsa_user_sgpr_flat_scratch_init 0
		.amdhsa_user_sgpr_private_segment_size 0
		.amdhsa_uses_dynamic_stack 0
		.amdhsa_system_sgpr_private_segment_wavefront_offset 0
		.amdhsa_system_sgpr_workgroup_id_x 1
		.amdhsa_system_sgpr_workgroup_id_y 0
		.amdhsa_system_sgpr_workgroup_id_z 0
		.amdhsa_system_sgpr_workgroup_info 0
		.amdhsa_system_vgpr_workitem_id 0
		.amdhsa_next_free_vgpr 1
		.amdhsa_next_free_sgpr 0
		.amdhsa_reserve_vcc 0
		.amdhsa_reserve_flat_scratch 0
		.amdhsa_float_round_mode_32 0
		.amdhsa_float_round_mode_16_64 0
		.amdhsa_float_denorm_mode_32 3
		.amdhsa_float_denorm_mode_16_64 3
		.amdhsa_dx10_clamp 1
		.amdhsa_ieee_mode 1
		.amdhsa_fp16_overflow 0
		.amdhsa_exception_fp_ieee_invalid_op 0
		.amdhsa_exception_fp_denorm_src 0
		.amdhsa_exception_fp_ieee_div_zero 0
		.amdhsa_exception_fp_ieee_overflow 0
		.amdhsa_exception_fp_ieee_underflow 0
		.amdhsa_exception_fp_ieee_inexact 0
		.amdhsa_exception_int_div_zero 0
	.end_amdhsa_kernel
	.section	.text._ZN7rocprim17ROCPRIM_400000_NS6detail17trampoline_kernelINS0_14default_configENS1_29binary_search_config_selectorIjiEEZNS1_14transform_implILb0ES3_S5_N6thrust23THRUST_200600_302600_NS6detail15normal_iteratorINS8_7pointerIjNS8_11hip_rocprim5par_tENS8_11use_defaultESE_EEEENSA_INSB_IiSD_SE_SE_EEEEZNS1_13binary_searchIS3_S5_PjSG_SI_NS1_16binary_search_opENS9_16wrapped_functionINS8_6system6detail7generic6detail18binary_search_lessEbEEEE10hipError_tPvRmT1_T2_T3_mmT4_T5_P12ihipStream_tbEUlRKjE_EEST_SX_SY_mSZ_S12_bEUlT_E_NS1_11comp_targetILNS1_3genE8ELNS1_11target_archE1030ELNS1_3gpuE2ELNS1_3repE0EEENS1_30default_config_static_selectorELNS0_4arch9wavefront6targetE1EEEvSW_,"axG",@progbits,_ZN7rocprim17ROCPRIM_400000_NS6detail17trampoline_kernelINS0_14default_configENS1_29binary_search_config_selectorIjiEEZNS1_14transform_implILb0ES3_S5_N6thrust23THRUST_200600_302600_NS6detail15normal_iteratorINS8_7pointerIjNS8_11hip_rocprim5par_tENS8_11use_defaultESE_EEEENSA_INSB_IiSD_SE_SE_EEEEZNS1_13binary_searchIS3_S5_PjSG_SI_NS1_16binary_search_opENS9_16wrapped_functionINS8_6system6detail7generic6detail18binary_search_lessEbEEEE10hipError_tPvRmT1_T2_T3_mmT4_T5_P12ihipStream_tbEUlRKjE_EEST_SX_SY_mSZ_S12_bEUlT_E_NS1_11comp_targetILNS1_3genE8ELNS1_11target_archE1030ELNS1_3gpuE2ELNS1_3repE0EEENS1_30default_config_static_selectorELNS0_4arch9wavefront6targetE1EEEvSW_,comdat
.Lfunc_end281:
	.size	_ZN7rocprim17ROCPRIM_400000_NS6detail17trampoline_kernelINS0_14default_configENS1_29binary_search_config_selectorIjiEEZNS1_14transform_implILb0ES3_S5_N6thrust23THRUST_200600_302600_NS6detail15normal_iteratorINS8_7pointerIjNS8_11hip_rocprim5par_tENS8_11use_defaultESE_EEEENSA_INSB_IiSD_SE_SE_EEEEZNS1_13binary_searchIS3_S5_PjSG_SI_NS1_16binary_search_opENS9_16wrapped_functionINS8_6system6detail7generic6detail18binary_search_lessEbEEEE10hipError_tPvRmT1_T2_T3_mmT4_T5_P12ihipStream_tbEUlRKjE_EEST_SX_SY_mSZ_S12_bEUlT_E_NS1_11comp_targetILNS1_3genE8ELNS1_11target_archE1030ELNS1_3gpuE2ELNS1_3repE0EEENS1_30default_config_static_selectorELNS0_4arch9wavefront6targetE1EEEvSW_, .Lfunc_end281-_ZN7rocprim17ROCPRIM_400000_NS6detail17trampoline_kernelINS0_14default_configENS1_29binary_search_config_selectorIjiEEZNS1_14transform_implILb0ES3_S5_N6thrust23THRUST_200600_302600_NS6detail15normal_iteratorINS8_7pointerIjNS8_11hip_rocprim5par_tENS8_11use_defaultESE_EEEENSA_INSB_IiSD_SE_SE_EEEEZNS1_13binary_searchIS3_S5_PjSG_SI_NS1_16binary_search_opENS9_16wrapped_functionINS8_6system6detail7generic6detail18binary_search_lessEbEEEE10hipError_tPvRmT1_T2_T3_mmT4_T5_P12ihipStream_tbEUlRKjE_EEST_SX_SY_mSZ_S12_bEUlT_E_NS1_11comp_targetILNS1_3genE8ELNS1_11target_archE1030ELNS1_3gpuE2ELNS1_3repE0EEENS1_30default_config_static_selectorELNS0_4arch9wavefront6targetE1EEEvSW_
                                        ; -- End function
	.set _ZN7rocprim17ROCPRIM_400000_NS6detail17trampoline_kernelINS0_14default_configENS1_29binary_search_config_selectorIjiEEZNS1_14transform_implILb0ES3_S5_N6thrust23THRUST_200600_302600_NS6detail15normal_iteratorINS8_7pointerIjNS8_11hip_rocprim5par_tENS8_11use_defaultESE_EEEENSA_INSB_IiSD_SE_SE_EEEEZNS1_13binary_searchIS3_S5_PjSG_SI_NS1_16binary_search_opENS9_16wrapped_functionINS8_6system6detail7generic6detail18binary_search_lessEbEEEE10hipError_tPvRmT1_T2_T3_mmT4_T5_P12ihipStream_tbEUlRKjE_EEST_SX_SY_mSZ_S12_bEUlT_E_NS1_11comp_targetILNS1_3genE8ELNS1_11target_archE1030ELNS1_3gpuE2ELNS1_3repE0EEENS1_30default_config_static_selectorELNS0_4arch9wavefront6targetE1EEEvSW_.num_vgpr, 0
	.set _ZN7rocprim17ROCPRIM_400000_NS6detail17trampoline_kernelINS0_14default_configENS1_29binary_search_config_selectorIjiEEZNS1_14transform_implILb0ES3_S5_N6thrust23THRUST_200600_302600_NS6detail15normal_iteratorINS8_7pointerIjNS8_11hip_rocprim5par_tENS8_11use_defaultESE_EEEENSA_INSB_IiSD_SE_SE_EEEEZNS1_13binary_searchIS3_S5_PjSG_SI_NS1_16binary_search_opENS9_16wrapped_functionINS8_6system6detail7generic6detail18binary_search_lessEbEEEE10hipError_tPvRmT1_T2_T3_mmT4_T5_P12ihipStream_tbEUlRKjE_EEST_SX_SY_mSZ_S12_bEUlT_E_NS1_11comp_targetILNS1_3genE8ELNS1_11target_archE1030ELNS1_3gpuE2ELNS1_3repE0EEENS1_30default_config_static_selectorELNS0_4arch9wavefront6targetE1EEEvSW_.num_agpr, 0
	.set _ZN7rocprim17ROCPRIM_400000_NS6detail17trampoline_kernelINS0_14default_configENS1_29binary_search_config_selectorIjiEEZNS1_14transform_implILb0ES3_S5_N6thrust23THRUST_200600_302600_NS6detail15normal_iteratorINS8_7pointerIjNS8_11hip_rocprim5par_tENS8_11use_defaultESE_EEEENSA_INSB_IiSD_SE_SE_EEEEZNS1_13binary_searchIS3_S5_PjSG_SI_NS1_16binary_search_opENS9_16wrapped_functionINS8_6system6detail7generic6detail18binary_search_lessEbEEEE10hipError_tPvRmT1_T2_T3_mmT4_T5_P12ihipStream_tbEUlRKjE_EEST_SX_SY_mSZ_S12_bEUlT_E_NS1_11comp_targetILNS1_3genE8ELNS1_11target_archE1030ELNS1_3gpuE2ELNS1_3repE0EEENS1_30default_config_static_selectorELNS0_4arch9wavefront6targetE1EEEvSW_.numbered_sgpr, 0
	.set _ZN7rocprim17ROCPRIM_400000_NS6detail17trampoline_kernelINS0_14default_configENS1_29binary_search_config_selectorIjiEEZNS1_14transform_implILb0ES3_S5_N6thrust23THRUST_200600_302600_NS6detail15normal_iteratorINS8_7pointerIjNS8_11hip_rocprim5par_tENS8_11use_defaultESE_EEEENSA_INSB_IiSD_SE_SE_EEEEZNS1_13binary_searchIS3_S5_PjSG_SI_NS1_16binary_search_opENS9_16wrapped_functionINS8_6system6detail7generic6detail18binary_search_lessEbEEEE10hipError_tPvRmT1_T2_T3_mmT4_T5_P12ihipStream_tbEUlRKjE_EEST_SX_SY_mSZ_S12_bEUlT_E_NS1_11comp_targetILNS1_3genE8ELNS1_11target_archE1030ELNS1_3gpuE2ELNS1_3repE0EEENS1_30default_config_static_selectorELNS0_4arch9wavefront6targetE1EEEvSW_.num_named_barrier, 0
	.set _ZN7rocprim17ROCPRIM_400000_NS6detail17trampoline_kernelINS0_14default_configENS1_29binary_search_config_selectorIjiEEZNS1_14transform_implILb0ES3_S5_N6thrust23THRUST_200600_302600_NS6detail15normal_iteratorINS8_7pointerIjNS8_11hip_rocprim5par_tENS8_11use_defaultESE_EEEENSA_INSB_IiSD_SE_SE_EEEEZNS1_13binary_searchIS3_S5_PjSG_SI_NS1_16binary_search_opENS9_16wrapped_functionINS8_6system6detail7generic6detail18binary_search_lessEbEEEE10hipError_tPvRmT1_T2_T3_mmT4_T5_P12ihipStream_tbEUlRKjE_EEST_SX_SY_mSZ_S12_bEUlT_E_NS1_11comp_targetILNS1_3genE8ELNS1_11target_archE1030ELNS1_3gpuE2ELNS1_3repE0EEENS1_30default_config_static_selectorELNS0_4arch9wavefront6targetE1EEEvSW_.private_seg_size, 0
	.set _ZN7rocprim17ROCPRIM_400000_NS6detail17trampoline_kernelINS0_14default_configENS1_29binary_search_config_selectorIjiEEZNS1_14transform_implILb0ES3_S5_N6thrust23THRUST_200600_302600_NS6detail15normal_iteratorINS8_7pointerIjNS8_11hip_rocprim5par_tENS8_11use_defaultESE_EEEENSA_INSB_IiSD_SE_SE_EEEEZNS1_13binary_searchIS3_S5_PjSG_SI_NS1_16binary_search_opENS9_16wrapped_functionINS8_6system6detail7generic6detail18binary_search_lessEbEEEE10hipError_tPvRmT1_T2_T3_mmT4_T5_P12ihipStream_tbEUlRKjE_EEST_SX_SY_mSZ_S12_bEUlT_E_NS1_11comp_targetILNS1_3genE8ELNS1_11target_archE1030ELNS1_3gpuE2ELNS1_3repE0EEENS1_30default_config_static_selectorELNS0_4arch9wavefront6targetE1EEEvSW_.uses_vcc, 0
	.set _ZN7rocprim17ROCPRIM_400000_NS6detail17trampoline_kernelINS0_14default_configENS1_29binary_search_config_selectorIjiEEZNS1_14transform_implILb0ES3_S5_N6thrust23THRUST_200600_302600_NS6detail15normal_iteratorINS8_7pointerIjNS8_11hip_rocprim5par_tENS8_11use_defaultESE_EEEENSA_INSB_IiSD_SE_SE_EEEEZNS1_13binary_searchIS3_S5_PjSG_SI_NS1_16binary_search_opENS9_16wrapped_functionINS8_6system6detail7generic6detail18binary_search_lessEbEEEE10hipError_tPvRmT1_T2_T3_mmT4_T5_P12ihipStream_tbEUlRKjE_EEST_SX_SY_mSZ_S12_bEUlT_E_NS1_11comp_targetILNS1_3genE8ELNS1_11target_archE1030ELNS1_3gpuE2ELNS1_3repE0EEENS1_30default_config_static_selectorELNS0_4arch9wavefront6targetE1EEEvSW_.uses_flat_scratch, 0
	.set _ZN7rocprim17ROCPRIM_400000_NS6detail17trampoline_kernelINS0_14default_configENS1_29binary_search_config_selectorIjiEEZNS1_14transform_implILb0ES3_S5_N6thrust23THRUST_200600_302600_NS6detail15normal_iteratorINS8_7pointerIjNS8_11hip_rocprim5par_tENS8_11use_defaultESE_EEEENSA_INSB_IiSD_SE_SE_EEEEZNS1_13binary_searchIS3_S5_PjSG_SI_NS1_16binary_search_opENS9_16wrapped_functionINS8_6system6detail7generic6detail18binary_search_lessEbEEEE10hipError_tPvRmT1_T2_T3_mmT4_T5_P12ihipStream_tbEUlRKjE_EEST_SX_SY_mSZ_S12_bEUlT_E_NS1_11comp_targetILNS1_3genE8ELNS1_11target_archE1030ELNS1_3gpuE2ELNS1_3repE0EEENS1_30default_config_static_selectorELNS0_4arch9wavefront6targetE1EEEvSW_.has_dyn_sized_stack, 0
	.set _ZN7rocprim17ROCPRIM_400000_NS6detail17trampoline_kernelINS0_14default_configENS1_29binary_search_config_selectorIjiEEZNS1_14transform_implILb0ES3_S5_N6thrust23THRUST_200600_302600_NS6detail15normal_iteratorINS8_7pointerIjNS8_11hip_rocprim5par_tENS8_11use_defaultESE_EEEENSA_INSB_IiSD_SE_SE_EEEEZNS1_13binary_searchIS3_S5_PjSG_SI_NS1_16binary_search_opENS9_16wrapped_functionINS8_6system6detail7generic6detail18binary_search_lessEbEEEE10hipError_tPvRmT1_T2_T3_mmT4_T5_P12ihipStream_tbEUlRKjE_EEST_SX_SY_mSZ_S12_bEUlT_E_NS1_11comp_targetILNS1_3genE8ELNS1_11target_archE1030ELNS1_3gpuE2ELNS1_3repE0EEENS1_30default_config_static_selectorELNS0_4arch9wavefront6targetE1EEEvSW_.has_recursion, 0
	.set _ZN7rocprim17ROCPRIM_400000_NS6detail17trampoline_kernelINS0_14default_configENS1_29binary_search_config_selectorIjiEEZNS1_14transform_implILb0ES3_S5_N6thrust23THRUST_200600_302600_NS6detail15normal_iteratorINS8_7pointerIjNS8_11hip_rocprim5par_tENS8_11use_defaultESE_EEEENSA_INSB_IiSD_SE_SE_EEEEZNS1_13binary_searchIS3_S5_PjSG_SI_NS1_16binary_search_opENS9_16wrapped_functionINS8_6system6detail7generic6detail18binary_search_lessEbEEEE10hipError_tPvRmT1_T2_T3_mmT4_T5_P12ihipStream_tbEUlRKjE_EEST_SX_SY_mSZ_S12_bEUlT_E_NS1_11comp_targetILNS1_3genE8ELNS1_11target_archE1030ELNS1_3gpuE2ELNS1_3repE0EEENS1_30default_config_static_selectorELNS0_4arch9wavefront6targetE1EEEvSW_.has_indirect_call, 0
	.section	.AMDGPU.csdata,"",@progbits
; Kernel info:
; codeLenInByte = 0
; TotalNumSgprs: 4
; NumVgprs: 0
; ScratchSize: 0
; MemoryBound: 0
; FloatMode: 240
; IeeeMode: 1
; LDSByteSize: 0 bytes/workgroup (compile time only)
; SGPRBlocks: 0
; VGPRBlocks: 0
; NumSGPRsForWavesPerEU: 4
; NumVGPRsForWavesPerEU: 1
; Occupancy: 10
; WaveLimiterHint : 0
; COMPUTE_PGM_RSRC2:SCRATCH_EN: 0
; COMPUTE_PGM_RSRC2:USER_SGPR: 6
; COMPUTE_PGM_RSRC2:TRAP_HANDLER: 0
; COMPUTE_PGM_RSRC2:TGID_X_EN: 1
; COMPUTE_PGM_RSRC2:TGID_Y_EN: 0
; COMPUTE_PGM_RSRC2:TGID_Z_EN: 0
; COMPUTE_PGM_RSRC2:TIDIG_COMP_CNT: 0
	.section	.text._Z20binary_search_kernelItEvmPT_Pb,"axG",@progbits,_Z20binary_search_kernelItEvmPT_Pb,comdat
	.protected	_Z20binary_search_kernelItEvmPT_Pb ; -- Begin function _Z20binary_search_kernelItEvmPT_Pb
	.globl	_Z20binary_search_kernelItEvmPT_Pb
	.p2align	8
	.type	_Z20binary_search_kernelItEvmPT_Pb,@function
_Z20binary_search_kernelItEvmPT_Pb:     ; @_Z20binary_search_kernelItEvmPT_Pb
; %bb.0:
	s_load_dwordx4 s[0:3], s[4:5], 0x0
	s_load_dwordx2 s[6:7], s[4:5], 0x10
	s_mov_b64 s[10:11], 0
	s_waitcnt lgkmcnt(0)
	s_cmp_eq_u64 s[0:1], 0
	s_cbranch_scc1 .LBB282_2
; %bb.1:
	v_mov_b32_e32 v0, 0
	global_load_ushort v0, v0, s[2:3]
	s_waitcnt vmcnt(0)
	v_cmp_eq_u32_e64 s[12:13], 0, v0
	s_branch .LBB282_3
.LBB282_2:
	s_mov_b64 s[12:13], 0
.LBB282_3:
	s_lshl_b64 s[4:5], s[0:1], 1
	s_add_u32 s0, s2, s4
	s_addc_u32 s1, s3, s5
	s_sub_u32 s0, s0, s2
	s_subb_u32 s1, s1, s3
	s_ashr_i64 s[8:9], s[0:1], 1
	v_cmp_lt_i64_e64 s[0:1], s[8:9], 1
	v_mov_b32_e32 v0, 0
	v_cndmask_b32_e64 v1, 0, 1, s[12:13]
	s_and_b64 vcc, exec, s[0:1]
	global_store_byte v0, v1, s[6:7]
	s_cbranch_vccnz .LBB282_7
; %bb.4:
	s_mov_b64 s[0:1], 0
	s_mov_b64 s[10:11], s[8:9]
.LBB282_5:                              ; =>This Inner Loop Header: Depth=1
	s_sub_u32 s12, s10, s0
	s_subb_u32 s13, s11, s1
	s_lshr_b64 s[12:13], s[12:13], 1
	s_add_u32 s12, s12, s0
	s_addc_u32 s13, s13, s1
	s_lshl_b64 s[14:15], s[12:13], 1
	s_add_u32 s14, s2, s14
	s_addc_u32 s15, s3, s15
	global_load_ushort v1, v0, s[14:15]
	s_waitcnt vmcnt(0)
	v_readfirstlane_b32 s14, v1
	s_and_b32 s14, 0xffff, s14
	s_add_u32 s15, s12, 1
	s_addc_u32 s16, s13, 0
	s_cmp_eq_u32 s14, 0
	s_cselect_b32 s10, s10, s12
	s_cselect_b32 s11, s11, s13
	v_mov_b32_e32 v1, s10
	s_cselect_b32 s1, s16, s1
	s_cselect_b32 s0, s15, s0
	v_mov_b32_e32 v2, s11
	v_cmp_lt_i64_e32 vcc, s[0:1], v[1:2]
	s_cbranch_vccnz .LBB282_5
; %bb.6:
	s_lshl_b64 s[10:11], s[0:1], 1
.LBB282_7:
	v_cmp_gt_i64_e64 s[14:15], s[8:9], 0
	s_mov_b64 s[12:13], 0
	s_cmp_eq_u64 s[10:11], s[4:5]
	s_mov_b64 s[0:1], 0
	s_cbranch_scc1 .LBB282_9
; %bb.8:
	s_add_u32 s0, s2, s10
	s_addc_u32 s1, s3, s11
	v_mov_b32_e32 v0, 0
	global_load_ushort v0, v0, s[0:1]
	s_waitcnt vmcnt(0)
	v_cmp_gt_u32_e64 s[0:1], 2, v0
.LBB282_9:
	v_cndmask_b32_e64 v2, 0, 1, s[14:15]
	v_mov_b32_e32 v0, 0
	v_cndmask_b32_e64 v1, 0, 1, s[0:1]
	v_cmp_ne_u32_e64 s[0:1], 1, v2
	s_andn2_b64 vcc, exec, s[14:15]
	global_store_byte v0, v1, s[6:7] offset:1
	s_cbranch_vccnz .LBB282_13
; %bb.10:
	s_mov_b64 s[10:11], 0
	s_mov_b64 s[12:13], s[8:9]
.LBB282_11:                             ; =>This Inner Loop Header: Depth=1
	s_sub_u32 s14, s12, s10
	s_subb_u32 s15, s13, s11
	s_lshr_b64 s[14:15], s[14:15], 1
	s_add_u32 s14, s14, s10
	s_addc_u32 s15, s15, s11
	s_lshl_b64 s[16:17], s[14:15], 1
	s_add_u32 s16, s2, s16
	s_addc_u32 s17, s3, s17
	global_load_ushort v1, v0, s[16:17]
	s_waitcnt vmcnt(0)
	v_readfirstlane_b32 s16, v1
	s_and_b32 s16, 0xffff, s16
	s_add_u32 s17, s14, 1
	s_addc_u32 s18, s15, 0
	s_cmp_lt_u32 s16, 2
	s_cselect_b32 s12, s12, s14
	s_cselect_b32 s13, s13, s15
	v_mov_b32_e32 v1, s12
	s_cselect_b32 s11, s18, s11
	s_cselect_b32 s10, s17, s10
	v_mov_b32_e32 v2, s13
	v_cmp_lt_i64_e32 vcc, s[10:11], v[1:2]
	s_cbranch_vccnz .LBB282_11
; %bb.12:
	s_lshl_b64 s[12:13], s[10:11], 1
.LBB282_13:
	s_mov_b64 s[10:11], 0
	s_cmp_eq_u64 s[12:13], s[4:5]
	s_mov_b64 s[14:15], 0
	s_cbranch_scc1 .LBB282_15
; %bb.14:
	s_add_u32 s12, s2, s12
	s_addc_u32 s13, s3, s13
	v_mov_b32_e32 v0, 0
	global_load_ushort v0, v0, s[12:13]
	s_waitcnt vmcnt(0)
	v_cmp_gt_u32_e64 s[14:15], 3, v0
.LBB282_15:
	v_mov_b32_e32 v0, 0
	v_cndmask_b32_e64 v1, 0, 1, s[14:15]
	s_and_b64 vcc, exec, s[0:1]
	global_store_byte v0, v1, s[6:7] offset:2
	s_cbranch_vccnz .LBB282_19
; %bb.16:
	s_mov_b64 s[12:13], s[8:9]
.LBB282_17:                             ; =>This Inner Loop Header: Depth=1
	s_sub_u32 s14, s12, s10
	s_subb_u32 s15, s13, s11
	s_lshr_b64 s[14:15], s[14:15], 1
	s_add_u32 s14, s14, s10
	s_addc_u32 s15, s15, s11
	s_lshl_b64 s[16:17], s[14:15], 1
	s_add_u32 s16, s2, s16
	s_addc_u32 s17, s3, s17
	global_load_ushort v1, v0, s[16:17]
	s_waitcnt vmcnt(0)
	v_readfirstlane_b32 s16, v1
	s_and_b32 s16, 0xffff, s16
	s_add_u32 s17, s14, 1
	s_addc_u32 s18, s15, 0
	s_cmp_lt_u32 s16, 3
	s_cselect_b32 s12, s12, s14
	s_cselect_b32 s13, s13, s15
	v_mov_b32_e32 v1, s12
	s_cselect_b32 s11, s18, s11
	s_cselect_b32 s10, s17, s10
	v_mov_b32_e32 v2, s13
	v_cmp_lt_i64_e32 vcc, s[10:11], v[1:2]
	s_cbranch_vccnz .LBB282_17
; %bb.18:
	s_lshl_b64 s[10:11], s[10:11], 1
.LBB282_19:
	s_mov_b64 s[12:13], 0
	s_cmp_eq_u64 s[10:11], s[4:5]
	s_mov_b64 s[14:15], 0
	s_cbranch_scc1 .LBB282_21
; %bb.20:
	s_add_u32 s10, s2, s10
	s_addc_u32 s11, s3, s11
	v_mov_b32_e32 v0, 0
	global_load_ushort v0, v0, s[10:11]
	s_waitcnt vmcnt(0)
	v_cmp_gt_u32_e64 s[14:15], 4, v0
.LBB282_21:
	v_mov_b32_e32 v0, 0
	v_cndmask_b32_e64 v1, 0, 1, s[14:15]
	s_and_b64 vcc, exec, s[0:1]
	global_store_byte v0, v1, s[6:7] offset:3
	s_cbranch_vccnz .LBB282_25
; %bb.22:
	s_mov_b64 s[10:11], 0
	s_mov_b64 s[12:13], s[8:9]
.LBB282_23:                             ; =>This Inner Loop Header: Depth=1
	s_sub_u32 s14, s12, s10
	s_subb_u32 s15, s13, s11
	s_lshr_b64 s[14:15], s[14:15], 1
	s_add_u32 s14, s14, s10
	s_addc_u32 s15, s15, s11
	s_lshl_b64 s[16:17], s[14:15], 1
	s_add_u32 s16, s2, s16
	s_addc_u32 s17, s3, s17
	global_load_ushort v1, v0, s[16:17]
	s_waitcnt vmcnt(0)
	v_readfirstlane_b32 s16, v1
	s_and_b32 s16, 0xffff, s16
	s_add_u32 s17, s14, 1
	s_addc_u32 s18, s15, 0
	s_cmp_lt_u32 s16, 4
	s_cselect_b32 s12, s12, s14
	s_cselect_b32 s13, s13, s15
	v_mov_b32_e32 v1, s12
	s_cselect_b32 s11, s18, s11
	s_cselect_b32 s10, s17, s10
	v_mov_b32_e32 v2, s13
	v_cmp_lt_i64_e32 vcc, s[10:11], v[1:2]
	s_cbranch_vccnz .LBB282_23
; %bb.24:
	s_lshl_b64 s[12:13], s[10:11], 1
.LBB282_25:
	s_mov_b64 s[10:11], 0
	s_cmp_eq_u64 s[12:13], s[4:5]
	s_mov_b64 s[14:15], 0
	s_cbranch_scc1 .LBB282_27
; %bb.26:
	s_add_u32 s12, s2, s12
	s_addc_u32 s13, s3, s13
	v_mov_b32_e32 v0, 0
	global_load_ushort v0, v0, s[12:13]
	s_waitcnt vmcnt(0)
	v_cmp_gt_u32_e64 s[14:15], 5, v0
.LBB282_27:
	v_mov_b32_e32 v0, 0
	v_cndmask_b32_e64 v1, 0, 1, s[14:15]
	s_and_b64 vcc, exec, s[0:1]
	global_store_byte v0, v1, s[6:7] offset:4
	s_cbranch_vccnz .LBB282_31
; %bb.28:
	s_mov_b64 s[12:13], s[8:9]
.LBB282_29:                             ; =>This Inner Loop Header: Depth=1
	s_sub_u32 s14, s12, s10
	s_subb_u32 s15, s13, s11
	s_lshr_b64 s[14:15], s[14:15], 1
	s_add_u32 s14, s14, s10
	s_addc_u32 s15, s15, s11
	s_lshl_b64 s[16:17], s[14:15], 1
	s_add_u32 s16, s2, s16
	s_addc_u32 s17, s3, s17
	global_load_ushort v1, v0, s[16:17]
	s_waitcnt vmcnt(0)
	v_readfirstlane_b32 s16, v1
	s_and_b32 s16, 0xffff, s16
	s_add_u32 s17, s14, 1
	s_addc_u32 s18, s15, 0
	s_cmp_lt_u32 s16, 5
	s_cselect_b32 s12, s12, s14
	s_cselect_b32 s13, s13, s15
	v_mov_b32_e32 v1, s12
	s_cselect_b32 s11, s18, s11
	s_cselect_b32 s10, s17, s10
	v_mov_b32_e32 v2, s13
	v_cmp_lt_i64_e32 vcc, s[10:11], v[1:2]
	s_cbranch_vccnz .LBB282_29
; %bb.30:
	s_lshl_b64 s[10:11], s[10:11], 1
.LBB282_31:
	s_mov_b64 s[12:13], 0
	s_cmp_eq_u64 s[10:11], s[4:5]
	s_mov_b64 s[14:15], 0
	s_cbranch_scc1 .LBB282_33
; %bb.32:
	s_add_u32 s10, s2, s10
	s_addc_u32 s11, s3, s11
	v_mov_b32_e32 v0, 0
	global_load_ushort v0, v0, s[10:11]
	s_waitcnt vmcnt(0)
	v_cmp_gt_u32_e64 s[14:15], 6, v0
.LBB282_33:
	v_mov_b32_e32 v0, 0
	v_cndmask_b32_e64 v1, 0, 1, s[14:15]
	s_and_b64 vcc, exec, s[0:1]
	global_store_byte v0, v1, s[6:7] offset:5
	s_cbranch_vccnz .LBB282_37
; %bb.34:
	s_mov_b64 s[10:11], 0
	s_mov_b64 s[12:13], s[8:9]
.LBB282_35:                             ; =>This Inner Loop Header: Depth=1
	s_sub_u32 s14, s12, s10
	s_subb_u32 s15, s13, s11
	s_lshr_b64 s[14:15], s[14:15], 1
	s_add_u32 s14, s14, s10
	s_addc_u32 s15, s15, s11
	s_lshl_b64 s[16:17], s[14:15], 1
	s_add_u32 s16, s2, s16
	s_addc_u32 s17, s3, s17
	global_load_ushort v1, v0, s[16:17]
	s_waitcnt vmcnt(0)
	v_readfirstlane_b32 s16, v1
	s_and_b32 s16, 0xffff, s16
	s_add_u32 s17, s14, 1
	s_addc_u32 s18, s15, 0
	s_cmp_lt_u32 s16, 6
	s_cselect_b32 s12, s12, s14
	s_cselect_b32 s13, s13, s15
	v_mov_b32_e32 v1, s12
	s_cselect_b32 s11, s18, s11
	s_cselect_b32 s10, s17, s10
	v_mov_b32_e32 v2, s13
	v_cmp_lt_i64_e32 vcc, s[10:11], v[1:2]
	s_cbranch_vccnz .LBB282_35
; %bb.36:
	s_lshl_b64 s[12:13], s[10:11], 1
.LBB282_37:
	s_mov_b64 s[10:11], 0
	s_cmp_eq_u64 s[12:13], s[4:5]
	s_mov_b64 s[14:15], 0
	s_cbranch_scc1 .LBB282_39
; %bb.38:
	s_add_u32 s12, s2, s12
	s_addc_u32 s13, s3, s13
	v_mov_b32_e32 v0, 0
	global_load_ushort v0, v0, s[12:13]
	s_waitcnt vmcnt(0)
	v_cmp_gt_u32_e64 s[14:15], 7, v0
.LBB282_39:
	v_mov_b32_e32 v0, 0
	v_cndmask_b32_e64 v1, 0, 1, s[14:15]
	s_and_b64 vcc, exec, s[0:1]
	global_store_byte v0, v1, s[6:7] offset:6
	s_cbranch_vccnz .LBB282_43
; %bb.40:
	s_mov_b64 s[12:13], s[8:9]
.LBB282_41:                             ; =>This Inner Loop Header: Depth=1
	s_sub_u32 s14, s12, s10
	s_subb_u32 s15, s13, s11
	s_lshr_b64 s[14:15], s[14:15], 1
	s_add_u32 s14, s14, s10
	s_addc_u32 s15, s15, s11
	s_lshl_b64 s[16:17], s[14:15], 1
	s_add_u32 s16, s2, s16
	s_addc_u32 s17, s3, s17
	global_load_ushort v1, v0, s[16:17]
	s_waitcnt vmcnt(0)
	v_readfirstlane_b32 s16, v1
	s_and_b32 s16, 0xffff, s16
	s_add_u32 s17, s14, 1
	s_addc_u32 s18, s15, 0
	s_cmp_lt_u32 s16, 7
	s_cselect_b32 s12, s12, s14
	s_cselect_b32 s13, s13, s15
	v_mov_b32_e32 v1, s12
	s_cselect_b32 s11, s18, s11
	s_cselect_b32 s10, s17, s10
	v_mov_b32_e32 v2, s13
	v_cmp_lt_i64_e32 vcc, s[10:11], v[1:2]
	s_cbranch_vccnz .LBB282_41
; %bb.42:
	s_lshl_b64 s[10:11], s[10:11], 1
.LBB282_43:
	s_mov_b64 s[12:13], 0
	s_cmp_eq_u64 s[10:11], s[4:5]
	s_mov_b64 s[14:15], 0
	s_cbranch_scc1 .LBB282_45
; %bb.44:
	s_add_u32 s10, s2, s10
	s_addc_u32 s11, s3, s11
	v_mov_b32_e32 v0, 0
	global_load_ushort v0, v0, s[10:11]
	s_waitcnt vmcnt(0)
	v_cmp_gt_u32_e64 s[14:15], 8, v0
.LBB282_45:
	v_mov_b32_e32 v0, 0
	v_cndmask_b32_e64 v1, 0, 1, s[14:15]
	s_and_b64 vcc, exec, s[0:1]
	global_store_byte v0, v1, s[6:7] offset:7
	s_cbranch_vccnz .LBB282_49
; %bb.46:
	s_mov_b64 s[10:11], 0
	s_mov_b64 s[12:13], s[8:9]
.LBB282_47:                             ; =>This Inner Loop Header: Depth=1
	s_sub_u32 s14, s12, s10
	s_subb_u32 s15, s13, s11
	s_lshr_b64 s[14:15], s[14:15], 1
	s_add_u32 s14, s14, s10
	s_addc_u32 s15, s15, s11
	s_lshl_b64 s[16:17], s[14:15], 1
	s_add_u32 s16, s2, s16
	s_addc_u32 s17, s3, s17
	global_load_ushort v1, v0, s[16:17]
	s_waitcnt vmcnt(0)
	v_readfirstlane_b32 s16, v1
	s_and_b32 s16, 0xffff, s16
	s_add_u32 s17, s14, 1
	s_addc_u32 s18, s15, 0
	s_cmp_lt_u32 s16, 8
	s_cselect_b32 s12, s12, s14
	s_cselect_b32 s13, s13, s15
	v_mov_b32_e32 v1, s12
	s_cselect_b32 s11, s18, s11
	s_cselect_b32 s10, s17, s10
	v_mov_b32_e32 v2, s13
	v_cmp_lt_i64_e32 vcc, s[10:11], v[1:2]
	s_cbranch_vccnz .LBB282_47
; %bb.48:
	s_lshl_b64 s[12:13], s[10:11], 1
.LBB282_49:
	s_mov_b64 s[10:11], 0
	s_cmp_eq_u64 s[12:13], s[4:5]
	s_mov_b64 s[14:15], 0
	s_cbranch_scc1 .LBB282_51
; %bb.50:
	s_add_u32 s12, s2, s12
	s_addc_u32 s13, s3, s13
	v_mov_b32_e32 v0, 0
	global_load_ushort v0, v0, s[12:13]
	s_waitcnt vmcnt(0)
	v_cmp_gt_u32_e64 s[14:15], 9, v0
.LBB282_51:
	v_mov_b32_e32 v0, 0
	v_cndmask_b32_e64 v1, 0, 1, s[14:15]
	s_and_b64 vcc, exec, s[0:1]
	global_store_byte v0, v1, s[6:7] offset:8
	s_cbranch_vccnz .LBB282_55
; %bb.52:
	s_mov_b64 s[0:1], 0
.LBB282_53:                             ; =>This Inner Loop Header: Depth=1
	s_sub_u32 s10, s8, s0
	s_subb_u32 s11, s9, s1
	s_lshr_b64 s[10:11], s[10:11], 1
	s_add_u32 s10, s10, s0
	s_addc_u32 s11, s11, s1
	s_lshl_b64 s[12:13], s[10:11], 1
	s_add_u32 s12, s2, s12
	s_addc_u32 s13, s3, s13
	global_load_ushort v1, v0, s[12:13]
	s_waitcnt vmcnt(0)
	v_readfirstlane_b32 s12, v1
	s_and_b32 s12, 0xffff, s12
	s_add_u32 s13, s10, 1
	s_addc_u32 s14, s11, 0
	s_cmp_lt_u32 s12, 9
	s_cselect_b32 s8, s8, s10
	s_cselect_b32 s9, s9, s11
	v_mov_b32_e32 v1, s8
	s_cselect_b32 s1, s14, s1
	s_cselect_b32 s0, s13, s0
	v_mov_b32_e32 v2, s9
	v_cmp_lt_i64_e32 vcc, s[0:1], v[1:2]
	s_cbranch_vccnz .LBB282_53
; %bb.54:
	s_lshl_b64 s[10:11], s[0:1], 1
.LBB282_55:
	s_cmp_eq_u64 s[10:11], s[4:5]
	s_mov_b64 s[0:1], 0
	s_cbranch_scc1 .LBB282_57
; %bb.56:
	s_add_u32 s0, s2, s10
	s_addc_u32 s1, s3, s11
	v_mov_b32_e32 v0, 0
	global_load_ushort v0, v0, s[0:1]
	s_waitcnt vmcnt(0)
	v_cmp_gt_u32_e64 s[0:1], 10, v0
.LBB282_57:
	v_mov_b32_e32 v0, 0
	v_cndmask_b32_e64 v1, 0, 1, s[0:1]
	global_store_byte v0, v1, s[6:7] offset:9
	s_endpgm
	.section	.rodata,"a",@progbits
	.p2align	6, 0x0
	.amdhsa_kernel _Z20binary_search_kernelItEvmPT_Pb
		.amdhsa_group_segment_fixed_size 0
		.amdhsa_private_segment_fixed_size 0
		.amdhsa_kernarg_size 24
		.amdhsa_user_sgpr_count 6
		.amdhsa_user_sgpr_private_segment_buffer 1
		.amdhsa_user_sgpr_dispatch_ptr 0
		.amdhsa_user_sgpr_queue_ptr 0
		.amdhsa_user_sgpr_kernarg_segment_ptr 1
		.amdhsa_user_sgpr_dispatch_id 0
		.amdhsa_user_sgpr_flat_scratch_init 0
		.amdhsa_user_sgpr_private_segment_size 0
		.amdhsa_uses_dynamic_stack 0
		.amdhsa_system_sgpr_private_segment_wavefront_offset 0
		.amdhsa_system_sgpr_workgroup_id_x 1
		.amdhsa_system_sgpr_workgroup_id_y 0
		.amdhsa_system_sgpr_workgroup_id_z 0
		.amdhsa_system_sgpr_workgroup_info 0
		.amdhsa_system_vgpr_workitem_id 0
		.amdhsa_next_free_vgpr 3
		.amdhsa_next_free_sgpr 19
		.amdhsa_reserve_vcc 1
		.amdhsa_reserve_flat_scratch 0
		.amdhsa_float_round_mode_32 0
		.amdhsa_float_round_mode_16_64 0
		.amdhsa_float_denorm_mode_32 3
		.amdhsa_float_denorm_mode_16_64 3
		.amdhsa_dx10_clamp 1
		.amdhsa_ieee_mode 1
		.amdhsa_fp16_overflow 0
		.amdhsa_exception_fp_ieee_invalid_op 0
		.amdhsa_exception_fp_denorm_src 0
		.amdhsa_exception_fp_ieee_div_zero 0
		.amdhsa_exception_fp_ieee_overflow 0
		.amdhsa_exception_fp_ieee_underflow 0
		.amdhsa_exception_fp_ieee_inexact 0
		.amdhsa_exception_int_div_zero 0
	.end_amdhsa_kernel
	.section	.text._Z20binary_search_kernelItEvmPT_Pb,"axG",@progbits,_Z20binary_search_kernelItEvmPT_Pb,comdat
.Lfunc_end282:
	.size	_Z20binary_search_kernelItEvmPT_Pb, .Lfunc_end282-_Z20binary_search_kernelItEvmPT_Pb
                                        ; -- End function
	.set _Z20binary_search_kernelItEvmPT_Pb.num_vgpr, 3
	.set _Z20binary_search_kernelItEvmPT_Pb.num_agpr, 0
	.set _Z20binary_search_kernelItEvmPT_Pb.numbered_sgpr, 19
	.set _Z20binary_search_kernelItEvmPT_Pb.num_named_barrier, 0
	.set _Z20binary_search_kernelItEvmPT_Pb.private_seg_size, 0
	.set _Z20binary_search_kernelItEvmPT_Pb.uses_vcc, 1
	.set _Z20binary_search_kernelItEvmPT_Pb.uses_flat_scratch, 0
	.set _Z20binary_search_kernelItEvmPT_Pb.has_dyn_sized_stack, 0
	.set _Z20binary_search_kernelItEvmPT_Pb.has_recursion, 0
	.set _Z20binary_search_kernelItEvmPT_Pb.has_indirect_call, 0
	.section	.AMDGPU.csdata,"",@progbits
; Kernel info:
; codeLenInByte = 1816
; TotalNumSgprs: 23
; NumVgprs: 3
; ScratchSize: 0
; MemoryBound: 0
; FloatMode: 240
; IeeeMode: 1
; LDSByteSize: 0 bytes/workgroup (compile time only)
; SGPRBlocks: 2
; VGPRBlocks: 0
; NumSGPRsForWavesPerEU: 23
; NumVGPRsForWavesPerEU: 3
; Occupancy: 10
; WaveLimiterHint : 0
; COMPUTE_PGM_RSRC2:SCRATCH_EN: 0
; COMPUTE_PGM_RSRC2:USER_SGPR: 6
; COMPUTE_PGM_RSRC2:TRAP_HANDLER: 0
; COMPUTE_PGM_RSRC2:TGID_X_EN: 1
; COMPUTE_PGM_RSRC2:TGID_Y_EN: 0
; COMPUTE_PGM_RSRC2:TGID_Z_EN: 0
; COMPUTE_PGM_RSRC2:TIDIG_COMP_CNT: 0
	.section	.text._ZN7rocprim17ROCPRIM_400000_NS6detail17trampoline_kernelINS0_14default_configENS1_29binary_search_config_selectorItiEEZNS1_14transform_implILb0ES3_S5_N6thrust23THRUST_200600_302600_NS6detail15normal_iteratorINS8_7pointerItNS8_11hip_rocprim5par_tENS8_11use_defaultESE_EEEENSA_INSB_IiSD_SE_SE_EEEEZNS1_13binary_searchIS3_S5_PtSG_SI_NS1_16binary_search_opENS9_16wrapped_functionINS8_6system6detail7generic6detail18binary_search_lessEbEEEE10hipError_tPvRmT1_T2_T3_mmT4_T5_P12ihipStream_tbEUlRKtE_EEST_SX_SY_mSZ_S12_bEUlT_E_NS1_11comp_targetILNS1_3genE0ELNS1_11target_archE4294967295ELNS1_3gpuE0ELNS1_3repE0EEENS1_30default_config_static_selectorELNS0_4arch9wavefront6targetE1EEEvSW_,"axG",@progbits,_ZN7rocprim17ROCPRIM_400000_NS6detail17trampoline_kernelINS0_14default_configENS1_29binary_search_config_selectorItiEEZNS1_14transform_implILb0ES3_S5_N6thrust23THRUST_200600_302600_NS6detail15normal_iteratorINS8_7pointerItNS8_11hip_rocprim5par_tENS8_11use_defaultESE_EEEENSA_INSB_IiSD_SE_SE_EEEEZNS1_13binary_searchIS3_S5_PtSG_SI_NS1_16binary_search_opENS9_16wrapped_functionINS8_6system6detail7generic6detail18binary_search_lessEbEEEE10hipError_tPvRmT1_T2_T3_mmT4_T5_P12ihipStream_tbEUlRKtE_EEST_SX_SY_mSZ_S12_bEUlT_E_NS1_11comp_targetILNS1_3genE0ELNS1_11target_archE4294967295ELNS1_3gpuE0ELNS1_3repE0EEENS1_30default_config_static_selectorELNS0_4arch9wavefront6targetE1EEEvSW_,comdat
	.protected	_ZN7rocprim17ROCPRIM_400000_NS6detail17trampoline_kernelINS0_14default_configENS1_29binary_search_config_selectorItiEEZNS1_14transform_implILb0ES3_S5_N6thrust23THRUST_200600_302600_NS6detail15normal_iteratorINS8_7pointerItNS8_11hip_rocprim5par_tENS8_11use_defaultESE_EEEENSA_INSB_IiSD_SE_SE_EEEEZNS1_13binary_searchIS3_S5_PtSG_SI_NS1_16binary_search_opENS9_16wrapped_functionINS8_6system6detail7generic6detail18binary_search_lessEbEEEE10hipError_tPvRmT1_T2_T3_mmT4_T5_P12ihipStream_tbEUlRKtE_EEST_SX_SY_mSZ_S12_bEUlT_E_NS1_11comp_targetILNS1_3genE0ELNS1_11target_archE4294967295ELNS1_3gpuE0ELNS1_3repE0EEENS1_30default_config_static_selectorELNS0_4arch9wavefront6targetE1EEEvSW_ ; -- Begin function _ZN7rocprim17ROCPRIM_400000_NS6detail17trampoline_kernelINS0_14default_configENS1_29binary_search_config_selectorItiEEZNS1_14transform_implILb0ES3_S5_N6thrust23THRUST_200600_302600_NS6detail15normal_iteratorINS8_7pointerItNS8_11hip_rocprim5par_tENS8_11use_defaultESE_EEEENSA_INSB_IiSD_SE_SE_EEEEZNS1_13binary_searchIS3_S5_PtSG_SI_NS1_16binary_search_opENS9_16wrapped_functionINS8_6system6detail7generic6detail18binary_search_lessEbEEEE10hipError_tPvRmT1_T2_T3_mmT4_T5_P12ihipStream_tbEUlRKtE_EEST_SX_SY_mSZ_S12_bEUlT_E_NS1_11comp_targetILNS1_3genE0ELNS1_11target_archE4294967295ELNS1_3gpuE0ELNS1_3repE0EEENS1_30default_config_static_selectorELNS0_4arch9wavefront6targetE1EEEvSW_
	.globl	_ZN7rocprim17ROCPRIM_400000_NS6detail17trampoline_kernelINS0_14default_configENS1_29binary_search_config_selectorItiEEZNS1_14transform_implILb0ES3_S5_N6thrust23THRUST_200600_302600_NS6detail15normal_iteratorINS8_7pointerItNS8_11hip_rocprim5par_tENS8_11use_defaultESE_EEEENSA_INSB_IiSD_SE_SE_EEEEZNS1_13binary_searchIS3_S5_PtSG_SI_NS1_16binary_search_opENS9_16wrapped_functionINS8_6system6detail7generic6detail18binary_search_lessEbEEEE10hipError_tPvRmT1_T2_T3_mmT4_T5_P12ihipStream_tbEUlRKtE_EEST_SX_SY_mSZ_S12_bEUlT_E_NS1_11comp_targetILNS1_3genE0ELNS1_11target_archE4294967295ELNS1_3gpuE0ELNS1_3repE0EEENS1_30default_config_static_selectorELNS0_4arch9wavefront6targetE1EEEvSW_
	.p2align	8
	.type	_ZN7rocprim17ROCPRIM_400000_NS6detail17trampoline_kernelINS0_14default_configENS1_29binary_search_config_selectorItiEEZNS1_14transform_implILb0ES3_S5_N6thrust23THRUST_200600_302600_NS6detail15normal_iteratorINS8_7pointerItNS8_11hip_rocprim5par_tENS8_11use_defaultESE_EEEENSA_INSB_IiSD_SE_SE_EEEEZNS1_13binary_searchIS3_S5_PtSG_SI_NS1_16binary_search_opENS9_16wrapped_functionINS8_6system6detail7generic6detail18binary_search_lessEbEEEE10hipError_tPvRmT1_T2_T3_mmT4_T5_P12ihipStream_tbEUlRKtE_EEST_SX_SY_mSZ_S12_bEUlT_E_NS1_11comp_targetILNS1_3genE0ELNS1_11target_archE4294967295ELNS1_3gpuE0ELNS1_3repE0EEENS1_30default_config_static_selectorELNS0_4arch9wavefront6targetE1EEEvSW_,@function
_ZN7rocprim17ROCPRIM_400000_NS6detail17trampoline_kernelINS0_14default_configENS1_29binary_search_config_selectorItiEEZNS1_14transform_implILb0ES3_S5_N6thrust23THRUST_200600_302600_NS6detail15normal_iteratorINS8_7pointerItNS8_11hip_rocprim5par_tENS8_11use_defaultESE_EEEENSA_INSB_IiSD_SE_SE_EEEEZNS1_13binary_searchIS3_S5_PtSG_SI_NS1_16binary_search_opENS9_16wrapped_functionINS8_6system6detail7generic6detail18binary_search_lessEbEEEE10hipError_tPvRmT1_T2_T3_mmT4_T5_P12ihipStream_tbEUlRKtE_EEST_SX_SY_mSZ_S12_bEUlT_E_NS1_11comp_targetILNS1_3genE0ELNS1_11target_archE4294967295ELNS1_3gpuE0ELNS1_3repE0EEENS1_30default_config_static_selectorELNS0_4arch9wavefront6targetE1EEEvSW_: ; @_ZN7rocprim17ROCPRIM_400000_NS6detail17trampoline_kernelINS0_14default_configENS1_29binary_search_config_selectorItiEEZNS1_14transform_implILb0ES3_S5_N6thrust23THRUST_200600_302600_NS6detail15normal_iteratorINS8_7pointerItNS8_11hip_rocprim5par_tENS8_11use_defaultESE_EEEENSA_INSB_IiSD_SE_SE_EEEEZNS1_13binary_searchIS3_S5_PtSG_SI_NS1_16binary_search_opENS9_16wrapped_functionINS8_6system6detail7generic6detail18binary_search_lessEbEEEE10hipError_tPvRmT1_T2_T3_mmT4_T5_P12ihipStream_tbEUlRKtE_EEST_SX_SY_mSZ_S12_bEUlT_E_NS1_11comp_targetILNS1_3genE0ELNS1_11target_archE4294967295ELNS1_3gpuE0ELNS1_3repE0EEENS1_30default_config_static_selectorELNS0_4arch9wavefront6targetE1EEEvSW_
; %bb.0:
	.section	.rodata,"a",@progbits
	.p2align	6, 0x0
	.amdhsa_kernel _ZN7rocprim17ROCPRIM_400000_NS6detail17trampoline_kernelINS0_14default_configENS1_29binary_search_config_selectorItiEEZNS1_14transform_implILb0ES3_S5_N6thrust23THRUST_200600_302600_NS6detail15normal_iteratorINS8_7pointerItNS8_11hip_rocprim5par_tENS8_11use_defaultESE_EEEENSA_INSB_IiSD_SE_SE_EEEEZNS1_13binary_searchIS3_S5_PtSG_SI_NS1_16binary_search_opENS9_16wrapped_functionINS8_6system6detail7generic6detail18binary_search_lessEbEEEE10hipError_tPvRmT1_T2_T3_mmT4_T5_P12ihipStream_tbEUlRKtE_EEST_SX_SY_mSZ_S12_bEUlT_E_NS1_11comp_targetILNS1_3genE0ELNS1_11target_archE4294967295ELNS1_3gpuE0ELNS1_3repE0EEENS1_30default_config_static_selectorELNS0_4arch9wavefront6targetE1EEEvSW_
		.amdhsa_group_segment_fixed_size 0
		.amdhsa_private_segment_fixed_size 0
		.amdhsa_kernarg_size 56
		.amdhsa_user_sgpr_count 6
		.amdhsa_user_sgpr_private_segment_buffer 1
		.amdhsa_user_sgpr_dispatch_ptr 0
		.amdhsa_user_sgpr_queue_ptr 0
		.amdhsa_user_sgpr_kernarg_segment_ptr 1
		.amdhsa_user_sgpr_dispatch_id 0
		.amdhsa_user_sgpr_flat_scratch_init 0
		.amdhsa_user_sgpr_private_segment_size 0
		.amdhsa_uses_dynamic_stack 0
		.amdhsa_system_sgpr_private_segment_wavefront_offset 0
		.amdhsa_system_sgpr_workgroup_id_x 1
		.amdhsa_system_sgpr_workgroup_id_y 0
		.amdhsa_system_sgpr_workgroup_id_z 0
		.amdhsa_system_sgpr_workgroup_info 0
		.amdhsa_system_vgpr_workitem_id 0
		.amdhsa_next_free_vgpr 1
		.amdhsa_next_free_sgpr 0
		.amdhsa_reserve_vcc 0
		.amdhsa_reserve_flat_scratch 0
		.amdhsa_float_round_mode_32 0
		.amdhsa_float_round_mode_16_64 0
		.amdhsa_float_denorm_mode_32 3
		.amdhsa_float_denorm_mode_16_64 3
		.amdhsa_dx10_clamp 1
		.amdhsa_ieee_mode 1
		.amdhsa_fp16_overflow 0
		.amdhsa_exception_fp_ieee_invalid_op 0
		.amdhsa_exception_fp_denorm_src 0
		.amdhsa_exception_fp_ieee_div_zero 0
		.amdhsa_exception_fp_ieee_overflow 0
		.amdhsa_exception_fp_ieee_underflow 0
		.amdhsa_exception_fp_ieee_inexact 0
		.amdhsa_exception_int_div_zero 0
	.end_amdhsa_kernel
	.section	.text._ZN7rocprim17ROCPRIM_400000_NS6detail17trampoline_kernelINS0_14default_configENS1_29binary_search_config_selectorItiEEZNS1_14transform_implILb0ES3_S5_N6thrust23THRUST_200600_302600_NS6detail15normal_iteratorINS8_7pointerItNS8_11hip_rocprim5par_tENS8_11use_defaultESE_EEEENSA_INSB_IiSD_SE_SE_EEEEZNS1_13binary_searchIS3_S5_PtSG_SI_NS1_16binary_search_opENS9_16wrapped_functionINS8_6system6detail7generic6detail18binary_search_lessEbEEEE10hipError_tPvRmT1_T2_T3_mmT4_T5_P12ihipStream_tbEUlRKtE_EEST_SX_SY_mSZ_S12_bEUlT_E_NS1_11comp_targetILNS1_3genE0ELNS1_11target_archE4294967295ELNS1_3gpuE0ELNS1_3repE0EEENS1_30default_config_static_selectorELNS0_4arch9wavefront6targetE1EEEvSW_,"axG",@progbits,_ZN7rocprim17ROCPRIM_400000_NS6detail17trampoline_kernelINS0_14default_configENS1_29binary_search_config_selectorItiEEZNS1_14transform_implILb0ES3_S5_N6thrust23THRUST_200600_302600_NS6detail15normal_iteratorINS8_7pointerItNS8_11hip_rocprim5par_tENS8_11use_defaultESE_EEEENSA_INSB_IiSD_SE_SE_EEEEZNS1_13binary_searchIS3_S5_PtSG_SI_NS1_16binary_search_opENS9_16wrapped_functionINS8_6system6detail7generic6detail18binary_search_lessEbEEEE10hipError_tPvRmT1_T2_T3_mmT4_T5_P12ihipStream_tbEUlRKtE_EEST_SX_SY_mSZ_S12_bEUlT_E_NS1_11comp_targetILNS1_3genE0ELNS1_11target_archE4294967295ELNS1_3gpuE0ELNS1_3repE0EEENS1_30default_config_static_selectorELNS0_4arch9wavefront6targetE1EEEvSW_,comdat
.Lfunc_end283:
	.size	_ZN7rocprim17ROCPRIM_400000_NS6detail17trampoline_kernelINS0_14default_configENS1_29binary_search_config_selectorItiEEZNS1_14transform_implILb0ES3_S5_N6thrust23THRUST_200600_302600_NS6detail15normal_iteratorINS8_7pointerItNS8_11hip_rocprim5par_tENS8_11use_defaultESE_EEEENSA_INSB_IiSD_SE_SE_EEEEZNS1_13binary_searchIS3_S5_PtSG_SI_NS1_16binary_search_opENS9_16wrapped_functionINS8_6system6detail7generic6detail18binary_search_lessEbEEEE10hipError_tPvRmT1_T2_T3_mmT4_T5_P12ihipStream_tbEUlRKtE_EEST_SX_SY_mSZ_S12_bEUlT_E_NS1_11comp_targetILNS1_3genE0ELNS1_11target_archE4294967295ELNS1_3gpuE0ELNS1_3repE0EEENS1_30default_config_static_selectorELNS0_4arch9wavefront6targetE1EEEvSW_, .Lfunc_end283-_ZN7rocprim17ROCPRIM_400000_NS6detail17trampoline_kernelINS0_14default_configENS1_29binary_search_config_selectorItiEEZNS1_14transform_implILb0ES3_S5_N6thrust23THRUST_200600_302600_NS6detail15normal_iteratorINS8_7pointerItNS8_11hip_rocprim5par_tENS8_11use_defaultESE_EEEENSA_INSB_IiSD_SE_SE_EEEEZNS1_13binary_searchIS3_S5_PtSG_SI_NS1_16binary_search_opENS9_16wrapped_functionINS8_6system6detail7generic6detail18binary_search_lessEbEEEE10hipError_tPvRmT1_T2_T3_mmT4_T5_P12ihipStream_tbEUlRKtE_EEST_SX_SY_mSZ_S12_bEUlT_E_NS1_11comp_targetILNS1_3genE0ELNS1_11target_archE4294967295ELNS1_3gpuE0ELNS1_3repE0EEENS1_30default_config_static_selectorELNS0_4arch9wavefront6targetE1EEEvSW_
                                        ; -- End function
	.set _ZN7rocprim17ROCPRIM_400000_NS6detail17trampoline_kernelINS0_14default_configENS1_29binary_search_config_selectorItiEEZNS1_14transform_implILb0ES3_S5_N6thrust23THRUST_200600_302600_NS6detail15normal_iteratorINS8_7pointerItNS8_11hip_rocprim5par_tENS8_11use_defaultESE_EEEENSA_INSB_IiSD_SE_SE_EEEEZNS1_13binary_searchIS3_S5_PtSG_SI_NS1_16binary_search_opENS9_16wrapped_functionINS8_6system6detail7generic6detail18binary_search_lessEbEEEE10hipError_tPvRmT1_T2_T3_mmT4_T5_P12ihipStream_tbEUlRKtE_EEST_SX_SY_mSZ_S12_bEUlT_E_NS1_11comp_targetILNS1_3genE0ELNS1_11target_archE4294967295ELNS1_3gpuE0ELNS1_3repE0EEENS1_30default_config_static_selectorELNS0_4arch9wavefront6targetE1EEEvSW_.num_vgpr, 0
	.set _ZN7rocprim17ROCPRIM_400000_NS6detail17trampoline_kernelINS0_14default_configENS1_29binary_search_config_selectorItiEEZNS1_14transform_implILb0ES3_S5_N6thrust23THRUST_200600_302600_NS6detail15normal_iteratorINS8_7pointerItNS8_11hip_rocprim5par_tENS8_11use_defaultESE_EEEENSA_INSB_IiSD_SE_SE_EEEEZNS1_13binary_searchIS3_S5_PtSG_SI_NS1_16binary_search_opENS9_16wrapped_functionINS8_6system6detail7generic6detail18binary_search_lessEbEEEE10hipError_tPvRmT1_T2_T3_mmT4_T5_P12ihipStream_tbEUlRKtE_EEST_SX_SY_mSZ_S12_bEUlT_E_NS1_11comp_targetILNS1_3genE0ELNS1_11target_archE4294967295ELNS1_3gpuE0ELNS1_3repE0EEENS1_30default_config_static_selectorELNS0_4arch9wavefront6targetE1EEEvSW_.num_agpr, 0
	.set _ZN7rocprim17ROCPRIM_400000_NS6detail17trampoline_kernelINS0_14default_configENS1_29binary_search_config_selectorItiEEZNS1_14transform_implILb0ES3_S5_N6thrust23THRUST_200600_302600_NS6detail15normal_iteratorINS8_7pointerItNS8_11hip_rocprim5par_tENS8_11use_defaultESE_EEEENSA_INSB_IiSD_SE_SE_EEEEZNS1_13binary_searchIS3_S5_PtSG_SI_NS1_16binary_search_opENS9_16wrapped_functionINS8_6system6detail7generic6detail18binary_search_lessEbEEEE10hipError_tPvRmT1_T2_T3_mmT4_T5_P12ihipStream_tbEUlRKtE_EEST_SX_SY_mSZ_S12_bEUlT_E_NS1_11comp_targetILNS1_3genE0ELNS1_11target_archE4294967295ELNS1_3gpuE0ELNS1_3repE0EEENS1_30default_config_static_selectorELNS0_4arch9wavefront6targetE1EEEvSW_.numbered_sgpr, 0
	.set _ZN7rocprim17ROCPRIM_400000_NS6detail17trampoline_kernelINS0_14default_configENS1_29binary_search_config_selectorItiEEZNS1_14transform_implILb0ES3_S5_N6thrust23THRUST_200600_302600_NS6detail15normal_iteratorINS8_7pointerItNS8_11hip_rocprim5par_tENS8_11use_defaultESE_EEEENSA_INSB_IiSD_SE_SE_EEEEZNS1_13binary_searchIS3_S5_PtSG_SI_NS1_16binary_search_opENS9_16wrapped_functionINS8_6system6detail7generic6detail18binary_search_lessEbEEEE10hipError_tPvRmT1_T2_T3_mmT4_T5_P12ihipStream_tbEUlRKtE_EEST_SX_SY_mSZ_S12_bEUlT_E_NS1_11comp_targetILNS1_3genE0ELNS1_11target_archE4294967295ELNS1_3gpuE0ELNS1_3repE0EEENS1_30default_config_static_selectorELNS0_4arch9wavefront6targetE1EEEvSW_.num_named_barrier, 0
	.set _ZN7rocprim17ROCPRIM_400000_NS6detail17trampoline_kernelINS0_14default_configENS1_29binary_search_config_selectorItiEEZNS1_14transform_implILb0ES3_S5_N6thrust23THRUST_200600_302600_NS6detail15normal_iteratorINS8_7pointerItNS8_11hip_rocprim5par_tENS8_11use_defaultESE_EEEENSA_INSB_IiSD_SE_SE_EEEEZNS1_13binary_searchIS3_S5_PtSG_SI_NS1_16binary_search_opENS9_16wrapped_functionINS8_6system6detail7generic6detail18binary_search_lessEbEEEE10hipError_tPvRmT1_T2_T3_mmT4_T5_P12ihipStream_tbEUlRKtE_EEST_SX_SY_mSZ_S12_bEUlT_E_NS1_11comp_targetILNS1_3genE0ELNS1_11target_archE4294967295ELNS1_3gpuE0ELNS1_3repE0EEENS1_30default_config_static_selectorELNS0_4arch9wavefront6targetE1EEEvSW_.private_seg_size, 0
	.set _ZN7rocprim17ROCPRIM_400000_NS6detail17trampoline_kernelINS0_14default_configENS1_29binary_search_config_selectorItiEEZNS1_14transform_implILb0ES3_S5_N6thrust23THRUST_200600_302600_NS6detail15normal_iteratorINS8_7pointerItNS8_11hip_rocprim5par_tENS8_11use_defaultESE_EEEENSA_INSB_IiSD_SE_SE_EEEEZNS1_13binary_searchIS3_S5_PtSG_SI_NS1_16binary_search_opENS9_16wrapped_functionINS8_6system6detail7generic6detail18binary_search_lessEbEEEE10hipError_tPvRmT1_T2_T3_mmT4_T5_P12ihipStream_tbEUlRKtE_EEST_SX_SY_mSZ_S12_bEUlT_E_NS1_11comp_targetILNS1_3genE0ELNS1_11target_archE4294967295ELNS1_3gpuE0ELNS1_3repE0EEENS1_30default_config_static_selectorELNS0_4arch9wavefront6targetE1EEEvSW_.uses_vcc, 0
	.set _ZN7rocprim17ROCPRIM_400000_NS6detail17trampoline_kernelINS0_14default_configENS1_29binary_search_config_selectorItiEEZNS1_14transform_implILb0ES3_S5_N6thrust23THRUST_200600_302600_NS6detail15normal_iteratorINS8_7pointerItNS8_11hip_rocprim5par_tENS8_11use_defaultESE_EEEENSA_INSB_IiSD_SE_SE_EEEEZNS1_13binary_searchIS3_S5_PtSG_SI_NS1_16binary_search_opENS9_16wrapped_functionINS8_6system6detail7generic6detail18binary_search_lessEbEEEE10hipError_tPvRmT1_T2_T3_mmT4_T5_P12ihipStream_tbEUlRKtE_EEST_SX_SY_mSZ_S12_bEUlT_E_NS1_11comp_targetILNS1_3genE0ELNS1_11target_archE4294967295ELNS1_3gpuE0ELNS1_3repE0EEENS1_30default_config_static_selectorELNS0_4arch9wavefront6targetE1EEEvSW_.uses_flat_scratch, 0
	.set _ZN7rocprim17ROCPRIM_400000_NS6detail17trampoline_kernelINS0_14default_configENS1_29binary_search_config_selectorItiEEZNS1_14transform_implILb0ES3_S5_N6thrust23THRUST_200600_302600_NS6detail15normal_iteratorINS8_7pointerItNS8_11hip_rocprim5par_tENS8_11use_defaultESE_EEEENSA_INSB_IiSD_SE_SE_EEEEZNS1_13binary_searchIS3_S5_PtSG_SI_NS1_16binary_search_opENS9_16wrapped_functionINS8_6system6detail7generic6detail18binary_search_lessEbEEEE10hipError_tPvRmT1_T2_T3_mmT4_T5_P12ihipStream_tbEUlRKtE_EEST_SX_SY_mSZ_S12_bEUlT_E_NS1_11comp_targetILNS1_3genE0ELNS1_11target_archE4294967295ELNS1_3gpuE0ELNS1_3repE0EEENS1_30default_config_static_selectorELNS0_4arch9wavefront6targetE1EEEvSW_.has_dyn_sized_stack, 0
	.set _ZN7rocprim17ROCPRIM_400000_NS6detail17trampoline_kernelINS0_14default_configENS1_29binary_search_config_selectorItiEEZNS1_14transform_implILb0ES3_S5_N6thrust23THRUST_200600_302600_NS6detail15normal_iteratorINS8_7pointerItNS8_11hip_rocprim5par_tENS8_11use_defaultESE_EEEENSA_INSB_IiSD_SE_SE_EEEEZNS1_13binary_searchIS3_S5_PtSG_SI_NS1_16binary_search_opENS9_16wrapped_functionINS8_6system6detail7generic6detail18binary_search_lessEbEEEE10hipError_tPvRmT1_T2_T3_mmT4_T5_P12ihipStream_tbEUlRKtE_EEST_SX_SY_mSZ_S12_bEUlT_E_NS1_11comp_targetILNS1_3genE0ELNS1_11target_archE4294967295ELNS1_3gpuE0ELNS1_3repE0EEENS1_30default_config_static_selectorELNS0_4arch9wavefront6targetE1EEEvSW_.has_recursion, 0
	.set _ZN7rocprim17ROCPRIM_400000_NS6detail17trampoline_kernelINS0_14default_configENS1_29binary_search_config_selectorItiEEZNS1_14transform_implILb0ES3_S5_N6thrust23THRUST_200600_302600_NS6detail15normal_iteratorINS8_7pointerItNS8_11hip_rocprim5par_tENS8_11use_defaultESE_EEEENSA_INSB_IiSD_SE_SE_EEEEZNS1_13binary_searchIS3_S5_PtSG_SI_NS1_16binary_search_opENS9_16wrapped_functionINS8_6system6detail7generic6detail18binary_search_lessEbEEEE10hipError_tPvRmT1_T2_T3_mmT4_T5_P12ihipStream_tbEUlRKtE_EEST_SX_SY_mSZ_S12_bEUlT_E_NS1_11comp_targetILNS1_3genE0ELNS1_11target_archE4294967295ELNS1_3gpuE0ELNS1_3repE0EEENS1_30default_config_static_selectorELNS0_4arch9wavefront6targetE1EEEvSW_.has_indirect_call, 0
	.section	.AMDGPU.csdata,"",@progbits
; Kernel info:
; codeLenInByte = 0
; TotalNumSgprs: 4
; NumVgprs: 0
; ScratchSize: 0
; MemoryBound: 0
; FloatMode: 240
; IeeeMode: 1
; LDSByteSize: 0 bytes/workgroup (compile time only)
; SGPRBlocks: 0
; VGPRBlocks: 0
; NumSGPRsForWavesPerEU: 4
; NumVGPRsForWavesPerEU: 1
; Occupancy: 10
; WaveLimiterHint : 0
; COMPUTE_PGM_RSRC2:SCRATCH_EN: 0
; COMPUTE_PGM_RSRC2:USER_SGPR: 6
; COMPUTE_PGM_RSRC2:TRAP_HANDLER: 0
; COMPUTE_PGM_RSRC2:TGID_X_EN: 1
; COMPUTE_PGM_RSRC2:TGID_Y_EN: 0
; COMPUTE_PGM_RSRC2:TGID_Z_EN: 0
; COMPUTE_PGM_RSRC2:TIDIG_COMP_CNT: 0
	.section	.text._ZN7rocprim17ROCPRIM_400000_NS6detail17trampoline_kernelINS0_14default_configENS1_29binary_search_config_selectorItiEEZNS1_14transform_implILb0ES3_S5_N6thrust23THRUST_200600_302600_NS6detail15normal_iteratorINS8_7pointerItNS8_11hip_rocprim5par_tENS8_11use_defaultESE_EEEENSA_INSB_IiSD_SE_SE_EEEEZNS1_13binary_searchIS3_S5_PtSG_SI_NS1_16binary_search_opENS9_16wrapped_functionINS8_6system6detail7generic6detail18binary_search_lessEbEEEE10hipError_tPvRmT1_T2_T3_mmT4_T5_P12ihipStream_tbEUlRKtE_EEST_SX_SY_mSZ_S12_bEUlT_E_NS1_11comp_targetILNS1_3genE5ELNS1_11target_archE942ELNS1_3gpuE9ELNS1_3repE0EEENS1_30default_config_static_selectorELNS0_4arch9wavefront6targetE1EEEvSW_,"axG",@progbits,_ZN7rocprim17ROCPRIM_400000_NS6detail17trampoline_kernelINS0_14default_configENS1_29binary_search_config_selectorItiEEZNS1_14transform_implILb0ES3_S5_N6thrust23THRUST_200600_302600_NS6detail15normal_iteratorINS8_7pointerItNS8_11hip_rocprim5par_tENS8_11use_defaultESE_EEEENSA_INSB_IiSD_SE_SE_EEEEZNS1_13binary_searchIS3_S5_PtSG_SI_NS1_16binary_search_opENS9_16wrapped_functionINS8_6system6detail7generic6detail18binary_search_lessEbEEEE10hipError_tPvRmT1_T2_T3_mmT4_T5_P12ihipStream_tbEUlRKtE_EEST_SX_SY_mSZ_S12_bEUlT_E_NS1_11comp_targetILNS1_3genE5ELNS1_11target_archE942ELNS1_3gpuE9ELNS1_3repE0EEENS1_30default_config_static_selectorELNS0_4arch9wavefront6targetE1EEEvSW_,comdat
	.protected	_ZN7rocprim17ROCPRIM_400000_NS6detail17trampoline_kernelINS0_14default_configENS1_29binary_search_config_selectorItiEEZNS1_14transform_implILb0ES3_S5_N6thrust23THRUST_200600_302600_NS6detail15normal_iteratorINS8_7pointerItNS8_11hip_rocprim5par_tENS8_11use_defaultESE_EEEENSA_INSB_IiSD_SE_SE_EEEEZNS1_13binary_searchIS3_S5_PtSG_SI_NS1_16binary_search_opENS9_16wrapped_functionINS8_6system6detail7generic6detail18binary_search_lessEbEEEE10hipError_tPvRmT1_T2_T3_mmT4_T5_P12ihipStream_tbEUlRKtE_EEST_SX_SY_mSZ_S12_bEUlT_E_NS1_11comp_targetILNS1_3genE5ELNS1_11target_archE942ELNS1_3gpuE9ELNS1_3repE0EEENS1_30default_config_static_selectorELNS0_4arch9wavefront6targetE1EEEvSW_ ; -- Begin function _ZN7rocprim17ROCPRIM_400000_NS6detail17trampoline_kernelINS0_14default_configENS1_29binary_search_config_selectorItiEEZNS1_14transform_implILb0ES3_S5_N6thrust23THRUST_200600_302600_NS6detail15normal_iteratorINS8_7pointerItNS8_11hip_rocprim5par_tENS8_11use_defaultESE_EEEENSA_INSB_IiSD_SE_SE_EEEEZNS1_13binary_searchIS3_S5_PtSG_SI_NS1_16binary_search_opENS9_16wrapped_functionINS8_6system6detail7generic6detail18binary_search_lessEbEEEE10hipError_tPvRmT1_T2_T3_mmT4_T5_P12ihipStream_tbEUlRKtE_EEST_SX_SY_mSZ_S12_bEUlT_E_NS1_11comp_targetILNS1_3genE5ELNS1_11target_archE942ELNS1_3gpuE9ELNS1_3repE0EEENS1_30default_config_static_selectorELNS0_4arch9wavefront6targetE1EEEvSW_
	.globl	_ZN7rocprim17ROCPRIM_400000_NS6detail17trampoline_kernelINS0_14default_configENS1_29binary_search_config_selectorItiEEZNS1_14transform_implILb0ES3_S5_N6thrust23THRUST_200600_302600_NS6detail15normal_iteratorINS8_7pointerItNS8_11hip_rocprim5par_tENS8_11use_defaultESE_EEEENSA_INSB_IiSD_SE_SE_EEEEZNS1_13binary_searchIS3_S5_PtSG_SI_NS1_16binary_search_opENS9_16wrapped_functionINS8_6system6detail7generic6detail18binary_search_lessEbEEEE10hipError_tPvRmT1_T2_T3_mmT4_T5_P12ihipStream_tbEUlRKtE_EEST_SX_SY_mSZ_S12_bEUlT_E_NS1_11comp_targetILNS1_3genE5ELNS1_11target_archE942ELNS1_3gpuE9ELNS1_3repE0EEENS1_30default_config_static_selectorELNS0_4arch9wavefront6targetE1EEEvSW_
	.p2align	8
	.type	_ZN7rocprim17ROCPRIM_400000_NS6detail17trampoline_kernelINS0_14default_configENS1_29binary_search_config_selectorItiEEZNS1_14transform_implILb0ES3_S5_N6thrust23THRUST_200600_302600_NS6detail15normal_iteratorINS8_7pointerItNS8_11hip_rocprim5par_tENS8_11use_defaultESE_EEEENSA_INSB_IiSD_SE_SE_EEEEZNS1_13binary_searchIS3_S5_PtSG_SI_NS1_16binary_search_opENS9_16wrapped_functionINS8_6system6detail7generic6detail18binary_search_lessEbEEEE10hipError_tPvRmT1_T2_T3_mmT4_T5_P12ihipStream_tbEUlRKtE_EEST_SX_SY_mSZ_S12_bEUlT_E_NS1_11comp_targetILNS1_3genE5ELNS1_11target_archE942ELNS1_3gpuE9ELNS1_3repE0EEENS1_30default_config_static_selectorELNS0_4arch9wavefront6targetE1EEEvSW_,@function
_ZN7rocprim17ROCPRIM_400000_NS6detail17trampoline_kernelINS0_14default_configENS1_29binary_search_config_selectorItiEEZNS1_14transform_implILb0ES3_S5_N6thrust23THRUST_200600_302600_NS6detail15normal_iteratorINS8_7pointerItNS8_11hip_rocprim5par_tENS8_11use_defaultESE_EEEENSA_INSB_IiSD_SE_SE_EEEEZNS1_13binary_searchIS3_S5_PtSG_SI_NS1_16binary_search_opENS9_16wrapped_functionINS8_6system6detail7generic6detail18binary_search_lessEbEEEE10hipError_tPvRmT1_T2_T3_mmT4_T5_P12ihipStream_tbEUlRKtE_EEST_SX_SY_mSZ_S12_bEUlT_E_NS1_11comp_targetILNS1_3genE5ELNS1_11target_archE942ELNS1_3gpuE9ELNS1_3repE0EEENS1_30default_config_static_selectorELNS0_4arch9wavefront6targetE1EEEvSW_: ; @_ZN7rocprim17ROCPRIM_400000_NS6detail17trampoline_kernelINS0_14default_configENS1_29binary_search_config_selectorItiEEZNS1_14transform_implILb0ES3_S5_N6thrust23THRUST_200600_302600_NS6detail15normal_iteratorINS8_7pointerItNS8_11hip_rocprim5par_tENS8_11use_defaultESE_EEEENSA_INSB_IiSD_SE_SE_EEEEZNS1_13binary_searchIS3_S5_PtSG_SI_NS1_16binary_search_opENS9_16wrapped_functionINS8_6system6detail7generic6detail18binary_search_lessEbEEEE10hipError_tPvRmT1_T2_T3_mmT4_T5_P12ihipStream_tbEUlRKtE_EEST_SX_SY_mSZ_S12_bEUlT_E_NS1_11comp_targetILNS1_3genE5ELNS1_11target_archE942ELNS1_3gpuE9ELNS1_3repE0EEENS1_30default_config_static_selectorELNS0_4arch9wavefront6targetE1EEEvSW_
; %bb.0:
	.section	.rodata,"a",@progbits
	.p2align	6, 0x0
	.amdhsa_kernel _ZN7rocprim17ROCPRIM_400000_NS6detail17trampoline_kernelINS0_14default_configENS1_29binary_search_config_selectorItiEEZNS1_14transform_implILb0ES3_S5_N6thrust23THRUST_200600_302600_NS6detail15normal_iteratorINS8_7pointerItNS8_11hip_rocprim5par_tENS8_11use_defaultESE_EEEENSA_INSB_IiSD_SE_SE_EEEEZNS1_13binary_searchIS3_S5_PtSG_SI_NS1_16binary_search_opENS9_16wrapped_functionINS8_6system6detail7generic6detail18binary_search_lessEbEEEE10hipError_tPvRmT1_T2_T3_mmT4_T5_P12ihipStream_tbEUlRKtE_EEST_SX_SY_mSZ_S12_bEUlT_E_NS1_11comp_targetILNS1_3genE5ELNS1_11target_archE942ELNS1_3gpuE9ELNS1_3repE0EEENS1_30default_config_static_selectorELNS0_4arch9wavefront6targetE1EEEvSW_
		.amdhsa_group_segment_fixed_size 0
		.amdhsa_private_segment_fixed_size 0
		.amdhsa_kernarg_size 56
		.amdhsa_user_sgpr_count 6
		.amdhsa_user_sgpr_private_segment_buffer 1
		.amdhsa_user_sgpr_dispatch_ptr 0
		.amdhsa_user_sgpr_queue_ptr 0
		.amdhsa_user_sgpr_kernarg_segment_ptr 1
		.amdhsa_user_sgpr_dispatch_id 0
		.amdhsa_user_sgpr_flat_scratch_init 0
		.amdhsa_user_sgpr_private_segment_size 0
		.amdhsa_uses_dynamic_stack 0
		.amdhsa_system_sgpr_private_segment_wavefront_offset 0
		.amdhsa_system_sgpr_workgroup_id_x 1
		.amdhsa_system_sgpr_workgroup_id_y 0
		.amdhsa_system_sgpr_workgroup_id_z 0
		.amdhsa_system_sgpr_workgroup_info 0
		.amdhsa_system_vgpr_workitem_id 0
		.amdhsa_next_free_vgpr 1
		.amdhsa_next_free_sgpr 0
		.amdhsa_reserve_vcc 0
		.amdhsa_reserve_flat_scratch 0
		.amdhsa_float_round_mode_32 0
		.amdhsa_float_round_mode_16_64 0
		.amdhsa_float_denorm_mode_32 3
		.amdhsa_float_denorm_mode_16_64 3
		.amdhsa_dx10_clamp 1
		.amdhsa_ieee_mode 1
		.amdhsa_fp16_overflow 0
		.amdhsa_exception_fp_ieee_invalid_op 0
		.amdhsa_exception_fp_denorm_src 0
		.amdhsa_exception_fp_ieee_div_zero 0
		.amdhsa_exception_fp_ieee_overflow 0
		.amdhsa_exception_fp_ieee_underflow 0
		.amdhsa_exception_fp_ieee_inexact 0
		.amdhsa_exception_int_div_zero 0
	.end_amdhsa_kernel
	.section	.text._ZN7rocprim17ROCPRIM_400000_NS6detail17trampoline_kernelINS0_14default_configENS1_29binary_search_config_selectorItiEEZNS1_14transform_implILb0ES3_S5_N6thrust23THRUST_200600_302600_NS6detail15normal_iteratorINS8_7pointerItNS8_11hip_rocprim5par_tENS8_11use_defaultESE_EEEENSA_INSB_IiSD_SE_SE_EEEEZNS1_13binary_searchIS3_S5_PtSG_SI_NS1_16binary_search_opENS9_16wrapped_functionINS8_6system6detail7generic6detail18binary_search_lessEbEEEE10hipError_tPvRmT1_T2_T3_mmT4_T5_P12ihipStream_tbEUlRKtE_EEST_SX_SY_mSZ_S12_bEUlT_E_NS1_11comp_targetILNS1_3genE5ELNS1_11target_archE942ELNS1_3gpuE9ELNS1_3repE0EEENS1_30default_config_static_selectorELNS0_4arch9wavefront6targetE1EEEvSW_,"axG",@progbits,_ZN7rocprim17ROCPRIM_400000_NS6detail17trampoline_kernelINS0_14default_configENS1_29binary_search_config_selectorItiEEZNS1_14transform_implILb0ES3_S5_N6thrust23THRUST_200600_302600_NS6detail15normal_iteratorINS8_7pointerItNS8_11hip_rocprim5par_tENS8_11use_defaultESE_EEEENSA_INSB_IiSD_SE_SE_EEEEZNS1_13binary_searchIS3_S5_PtSG_SI_NS1_16binary_search_opENS9_16wrapped_functionINS8_6system6detail7generic6detail18binary_search_lessEbEEEE10hipError_tPvRmT1_T2_T3_mmT4_T5_P12ihipStream_tbEUlRKtE_EEST_SX_SY_mSZ_S12_bEUlT_E_NS1_11comp_targetILNS1_3genE5ELNS1_11target_archE942ELNS1_3gpuE9ELNS1_3repE0EEENS1_30default_config_static_selectorELNS0_4arch9wavefront6targetE1EEEvSW_,comdat
.Lfunc_end284:
	.size	_ZN7rocprim17ROCPRIM_400000_NS6detail17trampoline_kernelINS0_14default_configENS1_29binary_search_config_selectorItiEEZNS1_14transform_implILb0ES3_S5_N6thrust23THRUST_200600_302600_NS6detail15normal_iteratorINS8_7pointerItNS8_11hip_rocprim5par_tENS8_11use_defaultESE_EEEENSA_INSB_IiSD_SE_SE_EEEEZNS1_13binary_searchIS3_S5_PtSG_SI_NS1_16binary_search_opENS9_16wrapped_functionINS8_6system6detail7generic6detail18binary_search_lessEbEEEE10hipError_tPvRmT1_T2_T3_mmT4_T5_P12ihipStream_tbEUlRKtE_EEST_SX_SY_mSZ_S12_bEUlT_E_NS1_11comp_targetILNS1_3genE5ELNS1_11target_archE942ELNS1_3gpuE9ELNS1_3repE0EEENS1_30default_config_static_selectorELNS0_4arch9wavefront6targetE1EEEvSW_, .Lfunc_end284-_ZN7rocprim17ROCPRIM_400000_NS6detail17trampoline_kernelINS0_14default_configENS1_29binary_search_config_selectorItiEEZNS1_14transform_implILb0ES3_S5_N6thrust23THRUST_200600_302600_NS6detail15normal_iteratorINS8_7pointerItNS8_11hip_rocprim5par_tENS8_11use_defaultESE_EEEENSA_INSB_IiSD_SE_SE_EEEEZNS1_13binary_searchIS3_S5_PtSG_SI_NS1_16binary_search_opENS9_16wrapped_functionINS8_6system6detail7generic6detail18binary_search_lessEbEEEE10hipError_tPvRmT1_T2_T3_mmT4_T5_P12ihipStream_tbEUlRKtE_EEST_SX_SY_mSZ_S12_bEUlT_E_NS1_11comp_targetILNS1_3genE5ELNS1_11target_archE942ELNS1_3gpuE9ELNS1_3repE0EEENS1_30default_config_static_selectorELNS0_4arch9wavefront6targetE1EEEvSW_
                                        ; -- End function
	.set _ZN7rocprim17ROCPRIM_400000_NS6detail17trampoline_kernelINS0_14default_configENS1_29binary_search_config_selectorItiEEZNS1_14transform_implILb0ES3_S5_N6thrust23THRUST_200600_302600_NS6detail15normal_iteratorINS8_7pointerItNS8_11hip_rocprim5par_tENS8_11use_defaultESE_EEEENSA_INSB_IiSD_SE_SE_EEEEZNS1_13binary_searchIS3_S5_PtSG_SI_NS1_16binary_search_opENS9_16wrapped_functionINS8_6system6detail7generic6detail18binary_search_lessEbEEEE10hipError_tPvRmT1_T2_T3_mmT4_T5_P12ihipStream_tbEUlRKtE_EEST_SX_SY_mSZ_S12_bEUlT_E_NS1_11comp_targetILNS1_3genE5ELNS1_11target_archE942ELNS1_3gpuE9ELNS1_3repE0EEENS1_30default_config_static_selectorELNS0_4arch9wavefront6targetE1EEEvSW_.num_vgpr, 0
	.set _ZN7rocprim17ROCPRIM_400000_NS6detail17trampoline_kernelINS0_14default_configENS1_29binary_search_config_selectorItiEEZNS1_14transform_implILb0ES3_S5_N6thrust23THRUST_200600_302600_NS6detail15normal_iteratorINS8_7pointerItNS8_11hip_rocprim5par_tENS8_11use_defaultESE_EEEENSA_INSB_IiSD_SE_SE_EEEEZNS1_13binary_searchIS3_S5_PtSG_SI_NS1_16binary_search_opENS9_16wrapped_functionINS8_6system6detail7generic6detail18binary_search_lessEbEEEE10hipError_tPvRmT1_T2_T3_mmT4_T5_P12ihipStream_tbEUlRKtE_EEST_SX_SY_mSZ_S12_bEUlT_E_NS1_11comp_targetILNS1_3genE5ELNS1_11target_archE942ELNS1_3gpuE9ELNS1_3repE0EEENS1_30default_config_static_selectorELNS0_4arch9wavefront6targetE1EEEvSW_.num_agpr, 0
	.set _ZN7rocprim17ROCPRIM_400000_NS6detail17trampoline_kernelINS0_14default_configENS1_29binary_search_config_selectorItiEEZNS1_14transform_implILb0ES3_S5_N6thrust23THRUST_200600_302600_NS6detail15normal_iteratorINS8_7pointerItNS8_11hip_rocprim5par_tENS8_11use_defaultESE_EEEENSA_INSB_IiSD_SE_SE_EEEEZNS1_13binary_searchIS3_S5_PtSG_SI_NS1_16binary_search_opENS9_16wrapped_functionINS8_6system6detail7generic6detail18binary_search_lessEbEEEE10hipError_tPvRmT1_T2_T3_mmT4_T5_P12ihipStream_tbEUlRKtE_EEST_SX_SY_mSZ_S12_bEUlT_E_NS1_11comp_targetILNS1_3genE5ELNS1_11target_archE942ELNS1_3gpuE9ELNS1_3repE0EEENS1_30default_config_static_selectorELNS0_4arch9wavefront6targetE1EEEvSW_.numbered_sgpr, 0
	.set _ZN7rocprim17ROCPRIM_400000_NS6detail17trampoline_kernelINS0_14default_configENS1_29binary_search_config_selectorItiEEZNS1_14transform_implILb0ES3_S5_N6thrust23THRUST_200600_302600_NS6detail15normal_iteratorINS8_7pointerItNS8_11hip_rocprim5par_tENS8_11use_defaultESE_EEEENSA_INSB_IiSD_SE_SE_EEEEZNS1_13binary_searchIS3_S5_PtSG_SI_NS1_16binary_search_opENS9_16wrapped_functionINS8_6system6detail7generic6detail18binary_search_lessEbEEEE10hipError_tPvRmT1_T2_T3_mmT4_T5_P12ihipStream_tbEUlRKtE_EEST_SX_SY_mSZ_S12_bEUlT_E_NS1_11comp_targetILNS1_3genE5ELNS1_11target_archE942ELNS1_3gpuE9ELNS1_3repE0EEENS1_30default_config_static_selectorELNS0_4arch9wavefront6targetE1EEEvSW_.num_named_barrier, 0
	.set _ZN7rocprim17ROCPRIM_400000_NS6detail17trampoline_kernelINS0_14default_configENS1_29binary_search_config_selectorItiEEZNS1_14transform_implILb0ES3_S5_N6thrust23THRUST_200600_302600_NS6detail15normal_iteratorINS8_7pointerItNS8_11hip_rocprim5par_tENS8_11use_defaultESE_EEEENSA_INSB_IiSD_SE_SE_EEEEZNS1_13binary_searchIS3_S5_PtSG_SI_NS1_16binary_search_opENS9_16wrapped_functionINS8_6system6detail7generic6detail18binary_search_lessEbEEEE10hipError_tPvRmT1_T2_T3_mmT4_T5_P12ihipStream_tbEUlRKtE_EEST_SX_SY_mSZ_S12_bEUlT_E_NS1_11comp_targetILNS1_3genE5ELNS1_11target_archE942ELNS1_3gpuE9ELNS1_3repE0EEENS1_30default_config_static_selectorELNS0_4arch9wavefront6targetE1EEEvSW_.private_seg_size, 0
	.set _ZN7rocprim17ROCPRIM_400000_NS6detail17trampoline_kernelINS0_14default_configENS1_29binary_search_config_selectorItiEEZNS1_14transform_implILb0ES3_S5_N6thrust23THRUST_200600_302600_NS6detail15normal_iteratorINS8_7pointerItNS8_11hip_rocprim5par_tENS8_11use_defaultESE_EEEENSA_INSB_IiSD_SE_SE_EEEEZNS1_13binary_searchIS3_S5_PtSG_SI_NS1_16binary_search_opENS9_16wrapped_functionINS8_6system6detail7generic6detail18binary_search_lessEbEEEE10hipError_tPvRmT1_T2_T3_mmT4_T5_P12ihipStream_tbEUlRKtE_EEST_SX_SY_mSZ_S12_bEUlT_E_NS1_11comp_targetILNS1_3genE5ELNS1_11target_archE942ELNS1_3gpuE9ELNS1_3repE0EEENS1_30default_config_static_selectorELNS0_4arch9wavefront6targetE1EEEvSW_.uses_vcc, 0
	.set _ZN7rocprim17ROCPRIM_400000_NS6detail17trampoline_kernelINS0_14default_configENS1_29binary_search_config_selectorItiEEZNS1_14transform_implILb0ES3_S5_N6thrust23THRUST_200600_302600_NS6detail15normal_iteratorINS8_7pointerItNS8_11hip_rocprim5par_tENS8_11use_defaultESE_EEEENSA_INSB_IiSD_SE_SE_EEEEZNS1_13binary_searchIS3_S5_PtSG_SI_NS1_16binary_search_opENS9_16wrapped_functionINS8_6system6detail7generic6detail18binary_search_lessEbEEEE10hipError_tPvRmT1_T2_T3_mmT4_T5_P12ihipStream_tbEUlRKtE_EEST_SX_SY_mSZ_S12_bEUlT_E_NS1_11comp_targetILNS1_3genE5ELNS1_11target_archE942ELNS1_3gpuE9ELNS1_3repE0EEENS1_30default_config_static_selectorELNS0_4arch9wavefront6targetE1EEEvSW_.uses_flat_scratch, 0
	.set _ZN7rocprim17ROCPRIM_400000_NS6detail17trampoline_kernelINS0_14default_configENS1_29binary_search_config_selectorItiEEZNS1_14transform_implILb0ES3_S5_N6thrust23THRUST_200600_302600_NS6detail15normal_iteratorINS8_7pointerItNS8_11hip_rocprim5par_tENS8_11use_defaultESE_EEEENSA_INSB_IiSD_SE_SE_EEEEZNS1_13binary_searchIS3_S5_PtSG_SI_NS1_16binary_search_opENS9_16wrapped_functionINS8_6system6detail7generic6detail18binary_search_lessEbEEEE10hipError_tPvRmT1_T2_T3_mmT4_T5_P12ihipStream_tbEUlRKtE_EEST_SX_SY_mSZ_S12_bEUlT_E_NS1_11comp_targetILNS1_3genE5ELNS1_11target_archE942ELNS1_3gpuE9ELNS1_3repE0EEENS1_30default_config_static_selectorELNS0_4arch9wavefront6targetE1EEEvSW_.has_dyn_sized_stack, 0
	.set _ZN7rocprim17ROCPRIM_400000_NS6detail17trampoline_kernelINS0_14default_configENS1_29binary_search_config_selectorItiEEZNS1_14transform_implILb0ES3_S5_N6thrust23THRUST_200600_302600_NS6detail15normal_iteratorINS8_7pointerItNS8_11hip_rocprim5par_tENS8_11use_defaultESE_EEEENSA_INSB_IiSD_SE_SE_EEEEZNS1_13binary_searchIS3_S5_PtSG_SI_NS1_16binary_search_opENS9_16wrapped_functionINS8_6system6detail7generic6detail18binary_search_lessEbEEEE10hipError_tPvRmT1_T2_T3_mmT4_T5_P12ihipStream_tbEUlRKtE_EEST_SX_SY_mSZ_S12_bEUlT_E_NS1_11comp_targetILNS1_3genE5ELNS1_11target_archE942ELNS1_3gpuE9ELNS1_3repE0EEENS1_30default_config_static_selectorELNS0_4arch9wavefront6targetE1EEEvSW_.has_recursion, 0
	.set _ZN7rocprim17ROCPRIM_400000_NS6detail17trampoline_kernelINS0_14default_configENS1_29binary_search_config_selectorItiEEZNS1_14transform_implILb0ES3_S5_N6thrust23THRUST_200600_302600_NS6detail15normal_iteratorINS8_7pointerItNS8_11hip_rocprim5par_tENS8_11use_defaultESE_EEEENSA_INSB_IiSD_SE_SE_EEEEZNS1_13binary_searchIS3_S5_PtSG_SI_NS1_16binary_search_opENS9_16wrapped_functionINS8_6system6detail7generic6detail18binary_search_lessEbEEEE10hipError_tPvRmT1_T2_T3_mmT4_T5_P12ihipStream_tbEUlRKtE_EEST_SX_SY_mSZ_S12_bEUlT_E_NS1_11comp_targetILNS1_3genE5ELNS1_11target_archE942ELNS1_3gpuE9ELNS1_3repE0EEENS1_30default_config_static_selectorELNS0_4arch9wavefront6targetE1EEEvSW_.has_indirect_call, 0
	.section	.AMDGPU.csdata,"",@progbits
; Kernel info:
; codeLenInByte = 0
; TotalNumSgprs: 4
; NumVgprs: 0
; ScratchSize: 0
; MemoryBound: 0
; FloatMode: 240
; IeeeMode: 1
; LDSByteSize: 0 bytes/workgroup (compile time only)
; SGPRBlocks: 0
; VGPRBlocks: 0
; NumSGPRsForWavesPerEU: 4
; NumVGPRsForWavesPerEU: 1
; Occupancy: 10
; WaveLimiterHint : 0
; COMPUTE_PGM_RSRC2:SCRATCH_EN: 0
; COMPUTE_PGM_RSRC2:USER_SGPR: 6
; COMPUTE_PGM_RSRC2:TRAP_HANDLER: 0
; COMPUTE_PGM_RSRC2:TGID_X_EN: 1
; COMPUTE_PGM_RSRC2:TGID_Y_EN: 0
; COMPUTE_PGM_RSRC2:TGID_Z_EN: 0
; COMPUTE_PGM_RSRC2:TIDIG_COMP_CNT: 0
	.section	.text._ZN7rocprim17ROCPRIM_400000_NS6detail17trampoline_kernelINS0_14default_configENS1_29binary_search_config_selectorItiEEZNS1_14transform_implILb0ES3_S5_N6thrust23THRUST_200600_302600_NS6detail15normal_iteratorINS8_7pointerItNS8_11hip_rocprim5par_tENS8_11use_defaultESE_EEEENSA_INSB_IiSD_SE_SE_EEEEZNS1_13binary_searchIS3_S5_PtSG_SI_NS1_16binary_search_opENS9_16wrapped_functionINS8_6system6detail7generic6detail18binary_search_lessEbEEEE10hipError_tPvRmT1_T2_T3_mmT4_T5_P12ihipStream_tbEUlRKtE_EEST_SX_SY_mSZ_S12_bEUlT_E_NS1_11comp_targetILNS1_3genE4ELNS1_11target_archE910ELNS1_3gpuE8ELNS1_3repE0EEENS1_30default_config_static_selectorELNS0_4arch9wavefront6targetE1EEEvSW_,"axG",@progbits,_ZN7rocprim17ROCPRIM_400000_NS6detail17trampoline_kernelINS0_14default_configENS1_29binary_search_config_selectorItiEEZNS1_14transform_implILb0ES3_S5_N6thrust23THRUST_200600_302600_NS6detail15normal_iteratorINS8_7pointerItNS8_11hip_rocprim5par_tENS8_11use_defaultESE_EEEENSA_INSB_IiSD_SE_SE_EEEEZNS1_13binary_searchIS3_S5_PtSG_SI_NS1_16binary_search_opENS9_16wrapped_functionINS8_6system6detail7generic6detail18binary_search_lessEbEEEE10hipError_tPvRmT1_T2_T3_mmT4_T5_P12ihipStream_tbEUlRKtE_EEST_SX_SY_mSZ_S12_bEUlT_E_NS1_11comp_targetILNS1_3genE4ELNS1_11target_archE910ELNS1_3gpuE8ELNS1_3repE0EEENS1_30default_config_static_selectorELNS0_4arch9wavefront6targetE1EEEvSW_,comdat
	.protected	_ZN7rocprim17ROCPRIM_400000_NS6detail17trampoline_kernelINS0_14default_configENS1_29binary_search_config_selectorItiEEZNS1_14transform_implILb0ES3_S5_N6thrust23THRUST_200600_302600_NS6detail15normal_iteratorINS8_7pointerItNS8_11hip_rocprim5par_tENS8_11use_defaultESE_EEEENSA_INSB_IiSD_SE_SE_EEEEZNS1_13binary_searchIS3_S5_PtSG_SI_NS1_16binary_search_opENS9_16wrapped_functionINS8_6system6detail7generic6detail18binary_search_lessEbEEEE10hipError_tPvRmT1_T2_T3_mmT4_T5_P12ihipStream_tbEUlRKtE_EEST_SX_SY_mSZ_S12_bEUlT_E_NS1_11comp_targetILNS1_3genE4ELNS1_11target_archE910ELNS1_3gpuE8ELNS1_3repE0EEENS1_30default_config_static_selectorELNS0_4arch9wavefront6targetE1EEEvSW_ ; -- Begin function _ZN7rocprim17ROCPRIM_400000_NS6detail17trampoline_kernelINS0_14default_configENS1_29binary_search_config_selectorItiEEZNS1_14transform_implILb0ES3_S5_N6thrust23THRUST_200600_302600_NS6detail15normal_iteratorINS8_7pointerItNS8_11hip_rocprim5par_tENS8_11use_defaultESE_EEEENSA_INSB_IiSD_SE_SE_EEEEZNS1_13binary_searchIS3_S5_PtSG_SI_NS1_16binary_search_opENS9_16wrapped_functionINS8_6system6detail7generic6detail18binary_search_lessEbEEEE10hipError_tPvRmT1_T2_T3_mmT4_T5_P12ihipStream_tbEUlRKtE_EEST_SX_SY_mSZ_S12_bEUlT_E_NS1_11comp_targetILNS1_3genE4ELNS1_11target_archE910ELNS1_3gpuE8ELNS1_3repE0EEENS1_30default_config_static_selectorELNS0_4arch9wavefront6targetE1EEEvSW_
	.globl	_ZN7rocprim17ROCPRIM_400000_NS6detail17trampoline_kernelINS0_14default_configENS1_29binary_search_config_selectorItiEEZNS1_14transform_implILb0ES3_S5_N6thrust23THRUST_200600_302600_NS6detail15normal_iteratorINS8_7pointerItNS8_11hip_rocprim5par_tENS8_11use_defaultESE_EEEENSA_INSB_IiSD_SE_SE_EEEEZNS1_13binary_searchIS3_S5_PtSG_SI_NS1_16binary_search_opENS9_16wrapped_functionINS8_6system6detail7generic6detail18binary_search_lessEbEEEE10hipError_tPvRmT1_T2_T3_mmT4_T5_P12ihipStream_tbEUlRKtE_EEST_SX_SY_mSZ_S12_bEUlT_E_NS1_11comp_targetILNS1_3genE4ELNS1_11target_archE910ELNS1_3gpuE8ELNS1_3repE0EEENS1_30default_config_static_selectorELNS0_4arch9wavefront6targetE1EEEvSW_
	.p2align	8
	.type	_ZN7rocprim17ROCPRIM_400000_NS6detail17trampoline_kernelINS0_14default_configENS1_29binary_search_config_selectorItiEEZNS1_14transform_implILb0ES3_S5_N6thrust23THRUST_200600_302600_NS6detail15normal_iteratorINS8_7pointerItNS8_11hip_rocprim5par_tENS8_11use_defaultESE_EEEENSA_INSB_IiSD_SE_SE_EEEEZNS1_13binary_searchIS3_S5_PtSG_SI_NS1_16binary_search_opENS9_16wrapped_functionINS8_6system6detail7generic6detail18binary_search_lessEbEEEE10hipError_tPvRmT1_T2_T3_mmT4_T5_P12ihipStream_tbEUlRKtE_EEST_SX_SY_mSZ_S12_bEUlT_E_NS1_11comp_targetILNS1_3genE4ELNS1_11target_archE910ELNS1_3gpuE8ELNS1_3repE0EEENS1_30default_config_static_selectorELNS0_4arch9wavefront6targetE1EEEvSW_,@function
_ZN7rocprim17ROCPRIM_400000_NS6detail17trampoline_kernelINS0_14default_configENS1_29binary_search_config_selectorItiEEZNS1_14transform_implILb0ES3_S5_N6thrust23THRUST_200600_302600_NS6detail15normal_iteratorINS8_7pointerItNS8_11hip_rocprim5par_tENS8_11use_defaultESE_EEEENSA_INSB_IiSD_SE_SE_EEEEZNS1_13binary_searchIS3_S5_PtSG_SI_NS1_16binary_search_opENS9_16wrapped_functionINS8_6system6detail7generic6detail18binary_search_lessEbEEEE10hipError_tPvRmT1_T2_T3_mmT4_T5_P12ihipStream_tbEUlRKtE_EEST_SX_SY_mSZ_S12_bEUlT_E_NS1_11comp_targetILNS1_3genE4ELNS1_11target_archE910ELNS1_3gpuE8ELNS1_3repE0EEENS1_30default_config_static_selectorELNS0_4arch9wavefront6targetE1EEEvSW_: ; @_ZN7rocprim17ROCPRIM_400000_NS6detail17trampoline_kernelINS0_14default_configENS1_29binary_search_config_selectorItiEEZNS1_14transform_implILb0ES3_S5_N6thrust23THRUST_200600_302600_NS6detail15normal_iteratorINS8_7pointerItNS8_11hip_rocprim5par_tENS8_11use_defaultESE_EEEENSA_INSB_IiSD_SE_SE_EEEEZNS1_13binary_searchIS3_S5_PtSG_SI_NS1_16binary_search_opENS9_16wrapped_functionINS8_6system6detail7generic6detail18binary_search_lessEbEEEE10hipError_tPvRmT1_T2_T3_mmT4_T5_P12ihipStream_tbEUlRKtE_EEST_SX_SY_mSZ_S12_bEUlT_E_NS1_11comp_targetILNS1_3genE4ELNS1_11target_archE910ELNS1_3gpuE8ELNS1_3repE0EEENS1_30default_config_static_selectorELNS0_4arch9wavefront6targetE1EEEvSW_
; %bb.0:
	.section	.rodata,"a",@progbits
	.p2align	6, 0x0
	.amdhsa_kernel _ZN7rocprim17ROCPRIM_400000_NS6detail17trampoline_kernelINS0_14default_configENS1_29binary_search_config_selectorItiEEZNS1_14transform_implILb0ES3_S5_N6thrust23THRUST_200600_302600_NS6detail15normal_iteratorINS8_7pointerItNS8_11hip_rocprim5par_tENS8_11use_defaultESE_EEEENSA_INSB_IiSD_SE_SE_EEEEZNS1_13binary_searchIS3_S5_PtSG_SI_NS1_16binary_search_opENS9_16wrapped_functionINS8_6system6detail7generic6detail18binary_search_lessEbEEEE10hipError_tPvRmT1_T2_T3_mmT4_T5_P12ihipStream_tbEUlRKtE_EEST_SX_SY_mSZ_S12_bEUlT_E_NS1_11comp_targetILNS1_3genE4ELNS1_11target_archE910ELNS1_3gpuE8ELNS1_3repE0EEENS1_30default_config_static_selectorELNS0_4arch9wavefront6targetE1EEEvSW_
		.amdhsa_group_segment_fixed_size 0
		.amdhsa_private_segment_fixed_size 0
		.amdhsa_kernarg_size 56
		.amdhsa_user_sgpr_count 6
		.amdhsa_user_sgpr_private_segment_buffer 1
		.amdhsa_user_sgpr_dispatch_ptr 0
		.amdhsa_user_sgpr_queue_ptr 0
		.amdhsa_user_sgpr_kernarg_segment_ptr 1
		.amdhsa_user_sgpr_dispatch_id 0
		.amdhsa_user_sgpr_flat_scratch_init 0
		.amdhsa_user_sgpr_private_segment_size 0
		.amdhsa_uses_dynamic_stack 0
		.amdhsa_system_sgpr_private_segment_wavefront_offset 0
		.amdhsa_system_sgpr_workgroup_id_x 1
		.amdhsa_system_sgpr_workgroup_id_y 0
		.amdhsa_system_sgpr_workgroup_id_z 0
		.amdhsa_system_sgpr_workgroup_info 0
		.amdhsa_system_vgpr_workitem_id 0
		.amdhsa_next_free_vgpr 1
		.amdhsa_next_free_sgpr 0
		.amdhsa_reserve_vcc 0
		.amdhsa_reserve_flat_scratch 0
		.amdhsa_float_round_mode_32 0
		.amdhsa_float_round_mode_16_64 0
		.amdhsa_float_denorm_mode_32 3
		.amdhsa_float_denorm_mode_16_64 3
		.amdhsa_dx10_clamp 1
		.amdhsa_ieee_mode 1
		.amdhsa_fp16_overflow 0
		.amdhsa_exception_fp_ieee_invalid_op 0
		.amdhsa_exception_fp_denorm_src 0
		.amdhsa_exception_fp_ieee_div_zero 0
		.amdhsa_exception_fp_ieee_overflow 0
		.amdhsa_exception_fp_ieee_underflow 0
		.amdhsa_exception_fp_ieee_inexact 0
		.amdhsa_exception_int_div_zero 0
	.end_amdhsa_kernel
	.section	.text._ZN7rocprim17ROCPRIM_400000_NS6detail17trampoline_kernelINS0_14default_configENS1_29binary_search_config_selectorItiEEZNS1_14transform_implILb0ES3_S5_N6thrust23THRUST_200600_302600_NS6detail15normal_iteratorINS8_7pointerItNS8_11hip_rocprim5par_tENS8_11use_defaultESE_EEEENSA_INSB_IiSD_SE_SE_EEEEZNS1_13binary_searchIS3_S5_PtSG_SI_NS1_16binary_search_opENS9_16wrapped_functionINS8_6system6detail7generic6detail18binary_search_lessEbEEEE10hipError_tPvRmT1_T2_T3_mmT4_T5_P12ihipStream_tbEUlRKtE_EEST_SX_SY_mSZ_S12_bEUlT_E_NS1_11comp_targetILNS1_3genE4ELNS1_11target_archE910ELNS1_3gpuE8ELNS1_3repE0EEENS1_30default_config_static_selectorELNS0_4arch9wavefront6targetE1EEEvSW_,"axG",@progbits,_ZN7rocprim17ROCPRIM_400000_NS6detail17trampoline_kernelINS0_14default_configENS1_29binary_search_config_selectorItiEEZNS1_14transform_implILb0ES3_S5_N6thrust23THRUST_200600_302600_NS6detail15normal_iteratorINS8_7pointerItNS8_11hip_rocprim5par_tENS8_11use_defaultESE_EEEENSA_INSB_IiSD_SE_SE_EEEEZNS1_13binary_searchIS3_S5_PtSG_SI_NS1_16binary_search_opENS9_16wrapped_functionINS8_6system6detail7generic6detail18binary_search_lessEbEEEE10hipError_tPvRmT1_T2_T3_mmT4_T5_P12ihipStream_tbEUlRKtE_EEST_SX_SY_mSZ_S12_bEUlT_E_NS1_11comp_targetILNS1_3genE4ELNS1_11target_archE910ELNS1_3gpuE8ELNS1_3repE0EEENS1_30default_config_static_selectorELNS0_4arch9wavefront6targetE1EEEvSW_,comdat
.Lfunc_end285:
	.size	_ZN7rocprim17ROCPRIM_400000_NS6detail17trampoline_kernelINS0_14default_configENS1_29binary_search_config_selectorItiEEZNS1_14transform_implILb0ES3_S5_N6thrust23THRUST_200600_302600_NS6detail15normal_iteratorINS8_7pointerItNS8_11hip_rocprim5par_tENS8_11use_defaultESE_EEEENSA_INSB_IiSD_SE_SE_EEEEZNS1_13binary_searchIS3_S5_PtSG_SI_NS1_16binary_search_opENS9_16wrapped_functionINS8_6system6detail7generic6detail18binary_search_lessEbEEEE10hipError_tPvRmT1_T2_T3_mmT4_T5_P12ihipStream_tbEUlRKtE_EEST_SX_SY_mSZ_S12_bEUlT_E_NS1_11comp_targetILNS1_3genE4ELNS1_11target_archE910ELNS1_3gpuE8ELNS1_3repE0EEENS1_30default_config_static_selectorELNS0_4arch9wavefront6targetE1EEEvSW_, .Lfunc_end285-_ZN7rocprim17ROCPRIM_400000_NS6detail17trampoline_kernelINS0_14default_configENS1_29binary_search_config_selectorItiEEZNS1_14transform_implILb0ES3_S5_N6thrust23THRUST_200600_302600_NS6detail15normal_iteratorINS8_7pointerItNS8_11hip_rocprim5par_tENS8_11use_defaultESE_EEEENSA_INSB_IiSD_SE_SE_EEEEZNS1_13binary_searchIS3_S5_PtSG_SI_NS1_16binary_search_opENS9_16wrapped_functionINS8_6system6detail7generic6detail18binary_search_lessEbEEEE10hipError_tPvRmT1_T2_T3_mmT4_T5_P12ihipStream_tbEUlRKtE_EEST_SX_SY_mSZ_S12_bEUlT_E_NS1_11comp_targetILNS1_3genE4ELNS1_11target_archE910ELNS1_3gpuE8ELNS1_3repE0EEENS1_30default_config_static_selectorELNS0_4arch9wavefront6targetE1EEEvSW_
                                        ; -- End function
	.set _ZN7rocprim17ROCPRIM_400000_NS6detail17trampoline_kernelINS0_14default_configENS1_29binary_search_config_selectorItiEEZNS1_14transform_implILb0ES3_S5_N6thrust23THRUST_200600_302600_NS6detail15normal_iteratorINS8_7pointerItNS8_11hip_rocprim5par_tENS8_11use_defaultESE_EEEENSA_INSB_IiSD_SE_SE_EEEEZNS1_13binary_searchIS3_S5_PtSG_SI_NS1_16binary_search_opENS9_16wrapped_functionINS8_6system6detail7generic6detail18binary_search_lessEbEEEE10hipError_tPvRmT1_T2_T3_mmT4_T5_P12ihipStream_tbEUlRKtE_EEST_SX_SY_mSZ_S12_bEUlT_E_NS1_11comp_targetILNS1_3genE4ELNS1_11target_archE910ELNS1_3gpuE8ELNS1_3repE0EEENS1_30default_config_static_selectorELNS0_4arch9wavefront6targetE1EEEvSW_.num_vgpr, 0
	.set _ZN7rocprim17ROCPRIM_400000_NS6detail17trampoline_kernelINS0_14default_configENS1_29binary_search_config_selectorItiEEZNS1_14transform_implILb0ES3_S5_N6thrust23THRUST_200600_302600_NS6detail15normal_iteratorINS8_7pointerItNS8_11hip_rocprim5par_tENS8_11use_defaultESE_EEEENSA_INSB_IiSD_SE_SE_EEEEZNS1_13binary_searchIS3_S5_PtSG_SI_NS1_16binary_search_opENS9_16wrapped_functionINS8_6system6detail7generic6detail18binary_search_lessEbEEEE10hipError_tPvRmT1_T2_T3_mmT4_T5_P12ihipStream_tbEUlRKtE_EEST_SX_SY_mSZ_S12_bEUlT_E_NS1_11comp_targetILNS1_3genE4ELNS1_11target_archE910ELNS1_3gpuE8ELNS1_3repE0EEENS1_30default_config_static_selectorELNS0_4arch9wavefront6targetE1EEEvSW_.num_agpr, 0
	.set _ZN7rocprim17ROCPRIM_400000_NS6detail17trampoline_kernelINS0_14default_configENS1_29binary_search_config_selectorItiEEZNS1_14transform_implILb0ES3_S5_N6thrust23THRUST_200600_302600_NS6detail15normal_iteratorINS8_7pointerItNS8_11hip_rocprim5par_tENS8_11use_defaultESE_EEEENSA_INSB_IiSD_SE_SE_EEEEZNS1_13binary_searchIS3_S5_PtSG_SI_NS1_16binary_search_opENS9_16wrapped_functionINS8_6system6detail7generic6detail18binary_search_lessEbEEEE10hipError_tPvRmT1_T2_T3_mmT4_T5_P12ihipStream_tbEUlRKtE_EEST_SX_SY_mSZ_S12_bEUlT_E_NS1_11comp_targetILNS1_3genE4ELNS1_11target_archE910ELNS1_3gpuE8ELNS1_3repE0EEENS1_30default_config_static_selectorELNS0_4arch9wavefront6targetE1EEEvSW_.numbered_sgpr, 0
	.set _ZN7rocprim17ROCPRIM_400000_NS6detail17trampoline_kernelINS0_14default_configENS1_29binary_search_config_selectorItiEEZNS1_14transform_implILb0ES3_S5_N6thrust23THRUST_200600_302600_NS6detail15normal_iteratorINS8_7pointerItNS8_11hip_rocprim5par_tENS8_11use_defaultESE_EEEENSA_INSB_IiSD_SE_SE_EEEEZNS1_13binary_searchIS3_S5_PtSG_SI_NS1_16binary_search_opENS9_16wrapped_functionINS8_6system6detail7generic6detail18binary_search_lessEbEEEE10hipError_tPvRmT1_T2_T3_mmT4_T5_P12ihipStream_tbEUlRKtE_EEST_SX_SY_mSZ_S12_bEUlT_E_NS1_11comp_targetILNS1_3genE4ELNS1_11target_archE910ELNS1_3gpuE8ELNS1_3repE0EEENS1_30default_config_static_selectorELNS0_4arch9wavefront6targetE1EEEvSW_.num_named_barrier, 0
	.set _ZN7rocprim17ROCPRIM_400000_NS6detail17trampoline_kernelINS0_14default_configENS1_29binary_search_config_selectorItiEEZNS1_14transform_implILb0ES3_S5_N6thrust23THRUST_200600_302600_NS6detail15normal_iteratorINS8_7pointerItNS8_11hip_rocprim5par_tENS8_11use_defaultESE_EEEENSA_INSB_IiSD_SE_SE_EEEEZNS1_13binary_searchIS3_S5_PtSG_SI_NS1_16binary_search_opENS9_16wrapped_functionINS8_6system6detail7generic6detail18binary_search_lessEbEEEE10hipError_tPvRmT1_T2_T3_mmT4_T5_P12ihipStream_tbEUlRKtE_EEST_SX_SY_mSZ_S12_bEUlT_E_NS1_11comp_targetILNS1_3genE4ELNS1_11target_archE910ELNS1_3gpuE8ELNS1_3repE0EEENS1_30default_config_static_selectorELNS0_4arch9wavefront6targetE1EEEvSW_.private_seg_size, 0
	.set _ZN7rocprim17ROCPRIM_400000_NS6detail17trampoline_kernelINS0_14default_configENS1_29binary_search_config_selectorItiEEZNS1_14transform_implILb0ES3_S5_N6thrust23THRUST_200600_302600_NS6detail15normal_iteratorINS8_7pointerItNS8_11hip_rocprim5par_tENS8_11use_defaultESE_EEEENSA_INSB_IiSD_SE_SE_EEEEZNS1_13binary_searchIS3_S5_PtSG_SI_NS1_16binary_search_opENS9_16wrapped_functionINS8_6system6detail7generic6detail18binary_search_lessEbEEEE10hipError_tPvRmT1_T2_T3_mmT4_T5_P12ihipStream_tbEUlRKtE_EEST_SX_SY_mSZ_S12_bEUlT_E_NS1_11comp_targetILNS1_3genE4ELNS1_11target_archE910ELNS1_3gpuE8ELNS1_3repE0EEENS1_30default_config_static_selectorELNS0_4arch9wavefront6targetE1EEEvSW_.uses_vcc, 0
	.set _ZN7rocprim17ROCPRIM_400000_NS6detail17trampoline_kernelINS0_14default_configENS1_29binary_search_config_selectorItiEEZNS1_14transform_implILb0ES3_S5_N6thrust23THRUST_200600_302600_NS6detail15normal_iteratorINS8_7pointerItNS8_11hip_rocprim5par_tENS8_11use_defaultESE_EEEENSA_INSB_IiSD_SE_SE_EEEEZNS1_13binary_searchIS3_S5_PtSG_SI_NS1_16binary_search_opENS9_16wrapped_functionINS8_6system6detail7generic6detail18binary_search_lessEbEEEE10hipError_tPvRmT1_T2_T3_mmT4_T5_P12ihipStream_tbEUlRKtE_EEST_SX_SY_mSZ_S12_bEUlT_E_NS1_11comp_targetILNS1_3genE4ELNS1_11target_archE910ELNS1_3gpuE8ELNS1_3repE0EEENS1_30default_config_static_selectorELNS0_4arch9wavefront6targetE1EEEvSW_.uses_flat_scratch, 0
	.set _ZN7rocprim17ROCPRIM_400000_NS6detail17trampoline_kernelINS0_14default_configENS1_29binary_search_config_selectorItiEEZNS1_14transform_implILb0ES3_S5_N6thrust23THRUST_200600_302600_NS6detail15normal_iteratorINS8_7pointerItNS8_11hip_rocprim5par_tENS8_11use_defaultESE_EEEENSA_INSB_IiSD_SE_SE_EEEEZNS1_13binary_searchIS3_S5_PtSG_SI_NS1_16binary_search_opENS9_16wrapped_functionINS8_6system6detail7generic6detail18binary_search_lessEbEEEE10hipError_tPvRmT1_T2_T3_mmT4_T5_P12ihipStream_tbEUlRKtE_EEST_SX_SY_mSZ_S12_bEUlT_E_NS1_11comp_targetILNS1_3genE4ELNS1_11target_archE910ELNS1_3gpuE8ELNS1_3repE0EEENS1_30default_config_static_selectorELNS0_4arch9wavefront6targetE1EEEvSW_.has_dyn_sized_stack, 0
	.set _ZN7rocprim17ROCPRIM_400000_NS6detail17trampoline_kernelINS0_14default_configENS1_29binary_search_config_selectorItiEEZNS1_14transform_implILb0ES3_S5_N6thrust23THRUST_200600_302600_NS6detail15normal_iteratorINS8_7pointerItNS8_11hip_rocprim5par_tENS8_11use_defaultESE_EEEENSA_INSB_IiSD_SE_SE_EEEEZNS1_13binary_searchIS3_S5_PtSG_SI_NS1_16binary_search_opENS9_16wrapped_functionINS8_6system6detail7generic6detail18binary_search_lessEbEEEE10hipError_tPvRmT1_T2_T3_mmT4_T5_P12ihipStream_tbEUlRKtE_EEST_SX_SY_mSZ_S12_bEUlT_E_NS1_11comp_targetILNS1_3genE4ELNS1_11target_archE910ELNS1_3gpuE8ELNS1_3repE0EEENS1_30default_config_static_selectorELNS0_4arch9wavefront6targetE1EEEvSW_.has_recursion, 0
	.set _ZN7rocprim17ROCPRIM_400000_NS6detail17trampoline_kernelINS0_14default_configENS1_29binary_search_config_selectorItiEEZNS1_14transform_implILb0ES3_S5_N6thrust23THRUST_200600_302600_NS6detail15normal_iteratorINS8_7pointerItNS8_11hip_rocprim5par_tENS8_11use_defaultESE_EEEENSA_INSB_IiSD_SE_SE_EEEEZNS1_13binary_searchIS3_S5_PtSG_SI_NS1_16binary_search_opENS9_16wrapped_functionINS8_6system6detail7generic6detail18binary_search_lessEbEEEE10hipError_tPvRmT1_T2_T3_mmT4_T5_P12ihipStream_tbEUlRKtE_EEST_SX_SY_mSZ_S12_bEUlT_E_NS1_11comp_targetILNS1_3genE4ELNS1_11target_archE910ELNS1_3gpuE8ELNS1_3repE0EEENS1_30default_config_static_selectorELNS0_4arch9wavefront6targetE1EEEvSW_.has_indirect_call, 0
	.section	.AMDGPU.csdata,"",@progbits
; Kernel info:
; codeLenInByte = 0
; TotalNumSgprs: 4
; NumVgprs: 0
; ScratchSize: 0
; MemoryBound: 0
; FloatMode: 240
; IeeeMode: 1
; LDSByteSize: 0 bytes/workgroup (compile time only)
; SGPRBlocks: 0
; VGPRBlocks: 0
; NumSGPRsForWavesPerEU: 4
; NumVGPRsForWavesPerEU: 1
; Occupancy: 10
; WaveLimiterHint : 0
; COMPUTE_PGM_RSRC2:SCRATCH_EN: 0
; COMPUTE_PGM_RSRC2:USER_SGPR: 6
; COMPUTE_PGM_RSRC2:TRAP_HANDLER: 0
; COMPUTE_PGM_RSRC2:TGID_X_EN: 1
; COMPUTE_PGM_RSRC2:TGID_Y_EN: 0
; COMPUTE_PGM_RSRC2:TGID_Z_EN: 0
; COMPUTE_PGM_RSRC2:TIDIG_COMP_CNT: 0
	.section	.text._ZN7rocprim17ROCPRIM_400000_NS6detail17trampoline_kernelINS0_14default_configENS1_29binary_search_config_selectorItiEEZNS1_14transform_implILb0ES3_S5_N6thrust23THRUST_200600_302600_NS6detail15normal_iteratorINS8_7pointerItNS8_11hip_rocprim5par_tENS8_11use_defaultESE_EEEENSA_INSB_IiSD_SE_SE_EEEEZNS1_13binary_searchIS3_S5_PtSG_SI_NS1_16binary_search_opENS9_16wrapped_functionINS8_6system6detail7generic6detail18binary_search_lessEbEEEE10hipError_tPvRmT1_T2_T3_mmT4_T5_P12ihipStream_tbEUlRKtE_EEST_SX_SY_mSZ_S12_bEUlT_E_NS1_11comp_targetILNS1_3genE3ELNS1_11target_archE908ELNS1_3gpuE7ELNS1_3repE0EEENS1_30default_config_static_selectorELNS0_4arch9wavefront6targetE1EEEvSW_,"axG",@progbits,_ZN7rocprim17ROCPRIM_400000_NS6detail17trampoline_kernelINS0_14default_configENS1_29binary_search_config_selectorItiEEZNS1_14transform_implILb0ES3_S5_N6thrust23THRUST_200600_302600_NS6detail15normal_iteratorINS8_7pointerItNS8_11hip_rocprim5par_tENS8_11use_defaultESE_EEEENSA_INSB_IiSD_SE_SE_EEEEZNS1_13binary_searchIS3_S5_PtSG_SI_NS1_16binary_search_opENS9_16wrapped_functionINS8_6system6detail7generic6detail18binary_search_lessEbEEEE10hipError_tPvRmT1_T2_T3_mmT4_T5_P12ihipStream_tbEUlRKtE_EEST_SX_SY_mSZ_S12_bEUlT_E_NS1_11comp_targetILNS1_3genE3ELNS1_11target_archE908ELNS1_3gpuE7ELNS1_3repE0EEENS1_30default_config_static_selectorELNS0_4arch9wavefront6targetE1EEEvSW_,comdat
	.protected	_ZN7rocprim17ROCPRIM_400000_NS6detail17trampoline_kernelINS0_14default_configENS1_29binary_search_config_selectorItiEEZNS1_14transform_implILb0ES3_S5_N6thrust23THRUST_200600_302600_NS6detail15normal_iteratorINS8_7pointerItNS8_11hip_rocprim5par_tENS8_11use_defaultESE_EEEENSA_INSB_IiSD_SE_SE_EEEEZNS1_13binary_searchIS3_S5_PtSG_SI_NS1_16binary_search_opENS9_16wrapped_functionINS8_6system6detail7generic6detail18binary_search_lessEbEEEE10hipError_tPvRmT1_T2_T3_mmT4_T5_P12ihipStream_tbEUlRKtE_EEST_SX_SY_mSZ_S12_bEUlT_E_NS1_11comp_targetILNS1_3genE3ELNS1_11target_archE908ELNS1_3gpuE7ELNS1_3repE0EEENS1_30default_config_static_selectorELNS0_4arch9wavefront6targetE1EEEvSW_ ; -- Begin function _ZN7rocprim17ROCPRIM_400000_NS6detail17trampoline_kernelINS0_14default_configENS1_29binary_search_config_selectorItiEEZNS1_14transform_implILb0ES3_S5_N6thrust23THRUST_200600_302600_NS6detail15normal_iteratorINS8_7pointerItNS8_11hip_rocprim5par_tENS8_11use_defaultESE_EEEENSA_INSB_IiSD_SE_SE_EEEEZNS1_13binary_searchIS3_S5_PtSG_SI_NS1_16binary_search_opENS9_16wrapped_functionINS8_6system6detail7generic6detail18binary_search_lessEbEEEE10hipError_tPvRmT1_T2_T3_mmT4_T5_P12ihipStream_tbEUlRKtE_EEST_SX_SY_mSZ_S12_bEUlT_E_NS1_11comp_targetILNS1_3genE3ELNS1_11target_archE908ELNS1_3gpuE7ELNS1_3repE0EEENS1_30default_config_static_selectorELNS0_4arch9wavefront6targetE1EEEvSW_
	.globl	_ZN7rocprim17ROCPRIM_400000_NS6detail17trampoline_kernelINS0_14default_configENS1_29binary_search_config_selectorItiEEZNS1_14transform_implILb0ES3_S5_N6thrust23THRUST_200600_302600_NS6detail15normal_iteratorINS8_7pointerItNS8_11hip_rocprim5par_tENS8_11use_defaultESE_EEEENSA_INSB_IiSD_SE_SE_EEEEZNS1_13binary_searchIS3_S5_PtSG_SI_NS1_16binary_search_opENS9_16wrapped_functionINS8_6system6detail7generic6detail18binary_search_lessEbEEEE10hipError_tPvRmT1_T2_T3_mmT4_T5_P12ihipStream_tbEUlRKtE_EEST_SX_SY_mSZ_S12_bEUlT_E_NS1_11comp_targetILNS1_3genE3ELNS1_11target_archE908ELNS1_3gpuE7ELNS1_3repE0EEENS1_30default_config_static_selectorELNS0_4arch9wavefront6targetE1EEEvSW_
	.p2align	8
	.type	_ZN7rocprim17ROCPRIM_400000_NS6detail17trampoline_kernelINS0_14default_configENS1_29binary_search_config_selectorItiEEZNS1_14transform_implILb0ES3_S5_N6thrust23THRUST_200600_302600_NS6detail15normal_iteratorINS8_7pointerItNS8_11hip_rocprim5par_tENS8_11use_defaultESE_EEEENSA_INSB_IiSD_SE_SE_EEEEZNS1_13binary_searchIS3_S5_PtSG_SI_NS1_16binary_search_opENS9_16wrapped_functionINS8_6system6detail7generic6detail18binary_search_lessEbEEEE10hipError_tPvRmT1_T2_T3_mmT4_T5_P12ihipStream_tbEUlRKtE_EEST_SX_SY_mSZ_S12_bEUlT_E_NS1_11comp_targetILNS1_3genE3ELNS1_11target_archE908ELNS1_3gpuE7ELNS1_3repE0EEENS1_30default_config_static_selectorELNS0_4arch9wavefront6targetE1EEEvSW_,@function
_ZN7rocprim17ROCPRIM_400000_NS6detail17trampoline_kernelINS0_14default_configENS1_29binary_search_config_selectorItiEEZNS1_14transform_implILb0ES3_S5_N6thrust23THRUST_200600_302600_NS6detail15normal_iteratorINS8_7pointerItNS8_11hip_rocprim5par_tENS8_11use_defaultESE_EEEENSA_INSB_IiSD_SE_SE_EEEEZNS1_13binary_searchIS3_S5_PtSG_SI_NS1_16binary_search_opENS9_16wrapped_functionINS8_6system6detail7generic6detail18binary_search_lessEbEEEE10hipError_tPvRmT1_T2_T3_mmT4_T5_P12ihipStream_tbEUlRKtE_EEST_SX_SY_mSZ_S12_bEUlT_E_NS1_11comp_targetILNS1_3genE3ELNS1_11target_archE908ELNS1_3gpuE7ELNS1_3repE0EEENS1_30default_config_static_selectorELNS0_4arch9wavefront6targetE1EEEvSW_: ; @_ZN7rocprim17ROCPRIM_400000_NS6detail17trampoline_kernelINS0_14default_configENS1_29binary_search_config_selectorItiEEZNS1_14transform_implILb0ES3_S5_N6thrust23THRUST_200600_302600_NS6detail15normal_iteratorINS8_7pointerItNS8_11hip_rocprim5par_tENS8_11use_defaultESE_EEEENSA_INSB_IiSD_SE_SE_EEEEZNS1_13binary_searchIS3_S5_PtSG_SI_NS1_16binary_search_opENS9_16wrapped_functionINS8_6system6detail7generic6detail18binary_search_lessEbEEEE10hipError_tPvRmT1_T2_T3_mmT4_T5_P12ihipStream_tbEUlRKtE_EEST_SX_SY_mSZ_S12_bEUlT_E_NS1_11comp_targetILNS1_3genE3ELNS1_11target_archE908ELNS1_3gpuE7ELNS1_3repE0EEENS1_30default_config_static_selectorELNS0_4arch9wavefront6targetE1EEEvSW_
; %bb.0:
	.section	.rodata,"a",@progbits
	.p2align	6, 0x0
	.amdhsa_kernel _ZN7rocprim17ROCPRIM_400000_NS6detail17trampoline_kernelINS0_14default_configENS1_29binary_search_config_selectorItiEEZNS1_14transform_implILb0ES3_S5_N6thrust23THRUST_200600_302600_NS6detail15normal_iteratorINS8_7pointerItNS8_11hip_rocprim5par_tENS8_11use_defaultESE_EEEENSA_INSB_IiSD_SE_SE_EEEEZNS1_13binary_searchIS3_S5_PtSG_SI_NS1_16binary_search_opENS9_16wrapped_functionINS8_6system6detail7generic6detail18binary_search_lessEbEEEE10hipError_tPvRmT1_T2_T3_mmT4_T5_P12ihipStream_tbEUlRKtE_EEST_SX_SY_mSZ_S12_bEUlT_E_NS1_11comp_targetILNS1_3genE3ELNS1_11target_archE908ELNS1_3gpuE7ELNS1_3repE0EEENS1_30default_config_static_selectorELNS0_4arch9wavefront6targetE1EEEvSW_
		.amdhsa_group_segment_fixed_size 0
		.amdhsa_private_segment_fixed_size 0
		.amdhsa_kernarg_size 56
		.amdhsa_user_sgpr_count 6
		.amdhsa_user_sgpr_private_segment_buffer 1
		.amdhsa_user_sgpr_dispatch_ptr 0
		.amdhsa_user_sgpr_queue_ptr 0
		.amdhsa_user_sgpr_kernarg_segment_ptr 1
		.amdhsa_user_sgpr_dispatch_id 0
		.amdhsa_user_sgpr_flat_scratch_init 0
		.amdhsa_user_sgpr_private_segment_size 0
		.amdhsa_uses_dynamic_stack 0
		.amdhsa_system_sgpr_private_segment_wavefront_offset 0
		.amdhsa_system_sgpr_workgroup_id_x 1
		.amdhsa_system_sgpr_workgroup_id_y 0
		.amdhsa_system_sgpr_workgroup_id_z 0
		.amdhsa_system_sgpr_workgroup_info 0
		.amdhsa_system_vgpr_workitem_id 0
		.amdhsa_next_free_vgpr 1
		.amdhsa_next_free_sgpr 0
		.amdhsa_reserve_vcc 0
		.amdhsa_reserve_flat_scratch 0
		.amdhsa_float_round_mode_32 0
		.amdhsa_float_round_mode_16_64 0
		.amdhsa_float_denorm_mode_32 3
		.amdhsa_float_denorm_mode_16_64 3
		.amdhsa_dx10_clamp 1
		.amdhsa_ieee_mode 1
		.amdhsa_fp16_overflow 0
		.amdhsa_exception_fp_ieee_invalid_op 0
		.amdhsa_exception_fp_denorm_src 0
		.amdhsa_exception_fp_ieee_div_zero 0
		.amdhsa_exception_fp_ieee_overflow 0
		.amdhsa_exception_fp_ieee_underflow 0
		.amdhsa_exception_fp_ieee_inexact 0
		.amdhsa_exception_int_div_zero 0
	.end_amdhsa_kernel
	.section	.text._ZN7rocprim17ROCPRIM_400000_NS6detail17trampoline_kernelINS0_14default_configENS1_29binary_search_config_selectorItiEEZNS1_14transform_implILb0ES3_S5_N6thrust23THRUST_200600_302600_NS6detail15normal_iteratorINS8_7pointerItNS8_11hip_rocprim5par_tENS8_11use_defaultESE_EEEENSA_INSB_IiSD_SE_SE_EEEEZNS1_13binary_searchIS3_S5_PtSG_SI_NS1_16binary_search_opENS9_16wrapped_functionINS8_6system6detail7generic6detail18binary_search_lessEbEEEE10hipError_tPvRmT1_T2_T3_mmT4_T5_P12ihipStream_tbEUlRKtE_EEST_SX_SY_mSZ_S12_bEUlT_E_NS1_11comp_targetILNS1_3genE3ELNS1_11target_archE908ELNS1_3gpuE7ELNS1_3repE0EEENS1_30default_config_static_selectorELNS0_4arch9wavefront6targetE1EEEvSW_,"axG",@progbits,_ZN7rocprim17ROCPRIM_400000_NS6detail17trampoline_kernelINS0_14default_configENS1_29binary_search_config_selectorItiEEZNS1_14transform_implILb0ES3_S5_N6thrust23THRUST_200600_302600_NS6detail15normal_iteratorINS8_7pointerItNS8_11hip_rocprim5par_tENS8_11use_defaultESE_EEEENSA_INSB_IiSD_SE_SE_EEEEZNS1_13binary_searchIS3_S5_PtSG_SI_NS1_16binary_search_opENS9_16wrapped_functionINS8_6system6detail7generic6detail18binary_search_lessEbEEEE10hipError_tPvRmT1_T2_T3_mmT4_T5_P12ihipStream_tbEUlRKtE_EEST_SX_SY_mSZ_S12_bEUlT_E_NS1_11comp_targetILNS1_3genE3ELNS1_11target_archE908ELNS1_3gpuE7ELNS1_3repE0EEENS1_30default_config_static_selectorELNS0_4arch9wavefront6targetE1EEEvSW_,comdat
.Lfunc_end286:
	.size	_ZN7rocprim17ROCPRIM_400000_NS6detail17trampoline_kernelINS0_14default_configENS1_29binary_search_config_selectorItiEEZNS1_14transform_implILb0ES3_S5_N6thrust23THRUST_200600_302600_NS6detail15normal_iteratorINS8_7pointerItNS8_11hip_rocprim5par_tENS8_11use_defaultESE_EEEENSA_INSB_IiSD_SE_SE_EEEEZNS1_13binary_searchIS3_S5_PtSG_SI_NS1_16binary_search_opENS9_16wrapped_functionINS8_6system6detail7generic6detail18binary_search_lessEbEEEE10hipError_tPvRmT1_T2_T3_mmT4_T5_P12ihipStream_tbEUlRKtE_EEST_SX_SY_mSZ_S12_bEUlT_E_NS1_11comp_targetILNS1_3genE3ELNS1_11target_archE908ELNS1_3gpuE7ELNS1_3repE0EEENS1_30default_config_static_selectorELNS0_4arch9wavefront6targetE1EEEvSW_, .Lfunc_end286-_ZN7rocprim17ROCPRIM_400000_NS6detail17trampoline_kernelINS0_14default_configENS1_29binary_search_config_selectorItiEEZNS1_14transform_implILb0ES3_S5_N6thrust23THRUST_200600_302600_NS6detail15normal_iteratorINS8_7pointerItNS8_11hip_rocprim5par_tENS8_11use_defaultESE_EEEENSA_INSB_IiSD_SE_SE_EEEEZNS1_13binary_searchIS3_S5_PtSG_SI_NS1_16binary_search_opENS9_16wrapped_functionINS8_6system6detail7generic6detail18binary_search_lessEbEEEE10hipError_tPvRmT1_T2_T3_mmT4_T5_P12ihipStream_tbEUlRKtE_EEST_SX_SY_mSZ_S12_bEUlT_E_NS1_11comp_targetILNS1_3genE3ELNS1_11target_archE908ELNS1_3gpuE7ELNS1_3repE0EEENS1_30default_config_static_selectorELNS0_4arch9wavefront6targetE1EEEvSW_
                                        ; -- End function
	.set _ZN7rocprim17ROCPRIM_400000_NS6detail17trampoline_kernelINS0_14default_configENS1_29binary_search_config_selectorItiEEZNS1_14transform_implILb0ES3_S5_N6thrust23THRUST_200600_302600_NS6detail15normal_iteratorINS8_7pointerItNS8_11hip_rocprim5par_tENS8_11use_defaultESE_EEEENSA_INSB_IiSD_SE_SE_EEEEZNS1_13binary_searchIS3_S5_PtSG_SI_NS1_16binary_search_opENS9_16wrapped_functionINS8_6system6detail7generic6detail18binary_search_lessEbEEEE10hipError_tPvRmT1_T2_T3_mmT4_T5_P12ihipStream_tbEUlRKtE_EEST_SX_SY_mSZ_S12_bEUlT_E_NS1_11comp_targetILNS1_3genE3ELNS1_11target_archE908ELNS1_3gpuE7ELNS1_3repE0EEENS1_30default_config_static_selectorELNS0_4arch9wavefront6targetE1EEEvSW_.num_vgpr, 0
	.set _ZN7rocprim17ROCPRIM_400000_NS6detail17trampoline_kernelINS0_14default_configENS1_29binary_search_config_selectorItiEEZNS1_14transform_implILb0ES3_S5_N6thrust23THRUST_200600_302600_NS6detail15normal_iteratorINS8_7pointerItNS8_11hip_rocprim5par_tENS8_11use_defaultESE_EEEENSA_INSB_IiSD_SE_SE_EEEEZNS1_13binary_searchIS3_S5_PtSG_SI_NS1_16binary_search_opENS9_16wrapped_functionINS8_6system6detail7generic6detail18binary_search_lessEbEEEE10hipError_tPvRmT1_T2_T3_mmT4_T5_P12ihipStream_tbEUlRKtE_EEST_SX_SY_mSZ_S12_bEUlT_E_NS1_11comp_targetILNS1_3genE3ELNS1_11target_archE908ELNS1_3gpuE7ELNS1_3repE0EEENS1_30default_config_static_selectorELNS0_4arch9wavefront6targetE1EEEvSW_.num_agpr, 0
	.set _ZN7rocprim17ROCPRIM_400000_NS6detail17trampoline_kernelINS0_14default_configENS1_29binary_search_config_selectorItiEEZNS1_14transform_implILb0ES3_S5_N6thrust23THRUST_200600_302600_NS6detail15normal_iteratorINS8_7pointerItNS8_11hip_rocprim5par_tENS8_11use_defaultESE_EEEENSA_INSB_IiSD_SE_SE_EEEEZNS1_13binary_searchIS3_S5_PtSG_SI_NS1_16binary_search_opENS9_16wrapped_functionINS8_6system6detail7generic6detail18binary_search_lessEbEEEE10hipError_tPvRmT1_T2_T3_mmT4_T5_P12ihipStream_tbEUlRKtE_EEST_SX_SY_mSZ_S12_bEUlT_E_NS1_11comp_targetILNS1_3genE3ELNS1_11target_archE908ELNS1_3gpuE7ELNS1_3repE0EEENS1_30default_config_static_selectorELNS0_4arch9wavefront6targetE1EEEvSW_.numbered_sgpr, 0
	.set _ZN7rocprim17ROCPRIM_400000_NS6detail17trampoline_kernelINS0_14default_configENS1_29binary_search_config_selectorItiEEZNS1_14transform_implILb0ES3_S5_N6thrust23THRUST_200600_302600_NS6detail15normal_iteratorINS8_7pointerItNS8_11hip_rocprim5par_tENS8_11use_defaultESE_EEEENSA_INSB_IiSD_SE_SE_EEEEZNS1_13binary_searchIS3_S5_PtSG_SI_NS1_16binary_search_opENS9_16wrapped_functionINS8_6system6detail7generic6detail18binary_search_lessEbEEEE10hipError_tPvRmT1_T2_T3_mmT4_T5_P12ihipStream_tbEUlRKtE_EEST_SX_SY_mSZ_S12_bEUlT_E_NS1_11comp_targetILNS1_3genE3ELNS1_11target_archE908ELNS1_3gpuE7ELNS1_3repE0EEENS1_30default_config_static_selectorELNS0_4arch9wavefront6targetE1EEEvSW_.num_named_barrier, 0
	.set _ZN7rocprim17ROCPRIM_400000_NS6detail17trampoline_kernelINS0_14default_configENS1_29binary_search_config_selectorItiEEZNS1_14transform_implILb0ES3_S5_N6thrust23THRUST_200600_302600_NS6detail15normal_iteratorINS8_7pointerItNS8_11hip_rocprim5par_tENS8_11use_defaultESE_EEEENSA_INSB_IiSD_SE_SE_EEEEZNS1_13binary_searchIS3_S5_PtSG_SI_NS1_16binary_search_opENS9_16wrapped_functionINS8_6system6detail7generic6detail18binary_search_lessEbEEEE10hipError_tPvRmT1_T2_T3_mmT4_T5_P12ihipStream_tbEUlRKtE_EEST_SX_SY_mSZ_S12_bEUlT_E_NS1_11comp_targetILNS1_3genE3ELNS1_11target_archE908ELNS1_3gpuE7ELNS1_3repE0EEENS1_30default_config_static_selectorELNS0_4arch9wavefront6targetE1EEEvSW_.private_seg_size, 0
	.set _ZN7rocprim17ROCPRIM_400000_NS6detail17trampoline_kernelINS0_14default_configENS1_29binary_search_config_selectorItiEEZNS1_14transform_implILb0ES3_S5_N6thrust23THRUST_200600_302600_NS6detail15normal_iteratorINS8_7pointerItNS8_11hip_rocprim5par_tENS8_11use_defaultESE_EEEENSA_INSB_IiSD_SE_SE_EEEEZNS1_13binary_searchIS3_S5_PtSG_SI_NS1_16binary_search_opENS9_16wrapped_functionINS8_6system6detail7generic6detail18binary_search_lessEbEEEE10hipError_tPvRmT1_T2_T3_mmT4_T5_P12ihipStream_tbEUlRKtE_EEST_SX_SY_mSZ_S12_bEUlT_E_NS1_11comp_targetILNS1_3genE3ELNS1_11target_archE908ELNS1_3gpuE7ELNS1_3repE0EEENS1_30default_config_static_selectorELNS0_4arch9wavefront6targetE1EEEvSW_.uses_vcc, 0
	.set _ZN7rocprim17ROCPRIM_400000_NS6detail17trampoline_kernelINS0_14default_configENS1_29binary_search_config_selectorItiEEZNS1_14transform_implILb0ES3_S5_N6thrust23THRUST_200600_302600_NS6detail15normal_iteratorINS8_7pointerItNS8_11hip_rocprim5par_tENS8_11use_defaultESE_EEEENSA_INSB_IiSD_SE_SE_EEEEZNS1_13binary_searchIS3_S5_PtSG_SI_NS1_16binary_search_opENS9_16wrapped_functionINS8_6system6detail7generic6detail18binary_search_lessEbEEEE10hipError_tPvRmT1_T2_T3_mmT4_T5_P12ihipStream_tbEUlRKtE_EEST_SX_SY_mSZ_S12_bEUlT_E_NS1_11comp_targetILNS1_3genE3ELNS1_11target_archE908ELNS1_3gpuE7ELNS1_3repE0EEENS1_30default_config_static_selectorELNS0_4arch9wavefront6targetE1EEEvSW_.uses_flat_scratch, 0
	.set _ZN7rocprim17ROCPRIM_400000_NS6detail17trampoline_kernelINS0_14default_configENS1_29binary_search_config_selectorItiEEZNS1_14transform_implILb0ES3_S5_N6thrust23THRUST_200600_302600_NS6detail15normal_iteratorINS8_7pointerItNS8_11hip_rocprim5par_tENS8_11use_defaultESE_EEEENSA_INSB_IiSD_SE_SE_EEEEZNS1_13binary_searchIS3_S5_PtSG_SI_NS1_16binary_search_opENS9_16wrapped_functionINS8_6system6detail7generic6detail18binary_search_lessEbEEEE10hipError_tPvRmT1_T2_T3_mmT4_T5_P12ihipStream_tbEUlRKtE_EEST_SX_SY_mSZ_S12_bEUlT_E_NS1_11comp_targetILNS1_3genE3ELNS1_11target_archE908ELNS1_3gpuE7ELNS1_3repE0EEENS1_30default_config_static_selectorELNS0_4arch9wavefront6targetE1EEEvSW_.has_dyn_sized_stack, 0
	.set _ZN7rocprim17ROCPRIM_400000_NS6detail17trampoline_kernelINS0_14default_configENS1_29binary_search_config_selectorItiEEZNS1_14transform_implILb0ES3_S5_N6thrust23THRUST_200600_302600_NS6detail15normal_iteratorINS8_7pointerItNS8_11hip_rocprim5par_tENS8_11use_defaultESE_EEEENSA_INSB_IiSD_SE_SE_EEEEZNS1_13binary_searchIS3_S5_PtSG_SI_NS1_16binary_search_opENS9_16wrapped_functionINS8_6system6detail7generic6detail18binary_search_lessEbEEEE10hipError_tPvRmT1_T2_T3_mmT4_T5_P12ihipStream_tbEUlRKtE_EEST_SX_SY_mSZ_S12_bEUlT_E_NS1_11comp_targetILNS1_3genE3ELNS1_11target_archE908ELNS1_3gpuE7ELNS1_3repE0EEENS1_30default_config_static_selectorELNS0_4arch9wavefront6targetE1EEEvSW_.has_recursion, 0
	.set _ZN7rocprim17ROCPRIM_400000_NS6detail17trampoline_kernelINS0_14default_configENS1_29binary_search_config_selectorItiEEZNS1_14transform_implILb0ES3_S5_N6thrust23THRUST_200600_302600_NS6detail15normal_iteratorINS8_7pointerItNS8_11hip_rocprim5par_tENS8_11use_defaultESE_EEEENSA_INSB_IiSD_SE_SE_EEEEZNS1_13binary_searchIS3_S5_PtSG_SI_NS1_16binary_search_opENS9_16wrapped_functionINS8_6system6detail7generic6detail18binary_search_lessEbEEEE10hipError_tPvRmT1_T2_T3_mmT4_T5_P12ihipStream_tbEUlRKtE_EEST_SX_SY_mSZ_S12_bEUlT_E_NS1_11comp_targetILNS1_3genE3ELNS1_11target_archE908ELNS1_3gpuE7ELNS1_3repE0EEENS1_30default_config_static_selectorELNS0_4arch9wavefront6targetE1EEEvSW_.has_indirect_call, 0
	.section	.AMDGPU.csdata,"",@progbits
; Kernel info:
; codeLenInByte = 0
; TotalNumSgprs: 4
; NumVgprs: 0
; ScratchSize: 0
; MemoryBound: 0
; FloatMode: 240
; IeeeMode: 1
; LDSByteSize: 0 bytes/workgroup (compile time only)
; SGPRBlocks: 0
; VGPRBlocks: 0
; NumSGPRsForWavesPerEU: 4
; NumVGPRsForWavesPerEU: 1
; Occupancy: 10
; WaveLimiterHint : 0
; COMPUTE_PGM_RSRC2:SCRATCH_EN: 0
; COMPUTE_PGM_RSRC2:USER_SGPR: 6
; COMPUTE_PGM_RSRC2:TRAP_HANDLER: 0
; COMPUTE_PGM_RSRC2:TGID_X_EN: 1
; COMPUTE_PGM_RSRC2:TGID_Y_EN: 0
; COMPUTE_PGM_RSRC2:TGID_Z_EN: 0
; COMPUTE_PGM_RSRC2:TIDIG_COMP_CNT: 0
	.section	.text._ZN7rocprim17ROCPRIM_400000_NS6detail17trampoline_kernelINS0_14default_configENS1_29binary_search_config_selectorItiEEZNS1_14transform_implILb0ES3_S5_N6thrust23THRUST_200600_302600_NS6detail15normal_iteratorINS8_7pointerItNS8_11hip_rocprim5par_tENS8_11use_defaultESE_EEEENSA_INSB_IiSD_SE_SE_EEEEZNS1_13binary_searchIS3_S5_PtSG_SI_NS1_16binary_search_opENS9_16wrapped_functionINS8_6system6detail7generic6detail18binary_search_lessEbEEEE10hipError_tPvRmT1_T2_T3_mmT4_T5_P12ihipStream_tbEUlRKtE_EEST_SX_SY_mSZ_S12_bEUlT_E_NS1_11comp_targetILNS1_3genE2ELNS1_11target_archE906ELNS1_3gpuE6ELNS1_3repE0EEENS1_30default_config_static_selectorELNS0_4arch9wavefront6targetE1EEEvSW_,"axG",@progbits,_ZN7rocprim17ROCPRIM_400000_NS6detail17trampoline_kernelINS0_14default_configENS1_29binary_search_config_selectorItiEEZNS1_14transform_implILb0ES3_S5_N6thrust23THRUST_200600_302600_NS6detail15normal_iteratorINS8_7pointerItNS8_11hip_rocprim5par_tENS8_11use_defaultESE_EEEENSA_INSB_IiSD_SE_SE_EEEEZNS1_13binary_searchIS3_S5_PtSG_SI_NS1_16binary_search_opENS9_16wrapped_functionINS8_6system6detail7generic6detail18binary_search_lessEbEEEE10hipError_tPvRmT1_T2_T3_mmT4_T5_P12ihipStream_tbEUlRKtE_EEST_SX_SY_mSZ_S12_bEUlT_E_NS1_11comp_targetILNS1_3genE2ELNS1_11target_archE906ELNS1_3gpuE6ELNS1_3repE0EEENS1_30default_config_static_selectorELNS0_4arch9wavefront6targetE1EEEvSW_,comdat
	.protected	_ZN7rocprim17ROCPRIM_400000_NS6detail17trampoline_kernelINS0_14default_configENS1_29binary_search_config_selectorItiEEZNS1_14transform_implILb0ES3_S5_N6thrust23THRUST_200600_302600_NS6detail15normal_iteratorINS8_7pointerItNS8_11hip_rocprim5par_tENS8_11use_defaultESE_EEEENSA_INSB_IiSD_SE_SE_EEEEZNS1_13binary_searchIS3_S5_PtSG_SI_NS1_16binary_search_opENS9_16wrapped_functionINS8_6system6detail7generic6detail18binary_search_lessEbEEEE10hipError_tPvRmT1_T2_T3_mmT4_T5_P12ihipStream_tbEUlRKtE_EEST_SX_SY_mSZ_S12_bEUlT_E_NS1_11comp_targetILNS1_3genE2ELNS1_11target_archE906ELNS1_3gpuE6ELNS1_3repE0EEENS1_30default_config_static_selectorELNS0_4arch9wavefront6targetE1EEEvSW_ ; -- Begin function _ZN7rocprim17ROCPRIM_400000_NS6detail17trampoline_kernelINS0_14default_configENS1_29binary_search_config_selectorItiEEZNS1_14transform_implILb0ES3_S5_N6thrust23THRUST_200600_302600_NS6detail15normal_iteratorINS8_7pointerItNS8_11hip_rocprim5par_tENS8_11use_defaultESE_EEEENSA_INSB_IiSD_SE_SE_EEEEZNS1_13binary_searchIS3_S5_PtSG_SI_NS1_16binary_search_opENS9_16wrapped_functionINS8_6system6detail7generic6detail18binary_search_lessEbEEEE10hipError_tPvRmT1_T2_T3_mmT4_T5_P12ihipStream_tbEUlRKtE_EEST_SX_SY_mSZ_S12_bEUlT_E_NS1_11comp_targetILNS1_3genE2ELNS1_11target_archE906ELNS1_3gpuE6ELNS1_3repE0EEENS1_30default_config_static_selectorELNS0_4arch9wavefront6targetE1EEEvSW_
	.globl	_ZN7rocprim17ROCPRIM_400000_NS6detail17trampoline_kernelINS0_14default_configENS1_29binary_search_config_selectorItiEEZNS1_14transform_implILb0ES3_S5_N6thrust23THRUST_200600_302600_NS6detail15normal_iteratorINS8_7pointerItNS8_11hip_rocprim5par_tENS8_11use_defaultESE_EEEENSA_INSB_IiSD_SE_SE_EEEEZNS1_13binary_searchIS3_S5_PtSG_SI_NS1_16binary_search_opENS9_16wrapped_functionINS8_6system6detail7generic6detail18binary_search_lessEbEEEE10hipError_tPvRmT1_T2_T3_mmT4_T5_P12ihipStream_tbEUlRKtE_EEST_SX_SY_mSZ_S12_bEUlT_E_NS1_11comp_targetILNS1_3genE2ELNS1_11target_archE906ELNS1_3gpuE6ELNS1_3repE0EEENS1_30default_config_static_selectorELNS0_4arch9wavefront6targetE1EEEvSW_
	.p2align	8
	.type	_ZN7rocprim17ROCPRIM_400000_NS6detail17trampoline_kernelINS0_14default_configENS1_29binary_search_config_selectorItiEEZNS1_14transform_implILb0ES3_S5_N6thrust23THRUST_200600_302600_NS6detail15normal_iteratorINS8_7pointerItNS8_11hip_rocprim5par_tENS8_11use_defaultESE_EEEENSA_INSB_IiSD_SE_SE_EEEEZNS1_13binary_searchIS3_S5_PtSG_SI_NS1_16binary_search_opENS9_16wrapped_functionINS8_6system6detail7generic6detail18binary_search_lessEbEEEE10hipError_tPvRmT1_T2_T3_mmT4_T5_P12ihipStream_tbEUlRKtE_EEST_SX_SY_mSZ_S12_bEUlT_E_NS1_11comp_targetILNS1_3genE2ELNS1_11target_archE906ELNS1_3gpuE6ELNS1_3repE0EEENS1_30default_config_static_selectorELNS0_4arch9wavefront6targetE1EEEvSW_,@function
_ZN7rocprim17ROCPRIM_400000_NS6detail17trampoline_kernelINS0_14default_configENS1_29binary_search_config_selectorItiEEZNS1_14transform_implILb0ES3_S5_N6thrust23THRUST_200600_302600_NS6detail15normal_iteratorINS8_7pointerItNS8_11hip_rocprim5par_tENS8_11use_defaultESE_EEEENSA_INSB_IiSD_SE_SE_EEEEZNS1_13binary_searchIS3_S5_PtSG_SI_NS1_16binary_search_opENS9_16wrapped_functionINS8_6system6detail7generic6detail18binary_search_lessEbEEEE10hipError_tPvRmT1_T2_T3_mmT4_T5_P12ihipStream_tbEUlRKtE_EEST_SX_SY_mSZ_S12_bEUlT_E_NS1_11comp_targetILNS1_3genE2ELNS1_11target_archE906ELNS1_3gpuE6ELNS1_3repE0EEENS1_30default_config_static_selectorELNS0_4arch9wavefront6targetE1EEEvSW_: ; @_ZN7rocprim17ROCPRIM_400000_NS6detail17trampoline_kernelINS0_14default_configENS1_29binary_search_config_selectorItiEEZNS1_14transform_implILb0ES3_S5_N6thrust23THRUST_200600_302600_NS6detail15normal_iteratorINS8_7pointerItNS8_11hip_rocprim5par_tENS8_11use_defaultESE_EEEENSA_INSB_IiSD_SE_SE_EEEEZNS1_13binary_searchIS3_S5_PtSG_SI_NS1_16binary_search_opENS9_16wrapped_functionINS8_6system6detail7generic6detail18binary_search_lessEbEEEE10hipError_tPvRmT1_T2_T3_mmT4_T5_P12ihipStream_tbEUlRKtE_EEST_SX_SY_mSZ_S12_bEUlT_E_NS1_11comp_targetILNS1_3genE2ELNS1_11target_archE906ELNS1_3gpuE6ELNS1_3repE0EEENS1_30default_config_static_selectorELNS0_4arch9wavefront6targetE1EEEvSW_
; %bb.0:
	s_load_dwordx8 s[8:15], s[4:5], 0x0
	s_load_dwordx4 s[16:19], s[4:5], 0x20
	s_load_dword s2, s[4:5], 0x38
	s_waitcnt lgkmcnt(0)
	s_lshl_b64 s[0:1], s[10:11], 1
	s_add_u32 s3, s8, s0
	s_addc_u32 s4, s9, s1
	s_lshl_b64 s[0:1], s[10:11], 2
	s_add_u32 s22, s14, s0
	s_addc_u32 s23, s15, s1
	s_lshl_b32 s8, s6, 10
	s_mov_b32 s9, 0
	s_add_i32 s2, s2, -1
	s_lshl_b64 s[0:1], s[8:9], 1
	s_add_u32 s14, s3, s0
	s_addc_u32 s15, s4, s1
	s_cmp_lg_u32 s6, s2
	s_cbranch_scc0 .LBB287_23
; %bb.1:
	v_lshlrev_b32_e32 v1, 1, v0
	v_mov_b32_e32 v2, s15
	v_add_co_u32_e32 v1, vcc, s14, v1
	v_addc_co_u32_e32 v2, vcc, 0, v2, vcc
	flat_load_ushort v8, v[1:2]
	flat_load_ushort v9, v[1:2] offset:512
	flat_load_ushort v7, v[1:2] offset:1024
	;; [unrolled: 1-line block ×3, first 2 shown]
	s_cmp_lg_u64 s[18:19], 0
	v_mov_b32_e32 v1, 0
	s_cselect_b64 s[2:3], -1, 0
	s_cmp_eq_u64 s[18:19], 0
	s_mov_b64 s[0:1], 0
	v_mov_b32_e32 v2, 0
	s_cbranch_scc1 .LBB287_5
; %bb.2:
	v_mov_b32_e32 v3, s18
	v_mov_b32_e32 v4, s19
	;; [unrolled: 1-line block ×3, first 2 shown]
.LBB287_3:                              ; =>This Inner Loop Header: Depth=1
	v_sub_co_u32_e32 v10, vcc, v3, v1
	v_subb_co_u32_e32 v11, vcc, v4, v2, vcc
	v_lshrrev_b64 v[12:13], 1, v[10:11]
	v_lshrrev_b64 v[10:11], 6, v[10:11]
	v_add_co_u32_e32 v12, vcc, v12, v1
	v_addc_co_u32_e32 v13, vcc, v13, v2, vcc
	v_add_co_u32_e32 v10, vcc, v12, v10
	v_addc_co_u32_e32 v11, vcc, v13, v11, vcc
	v_lshlrev_b64 v[12:13], 1, v[10:11]
	v_add_co_u32_e32 v12, vcc, s16, v12
	v_addc_co_u32_e32 v13, vcc, v6, v13, vcc
	global_load_ushort v12, v[12:13], off
	v_add_co_u32_e32 v13, vcc, 1, v10
	v_addc_co_u32_e32 v14, vcc, 0, v11, vcc
	s_waitcnt vmcnt(0) lgkmcnt(0)
	v_cmp_lt_u16_e32 vcc, v12, v8
	v_cndmask_b32_e32 v4, v11, v4, vcc
	v_cndmask_b32_e32 v3, v10, v3, vcc
	;; [unrolled: 1-line block ×4, first 2 shown]
	v_cmp_ge_u64_e32 vcc, v[1:2], v[3:4]
	s_or_b64 s[0:1], vcc, s[0:1]
	s_andn2_b64 exec, exec, s[0:1]
	s_cbranch_execnz .LBB287_3
; %bb.4:
	s_or_b64 exec, exec, s[0:1]
.LBB287_5:
	v_cmp_ne_u64_e32 vcc, s[18:19], v[1:2]
	v_mov_b32_e32 v6, 0
	s_and_saveexec_b64 s[0:1], vcc
	s_cbranch_execz .LBB287_7
; %bb.6:
	v_lshlrev_b64 v[1:2], 1, v[1:2]
	v_mov_b32_e32 v3, s17
	v_add_co_u32_e32 v1, vcc, s16, v1
	v_addc_co_u32_e32 v2, vcc, v3, v2, vcc
	global_load_ushort v1, v[1:2], off
	s_waitcnt vmcnt(0) lgkmcnt(0)
	v_cmp_ge_u16_e32 vcc, v8, v1
	v_cndmask_b32_e64 v6, 0, 1, vcc
.LBB287_7:
	s_or_b64 exec, exec, s[0:1]
	v_cndmask_b32_e64 v1, 0, 1, s[2:3]
	v_cmp_ne_u32_e64 s[0:1], 1, v1
	s_andn2_b64 vcc, exec, s[2:3]
	s_cbranch_vccnz .LBB287_40
; %bb.8:
	v_mov_b32_e32 v1, 0
	v_mov_b32_e32 v3, s18
	s_mov_b64 s[2:3], 0
	v_mov_b32_e32 v2, 0
	v_mov_b32_e32 v4, s19
	s_waitcnt vmcnt(0) lgkmcnt(0)
	v_mov_b32_e32 v8, s17
.LBB287_9:                              ; =>This Inner Loop Header: Depth=1
	v_sub_co_u32_e32 v10, vcc, v3, v1
	v_subb_co_u32_e32 v11, vcc, v4, v2, vcc
	v_lshrrev_b64 v[12:13], 1, v[10:11]
	v_lshrrev_b64 v[10:11], 6, v[10:11]
	v_add_co_u32_e32 v12, vcc, v12, v1
	v_addc_co_u32_e32 v13, vcc, v13, v2, vcc
	v_add_co_u32_e32 v10, vcc, v12, v10
	v_addc_co_u32_e32 v11, vcc, v13, v11, vcc
	v_lshlrev_b64 v[12:13], 1, v[10:11]
	v_add_co_u32_e32 v12, vcc, s16, v12
	v_addc_co_u32_e32 v13, vcc, v8, v13, vcc
	global_load_ushort v12, v[12:13], off
	v_add_co_u32_e32 v13, vcc, 1, v10
	v_addc_co_u32_e32 v14, vcc, 0, v11, vcc
	s_waitcnt vmcnt(0)
	v_cmp_lt_u16_e32 vcc, v12, v9
	v_cndmask_b32_e32 v4, v11, v4, vcc
	v_cndmask_b32_e32 v3, v10, v3, vcc
	;; [unrolled: 1-line block ×4, first 2 shown]
	v_cmp_ge_u64_e32 vcc, v[1:2], v[3:4]
	s_or_b64 s[2:3], vcc, s[2:3]
	s_andn2_b64 exec, exec, s[2:3]
	s_cbranch_execnz .LBB287_9
; %bb.10:
	s_or_b64 exec, exec, s[2:3]
	v_cmp_ne_u64_e32 vcc, s[18:19], v[1:2]
	v_mov_b32_e32 v8, 0
	s_and_saveexec_b64 s[2:3], vcc
	s_cbranch_execz .LBB287_12
.LBB287_11:
	v_lshlrev_b64 v[1:2], 1, v[1:2]
	v_mov_b32_e32 v3, s17
	v_add_co_u32_e32 v1, vcc, s16, v1
	v_addc_co_u32_e32 v2, vcc, v3, v2, vcc
	global_load_ushort v1, v[1:2], off
	s_waitcnt vmcnt(0)
	v_cmp_ge_u16_e32 vcc, v9, v1
	v_cndmask_b32_e64 v8, 0, 1, vcc
.LBB287_12:
	s_or_b64 exec, exec, s[2:3]
	s_and_b64 vcc, exec, s[0:1]
	s_cbranch_vccnz .LBB287_41
; %bb.13:
	v_mov_b32_e32 v1, 0
	v_mov_b32_e32 v3, s18
	s_mov_b64 s[2:3], 0
	v_mov_b32_e32 v2, 0
	v_mov_b32_e32 v4, s19
	;; [unrolled: 1-line block ×3, first 2 shown]
.LBB287_14:                             ; =>This Inner Loop Header: Depth=1
	v_sub_co_u32_e32 v10, vcc, v3, v1
	v_subb_co_u32_e32 v11, vcc, v4, v2, vcc
	v_lshrrev_b64 v[12:13], 1, v[10:11]
	v_lshrrev_b64 v[10:11], 6, v[10:11]
	v_add_co_u32_e32 v12, vcc, v12, v1
	v_addc_co_u32_e32 v13, vcc, v13, v2, vcc
	v_add_co_u32_e32 v10, vcc, v12, v10
	v_addc_co_u32_e32 v11, vcc, v13, v11, vcc
	v_lshlrev_b64 v[12:13], 1, v[10:11]
	v_add_co_u32_e32 v12, vcc, s16, v12
	v_addc_co_u32_e32 v13, vcc, v9, v13, vcc
	global_load_ushort v12, v[12:13], off
	v_add_co_u32_e32 v13, vcc, 1, v10
	v_addc_co_u32_e32 v14, vcc, 0, v11, vcc
	s_waitcnt vmcnt(0)
	v_cmp_lt_u16_e32 vcc, v12, v7
	v_cndmask_b32_e32 v4, v11, v4, vcc
	v_cndmask_b32_e32 v3, v10, v3, vcc
	v_cndmask_b32_e32 v2, v2, v14, vcc
	v_cndmask_b32_e32 v1, v1, v13, vcc
	v_cmp_ge_u64_e32 vcc, v[1:2], v[3:4]
	s_or_b64 s[2:3], vcc, s[2:3]
	s_andn2_b64 exec, exec, s[2:3]
	s_cbranch_execnz .LBB287_14
; %bb.15:
	s_or_b64 exec, exec, s[2:3]
	v_cmp_ne_u64_e32 vcc, s[18:19], v[1:2]
	v_mov_b32_e32 v9, 0
	s_and_saveexec_b64 s[2:3], vcc
	s_cbranch_execz .LBB287_17
.LBB287_16:
	v_lshlrev_b64 v[1:2], 1, v[1:2]
	v_mov_b32_e32 v3, s17
	v_add_co_u32_e32 v1, vcc, s16, v1
	v_addc_co_u32_e32 v2, vcc, v3, v2, vcc
	global_load_ushort v1, v[1:2], off
	s_waitcnt vmcnt(0)
	v_cmp_ge_u16_e32 vcc, v7, v1
	v_cndmask_b32_e64 v9, 0, 1, vcc
.LBB287_17:
	s_or_b64 exec, exec, s[2:3]
	s_and_b64 vcc, exec, s[0:1]
	s_cbranch_vccnz .LBB287_42
; %bb.18:
	v_mov_b32_e32 v1, 0
	v_mov_b32_e32 v3, s18
	s_mov_b64 s[0:1], 0
	v_mov_b32_e32 v2, 0
	v_mov_b32_e32 v4, s19
	v_mov_b32_e32 v7, s17
.LBB287_19:                             ; =>This Inner Loop Header: Depth=1
	v_sub_co_u32_e32 v10, vcc, v3, v1
	v_subb_co_u32_e32 v11, vcc, v4, v2, vcc
	v_lshrrev_b64 v[12:13], 1, v[10:11]
	v_lshrrev_b64 v[10:11], 6, v[10:11]
	v_add_co_u32_e32 v12, vcc, v12, v1
	v_addc_co_u32_e32 v13, vcc, v13, v2, vcc
	v_add_co_u32_e32 v10, vcc, v12, v10
	v_addc_co_u32_e32 v11, vcc, v13, v11, vcc
	v_lshlrev_b64 v[12:13], 1, v[10:11]
	v_add_co_u32_e32 v12, vcc, s16, v12
	v_addc_co_u32_e32 v13, vcc, v7, v13, vcc
	global_load_ushort v12, v[12:13], off
	v_add_co_u32_e32 v13, vcc, 1, v10
	v_addc_co_u32_e32 v14, vcc, 0, v11, vcc
	s_waitcnt vmcnt(0)
	v_cmp_lt_u16_e32 vcc, v12, v5
	v_cndmask_b32_e32 v4, v11, v4, vcc
	v_cndmask_b32_e32 v3, v10, v3, vcc
	;; [unrolled: 1-line block ×4, first 2 shown]
	v_cmp_ge_u64_e32 vcc, v[1:2], v[3:4]
	s_or_b64 s[0:1], vcc, s[0:1]
	s_andn2_b64 exec, exec, s[0:1]
	s_cbranch_execnz .LBB287_19
; %bb.20:
	s_or_b64 exec, exec, s[0:1]
	v_cmp_ne_u64_e32 vcc, s[18:19], v[1:2]
	v_mov_b32_e32 v7, 0
	s_and_saveexec_b64 s[0:1], vcc
	s_cbranch_execz .LBB287_22
.LBB287_21:
	v_lshlrev_b64 v[1:2], 1, v[1:2]
	v_mov_b32_e32 v3, s17
	v_add_co_u32_e32 v1, vcc, s16, v1
	v_addc_co_u32_e32 v2, vcc, v3, v2, vcc
	global_load_ushort v1, v[1:2], off
	s_waitcnt vmcnt(0)
	v_cmp_ge_u16_e32 vcc, v5, v1
	v_cndmask_b32_e64 v7, 0, 1, vcc
.LBB287_22:
	s_or_b64 exec, exec, s[0:1]
	s_lshl_b64 s[0:1], s[8:9], 2
	s_add_u32 s0, s22, s0
	s_addc_u32 s1, s23, s1
	v_lshlrev_b32_e32 v1, 2, v0
	v_mov_b32_e32 v2, s1
	v_add_co_u32_e32 v1, vcc, s0, v1
	v_addc_co_u32_e32 v2, vcc, 0, v2, vcc
	flat_store_dword v[1:2], v6
	flat_store_dword v[1:2], v8 offset:1024
	flat_store_dword v[1:2], v9 offset:2048
	s_mov_b64 s[10:11], -1
	s_branch .LBB287_72
.LBB287_23:
	s_mov_b64 s[10:11], 0
                                        ; implicit-def: $vgpr7
                                        ; implicit-def: $vgpr1_vgpr2
	s_cbranch_execz .LBB287_72
; %bb.24:
	s_sub_i32 s12, s12, s8
	v_mov_b32_e32 v1, 0
	v_cmp_gt_u32_e64 s[0:1], s12, v0
	v_mov_b32_e32 v2, v1
	s_and_saveexec_b64 s[2:3], s[0:1]
	s_cbranch_execz .LBB287_26
; %bb.25:
	v_lshlrev_b32_e32 v2, 1, v0
	v_mov_b32_e32 v3, s15
	v_add_co_u32_e32 v2, vcc, s14, v2
	v_addc_co_u32_e32 v3, vcc, 0, v3, vcc
	flat_load_ushort v2, v[2:3]
	v_mov_b32_e32 v3, v1
	s_waitcnt vmcnt(0) lgkmcnt(0)
	v_and_b32_e32 v2, 0xffff, v2
	v_mov_b32_e32 v1, v2
	v_mov_b32_e32 v2, v3
.LBB287_26:
	s_or_b64 exec, exec, s[2:3]
	v_or_b32_e32 v3, 0x100, v0
	v_cmp_gt_u32_e64 s[2:3], s12, v3
	s_and_saveexec_b64 s[4:5], s[2:3]
	s_cbranch_execz .LBB287_28
; %bb.27:
	v_lshlrev_b32_e32 v3, 1, v0
	v_mov_b32_e32 v4, s15
	v_add_co_u32_e32 v3, vcc, s14, v3
	v_addc_co_u32_e32 v4, vcc, 0, v4, vcc
	flat_load_ushort v3, v[3:4] offset:512
	s_mov_b32 s6, 0x5040100
	s_waitcnt vmcnt(0) lgkmcnt(0)
	v_perm_b32 v1, v3, v1, s6
.LBB287_28:
	s_or_b64 exec, exec, s[4:5]
	v_or_b32_e32 v3, 0x200, v0
	v_cmp_gt_u32_e64 s[4:5], s12, v3
	s_and_saveexec_b64 s[6:7], s[4:5]
	s_cbranch_execz .LBB287_30
; %bb.29:
	v_lshlrev_b32_e32 v3, 1, v0
	v_mov_b32_e32 v4, s15
	v_add_co_u32_e32 v3, vcc, s14, v3
	v_addc_co_u32_e32 v4, vcc, 0, v4, vcc
	flat_load_ushort v3, v[3:4] offset:1024
	s_mov_b32 s13, 0xffff
	s_waitcnt vmcnt(0) lgkmcnt(0)
	v_bfi_b32 v2, s13, v3, v2
.LBB287_30:
	s_or_b64 exec, exec, s[6:7]
	v_or_b32_e32 v3, 0x300, v0
	v_cmp_gt_u32_e64 s[6:7], s12, v3
	s_and_saveexec_b64 s[12:13], s[6:7]
	s_cbranch_execz .LBB287_32
; %bb.31:
	v_lshlrev_b32_e32 v3, 1, v0
	v_mov_b32_e32 v4, s15
	v_add_co_u32_e32 v3, vcc, s14, v3
	v_addc_co_u32_e32 v4, vcc, 0, v4, vcc
	flat_load_ushort v3, v[3:4] offset:1536
	s_mov_b32 s14, 0x5040100
	s_waitcnt vmcnt(0) lgkmcnt(0)
	v_perm_b32 v2, v3, v2, s14
.LBB287_32:
	s_or_b64 exec, exec, s[12:13]
	s_cmp_lg_u64 s[18:19], 0
	v_mov_b32_e32 v8, 0
	s_cselect_b64 s[12:13], -1, 0
	v_mov_b32_e32 v9, v8
	v_mov_b32_e32 v10, v8
	;; [unrolled: 1-line block ×3, first 2 shown]
	s_and_saveexec_b64 s[14:15], s[0:1]
	s_cbranch_execnz .LBB287_36
; %bb.33:
	s_or_b64 exec, exec, s[14:15]
	s_and_saveexec_b64 s[14:15], s[2:3]
	s_cbranch_execnz .LBB287_47
.LBB287_34:
	s_or_b64 exec, exec, s[14:15]
	s_and_saveexec_b64 s[14:15], s[4:5]
	s_cbranch_execnz .LBB287_53
.LBB287_35:
	s_or_b64 exec, exec, s[14:15]
	s_and_saveexec_b64 s[14:15], s[6:7]
	s_cbranch_execnz .LBB287_59
	s_branch .LBB287_65
.LBB287_36:
	s_andn2_b64 vcc, exec, s[12:13]
	s_cbranch_vccnz .LBB287_43
; %bb.37:
	v_mov_b32_e32 v3, 0
	v_mov_b32_e32 v5, s18
	s_mov_b64 s[20:21], 0
	v_mov_b32_e32 v4, 0
	v_mov_b32_e32 v6, s19
	;; [unrolled: 1-line block ×3, first 2 shown]
.LBB287_38:                             ; =>This Inner Loop Header: Depth=1
	v_sub_co_u32_e32 v8, vcc, v5, v3
	v_subb_co_u32_e32 v9, vcc, v6, v4, vcc
	v_lshrrev_b64 v[10:11], 1, v[8:9]
	v_lshrrev_b64 v[8:9], 6, v[8:9]
	v_add_co_u32_e32 v10, vcc, v10, v3
	v_addc_co_u32_e32 v11, vcc, v11, v4, vcc
	v_add_co_u32_e32 v8, vcc, v10, v8
	v_addc_co_u32_e32 v9, vcc, v11, v9, vcc
	v_lshlrev_b64 v[10:11], 1, v[8:9]
	v_add_co_u32_e32 v10, vcc, s16, v10
	v_addc_co_u32_e32 v11, vcc, v7, v11, vcc
	global_load_ushort v10, v[10:11], off
	v_add_co_u32_e32 v11, vcc, 1, v8
	v_addc_co_u32_e32 v12, vcc, 0, v9, vcc
	s_waitcnt vmcnt(0)
	v_cmp_lt_u16_e32 vcc, v10, v1
	v_cndmask_b32_e32 v6, v9, v6, vcc
	v_cndmask_b32_e32 v5, v8, v5, vcc
	;; [unrolled: 1-line block ×4, first 2 shown]
	v_cmp_ge_u64_e32 vcc, v[3:4], v[5:6]
	s_or_b64 s[20:21], vcc, s[20:21]
	s_andn2_b64 exec, exec, s[20:21]
	s_cbranch_execnz .LBB287_38
; %bb.39:
	s_or_b64 exec, exec, s[20:21]
	s_branch .LBB287_44
.LBB287_40:
	v_mov_b32_e32 v1, 0
	v_mov_b32_e32 v2, 0
	v_cmp_ne_u64_e32 vcc, s[18:19], v[1:2]
	s_waitcnt vmcnt(0) lgkmcnt(0)
	v_mov_b32_e32 v8, 0
	s_and_saveexec_b64 s[2:3], vcc
	s_cbranch_execnz .LBB287_11
	s_branch .LBB287_12
.LBB287_41:
	v_mov_b32_e32 v1, 0
	v_mov_b32_e32 v2, 0
	v_cmp_ne_u64_e32 vcc, s[18:19], v[1:2]
	v_mov_b32_e32 v9, 0
	s_and_saveexec_b64 s[2:3], vcc
	s_cbranch_execnz .LBB287_16
	s_branch .LBB287_17
.LBB287_42:
	v_mov_b32_e32 v1, 0
	v_mov_b32_e32 v2, 0
	v_cmp_ne_u64_e32 vcc, s[18:19], v[1:2]
	v_mov_b32_e32 v7, 0
	s_and_saveexec_b64 s[0:1], vcc
	s_cbranch_execnz .LBB287_21
	s_branch .LBB287_22
.LBB287_43:
	v_mov_b32_e32 v3, 0
	v_mov_b32_e32 v4, 0
.LBB287_44:
	v_cmp_ne_u64_e32 vcc, s[18:19], v[3:4]
	v_mov_b32_e32 v9, 0
	v_mov_b32_e32 v8, 0
	s_and_saveexec_b64 s[20:21], vcc
	s_cbranch_execz .LBB287_46
; %bb.45:
	v_lshlrev_b64 v[3:4], 1, v[3:4]
	v_mov_b32_e32 v5, s17
	v_add_co_u32_e32 v3, vcc, s16, v3
	v_addc_co_u32_e32 v4, vcc, v5, v4, vcc
	global_load_ushort v3, v[3:4], off
	s_waitcnt vmcnt(0)
	v_cmp_ge_u16_e32 vcc, v1, v3
	v_cndmask_b32_e64 v8, 0, 1, vcc
.LBB287_46:
	s_or_b64 exec, exec, s[20:21]
	v_mov_b32_e32 v10, v9
	v_mov_b32_e32 v7, v9
	s_or_b64 exec, exec, s[14:15]
	s_and_saveexec_b64 s[14:15], s[2:3]
	s_cbranch_execz .LBB287_34
.LBB287_47:
	s_andn2_b64 vcc, exec, s[12:13]
	s_cbranch_vccnz .LBB287_77
; %bb.48:
	v_mov_b32_e32 v3, 0
	v_mov_b32_e32 v5, s18
	s_mov_b64 s[20:21], 0
	v_mov_b32_e32 v4, 0
	v_mov_b32_e32 v6, s19
	;; [unrolled: 1-line block ×3, first 2 shown]
.LBB287_49:                             ; =>This Inner Loop Header: Depth=1
	v_sub_co_u32_e32 v11, vcc, v5, v3
	v_subb_co_u32_e32 v12, vcc, v6, v4, vcc
	v_lshrrev_b64 v[13:14], 1, v[11:12]
	v_lshrrev_b64 v[11:12], 6, v[11:12]
	v_add_co_u32_e32 v13, vcc, v13, v3
	v_addc_co_u32_e32 v14, vcc, v14, v4, vcc
	v_add_co_u32_e32 v11, vcc, v13, v11
	v_addc_co_u32_e32 v12, vcc, v14, v12, vcc
	v_lshlrev_b64 v[13:14], 1, v[11:12]
	v_add_co_u32_e32 v13, vcc, s16, v13
	v_addc_co_u32_e32 v14, vcc, v9, v14, vcc
	global_load_ushort v13, v[13:14], off
	v_add_co_u32_e32 v14, vcc, 1, v11
	v_addc_co_u32_e32 v15, vcc, 0, v12, vcc
	s_waitcnt vmcnt(0)
	v_cmp_lt_u16_sdwa vcc, v13, v1 src0_sel:DWORD src1_sel:WORD_1
	v_cndmask_b32_e32 v6, v12, v6, vcc
	v_cndmask_b32_e32 v5, v11, v5, vcc
	;; [unrolled: 1-line block ×4, first 2 shown]
	v_cmp_ge_u64_e32 vcc, v[3:4], v[5:6]
	s_or_b64 s[20:21], vcc, s[20:21]
	s_andn2_b64 exec, exec, s[20:21]
	s_cbranch_execnz .LBB287_49
; %bb.50:
	s_or_b64 exec, exec, s[20:21]
	v_cmp_ne_u64_e32 vcc, s[18:19], v[3:4]
	v_mov_b32_e32 v9, 0
	s_and_saveexec_b64 s[20:21], vcc
	s_cbranch_execz .LBB287_52
.LBB287_51:
	v_lshlrev_b64 v[3:4], 1, v[3:4]
	v_mov_b32_e32 v5, s17
	v_add_co_u32_e32 v3, vcc, s16, v3
	v_addc_co_u32_e32 v4, vcc, v5, v4, vcc
	global_load_ushort v3, v[3:4], off
	s_waitcnt vmcnt(0)
	v_cmp_ge_u16_sdwa s[24:25], v1, v3 src0_sel:WORD_1 src1_sel:DWORD
	v_cndmask_b32_e64 v9, 0, 1, s[24:25]
.LBB287_52:
	s_or_b64 exec, exec, s[20:21]
	s_or_b64 exec, exec, s[14:15]
	s_and_saveexec_b64 s[14:15], s[4:5]
	s_cbranch_execz .LBB287_35
.LBB287_53:
	s_andn2_b64 vcc, exec, s[12:13]
	s_cbranch_vccnz .LBB287_78
; %bb.54:
	v_mov_b32_e32 v3, 0
	v_mov_b32_e32 v5, s18
	s_mov_b64 s[20:21], 0
	v_mov_b32_e32 v4, 0
	v_mov_b32_e32 v6, s19
	;; [unrolled: 1-line block ×3, first 2 shown]
.LBB287_55:                             ; =>This Inner Loop Header: Depth=1
	v_sub_co_u32_e32 v10, vcc, v5, v3
	v_subb_co_u32_e32 v11, vcc, v6, v4, vcc
	v_lshrrev_b64 v[12:13], 1, v[10:11]
	v_lshrrev_b64 v[10:11], 6, v[10:11]
	v_add_co_u32_e32 v12, vcc, v12, v3
	v_addc_co_u32_e32 v13, vcc, v13, v4, vcc
	v_add_co_u32_e32 v10, vcc, v12, v10
	v_addc_co_u32_e32 v11, vcc, v13, v11, vcc
	v_lshlrev_b64 v[12:13], 1, v[10:11]
	v_add_co_u32_e32 v12, vcc, s16, v12
	v_addc_co_u32_e32 v13, vcc, v1, v13, vcc
	global_load_ushort v12, v[12:13], off
	v_add_co_u32_e32 v13, vcc, 1, v10
	v_addc_co_u32_e32 v14, vcc, 0, v11, vcc
	s_waitcnt vmcnt(0)
	v_cmp_lt_u16_e32 vcc, v12, v2
	v_cndmask_b32_e32 v6, v11, v6, vcc
	v_cndmask_b32_e32 v5, v10, v5, vcc
	;; [unrolled: 1-line block ×4, first 2 shown]
	v_cmp_ge_u64_e32 vcc, v[3:4], v[5:6]
	s_or_b64 s[20:21], vcc, s[20:21]
	s_andn2_b64 exec, exec, s[20:21]
	s_cbranch_execnz .LBB287_55
; %bb.56:
	s_or_b64 exec, exec, s[20:21]
	v_cmp_ne_u64_e32 vcc, s[18:19], v[3:4]
	v_mov_b32_e32 v10, 0
	s_and_saveexec_b64 s[20:21], vcc
	s_cbranch_execz .LBB287_58
.LBB287_57:
	v_lshlrev_b64 v[3:4], 1, v[3:4]
	v_mov_b32_e32 v1, s17
	v_add_co_u32_e32 v3, vcc, s16, v3
	v_addc_co_u32_e32 v4, vcc, v1, v4, vcc
	global_load_ushort v1, v[3:4], off
	s_waitcnt vmcnt(0)
	v_cmp_ge_u16_e32 vcc, v2, v1
	v_cndmask_b32_e64 v10, 0, 1, vcc
.LBB287_58:
	s_or_b64 exec, exec, s[20:21]
	s_or_b64 exec, exec, s[14:15]
	s_and_saveexec_b64 s[14:15], s[6:7]
	s_cbranch_execz .LBB287_65
.LBB287_59:
	s_andn2_b64 vcc, exec, s[12:13]
	s_cbranch_vccnz .LBB287_79
; %bb.60:
	v_mov_b32_e32 v3, 0
	v_mov_b32_e32 v5, s18
	s_mov_b64 s[12:13], 0
	v_mov_b32_e32 v4, 0
	v_mov_b32_e32 v6, s19
	;; [unrolled: 1-line block ×3, first 2 shown]
.LBB287_61:                             ; =>This Inner Loop Header: Depth=1
	v_sub_co_u32_e32 v11, vcc, v5, v3
	v_subb_co_u32_e32 v12, vcc, v6, v4, vcc
	v_lshrrev_b64 v[13:14], 1, v[11:12]
	v_lshrrev_b64 v[11:12], 6, v[11:12]
	v_add_co_u32_e32 v7, vcc, v13, v3
	v_addc_co_u32_e32 v13, vcc, v14, v4, vcc
	v_add_co_u32_e32 v11, vcc, v7, v11
	v_addc_co_u32_e32 v12, vcc, v13, v12, vcc
	v_lshlrev_b64 v[13:14], 1, v[11:12]
	v_add_co_u32_e32 v13, vcc, s16, v13
	v_addc_co_u32_e32 v14, vcc, v1, v14, vcc
	global_load_ushort v7, v[13:14], off
	v_add_co_u32_e32 v13, vcc, 1, v11
	v_addc_co_u32_e32 v14, vcc, 0, v12, vcc
	s_waitcnt vmcnt(0)
	v_cmp_lt_u16_sdwa vcc, v7, v2 src0_sel:DWORD src1_sel:WORD_1
	v_cndmask_b32_e32 v6, v12, v6, vcc
	v_cndmask_b32_e32 v5, v11, v5, vcc
	;; [unrolled: 1-line block ×4, first 2 shown]
	v_cmp_ge_u64_e32 vcc, v[3:4], v[5:6]
	s_or_b64 s[12:13], vcc, s[12:13]
	s_andn2_b64 exec, exec, s[12:13]
	s_cbranch_execnz .LBB287_61
; %bb.62:
	s_or_b64 exec, exec, s[12:13]
	v_cmp_ne_u64_e32 vcc, s[18:19], v[3:4]
	v_mov_b32_e32 v7, 0
	s_and_saveexec_b64 s[12:13], vcc
	s_cbranch_execz .LBB287_64
.LBB287_63:
	v_lshlrev_b64 v[3:4], 1, v[3:4]
	v_mov_b32_e32 v1, s17
	v_add_co_u32_e32 v3, vcc, s16, v3
	v_addc_co_u32_e32 v4, vcc, v1, v4, vcc
	global_load_ushort v1, v[3:4], off
	s_waitcnt vmcnt(0)
	v_cmp_ge_u16_sdwa s[16:17], v2, v1 src0_sel:WORD_1 src1_sel:DWORD
	v_cndmask_b32_e64 v7, 0, 1, s[16:17]
.LBB287_64:
	s_or_b64 exec, exec, s[12:13]
.LBB287_65:
	s_or_b64 exec, exec, s[14:15]
	s_lshl_b64 s[8:9], s[8:9], 2
	s_add_u32 s8, s22, s8
	s_addc_u32 s9, s23, s9
	v_lshlrev_b32_e32 v0, 2, v0
	v_mov_b32_e32 v2, s9
	v_add_co_u32_e32 v1, vcc, s8, v0
	v_addc_co_u32_e32 v2, vcc, 0, v2, vcc
	s_and_saveexec_b64 s[8:9], s[0:1]
	s_xor_b64 s[0:1], exec, s[8:9]
	s_cbranch_execz .LBB287_67
; %bb.66:
	flat_store_dword v[1:2], v8
.LBB287_67:
	s_or_b64 exec, exec, s[0:1]
	s_and_saveexec_b64 s[0:1], s[2:3]
	s_cbranch_execnz .LBB287_75
; %bb.68:
	s_or_b64 exec, exec, s[0:1]
	s_and_saveexec_b64 s[0:1], s[4:5]
	s_cbranch_execnz .LBB287_76
.LBB287_69:
	s_or_b64 exec, exec, s[0:1]
	s_and_saveexec_b64 s[0:1], s[6:7]
.LBB287_70:
	s_or_b64 s[10:11], s[10:11], exec
.LBB287_71:
	s_or_b64 exec, exec, s[0:1]
.LBB287_72:
	s_and_saveexec_b64 s[0:1], s[10:11]
	s_cbranch_execnz .LBB287_74
; %bb.73:
	s_endpgm
.LBB287_74:
	flat_store_dword v[1:2], v7 offset:3072
	s_endpgm
.LBB287_75:
	flat_store_dword v[1:2], v9 offset:1024
	s_or_b64 exec, exec, s[0:1]
	s_and_saveexec_b64 s[0:1], s[4:5]
	s_cbranch_execz .LBB287_69
.LBB287_76:
	flat_store_dword v[1:2], v10 offset:2048
	s_or_b64 exec, exec, s[0:1]
	s_and_saveexec_b64 s[0:1], s[6:7]
	s_cbranch_execnz .LBB287_70
	s_branch .LBB287_71
.LBB287_77:
	v_mov_b32_e32 v3, 0
	v_mov_b32_e32 v4, 0
	v_cmp_ne_u64_e32 vcc, s[18:19], v[3:4]
	v_mov_b32_e32 v9, 0
	s_and_saveexec_b64 s[20:21], vcc
	s_cbranch_execnz .LBB287_51
	s_branch .LBB287_52
.LBB287_78:
	v_mov_b32_e32 v3, 0
	v_mov_b32_e32 v4, 0
	v_cmp_ne_u64_e32 vcc, s[18:19], v[3:4]
	v_mov_b32_e32 v10, 0
	s_and_saveexec_b64 s[20:21], vcc
	s_cbranch_execnz .LBB287_57
	s_branch .LBB287_58
.LBB287_79:
	v_mov_b32_e32 v3, 0
	v_mov_b32_e32 v4, 0
	v_cmp_ne_u64_e32 vcc, s[18:19], v[3:4]
	v_mov_b32_e32 v7, 0
	s_and_saveexec_b64 s[12:13], vcc
	s_cbranch_execnz .LBB287_63
	s_branch .LBB287_64
	.section	.rodata,"a",@progbits
	.p2align	6, 0x0
	.amdhsa_kernel _ZN7rocprim17ROCPRIM_400000_NS6detail17trampoline_kernelINS0_14default_configENS1_29binary_search_config_selectorItiEEZNS1_14transform_implILb0ES3_S5_N6thrust23THRUST_200600_302600_NS6detail15normal_iteratorINS8_7pointerItNS8_11hip_rocprim5par_tENS8_11use_defaultESE_EEEENSA_INSB_IiSD_SE_SE_EEEEZNS1_13binary_searchIS3_S5_PtSG_SI_NS1_16binary_search_opENS9_16wrapped_functionINS8_6system6detail7generic6detail18binary_search_lessEbEEEE10hipError_tPvRmT1_T2_T3_mmT4_T5_P12ihipStream_tbEUlRKtE_EEST_SX_SY_mSZ_S12_bEUlT_E_NS1_11comp_targetILNS1_3genE2ELNS1_11target_archE906ELNS1_3gpuE6ELNS1_3repE0EEENS1_30default_config_static_selectorELNS0_4arch9wavefront6targetE1EEEvSW_
		.amdhsa_group_segment_fixed_size 0
		.amdhsa_private_segment_fixed_size 0
		.amdhsa_kernarg_size 312
		.amdhsa_user_sgpr_count 6
		.amdhsa_user_sgpr_private_segment_buffer 1
		.amdhsa_user_sgpr_dispatch_ptr 0
		.amdhsa_user_sgpr_queue_ptr 0
		.amdhsa_user_sgpr_kernarg_segment_ptr 1
		.amdhsa_user_sgpr_dispatch_id 0
		.amdhsa_user_sgpr_flat_scratch_init 0
		.amdhsa_user_sgpr_private_segment_size 0
		.amdhsa_uses_dynamic_stack 0
		.amdhsa_system_sgpr_private_segment_wavefront_offset 0
		.amdhsa_system_sgpr_workgroup_id_x 1
		.amdhsa_system_sgpr_workgroup_id_y 0
		.amdhsa_system_sgpr_workgroup_id_z 0
		.amdhsa_system_sgpr_workgroup_info 0
		.amdhsa_system_vgpr_workitem_id 0
		.amdhsa_next_free_vgpr 16
		.amdhsa_next_free_sgpr 26
		.amdhsa_reserve_vcc 1
		.amdhsa_reserve_flat_scratch 0
		.amdhsa_float_round_mode_32 0
		.amdhsa_float_round_mode_16_64 0
		.amdhsa_float_denorm_mode_32 3
		.amdhsa_float_denorm_mode_16_64 3
		.amdhsa_dx10_clamp 1
		.amdhsa_ieee_mode 1
		.amdhsa_fp16_overflow 0
		.amdhsa_exception_fp_ieee_invalid_op 0
		.amdhsa_exception_fp_denorm_src 0
		.amdhsa_exception_fp_ieee_div_zero 0
		.amdhsa_exception_fp_ieee_overflow 0
		.amdhsa_exception_fp_ieee_underflow 0
		.amdhsa_exception_fp_ieee_inexact 0
		.amdhsa_exception_int_div_zero 0
	.end_amdhsa_kernel
	.section	.text._ZN7rocprim17ROCPRIM_400000_NS6detail17trampoline_kernelINS0_14default_configENS1_29binary_search_config_selectorItiEEZNS1_14transform_implILb0ES3_S5_N6thrust23THRUST_200600_302600_NS6detail15normal_iteratorINS8_7pointerItNS8_11hip_rocprim5par_tENS8_11use_defaultESE_EEEENSA_INSB_IiSD_SE_SE_EEEEZNS1_13binary_searchIS3_S5_PtSG_SI_NS1_16binary_search_opENS9_16wrapped_functionINS8_6system6detail7generic6detail18binary_search_lessEbEEEE10hipError_tPvRmT1_T2_T3_mmT4_T5_P12ihipStream_tbEUlRKtE_EEST_SX_SY_mSZ_S12_bEUlT_E_NS1_11comp_targetILNS1_3genE2ELNS1_11target_archE906ELNS1_3gpuE6ELNS1_3repE0EEENS1_30default_config_static_selectorELNS0_4arch9wavefront6targetE1EEEvSW_,"axG",@progbits,_ZN7rocprim17ROCPRIM_400000_NS6detail17trampoline_kernelINS0_14default_configENS1_29binary_search_config_selectorItiEEZNS1_14transform_implILb0ES3_S5_N6thrust23THRUST_200600_302600_NS6detail15normal_iteratorINS8_7pointerItNS8_11hip_rocprim5par_tENS8_11use_defaultESE_EEEENSA_INSB_IiSD_SE_SE_EEEEZNS1_13binary_searchIS3_S5_PtSG_SI_NS1_16binary_search_opENS9_16wrapped_functionINS8_6system6detail7generic6detail18binary_search_lessEbEEEE10hipError_tPvRmT1_T2_T3_mmT4_T5_P12ihipStream_tbEUlRKtE_EEST_SX_SY_mSZ_S12_bEUlT_E_NS1_11comp_targetILNS1_3genE2ELNS1_11target_archE906ELNS1_3gpuE6ELNS1_3repE0EEENS1_30default_config_static_selectorELNS0_4arch9wavefront6targetE1EEEvSW_,comdat
.Lfunc_end287:
	.size	_ZN7rocprim17ROCPRIM_400000_NS6detail17trampoline_kernelINS0_14default_configENS1_29binary_search_config_selectorItiEEZNS1_14transform_implILb0ES3_S5_N6thrust23THRUST_200600_302600_NS6detail15normal_iteratorINS8_7pointerItNS8_11hip_rocprim5par_tENS8_11use_defaultESE_EEEENSA_INSB_IiSD_SE_SE_EEEEZNS1_13binary_searchIS3_S5_PtSG_SI_NS1_16binary_search_opENS9_16wrapped_functionINS8_6system6detail7generic6detail18binary_search_lessEbEEEE10hipError_tPvRmT1_T2_T3_mmT4_T5_P12ihipStream_tbEUlRKtE_EEST_SX_SY_mSZ_S12_bEUlT_E_NS1_11comp_targetILNS1_3genE2ELNS1_11target_archE906ELNS1_3gpuE6ELNS1_3repE0EEENS1_30default_config_static_selectorELNS0_4arch9wavefront6targetE1EEEvSW_, .Lfunc_end287-_ZN7rocprim17ROCPRIM_400000_NS6detail17trampoline_kernelINS0_14default_configENS1_29binary_search_config_selectorItiEEZNS1_14transform_implILb0ES3_S5_N6thrust23THRUST_200600_302600_NS6detail15normal_iteratorINS8_7pointerItNS8_11hip_rocprim5par_tENS8_11use_defaultESE_EEEENSA_INSB_IiSD_SE_SE_EEEEZNS1_13binary_searchIS3_S5_PtSG_SI_NS1_16binary_search_opENS9_16wrapped_functionINS8_6system6detail7generic6detail18binary_search_lessEbEEEE10hipError_tPvRmT1_T2_T3_mmT4_T5_P12ihipStream_tbEUlRKtE_EEST_SX_SY_mSZ_S12_bEUlT_E_NS1_11comp_targetILNS1_3genE2ELNS1_11target_archE906ELNS1_3gpuE6ELNS1_3repE0EEENS1_30default_config_static_selectorELNS0_4arch9wavefront6targetE1EEEvSW_
                                        ; -- End function
	.set _ZN7rocprim17ROCPRIM_400000_NS6detail17trampoline_kernelINS0_14default_configENS1_29binary_search_config_selectorItiEEZNS1_14transform_implILb0ES3_S5_N6thrust23THRUST_200600_302600_NS6detail15normal_iteratorINS8_7pointerItNS8_11hip_rocprim5par_tENS8_11use_defaultESE_EEEENSA_INSB_IiSD_SE_SE_EEEEZNS1_13binary_searchIS3_S5_PtSG_SI_NS1_16binary_search_opENS9_16wrapped_functionINS8_6system6detail7generic6detail18binary_search_lessEbEEEE10hipError_tPvRmT1_T2_T3_mmT4_T5_P12ihipStream_tbEUlRKtE_EEST_SX_SY_mSZ_S12_bEUlT_E_NS1_11comp_targetILNS1_3genE2ELNS1_11target_archE906ELNS1_3gpuE6ELNS1_3repE0EEENS1_30default_config_static_selectorELNS0_4arch9wavefront6targetE1EEEvSW_.num_vgpr, 16
	.set _ZN7rocprim17ROCPRIM_400000_NS6detail17trampoline_kernelINS0_14default_configENS1_29binary_search_config_selectorItiEEZNS1_14transform_implILb0ES3_S5_N6thrust23THRUST_200600_302600_NS6detail15normal_iteratorINS8_7pointerItNS8_11hip_rocprim5par_tENS8_11use_defaultESE_EEEENSA_INSB_IiSD_SE_SE_EEEEZNS1_13binary_searchIS3_S5_PtSG_SI_NS1_16binary_search_opENS9_16wrapped_functionINS8_6system6detail7generic6detail18binary_search_lessEbEEEE10hipError_tPvRmT1_T2_T3_mmT4_T5_P12ihipStream_tbEUlRKtE_EEST_SX_SY_mSZ_S12_bEUlT_E_NS1_11comp_targetILNS1_3genE2ELNS1_11target_archE906ELNS1_3gpuE6ELNS1_3repE0EEENS1_30default_config_static_selectorELNS0_4arch9wavefront6targetE1EEEvSW_.num_agpr, 0
	.set _ZN7rocprim17ROCPRIM_400000_NS6detail17trampoline_kernelINS0_14default_configENS1_29binary_search_config_selectorItiEEZNS1_14transform_implILb0ES3_S5_N6thrust23THRUST_200600_302600_NS6detail15normal_iteratorINS8_7pointerItNS8_11hip_rocprim5par_tENS8_11use_defaultESE_EEEENSA_INSB_IiSD_SE_SE_EEEEZNS1_13binary_searchIS3_S5_PtSG_SI_NS1_16binary_search_opENS9_16wrapped_functionINS8_6system6detail7generic6detail18binary_search_lessEbEEEE10hipError_tPvRmT1_T2_T3_mmT4_T5_P12ihipStream_tbEUlRKtE_EEST_SX_SY_mSZ_S12_bEUlT_E_NS1_11comp_targetILNS1_3genE2ELNS1_11target_archE906ELNS1_3gpuE6ELNS1_3repE0EEENS1_30default_config_static_selectorELNS0_4arch9wavefront6targetE1EEEvSW_.numbered_sgpr, 26
	.set _ZN7rocprim17ROCPRIM_400000_NS6detail17trampoline_kernelINS0_14default_configENS1_29binary_search_config_selectorItiEEZNS1_14transform_implILb0ES3_S5_N6thrust23THRUST_200600_302600_NS6detail15normal_iteratorINS8_7pointerItNS8_11hip_rocprim5par_tENS8_11use_defaultESE_EEEENSA_INSB_IiSD_SE_SE_EEEEZNS1_13binary_searchIS3_S5_PtSG_SI_NS1_16binary_search_opENS9_16wrapped_functionINS8_6system6detail7generic6detail18binary_search_lessEbEEEE10hipError_tPvRmT1_T2_T3_mmT4_T5_P12ihipStream_tbEUlRKtE_EEST_SX_SY_mSZ_S12_bEUlT_E_NS1_11comp_targetILNS1_3genE2ELNS1_11target_archE906ELNS1_3gpuE6ELNS1_3repE0EEENS1_30default_config_static_selectorELNS0_4arch9wavefront6targetE1EEEvSW_.num_named_barrier, 0
	.set _ZN7rocprim17ROCPRIM_400000_NS6detail17trampoline_kernelINS0_14default_configENS1_29binary_search_config_selectorItiEEZNS1_14transform_implILb0ES3_S5_N6thrust23THRUST_200600_302600_NS6detail15normal_iteratorINS8_7pointerItNS8_11hip_rocprim5par_tENS8_11use_defaultESE_EEEENSA_INSB_IiSD_SE_SE_EEEEZNS1_13binary_searchIS3_S5_PtSG_SI_NS1_16binary_search_opENS9_16wrapped_functionINS8_6system6detail7generic6detail18binary_search_lessEbEEEE10hipError_tPvRmT1_T2_T3_mmT4_T5_P12ihipStream_tbEUlRKtE_EEST_SX_SY_mSZ_S12_bEUlT_E_NS1_11comp_targetILNS1_3genE2ELNS1_11target_archE906ELNS1_3gpuE6ELNS1_3repE0EEENS1_30default_config_static_selectorELNS0_4arch9wavefront6targetE1EEEvSW_.private_seg_size, 0
	.set _ZN7rocprim17ROCPRIM_400000_NS6detail17trampoline_kernelINS0_14default_configENS1_29binary_search_config_selectorItiEEZNS1_14transform_implILb0ES3_S5_N6thrust23THRUST_200600_302600_NS6detail15normal_iteratorINS8_7pointerItNS8_11hip_rocprim5par_tENS8_11use_defaultESE_EEEENSA_INSB_IiSD_SE_SE_EEEEZNS1_13binary_searchIS3_S5_PtSG_SI_NS1_16binary_search_opENS9_16wrapped_functionINS8_6system6detail7generic6detail18binary_search_lessEbEEEE10hipError_tPvRmT1_T2_T3_mmT4_T5_P12ihipStream_tbEUlRKtE_EEST_SX_SY_mSZ_S12_bEUlT_E_NS1_11comp_targetILNS1_3genE2ELNS1_11target_archE906ELNS1_3gpuE6ELNS1_3repE0EEENS1_30default_config_static_selectorELNS0_4arch9wavefront6targetE1EEEvSW_.uses_vcc, 1
	.set _ZN7rocprim17ROCPRIM_400000_NS6detail17trampoline_kernelINS0_14default_configENS1_29binary_search_config_selectorItiEEZNS1_14transform_implILb0ES3_S5_N6thrust23THRUST_200600_302600_NS6detail15normal_iteratorINS8_7pointerItNS8_11hip_rocprim5par_tENS8_11use_defaultESE_EEEENSA_INSB_IiSD_SE_SE_EEEEZNS1_13binary_searchIS3_S5_PtSG_SI_NS1_16binary_search_opENS9_16wrapped_functionINS8_6system6detail7generic6detail18binary_search_lessEbEEEE10hipError_tPvRmT1_T2_T3_mmT4_T5_P12ihipStream_tbEUlRKtE_EEST_SX_SY_mSZ_S12_bEUlT_E_NS1_11comp_targetILNS1_3genE2ELNS1_11target_archE906ELNS1_3gpuE6ELNS1_3repE0EEENS1_30default_config_static_selectorELNS0_4arch9wavefront6targetE1EEEvSW_.uses_flat_scratch, 0
	.set _ZN7rocprim17ROCPRIM_400000_NS6detail17trampoline_kernelINS0_14default_configENS1_29binary_search_config_selectorItiEEZNS1_14transform_implILb0ES3_S5_N6thrust23THRUST_200600_302600_NS6detail15normal_iteratorINS8_7pointerItNS8_11hip_rocprim5par_tENS8_11use_defaultESE_EEEENSA_INSB_IiSD_SE_SE_EEEEZNS1_13binary_searchIS3_S5_PtSG_SI_NS1_16binary_search_opENS9_16wrapped_functionINS8_6system6detail7generic6detail18binary_search_lessEbEEEE10hipError_tPvRmT1_T2_T3_mmT4_T5_P12ihipStream_tbEUlRKtE_EEST_SX_SY_mSZ_S12_bEUlT_E_NS1_11comp_targetILNS1_3genE2ELNS1_11target_archE906ELNS1_3gpuE6ELNS1_3repE0EEENS1_30default_config_static_selectorELNS0_4arch9wavefront6targetE1EEEvSW_.has_dyn_sized_stack, 0
	.set _ZN7rocprim17ROCPRIM_400000_NS6detail17trampoline_kernelINS0_14default_configENS1_29binary_search_config_selectorItiEEZNS1_14transform_implILb0ES3_S5_N6thrust23THRUST_200600_302600_NS6detail15normal_iteratorINS8_7pointerItNS8_11hip_rocprim5par_tENS8_11use_defaultESE_EEEENSA_INSB_IiSD_SE_SE_EEEEZNS1_13binary_searchIS3_S5_PtSG_SI_NS1_16binary_search_opENS9_16wrapped_functionINS8_6system6detail7generic6detail18binary_search_lessEbEEEE10hipError_tPvRmT1_T2_T3_mmT4_T5_P12ihipStream_tbEUlRKtE_EEST_SX_SY_mSZ_S12_bEUlT_E_NS1_11comp_targetILNS1_3genE2ELNS1_11target_archE906ELNS1_3gpuE6ELNS1_3repE0EEENS1_30default_config_static_selectorELNS0_4arch9wavefront6targetE1EEEvSW_.has_recursion, 0
	.set _ZN7rocprim17ROCPRIM_400000_NS6detail17trampoline_kernelINS0_14default_configENS1_29binary_search_config_selectorItiEEZNS1_14transform_implILb0ES3_S5_N6thrust23THRUST_200600_302600_NS6detail15normal_iteratorINS8_7pointerItNS8_11hip_rocprim5par_tENS8_11use_defaultESE_EEEENSA_INSB_IiSD_SE_SE_EEEEZNS1_13binary_searchIS3_S5_PtSG_SI_NS1_16binary_search_opENS9_16wrapped_functionINS8_6system6detail7generic6detail18binary_search_lessEbEEEE10hipError_tPvRmT1_T2_T3_mmT4_T5_P12ihipStream_tbEUlRKtE_EEST_SX_SY_mSZ_S12_bEUlT_E_NS1_11comp_targetILNS1_3genE2ELNS1_11target_archE906ELNS1_3gpuE6ELNS1_3repE0EEENS1_30default_config_static_selectorELNS0_4arch9wavefront6targetE1EEEvSW_.has_indirect_call, 0
	.section	.AMDGPU.csdata,"",@progbits
; Kernel info:
; codeLenInByte = 2700
; TotalNumSgprs: 30
; NumVgprs: 16
; ScratchSize: 0
; MemoryBound: 0
; FloatMode: 240
; IeeeMode: 1
; LDSByteSize: 0 bytes/workgroup (compile time only)
; SGPRBlocks: 3
; VGPRBlocks: 3
; NumSGPRsForWavesPerEU: 30
; NumVGPRsForWavesPerEU: 16
; Occupancy: 10
; WaveLimiterHint : 1
; COMPUTE_PGM_RSRC2:SCRATCH_EN: 0
; COMPUTE_PGM_RSRC2:USER_SGPR: 6
; COMPUTE_PGM_RSRC2:TRAP_HANDLER: 0
; COMPUTE_PGM_RSRC2:TGID_X_EN: 1
; COMPUTE_PGM_RSRC2:TGID_Y_EN: 0
; COMPUTE_PGM_RSRC2:TGID_Z_EN: 0
; COMPUTE_PGM_RSRC2:TIDIG_COMP_CNT: 0
	.section	.text._ZN7rocprim17ROCPRIM_400000_NS6detail17trampoline_kernelINS0_14default_configENS1_29binary_search_config_selectorItiEEZNS1_14transform_implILb0ES3_S5_N6thrust23THRUST_200600_302600_NS6detail15normal_iteratorINS8_7pointerItNS8_11hip_rocprim5par_tENS8_11use_defaultESE_EEEENSA_INSB_IiSD_SE_SE_EEEEZNS1_13binary_searchIS3_S5_PtSG_SI_NS1_16binary_search_opENS9_16wrapped_functionINS8_6system6detail7generic6detail18binary_search_lessEbEEEE10hipError_tPvRmT1_T2_T3_mmT4_T5_P12ihipStream_tbEUlRKtE_EEST_SX_SY_mSZ_S12_bEUlT_E_NS1_11comp_targetILNS1_3genE10ELNS1_11target_archE1201ELNS1_3gpuE5ELNS1_3repE0EEENS1_30default_config_static_selectorELNS0_4arch9wavefront6targetE1EEEvSW_,"axG",@progbits,_ZN7rocprim17ROCPRIM_400000_NS6detail17trampoline_kernelINS0_14default_configENS1_29binary_search_config_selectorItiEEZNS1_14transform_implILb0ES3_S5_N6thrust23THRUST_200600_302600_NS6detail15normal_iteratorINS8_7pointerItNS8_11hip_rocprim5par_tENS8_11use_defaultESE_EEEENSA_INSB_IiSD_SE_SE_EEEEZNS1_13binary_searchIS3_S5_PtSG_SI_NS1_16binary_search_opENS9_16wrapped_functionINS8_6system6detail7generic6detail18binary_search_lessEbEEEE10hipError_tPvRmT1_T2_T3_mmT4_T5_P12ihipStream_tbEUlRKtE_EEST_SX_SY_mSZ_S12_bEUlT_E_NS1_11comp_targetILNS1_3genE10ELNS1_11target_archE1201ELNS1_3gpuE5ELNS1_3repE0EEENS1_30default_config_static_selectorELNS0_4arch9wavefront6targetE1EEEvSW_,comdat
	.protected	_ZN7rocprim17ROCPRIM_400000_NS6detail17trampoline_kernelINS0_14default_configENS1_29binary_search_config_selectorItiEEZNS1_14transform_implILb0ES3_S5_N6thrust23THRUST_200600_302600_NS6detail15normal_iteratorINS8_7pointerItNS8_11hip_rocprim5par_tENS8_11use_defaultESE_EEEENSA_INSB_IiSD_SE_SE_EEEEZNS1_13binary_searchIS3_S5_PtSG_SI_NS1_16binary_search_opENS9_16wrapped_functionINS8_6system6detail7generic6detail18binary_search_lessEbEEEE10hipError_tPvRmT1_T2_T3_mmT4_T5_P12ihipStream_tbEUlRKtE_EEST_SX_SY_mSZ_S12_bEUlT_E_NS1_11comp_targetILNS1_3genE10ELNS1_11target_archE1201ELNS1_3gpuE5ELNS1_3repE0EEENS1_30default_config_static_selectorELNS0_4arch9wavefront6targetE1EEEvSW_ ; -- Begin function _ZN7rocprim17ROCPRIM_400000_NS6detail17trampoline_kernelINS0_14default_configENS1_29binary_search_config_selectorItiEEZNS1_14transform_implILb0ES3_S5_N6thrust23THRUST_200600_302600_NS6detail15normal_iteratorINS8_7pointerItNS8_11hip_rocprim5par_tENS8_11use_defaultESE_EEEENSA_INSB_IiSD_SE_SE_EEEEZNS1_13binary_searchIS3_S5_PtSG_SI_NS1_16binary_search_opENS9_16wrapped_functionINS8_6system6detail7generic6detail18binary_search_lessEbEEEE10hipError_tPvRmT1_T2_T3_mmT4_T5_P12ihipStream_tbEUlRKtE_EEST_SX_SY_mSZ_S12_bEUlT_E_NS1_11comp_targetILNS1_3genE10ELNS1_11target_archE1201ELNS1_3gpuE5ELNS1_3repE0EEENS1_30default_config_static_selectorELNS0_4arch9wavefront6targetE1EEEvSW_
	.globl	_ZN7rocprim17ROCPRIM_400000_NS6detail17trampoline_kernelINS0_14default_configENS1_29binary_search_config_selectorItiEEZNS1_14transform_implILb0ES3_S5_N6thrust23THRUST_200600_302600_NS6detail15normal_iteratorINS8_7pointerItNS8_11hip_rocprim5par_tENS8_11use_defaultESE_EEEENSA_INSB_IiSD_SE_SE_EEEEZNS1_13binary_searchIS3_S5_PtSG_SI_NS1_16binary_search_opENS9_16wrapped_functionINS8_6system6detail7generic6detail18binary_search_lessEbEEEE10hipError_tPvRmT1_T2_T3_mmT4_T5_P12ihipStream_tbEUlRKtE_EEST_SX_SY_mSZ_S12_bEUlT_E_NS1_11comp_targetILNS1_3genE10ELNS1_11target_archE1201ELNS1_3gpuE5ELNS1_3repE0EEENS1_30default_config_static_selectorELNS0_4arch9wavefront6targetE1EEEvSW_
	.p2align	8
	.type	_ZN7rocprim17ROCPRIM_400000_NS6detail17trampoline_kernelINS0_14default_configENS1_29binary_search_config_selectorItiEEZNS1_14transform_implILb0ES3_S5_N6thrust23THRUST_200600_302600_NS6detail15normal_iteratorINS8_7pointerItNS8_11hip_rocprim5par_tENS8_11use_defaultESE_EEEENSA_INSB_IiSD_SE_SE_EEEEZNS1_13binary_searchIS3_S5_PtSG_SI_NS1_16binary_search_opENS9_16wrapped_functionINS8_6system6detail7generic6detail18binary_search_lessEbEEEE10hipError_tPvRmT1_T2_T3_mmT4_T5_P12ihipStream_tbEUlRKtE_EEST_SX_SY_mSZ_S12_bEUlT_E_NS1_11comp_targetILNS1_3genE10ELNS1_11target_archE1201ELNS1_3gpuE5ELNS1_3repE0EEENS1_30default_config_static_selectorELNS0_4arch9wavefront6targetE1EEEvSW_,@function
_ZN7rocprim17ROCPRIM_400000_NS6detail17trampoline_kernelINS0_14default_configENS1_29binary_search_config_selectorItiEEZNS1_14transform_implILb0ES3_S5_N6thrust23THRUST_200600_302600_NS6detail15normal_iteratorINS8_7pointerItNS8_11hip_rocprim5par_tENS8_11use_defaultESE_EEEENSA_INSB_IiSD_SE_SE_EEEEZNS1_13binary_searchIS3_S5_PtSG_SI_NS1_16binary_search_opENS9_16wrapped_functionINS8_6system6detail7generic6detail18binary_search_lessEbEEEE10hipError_tPvRmT1_T2_T3_mmT4_T5_P12ihipStream_tbEUlRKtE_EEST_SX_SY_mSZ_S12_bEUlT_E_NS1_11comp_targetILNS1_3genE10ELNS1_11target_archE1201ELNS1_3gpuE5ELNS1_3repE0EEENS1_30default_config_static_selectorELNS0_4arch9wavefront6targetE1EEEvSW_: ; @_ZN7rocprim17ROCPRIM_400000_NS6detail17trampoline_kernelINS0_14default_configENS1_29binary_search_config_selectorItiEEZNS1_14transform_implILb0ES3_S5_N6thrust23THRUST_200600_302600_NS6detail15normal_iteratorINS8_7pointerItNS8_11hip_rocprim5par_tENS8_11use_defaultESE_EEEENSA_INSB_IiSD_SE_SE_EEEEZNS1_13binary_searchIS3_S5_PtSG_SI_NS1_16binary_search_opENS9_16wrapped_functionINS8_6system6detail7generic6detail18binary_search_lessEbEEEE10hipError_tPvRmT1_T2_T3_mmT4_T5_P12ihipStream_tbEUlRKtE_EEST_SX_SY_mSZ_S12_bEUlT_E_NS1_11comp_targetILNS1_3genE10ELNS1_11target_archE1201ELNS1_3gpuE5ELNS1_3repE0EEENS1_30default_config_static_selectorELNS0_4arch9wavefront6targetE1EEEvSW_
; %bb.0:
	.section	.rodata,"a",@progbits
	.p2align	6, 0x0
	.amdhsa_kernel _ZN7rocprim17ROCPRIM_400000_NS6detail17trampoline_kernelINS0_14default_configENS1_29binary_search_config_selectorItiEEZNS1_14transform_implILb0ES3_S5_N6thrust23THRUST_200600_302600_NS6detail15normal_iteratorINS8_7pointerItNS8_11hip_rocprim5par_tENS8_11use_defaultESE_EEEENSA_INSB_IiSD_SE_SE_EEEEZNS1_13binary_searchIS3_S5_PtSG_SI_NS1_16binary_search_opENS9_16wrapped_functionINS8_6system6detail7generic6detail18binary_search_lessEbEEEE10hipError_tPvRmT1_T2_T3_mmT4_T5_P12ihipStream_tbEUlRKtE_EEST_SX_SY_mSZ_S12_bEUlT_E_NS1_11comp_targetILNS1_3genE10ELNS1_11target_archE1201ELNS1_3gpuE5ELNS1_3repE0EEENS1_30default_config_static_selectorELNS0_4arch9wavefront6targetE1EEEvSW_
		.amdhsa_group_segment_fixed_size 0
		.amdhsa_private_segment_fixed_size 0
		.amdhsa_kernarg_size 56
		.amdhsa_user_sgpr_count 6
		.amdhsa_user_sgpr_private_segment_buffer 1
		.amdhsa_user_sgpr_dispatch_ptr 0
		.amdhsa_user_sgpr_queue_ptr 0
		.amdhsa_user_sgpr_kernarg_segment_ptr 1
		.amdhsa_user_sgpr_dispatch_id 0
		.amdhsa_user_sgpr_flat_scratch_init 0
		.amdhsa_user_sgpr_private_segment_size 0
		.amdhsa_uses_dynamic_stack 0
		.amdhsa_system_sgpr_private_segment_wavefront_offset 0
		.amdhsa_system_sgpr_workgroup_id_x 1
		.amdhsa_system_sgpr_workgroup_id_y 0
		.amdhsa_system_sgpr_workgroup_id_z 0
		.amdhsa_system_sgpr_workgroup_info 0
		.amdhsa_system_vgpr_workitem_id 0
		.amdhsa_next_free_vgpr 1
		.amdhsa_next_free_sgpr 0
		.amdhsa_reserve_vcc 0
		.amdhsa_reserve_flat_scratch 0
		.amdhsa_float_round_mode_32 0
		.amdhsa_float_round_mode_16_64 0
		.amdhsa_float_denorm_mode_32 3
		.amdhsa_float_denorm_mode_16_64 3
		.amdhsa_dx10_clamp 1
		.amdhsa_ieee_mode 1
		.amdhsa_fp16_overflow 0
		.amdhsa_exception_fp_ieee_invalid_op 0
		.amdhsa_exception_fp_denorm_src 0
		.amdhsa_exception_fp_ieee_div_zero 0
		.amdhsa_exception_fp_ieee_overflow 0
		.amdhsa_exception_fp_ieee_underflow 0
		.amdhsa_exception_fp_ieee_inexact 0
		.amdhsa_exception_int_div_zero 0
	.end_amdhsa_kernel
	.section	.text._ZN7rocprim17ROCPRIM_400000_NS6detail17trampoline_kernelINS0_14default_configENS1_29binary_search_config_selectorItiEEZNS1_14transform_implILb0ES3_S5_N6thrust23THRUST_200600_302600_NS6detail15normal_iteratorINS8_7pointerItNS8_11hip_rocprim5par_tENS8_11use_defaultESE_EEEENSA_INSB_IiSD_SE_SE_EEEEZNS1_13binary_searchIS3_S5_PtSG_SI_NS1_16binary_search_opENS9_16wrapped_functionINS8_6system6detail7generic6detail18binary_search_lessEbEEEE10hipError_tPvRmT1_T2_T3_mmT4_T5_P12ihipStream_tbEUlRKtE_EEST_SX_SY_mSZ_S12_bEUlT_E_NS1_11comp_targetILNS1_3genE10ELNS1_11target_archE1201ELNS1_3gpuE5ELNS1_3repE0EEENS1_30default_config_static_selectorELNS0_4arch9wavefront6targetE1EEEvSW_,"axG",@progbits,_ZN7rocprim17ROCPRIM_400000_NS6detail17trampoline_kernelINS0_14default_configENS1_29binary_search_config_selectorItiEEZNS1_14transform_implILb0ES3_S5_N6thrust23THRUST_200600_302600_NS6detail15normal_iteratorINS8_7pointerItNS8_11hip_rocprim5par_tENS8_11use_defaultESE_EEEENSA_INSB_IiSD_SE_SE_EEEEZNS1_13binary_searchIS3_S5_PtSG_SI_NS1_16binary_search_opENS9_16wrapped_functionINS8_6system6detail7generic6detail18binary_search_lessEbEEEE10hipError_tPvRmT1_T2_T3_mmT4_T5_P12ihipStream_tbEUlRKtE_EEST_SX_SY_mSZ_S12_bEUlT_E_NS1_11comp_targetILNS1_3genE10ELNS1_11target_archE1201ELNS1_3gpuE5ELNS1_3repE0EEENS1_30default_config_static_selectorELNS0_4arch9wavefront6targetE1EEEvSW_,comdat
.Lfunc_end288:
	.size	_ZN7rocprim17ROCPRIM_400000_NS6detail17trampoline_kernelINS0_14default_configENS1_29binary_search_config_selectorItiEEZNS1_14transform_implILb0ES3_S5_N6thrust23THRUST_200600_302600_NS6detail15normal_iteratorINS8_7pointerItNS8_11hip_rocprim5par_tENS8_11use_defaultESE_EEEENSA_INSB_IiSD_SE_SE_EEEEZNS1_13binary_searchIS3_S5_PtSG_SI_NS1_16binary_search_opENS9_16wrapped_functionINS8_6system6detail7generic6detail18binary_search_lessEbEEEE10hipError_tPvRmT1_T2_T3_mmT4_T5_P12ihipStream_tbEUlRKtE_EEST_SX_SY_mSZ_S12_bEUlT_E_NS1_11comp_targetILNS1_3genE10ELNS1_11target_archE1201ELNS1_3gpuE5ELNS1_3repE0EEENS1_30default_config_static_selectorELNS0_4arch9wavefront6targetE1EEEvSW_, .Lfunc_end288-_ZN7rocprim17ROCPRIM_400000_NS6detail17trampoline_kernelINS0_14default_configENS1_29binary_search_config_selectorItiEEZNS1_14transform_implILb0ES3_S5_N6thrust23THRUST_200600_302600_NS6detail15normal_iteratorINS8_7pointerItNS8_11hip_rocprim5par_tENS8_11use_defaultESE_EEEENSA_INSB_IiSD_SE_SE_EEEEZNS1_13binary_searchIS3_S5_PtSG_SI_NS1_16binary_search_opENS9_16wrapped_functionINS8_6system6detail7generic6detail18binary_search_lessEbEEEE10hipError_tPvRmT1_T2_T3_mmT4_T5_P12ihipStream_tbEUlRKtE_EEST_SX_SY_mSZ_S12_bEUlT_E_NS1_11comp_targetILNS1_3genE10ELNS1_11target_archE1201ELNS1_3gpuE5ELNS1_3repE0EEENS1_30default_config_static_selectorELNS0_4arch9wavefront6targetE1EEEvSW_
                                        ; -- End function
	.set _ZN7rocprim17ROCPRIM_400000_NS6detail17trampoline_kernelINS0_14default_configENS1_29binary_search_config_selectorItiEEZNS1_14transform_implILb0ES3_S5_N6thrust23THRUST_200600_302600_NS6detail15normal_iteratorINS8_7pointerItNS8_11hip_rocprim5par_tENS8_11use_defaultESE_EEEENSA_INSB_IiSD_SE_SE_EEEEZNS1_13binary_searchIS3_S5_PtSG_SI_NS1_16binary_search_opENS9_16wrapped_functionINS8_6system6detail7generic6detail18binary_search_lessEbEEEE10hipError_tPvRmT1_T2_T3_mmT4_T5_P12ihipStream_tbEUlRKtE_EEST_SX_SY_mSZ_S12_bEUlT_E_NS1_11comp_targetILNS1_3genE10ELNS1_11target_archE1201ELNS1_3gpuE5ELNS1_3repE0EEENS1_30default_config_static_selectorELNS0_4arch9wavefront6targetE1EEEvSW_.num_vgpr, 0
	.set _ZN7rocprim17ROCPRIM_400000_NS6detail17trampoline_kernelINS0_14default_configENS1_29binary_search_config_selectorItiEEZNS1_14transform_implILb0ES3_S5_N6thrust23THRUST_200600_302600_NS6detail15normal_iteratorINS8_7pointerItNS8_11hip_rocprim5par_tENS8_11use_defaultESE_EEEENSA_INSB_IiSD_SE_SE_EEEEZNS1_13binary_searchIS3_S5_PtSG_SI_NS1_16binary_search_opENS9_16wrapped_functionINS8_6system6detail7generic6detail18binary_search_lessEbEEEE10hipError_tPvRmT1_T2_T3_mmT4_T5_P12ihipStream_tbEUlRKtE_EEST_SX_SY_mSZ_S12_bEUlT_E_NS1_11comp_targetILNS1_3genE10ELNS1_11target_archE1201ELNS1_3gpuE5ELNS1_3repE0EEENS1_30default_config_static_selectorELNS0_4arch9wavefront6targetE1EEEvSW_.num_agpr, 0
	.set _ZN7rocprim17ROCPRIM_400000_NS6detail17trampoline_kernelINS0_14default_configENS1_29binary_search_config_selectorItiEEZNS1_14transform_implILb0ES3_S5_N6thrust23THRUST_200600_302600_NS6detail15normal_iteratorINS8_7pointerItNS8_11hip_rocprim5par_tENS8_11use_defaultESE_EEEENSA_INSB_IiSD_SE_SE_EEEEZNS1_13binary_searchIS3_S5_PtSG_SI_NS1_16binary_search_opENS9_16wrapped_functionINS8_6system6detail7generic6detail18binary_search_lessEbEEEE10hipError_tPvRmT1_T2_T3_mmT4_T5_P12ihipStream_tbEUlRKtE_EEST_SX_SY_mSZ_S12_bEUlT_E_NS1_11comp_targetILNS1_3genE10ELNS1_11target_archE1201ELNS1_3gpuE5ELNS1_3repE0EEENS1_30default_config_static_selectorELNS0_4arch9wavefront6targetE1EEEvSW_.numbered_sgpr, 0
	.set _ZN7rocprim17ROCPRIM_400000_NS6detail17trampoline_kernelINS0_14default_configENS1_29binary_search_config_selectorItiEEZNS1_14transform_implILb0ES3_S5_N6thrust23THRUST_200600_302600_NS6detail15normal_iteratorINS8_7pointerItNS8_11hip_rocprim5par_tENS8_11use_defaultESE_EEEENSA_INSB_IiSD_SE_SE_EEEEZNS1_13binary_searchIS3_S5_PtSG_SI_NS1_16binary_search_opENS9_16wrapped_functionINS8_6system6detail7generic6detail18binary_search_lessEbEEEE10hipError_tPvRmT1_T2_T3_mmT4_T5_P12ihipStream_tbEUlRKtE_EEST_SX_SY_mSZ_S12_bEUlT_E_NS1_11comp_targetILNS1_3genE10ELNS1_11target_archE1201ELNS1_3gpuE5ELNS1_3repE0EEENS1_30default_config_static_selectorELNS0_4arch9wavefront6targetE1EEEvSW_.num_named_barrier, 0
	.set _ZN7rocprim17ROCPRIM_400000_NS6detail17trampoline_kernelINS0_14default_configENS1_29binary_search_config_selectorItiEEZNS1_14transform_implILb0ES3_S5_N6thrust23THRUST_200600_302600_NS6detail15normal_iteratorINS8_7pointerItNS8_11hip_rocprim5par_tENS8_11use_defaultESE_EEEENSA_INSB_IiSD_SE_SE_EEEEZNS1_13binary_searchIS3_S5_PtSG_SI_NS1_16binary_search_opENS9_16wrapped_functionINS8_6system6detail7generic6detail18binary_search_lessEbEEEE10hipError_tPvRmT1_T2_T3_mmT4_T5_P12ihipStream_tbEUlRKtE_EEST_SX_SY_mSZ_S12_bEUlT_E_NS1_11comp_targetILNS1_3genE10ELNS1_11target_archE1201ELNS1_3gpuE5ELNS1_3repE0EEENS1_30default_config_static_selectorELNS0_4arch9wavefront6targetE1EEEvSW_.private_seg_size, 0
	.set _ZN7rocprim17ROCPRIM_400000_NS6detail17trampoline_kernelINS0_14default_configENS1_29binary_search_config_selectorItiEEZNS1_14transform_implILb0ES3_S5_N6thrust23THRUST_200600_302600_NS6detail15normal_iteratorINS8_7pointerItNS8_11hip_rocprim5par_tENS8_11use_defaultESE_EEEENSA_INSB_IiSD_SE_SE_EEEEZNS1_13binary_searchIS3_S5_PtSG_SI_NS1_16binary_search_opENS9_16wrapped_functionINS8_6system6detail7generic6detail18binary_search_lessEbEEEE10hipError_tPvRmT1_T2_T3_mmT4_T5_P12ihipStream_tbEUlRKtE_EEST_SX_SY_mSZ_S12_bEUlT_E_NS1_11comp_targetILNS1_3genE10ELNS1_11target_archE1201ELNS1_3gpuE5ELNS1_3repE0EEENS1_30default_config_static_selectorELNS0_4arch9wavefront6targetE1EEEvSW_.uses_vcc, 0
	.set _ZN7rocprim17ROCPRIM_400000_NS6detail17trampoline_kernelINS0_14default_configENS1_29binary_search_config_selectorItiEEZNS1_14transform_implILb0ES3_S5_N6thrust23THRUST_200600_302600_NS6detail15normal_iteratorINS8_7pointerItNS8_11hip_rocprim5par_tENS8_11use_defaultESE_EEEENSA_INSB_IiSD_SE_SE_EEEEZNS1_13binary_searchIS3_S5_PtSG_SI_NS1_16binary_search_opENS9_16wrapped_functionINS8_6system6detail7generic6detail18binary_search_lessEbEEEE10hipError_tPvRmT1_T2_T3_mmT4_T5_P12ihipStream_tbEUlRKtE_EEST_SX_SY_mSZ_S12_bEUlT_E_NS1_11comp_targetILNS1_3genE10ELNS1_11target_archE1201ELNS1_3gpuE5ELNS1_3repE0EEENS1_30default_config_static_selectorELNS0_4arch9wavefront6targetE1EEEvSW_.uses_flat_scratch, 0
	.set _ZN7rocprim17ROCPRIM_400000_NS6detail17trampoline_kernelINS0_14default_configENS1_29binary_search_config_selectorItiEEZNS1_14transform_implILb0ES3_S5_N6thrust23THRUST_200600_302600_NS6detail15normal_iteratorINS8_7pointerItNS8_11hip_rocprim5par_tENS8_11use_defaultESE_EEEENSA_INSB_IiSD_SE_SE_EEEEZNS1_13binary_searchIS3_S5_PtSG_SI_NS1_16binary_search_opENS9_16wrapped_functionINS8_6system6detail7generic6detail18binary_search_lessEbEEEE10hipError_tPvRmT1_T2_T3_mmT4_T5_P12ihipStream_tbEUlRKtE_EEST_SX_SY_mSZ_S12_bEUlT_E_NS1_11comp_targetILNS1_3genE10ELNS1_11target_archE1201ELNS1_3gpuE5ELNS1_3repE0EEENS1_30default_config_static_selectorELNS0_4arch9wavefront6targetE1EEEvSW_.has_dyn_sized_stack, 0
	.set _ZN7rocprim17ROCPRIM_400000_NS6detail17trampoline_kernelINS0_14default_configENS1_29binary_search_config_selectorItiEEZNS1_14transform_implILb0ES3_S5_N6thrust23THRUST_200600_302600_NS6detail15normal_iteratorINS8_7pointerItNS8_11hip_rocprim5par_tENS8_11use_defaultESE_EEEENSA_INSB_IiSD_SE_SE_EEEEZNS1_13binary_searchIS3_S5_PtSG_SI_NS1_16binary_search_opENS9_16wrapped_functionINS8_6system6detail7generic6detail18binary_search_lessEbEEEE10hipError_tPvRmT1_T2_T3_mmT4_T5_P12ihipStream_tbEUlRKtE_EEST_SX_SY_mSZ_S12_bEUlT_E_NS1_11comp_targetILNS1_3genE10ELNS1_11target_archE1201ELNS1_3gpuE5ELNS1_3repE0EEENS1_30default_config_static_selectorELNS0_4arch9wavefront6targetE1EEEvSW_.has_recursion, 0
	.set _ZN7rocprim17ROCPRIM_400000_NS6detail17trampoline_kernelINS0_14default_configENS1_29binary_search_config_selectorItiEEZNS1_14transform_implILb0ES3_S5_N6thrust23THRUST_200600_302600_NS6detail15normal_iteratorINS8_7pointerItNS8_11hip_rocprim5par_tENS8_11use_defaultESE_EEEENSA_INSB_IiSD_SE_SE_EEEEZNS1_13binary_searchIS3_S5_PtSG_SI_NS1_16binary_search_opENS9_16wrapped_functionINS8_6system6detail7generic6detail18binary_search_lessEbEEEE10hipError_tPvRmT1_T2_T3_mmT4_T5_P12ihipStream_tbEUlRKtE_EEST_SX_SY_mSZ_S12_bEUlT_E_NS1_11comp_targetILNS1_3genE10ELNS1_11target_archE1201ELNS1_3gpuE5ELNS1_3repE0EEENS1_30default_config_static_selectorELNS0_4arch9wavefront6targetE1EEEvSW_.has_indirect_call, 0
	.section	.AMDGPU.csdata,"",@progbits
; Kernel info:
; codeLenInByte = 0
; TotalNumSgprs: 4
; NumVgprs: 0
; ScratchSize: 0
; MemoryBound: 0
; FloatMode: 240
; IeeeMode: 1
; LDSByteSize: 0 bytes/workgroup (compile time only)
; SGPRBlocks: 0
; VGPRBlocks: 0
; NumSGPRsForWavesPerEU: 4
; NumVGPRsForWavesPerEU: 1
; Occupancy: 10
; WaveLimiterHint : 0
; COMPUTE_PGM_RSRC2:SCRATCH_EN: 0
; COMPUTE_PGM_RSRC2:USER_SGPR: 6
; COMPUTE_PGM_RSRC2:TRAP_HANDLER: 0
; COMPUTE_PGM_RSRC2:TGID_X_EN: 1
; COMPUTE_PGM_RSRC2:TGID_Y_EN: 0
; COMPUTE_PGM_RSRC2:TGID_Z_EN: 0
; COMPUTE_PGM_RSRC2:TIDIG_COMP_CNT: 0
	.section	.text._ZN7rocprim17ROCPRIM_400000_NS6detail17trampoline_kernelINS0_14default_configENS1_29binary_search_config_selectorItiEEZNS1_14transform_implILb0ES3_S5_N6thrust23THRUST_200600_302600_NS6detail15normal_iteratorINS8_7pointerItNS8_11hip_rocprim5par_tENS8_11use_defaultESE_EEEENSA_INSB_IiSD_SE_SE_EEEEZNS1_13binary_searchIS3_S5_PtSG_SI_NS1_16binary_search_opENS9_16wrapped_functionINS8_6system6detail7generic6detail18binary_search_lessEbEEEE10hipError_tPvRmT1_T2_T3_mmT4_T5_P12ihipStream_tbEUlRKtE_EEST_SX_SY_mSZ_S12_bEUlT_E_NS1_11comp_targetILNS1_3genE10ELNS1_11target_archE1200ELNS1_3gpuE4ELNS1_3repE0EEENS1_30default_config_static_selectorELNS0_4arch9wavefront6targetE1EEEvSW_,"axG",@progbits,_ZN7rocprim17ROCPRIM_400000_NS6detail17trampoline_kernelINS0_14default_configENS1_29binary_search_config_selectorItiEEZNS1_14transform_implILb0ES3_S5_N6thrust23THRUST_200600_302600_NS6detail15normal_iteratorINS8_7pointerItNS8_11hip_rocprim5par_tENS8_11use_defaultESE_EEEENSA_INSB_IiSD_SE_SE_EEEEZNS1_13binary_searchIS3_S5_PtSG_SI_NS1_16binary_search_opENS9_16wrapped_functionINS8_6system6detail7generic6detail18binary_search_lessEbEEEE10hipError_tPvRmT1_T2_T3_mmT4_T5_P12ihipStream_tbEUlRKtE_EEST_SX_SY_mSZ_S12_bEUlT_E_NS1_11comp_targetILNS1_3genE10ELNS1_11target_archE1200ELNS1_3gpuE4ELNS1_3repE0EEENS1_30default_config_static_selectorELNS0_4arch9wavefront6targetE1EEEvSW_,comdat
	.protected	_ZN7rocprim17ROCPRIM_400000_NS6detail17trampoline_kernelINS0_14default_configENS1_29binary_search_config_selectorItiEEZNS1_14transform_implILb0ES3_S5_N6thrust23THRUST_200600_302600_NS6detail15normal_iteratorINS8_7pointerItNS8_11hip_rocprim5par_tENS8_11use_defaultESE_EEEENSA_INSB_IiSD_SE_SE_EEEEZNS1_13binary_searchIS3_S5_PtSG_SI_NS1_16binary_search_opENS9_16wrapped_functionINS8_6system6detail7generic6detail18binary_search_lessEbEEEE10hipError_tPvRmT1_T2_T3_mmT4_T5_P12ihipStream_tbEUlRKtE_EEST_SX_SY_mSZ_S12_bEUlT_E_NS1_11comp_targetILNS1_3genE10ELNS1_11target_archE1200ELNS1_3gpuE4ELNS1_3repE0EEENS1_30default_config_static_selectorELNS0_4arch9wavefront6targetE1EEEvSW_ ; -- Begin function _ZN7rocprim17ROCPRIM_400000_NS6detail17trampoline_kernelINS0_14default_configENS1_29binary_search_config_selectorItiEEZNS1_14transform_implILb0ES3_S5_N6thrust23THRUST_200600_302600_NS6detail15normal_iteratorINS8_7pointerItNS8_11hip_rocprim5par_tENS8_11use_defaultESE_EEEENSA_INSB_IiSD_SE_SE_EEEEZNS1_13binary_searchIS3_S5_PtSG_SI_NS1_16binary_search_opENS9_16wrapped_functionINS8_6system6detail7generic6detail18binary_search_lessEbEEEE10hipError_tPvRmT1_T2_T3_mmT4_T5_P12ihipStream_tbEUlRKtE_EEST_SX_SY_mSZ_S12_bEUlT_E_NS1_11comp_targetILNS1_3genE10ELNS1_11target_archE1200ELNS1_3gpuE4ELNS1_3repE0EEENS1_30default_config_static_selectorELNS0_4arch9wavefront6targetE1EEEvSW_
	.globl	_ZN7rocprim17ROCPRIM_400000_NS6detail17trampoline_kernelINS0_14default_configENS1_29binary_search_config_selectorItiEEZNS1_14transform_implILb0ES3_S5_N6thrust23THRUST_200600_302600_NS6detail15normal_iteratorINS8_7pointerItNS8_11hip_rocprim5par_tENS8_11use_defaultESE_EEEENSA_INSB_IiSD_SE_SE_EEEEZNS1_13binary_searchIS3_S5_PtSG_SI_NS1_16binary_search_opENS9_16wrapped_functionINS8_6system6detail7generic6detail18binary_search_lessEbEEEE10hipError_tPvRmT1_T2_T3_mmT4_T5_P12ihipStream_tbEUlRKtE_EEST_SX_SY_mSZ_S12_bEUlT_E_NS1_11comp_targetILNS1_3genE10ELNS1_11target_archE1200ELNS1_3gpuE4ELNS1_3repE0EEENS1_30default_config_static_selectorELNS0_4arch9wavefront6targetE1EEEvSW_
	.p2align	8
	.type	_ZN7rocprim17ROCPRIM_400000_NS6detail17trampoline_kernelINS0_14default_configENS1_29binary_search_config_selectorItiEEZNS1_14transform_implILb0ES3_S5_N6thrust23THRUST_200600_302600_NS6detail15normal_iteratorINS8_7pointerItNS8_11hip_rocprim5par_tENS8_11use_defaultESE_EEEENSA_INSB_IiSD_SE_SE_EEEEZNS1_13binary_searchIS3_S5_PtSG_SI_NS1_16binary_search_opENS9_16wrapped_functionINS8_6system6detail7generic6detail18binary_search_lessEbEEEE10hipError_tPvRmT1_T2_T3_mmT4_T5_P12ihipStream_tbEUlRKtE_EEST_SX_SY_mSZ_S12_bEUlT_E_NS1_11comp_targetILNS1_3genE10ELNS1_11target_archE1200ELNS1_3gpuE4ELNS1_3repE0EEENS1_30default_config_static_selectorELNS0_4arch9wavefront6targetE1EEEvSW_,@function
_ZN7rocprim17ROCPRIM_400000_NS6detail17trampoline_kernelINS0_14default_configENS1_29binary_search_config_selectorItiEEZNS1_14transform_implILb0ES3_S5_N6thrust23THRUST_200600_302600_NS6detail15normal_iteratorINS8_7pointerItNS8_11hip_rocprim5par_tENS8_11use_defaultESE_EEEENSA_INSB_IiSD_SE_SE_EEEEZNS1_13binary_searchIS3_S5_PtSG_SI_NS1_16binary_search_opENS9_16wrapped_functionINS8_6system6detail7generic6detail18binary_search_lessEbEEEE10hipError_tPvRmT1_T2_T3_mmT4_T5_P12ihipStream_tbEUlRKtE_EEST_SX_SY_mSZ_S12_bEUlT_E_NS1_11comp_targetILNS1_3genE10ELNS1_11target_archE1200ELNS1_3gpuE4ELNS1_3repE0EEENS1_30default_config_static_selectorELNS0_4arch9wavefront6targetE1EEEvSW_: ; @_ZN7rocprim17ROCPRIM_400000_NS6detail17trampoline_kernelINS0_14default_configENS1_29binary_search_config_selectorItiEEZNS1_14transform_implILb0ES3_S5_N6thrust23THRUST_200600_302600_NS6detail15normal_iteratorINS8_7pointerItNS8_11hip_rocprim5par_tENS8_11use_defaultESE_EEEENSA_INSB_IiSD_SE_SE_EEEEZNS1_13binary_searchIS3_S5_PtSG_SI_NS1_16binary_search_opENS9_16wrapped_functionINS8_6system6detail7generic6detail18binary_search_lessEbEEEE10hipError_tPvRmT1_T2_T3_mmT4_T5_P12ihipStream_tbEUlRKtE_EEST_SX_SY_mSZ_S12_bEUlT_E_NS1_11comp_targetILNS1_3genE10ELNS1_11target_archE1200ELNS1_3gpuE4ELNS1_3repE0EEENS1_30default_config_static_selectorELNS0_4arch9wavefront6targetE1EEEvSW_
; %bb.0:
	.section	.rodata,"a",@progbits
	.p2align	6, 0x0
	.amdhsa_kernel _ZN7rocprim17ROCPRIM_400000_NS6detail17trampoline_kernelINS0_14default_configENS1_29binary_search_config_selectorItiEEZNS1_14transform_implILb0ES3_S5_N6thrust23THRUST_200600_302600_NS6detail15normal_iteratorINS8_7pointerItNS8_11hip_rocprim5par_tENS8_11use_defaultESE_EEEENSA_INSB_IiSD_SE_SE_EEEEZNS1_13binary_searchIS3_S5_PtSG_SI_NS1_16binary_search_opENS9_16wrapped_functionINS8_6system6detail7generic6detail18binary_search_lessEbEEEE10hipError_tPvRmT1_T2_T3_mmT4_T5_P12ihipStream_tbEUlRKtE_EEST_SX_SY_mSZ_S12_bEUlT_E_NS1_11comp_targetILNS1_3genE10ELNS1_11target_archE1200ELNS1_3gpuE4ELNS1_3repE0EEENS1_30default_config_static_selectorELNS0_4arch9wavefront6targetE1EEEvSW_
		.amdhsa_group_segment_fixed_size 0
		.amdhsa_private_segment_fixed_size 0
		.amdhsa_kernarg_size 56
		.amdhsa_user_sgpr_count 6
		.amdhsa_user_sgpr_private_segment_buffer 1
		.amdhsa_user_sgpr_dispatch_ptr 0
		.amdhsa_user_sgpr_queue_ptr 0
		.amdhsa_user_sgpr_kernarg_segment_ptr 1
		.amdhsa_user_sgpr_dispatch_id 0
		.amdhsa_user_sgpr_flat_scratch_init 0
		.amdhsa_user_sgpr_private_segment_size 0
		.amdhsa_uses_dynamic_stack 0
		.amdhsa_system_sgpr_private_segment_wavefront_offset 0
		.amdhsa_system_sgpr_workgroup_id_x 1
		.amdhsa_system_sgpr_workgroup_id_y 0
		.amdhsa_system_sgpr_workgroup_id_z 0
		.amdhsa_system_sgpr_workgroup_info 0
		.amdhsa_system_vgpr_workitem_id 0
		.amdhsa_next_free_vgpr 1
		.amdhsa_next_free_sgpr 0
		.amdhsa_reserve_vcc 0
		.amdhsa_reserve_flat_scratch 0
		.amdhsa_float_round_mode_32 0
		.amdhsa_float_round_mode_16_64 0
		.amdhsa_float_denorm_mode_32 3
		.amdhsa_float_denorm_mode_16_64 3
		.amdhsa_dx10_clamp 1
		.amdhsa_ieee_mode 1
		.amdhsa_fp16_overflow 0
		.amdhsa_exception_fp_ieee_invalid_op 0
		.amdhsa_exception_fp_denorm_src 0
		.amdhsa_exception_fp_ieee_div_zero 0
		.amdhsa_exception_fp_ieee_overflow 0
		.amdhsa_exception_fp_ieee_underflow 0
		.amdhsa_exception_fp_ieee_inexact 0
		.amdhsa_exception_int_div_zero 0
	.end_amdhsa_kernel
	.section	.text._ZN7rocprim17ROCPRIM_400000_NS6detail17trampoline_kernelINS0_14default_configENS1_29binary_search_config_selectorItiEEZNS1_14transform_implILb0ES3_S5_N6thrust23THRUST_200600_302600_NS6detail15normal_iteratorINS8_7pointerItNS8_11hip_rocprim5par_tENS8_11use_defaultESE_EEEENSA_INSB_IiSD_SE_SE_EEEEZNS1_13binary_searchIS3_S5_PtSG_SI_NS1_16binary_search_opENS9_16wrapped_functionINS8_6system6detail7generic6detail18binary_search_lessEbEEEE10hipError_tPvRmT1_T2_T3_mmT4_T5_P12ihipStream_tbEUlRKtE_EEST_SX_SY_mSZ_S12_bEUlT_E_NS1_11comp_targetILNS1_3genE10ELNS1_11target_archE1200ELNS1_3gpuE4ELNS1_3repE0EEENS1_30default_config_static_selectorELNS0_4arch9wavefront6targetE1EEEvSW_,"axG",@progbits,_ZN7rocprim17ROCPRIM_400000_NS6detail17trampoline_kernelINS0_14default_configENS1_29binary_search_config_selectorItiEEZNS1_14transform_implILb0ES3_S5_N6thrust23THRUST_200600_302600_NS6detail15normal_iteratorINS8_7pointerItNS8_11hip_rocprim5par_tENS8_11use_defaultESE_EEEENSA_INSB_IiSD_SE_SE_EEEEZNS1_13binary_searchIS3_S5_PtSG_SI_NS1_16binary_search_opENS9_16wrapped_functionINS8_6system6detail7generic6detail18binary_search_lessEbEEEE10hipError_tPvRmT1_T2_T3_mmT4_T5_P12ihipStream_tbEUlRKtE_EEST_SX_SY_mSZ_S12_bEUlT_E_NS1_11comp_targetILNS1_3genE10ELNS1_11target_archE1200ELNS1_3gpuE4ELNS1_3repE0EEENS1_30default_config_static_selectorELNS0_4arch9wavefront6targetE1EEEvSW_,comdat
.Lfunc_end289:
	.size	_ZN7rocprim17ROCPRIM_400000_NS6detail17trampoline_kernelINS0_14default_configENS1_29binary_search_config_selectorItiEEZNS1_14transform_implILb0ES3_S5_N6thrust23THRUST_200600_302600_NS6detail15normal_iteratorINS8_7pointerItNS8_11hip_rocprim5par_tENS8_11use_defaultESE_EEEENSA_INSB_IiSD_SE_SE_EEEEZNS1_13binary_searchIS3_S5_PtSG_SI_NS1_16binary_search_opENS9_16wrapped_functionINS8_6system6detail7generic6detail18binary_search_lessEbEEEE10hipError_tPvRmT1_T2_T3_mmT4_T5_P12ihipStream_tbEUlRKtE_EEST_SX_SY_mSZ_S12_bEUlT_E_NS1_11comp_targetILNS1_3genE10ELNS1_11target_archE1200ELNS1_3gpuE4ELNS1_3repE0EEENS1_30default_config_static_selectorELNS0_4arch9wavefront6targetE1EEEvSW_, .Lfunc_end289-_ZN7rocprim17ROCPRIM_400000_NS6detail17trampoline_kernelINS0_14default_configENS1_29binary_search_config_selectorItiEEZNS1_14transform_implILb0ES3_S5_N6thrust23THRUST_200600_302600_NS6detail15normal_iteratorINS8_7pointerItNS8_11hip_rocprim5par_tENS8_11use_defaultESE_EEEENSA_INSB_IiSD_SE_SE_EEEEZNS1_13binary_searchIS3_S5_PtSG_SI_NS1_16binary_search_opENS9_16wrapped_functionINS8_6system6detail7generic6detail18binary_search_lessEbEEEE10hipError_tPvRmT1_T2_T3_mmT4_T5_P12ihipStream_tbEUlRKtE_EEST_SX_SY_mSZ_S12_bEUlT_E_NS1_11comp_targetILNS1_3genE10ELNS1_11target_archE1200ELNS1_3gpuE4ELNS1_3repE0EEENS1_30default_config_static_selectorELNS0_4arch9wavefront6targetE1EEEvSW_
                                        ; -- End function
	.set _ZN7rocprim17ROCPRIM_400000_NS6detail17trampoline_kernelINS0_14default_configENS1_29binary_search_config_selectorItiEEZNS1_14transform_implILb0ES3_S5_N6thrust23THRUST_200600_302600_NS6detail15normal_iteratorINS8_7pointerItNS8_11hip_rocprim5par_tENS8_11use_defaultESE_EEEENSA_INSB_IiSD_SE_SE_EEEEZNS1_13binary_searchIS3_S5_PtSG_SI_NS1_16binary_search_opENS9_16wrapped_functionINS8_6system6detail7generic6detail18binary_search_lessEbEEEE10hipError_tPvRmT1_T2_T3_mmT4_T5_P12ihipStream_tbEUlRKtE_EEST_SX_SY_mSZ_S12_bEUlT_E_NS1_11comp_targetILNS1_3genE10ELNS1_11target_archE1200ELNS1_3gpuE4ELNS1_3repE0EEENS1_30default_config_static_selectorELNS0_4arch9wavefront6targetE1EEEvSW_.num_vgpr, 0
	.set _ZN7rocprim17ROCPRIM_400000_NS6detail17trampoline_kernelINS0_14default_configENS1_29binary_search_config_selectorItiEEZNS1_14transform_implILb0ES3_S5_N6thrust23THRUST_200600_302600_NS6detail15normal_iteratorINS8_7pointerItNS8_11hip_rocprim5par_tENS8_11use_defaultESE_EEEENSA_INSB_IiSD_SE_SE_EEEEZNS1_13binary_searchIS3_S5_PtSG_SI_NS1_16binary_search_opENS9_16wrapped_functionINS8_6system6detail7generic6detail18binary_search_lessEbEEEE10hipError_tPvRmT1_T2_T3_mmT4_T5_P12ihipStream_tbEUlRKtE_EEST_SX_SY_mSZ_S12_bEUlT_E_NS1_11comp_targetILNS1_3genE10ELNS1_11target_archE1200ELNS1_3gpuE4ELNS1_3repE0EEENS1_30default_config_static_selectorELNS0_4arch9wavefront6targetE1EEEvSW_.num_agpr, 0
	.set _ZN7rocprim17ROCPRIM_400000_NS6detail17trampoline_kernelINS0_14default_configENS1_29binary_search_config_selectorItiEEZNS1_14transform_implILb0ES3_S5_N6thrust23THRUST_200600_302600_NS6detail15normal_iteratorINS8_7pointerItNS8_11hip_rocprim5par_tENS8_11use_defaultESE_EEEENSA_INSB_IiSD_SE_SE_EEEEZNS1_13binary_searchIS3_S5_PtSG_SI_NS1_16binary_search_opENS9_16wrapped_functionINS8_6system6detail7generic6detail18binary_search_lessEbEEEE10hipError_tPvRmT1_T2_T3_mmT4_T5_P12ihipStream_tbEUlRKtE_EEST_SX_SY_mSZ_S12_bEUlT_E_NS1_11comp_targetILNS1_3genE10ELNS1_11target_archE1200ELNS1_3gpuE4ELNS1_3repE0EEENS1_30default_config_static_selectorELNS0_4arch9wavefront6targetE1EEEvSW_.numbered_sgpr, 0
	.set _ZN7rocprim17ROCPRIM_400000_NS6detail17trampoline_kernelINS0_14default_configENS1_29binary_search_config_selectorItiEEZNS1_14transform_implILb0ES3_S5_N6thrust23THRUST_200600_302600_NS6detail15normal_iteratorINS8_7pointerItNS8_11hip_rocprim5par_tENS8_11use_defaultESE_EEEENSA_INSB_IiSD_SE_SE_EEEEZNS1_13binary_searchIS3_S5_PtSG_SI_NS1_16binary_search_opENS9_16wrapped_functionINS8_6system6detail7generic6detail18binary_search_lessEbEEEE10hipError_tPvRmT1_T2_T3_mmT4_T5_P12ihipStream_tbEUlRKtE_EEST_SX_SY_mSZ_S12_bEUlT_E_NS1_11comp_targetILNS1_3genE10ELNS1_11target_archE1200ELNS1_3gpuE4ELNS1_3repE0EEENS1_30default_config_static_selectorELNS0_4arch9wavefront6targetE1EEEvSW_.num_named_barrier, 0
	.set _ZN7rocprim17ROCPRIM_400000_NS6detail17trampoline_kernelINS0_14default_configENS1_29binary_search_config_selectorItiEEZNS1_14transform_implILb0ES3_S5_N6thrust23THRUST_200600_302600_NS6detail15normal_iteratorINS8_7pointerItNS8_11hip_rocprim5par_tENS8_11use_defaultESE_EEEENSA_INSB_IiSD_SE_SE_EEEEZNS1_13binary_searchIS3_S5_PtSG_SI_NS1_16binary_search_opENS9_16wrapped_functionINS8_6system6detail7generic6detail18binary_search_lessEbEEEE10hipError_tPvRmT1_T2_T3_mmT4_T5_P12ihipStream_tbEUlRKtE_EEST_SX_SY_mSZ_S12_bEUlT_E_NS1_11comp_targetILNS1_3genE10ELNS1_11target_archE1200ELNS1_3gpuE4ELNS1_3repE0EEENS1_30default_config_static_selectorELNS0_4arch9wavefront6targetE1EEEvSW_.private_seg_size, 0
	.set _ZN7rocprim17ROCPRIM_400000_NS6detail17trampoline_kernelINS0_14default_configENS1_29binary_search_config_selectorItiEEZNS1_14transform_implILb0ES3_S5_N6thrust23THRUST_200600_302600_NS6detail15normal_iteratorINS8_7pointerItNS8_11hip_rocprim5par_tENS8_11use_defaultESE_EEEENSA_INSB_IiSD_SE_SE_EEEEZNS1_13binary_searchIS3_S5_PtSG_SI_NS1_16binary_search_opENS9_16wrapped_functionINS8_6system6detail7generic6detail18binary_search_lessEbEEEE10hipError_tPvRmT1_T2_T3_mmT4_T5_P12ihipStream_tbEUlRKtE_EEST_SX_SY_mSZ_S12_bEUlT_E_NS1_11comp_targetILNS1_3genE10ELNS1_11target_archE1200ELNS1_3gpuE4ELNS1_3repE0EEENS1_30default_config_static_selectorELNS0_4arch9wavefront6targetE1EEEvSW_.uses_vcc, 0
	.set _ZN7rocprim17ROCPRIM_400000_NS6detail17trampoline_kernelINS0_14default_configENS1_29binary_search_config_selectorItiEEZNS1_14transform_implILb0ES3_S5_N6thrust23THRUST_200600_302600_NS6detail15normal_iteratorINS8_7pointerItNS8_11hip_rocprim5par_tENS8_11use_defaultESE_EEEENSA_INSB_IiSD_SE_SE_EEEEZNS1_13binary_searchIS3_S5_PtSG_SI_NS1_16binary_search_opENS9_16wrapped_functionINS8_6system6detail7generic6detail18binary_search_lessEbEEEE10hipError_tPvRmT1_T2_T3_mmT4_T5_P12ihipStream_tbEUlRKtE_EEST_SX_SY_mSZ_S12_bEUlT_E_NS1_11comp_targetILNS1_3genE10ELNS1_11target_archE1200ELNS1_3gpuE4ELNS1_3repE0EEENS1_30default_config_static_selectorELNS0_4arch9wavefront6targetE1EEEvSW_.uses_flat_scratch, 0
	.set _ZN7rocprim17ROCPRIM_400000_NS6detail17trampoline_kernelINS0_14default_configENS1_29binary_search_config_selectorItiEEZNS1_14transform_implILb0ES3_S5_N6thrust23THRUST_200600_302600_NS6detail15normal_iteratorINS8_7pointerItNS8_11hip_rocprim5par_tENS8_11use_defaultESE_EEEENSA_INSB_IiSD_SE_SE_EEEEZNS1_13binary_searchIS3_S5_PtSG_SI_NS1_16binary_search_opENS9_16wrapped_functionINS8_6system6detail7generic6detail18binary_search_lessEbEEEE10hipError_tPvRmT1_T2_T3_mmT4_T5_P12ihipStream_tbEUlRKtE_EEST_SX_SY_mSZ_S12_bEUlT_E_NS1_11comp_targetILNS1_3genE10ELNS1_11target_archE1200ELNS1_3gpuE4ELNS1_3repE0EEENS1_30default_config_static_selectorELNS0_4arch9wavefront6targetE1EEEvSW_.has_dyn_sized_stack, 0
	.set _ZN7rocprim17ROCPRIM_400000_NS6detail17trampoline_kernelINS0_14default_configENS1_29binary_search_config_selectorItiEEZNS1_14transform_implILb0ES3_S5_N6thrust23THRUST_200600_302600_NS6detail15normal_iteratorINS8_7pointerItNS8_11hip_rocprim5par_tENS8_11use_defaultESE_EEEENSA_INSB_IiSD_SE_SE_EEEEZNS1_13binary_searchIS3_S5_PtSG_SI_NS1_16binary_search_opENS9_16wrapped_functionINS8_6system6detail7generic6detail18binary_search_lessEbEEEE10hipError_tPvRmT1_T2_T3_mmT4_T5_P12ihipStream_tbEUlRKtE_EEST_SX_SY_mSZ_S12_bEUlT_E_NS1_11comp_targetILNS1_3genE10ELNS1_11target_archE1200ELNS1_3gpuE4ELNS1_3repE0EEENS1_30default_config_static_selectorELNS0_4arch9wavefront6targetE1EEEvSW_.has_recursion, 0
	.set _ZN7rocprim17ROCPRIM_400000_NS6detail17trampoline_kernelINS0_14default_configENS1_29binary_search_config_selectorItiEEZNS1_14transform_implILb0ES3_S5_N6thrust23THRUST_200600_302600_NS6detail15normal_iteratorINS8_7pointerItNS8_11hip_rocprim5par_tENS8_11use_defaultESE_EEEENSA_INSB_IiSD_SE_SE_EEEEZNS1_13binary_searchIS3_S5_PtSG_SI_NS1_16binary_search_opENS9_16wrapped_functionINS8_6system6detail7generic6detail18binary_search_lessEbEEEE10hipError_tPvRmT1_T2_T3_mmT4_T5_P12ihipStream_tbEUlRKtE_EEST_SX_SY_mSZ_S12_bEUlT_E_NS1_11comp_targetILNS1_3genE10ELNS1_11target_archE1200ELNS1_3gpuE4ELNS1_3repE0EEENS1_30default_config_static_selectorELNS0_4arch9wavefront6targetE1EEEvSW_.has_indirect_call, 0
	.section	.AMDGPU.csdata,"",@progbits
; Kernel info:
; codeLenInByte = 0
; TotalNumSgprs: 4
; NumVgprs: 0
; ScratchSize: 0
; MemoryBound: 0
; FloatMode: 240
; IeeeMode: 1
; LDSByteSize: 0 bytes/workgroup (compile time only)
; SGPRBlocks: 0
; VGPRBlocks: 0
; NumSGPRsForWavesPerEU: 4
; NumVGPRsForWavesPerEU: 1
; Occupancy: 10
; WaveLimiterHint : 0
; COMPUTE_PGM_RSRC2:SCRATCH_EN: 0
; COMPUTE_PGM_RSRC2:USER_SGPR: 6
; COMPUTE_PGM_RSRC2:TRAP_HANDLER: 0
; COMPUTE_PGM_RSRC2:TGID_X_EN: 1
; COMPUTE_PGM_RSRC2:TGID_Y_EN: 0
; COMPUTE_PGM_RSRC2:TGID_Z_EN: 0
; COMPUTE_PGM_RSRC2:TIDIG_COMP_CNT: 0
	.section	.text._ZN7rocprim17ROCPRIM_400000_NS6detail17trampoline_kernelINS0_14default_configENS1_29binary_search_config_selectorItiEEZNS1_14transform_implILb0ES3_S5_N6thrust23THRUST_200600_302600_NS6detail15normal_iteratorINS8_7pointerItNS8_11hip_rocprim5par_tENS8_11use_defaultESE_EEEENSA_INSB_IiSD_SE_SE_EEEEZNS1_13binary_searchIS3_S5_PtSG_SI_NS1_16binary_search_opENS9_16wrapped_functionINS8_6system6detail7generic6detail18binary_search_lessEbEEEE10hipError_tPvRmT1_T2_T3_mmT4_T5_P12ihipStream_tbEUlRKtE_EEST_SX_SY_mSZ_S12_bEUlT_E_NS1_11comp_targetILNS1_3genE9ELNS1_11target_archE1100ELNS1_3gpuE3ELNS1_3repE0EEENS1_30default_config_static_selectorELNS0_4arch9wavefront6targetE1EEEvSW_,"axG",@progbits,_ZN7rocprim17ROCPRIM_400000_NS6detail17trampoline_kernelINS0_14default_configENS1_29binary_search_config_selectorItiEEZNS1_14transform_implILb0ES3_S5_N6thrust23THRUST_200600_302600_NS6detail15normal_iteratorINS8_7pointerItNS8_11hip_rocprim5par_tENS8_11use_defaultESE_EEEENSA_INSB_IiSD_SE_SE_EEEEZNS1_13binary_searchIS3_S5_PtSG_SI_NS1_16binary_search_opENS9_16wrapped_functionINS8_6system6detail7generic6detail18binary_search_lessEbEEEE10hipError_tPvRmT1_T2_T3_mmT4_T5_P12ihipStream_tbEUlRKtE_EEST_SX_SY_mSZ_S12_bEUlT_E_NS1_11comp_targetILNS1_3genE9ELNS1_11target_archE1100ELNS1_3gpuE3ELNS1_3repE0EEENS1_30default_config_static_selectorELNS0_4arch9wavefront6targetE1EEEvSW_,comdat
	.protected	_ZN7rocprim17ROCPRIM_400000_NS6detail17trampoline_kernelINS0_14default_configENS1_29binary_search_config_selectorItiEEZNS1_14transform_implILb0ES3_S5_N6thrust23THRUST_200600_302600_NS6detail15normal_iteratorINS8_7pointerItNS8_11hip_rocprim5par_tENS8_11use_defaultESE_EEEENSA_INSB_IiSD_SE_SE_EEEEZNS1_13binary_searchIS3_S5_PtSG_SI_NS1_16binary_search_opENS9_16wrapped_functionINS8_6system6detail7generic6detail18binary_search_lessEbEEEE10hipError_tPvRmT1_T2_T3_mmT4_T5_P12ihipStream_tbEUlRKtE_EEST_SX_SY_mSZ_S12_bEUlT_E_NS1_11comp_targetILNS1_3genE9ELNS1_11target_archE1100ELNS1_3gpuE3ELNS1_3repE0EEENS1_30default_config_static_selectorELNS0_4arch9wavefront6targetE1EEEvSW_ ; -- Begin function _ZN7rocprim17ROCPRIM_400000_NS6detail17trampoline_kernelINS0_14default_configENS1_29binary_search_config_selectorItiEEZNS1_14transform_implILb0ES3_S5_N6thrust23THRUST_200600_302600_NS6detail15normal_iteratorINS8_7pointerItNS8_11hip_rocprim5par_tENS8_11use_defaultESE_EEEENSA_INSB_IiSD_SE_SE_EEEEZNS1_13binary_searchIS3_S5_PtSG_SI_NS1_16binary_search_opENS9_16wrapped_functionINS8_6system6detail7generic6detail18binary_search_lessEbEEEE10hipError_tPvRmT1_T2_T3_mmT4_T5_P12ihipStream_tbEUlRKtE_EEST_SX_SY_mSZ_S12_bEUlT_E_NS1_11comp_targetILNS1_3genE9ELNS1_11target_archE1100ELNS1_3gpuE3ELNS1_3repE0EEENS1_30default_config_static_selectorELNS0_4arch9wavefront6targetE1EEEvSW_
	.globl	_ZN7rocprim17ROCPRIM_400000_NS6detail17trampoline_kernelINS0_14default_configENS1_29binary_search_config_selectorItiEEZNS1_14transform_implILb0ES3_S5_N6thrust23THRUST_200600_302600_NS6detail15normal_iteratorINS8_7pointerItNS8_11hip_rocprim5par_tENS8_11use_defaultESE_EEEENSA_INSB_IiSD_SE_SE_EEEEZNS1_13binary_searchIS3_S5_PtSG_SI_NS1_16binary_search_opENS9_16wrapped_functionINS8_6system6detail7generic6detail18binary_search_lessEbEEEE10hipError_tPvRmT1_T2_T3_mmT4_T5_P12ihipStream_tbEUlRKtE_EEST_SX_SY_mSZ_S12_bEUlT_E_NS1_11comp_targetILNS1_3genE9ELNS1_11target_archE1100ELNS1_3gpuE3ELNS1_3repE0EEENS1_30default_config_static_selectorELNS0_4arch9wavefront6targetE1EEEvSW_
	.p2align	8
	.type	_ZN7rocprim17ROCPRIM_400000_NS6detail17trampoline_kernelINS0_14default_configENS1_29binary_search_config_selectorItiEEZNS1_14transform_implILb0ES3_S5_N6thrust23THRUST_200600_302600_NS6detail15normal_iteratorINS8_7pointerItNS8_11hip_rocprim5par_tENS8_11use_defaultESE_EEEENSA_INSB_IiSD_SE_SE_EEEEZNS1_13binary_searchIS3_S5_PtSG_SI_NS1_16binary_search_opENS9_16wrapped_functionINS8_6system6detail7generic6detail18binary_search_lessEbEEEE10hipError_tPvRmT1_T2_T3_mmT4_T5_P12ihipStream_tbEUlRKtE_EEST_SX_SY_mSZ_S12_bEUlT_E_NS1_11comp_targetILNS1_3genE9ELNS1_11target_archE1100ELNS1_3gpuE3ELNS1_3repE0EEENS1_30default_config_static_selectorELNS0_4arch9wavefront6targetE1EEEvSW_,@function
_ZN7rocprim17ROCPRIM_400000_NS6detail17trampoline_kernelINS0_14default_configENS1_29binary_search_config_selectorItiEEZNS1_14transform_implILb0ES3_S5_N6thrust23THRUST_200600_302600_NS6detail15normal_iteratorINS8_7pointerItNS8_11hip_rocprim5par_tENS8_11use_defaultESE_EEEENSA_INSB_IiSD_SE_SE_EEEEZNS1_13binary_searchIS3_S5_PtSG_SI_NS1_16binary_search_opENS9_16wrapped_functionINS8_6system6detail7generic6detail18binary_search_lessEbEEEE10hipError_tPvRmT1_T2_T3_mmT4_T5_P12ihipStream_tbEUlRKtE_EEST_SX_SY_mSZ_S12_bEUlT_E_NS1_11comp_targetILNS1_3genE9ELNS1_11target_archE1100ELNS1_3gpuE3ELNS1_3repE0EEENS1_30default_config_static_selectorELNS0_4arch9wavefront6targetE1EEEvSW_: ; @_ZN7rocprim17ROCPRIM_400000_NS6detail17trampoline_kernelINS0_14default_configENS1_29binary_search_config_selectorItiEEZNS1_14transform_implILb0ES3_S5_N6thrust23THRUST_200600_302600_NS6detail15normal_iteratorINS8_7pointerItNS8_11hip_rocprim5par_tENS8_11use_defaultESE_EEEENSA_INSB_IiSD_SE_SE_EEEEZNS1_13binary_searchIS3_S5_PtSG_SI_NS1_16binary_search_opENS9_16wrapped_functionINS8_6system6detail7generic6detail18binary_search_lessEbEEEE10hipError_tPvRmT1_T2_T3_mmT4_T5_P12ihipStream_tbEUlRKtE_EEST_SX_SY_mSZ_S12_bEUlT_E_NS1_11comp_targetILNS1_3genE9ELNS1_11target_archE1100ELNS1_3gpuE3ELNS1_3repE0EEENS1_30default_config_static_selectorELNS0_4arch9wavefront6targetE1EEEvSW_
; %bb.0:
	.section	.rodata,"a",@progbits
	.p2align	6, 0x0
	.amdhsa_kernel _ZN7rocprim17ROCPRIM_400000_NS6detail17trampoline_kernelINS0_14default_configENS1_29binary_search_config_selectorItiEEZNS1_14transform_implILb0ES3_S5_N6thrust23THRUST_200600_302600_NS6detail15normal_iteratorINS8_7pointerItNS8_11hip_rocprim5par_tENS8_11use_defaultESE_EEEENSA_INSB_IiSD_SE_SE_EEEEZNS1_13binary_searchIS3_S5_PtSG_SI_NS1_16binary_search_opENS9_16wrapped_functionINS8_6system6detail7generic6detail18binary_search_lessEbEEEE10hipError_tPvRmT1_T2_T3_mmT4_T5_P12ihipStream_tbEUlRKtE_EEST_SX_SY_mSZ_S12_bEUlT_E_NS1_11comp_targetILNS1_3genE9ELNS1_11target_archE1100ELNS1_3gpuE3ELNS1_3repE0EEENS1_30default_config_static_selectorELNS0_4arch9wavefront6targetE1EEEvSW_
		.amdhsa_group_segment_fixed_size 0
		.amdhsa_private_segment_fixed_size 0
		.amdhsa_kernarg_size 56
		.amdhsa_user_sgpr_count 6
		.amdhsa_user_sgpr_private_segment_buffer 1
		.amdhsa_user_sgpr_dispatch_ptr 0
		.amdhsa_user_sgpr_queue_ptr 0
		.amdhsa_user_sgpr_kernarg_segment_ptr 1
		.amdhsa_user_sgpr_dispatch_id 0
		.amdhsa_user_sgpr_flat_scratch_init 0
		.amdhsa_user_sgpr_private_segment_size 0
		.amdhsa_uses_dynamic_stack 0
		.amdhsa_system_sgpr_private_segment_wavefront_offset 0
		.amdhsa_system_sgpr_workgroup_id_x 1
		.amdhsa_system_sgpr_workgroup_id_y 0
		.amdhsa_system_sgpr_workgroup_id_z 0
		.amdhsa_system_sgpr_workgroup_info 0
		.amdhsa_system_vgpr_workitem_id 0
		.amdhsa_next_free_vgpr 1
		.amdhsa_next_free_sgpr 0
		.amdhsa_reserve_vcc 0
		.amdhsa_reserve_flat_scratch 0
		.amdhsa_float_round_mode_32 0
		.amdhsa_float_round_mode_16_64 0
		.amdhsa_float_denorm_mode_32 3
		.amdhsa_float_denorm_mode_16_64 3
		.amdhsa_dx10_clamp 1
		.amdhsa_ieee_mode 1
		.amdhsa_fp16_overflow 0
		.amdhsa_exception_fp_ieee_invalid_op 0
		.amdhsa_exception_fp_denorm_src 0
		.amdhsa_exception_fp_ieee_div_zero 0
		.amdhsa_exception_fp_ieee_overflow 0
		.amdhsa_exception_fp_ieee_underflow 0
		.amdhsa_exception_fp_ieee_inexact 0
		.amdhsa_exception_int_div_zero 0
	.end_amdhsa_kernel
	.section	.text._ZN7rocprim17ROCPRIM_400000_NS6detail17trampoline_kernelINS0_14default_configENS1_29binary_search_config_selectorItiEEZNS1_14transform_implILb0ES3_S5_N6thrust23THRUST_200600_302600_NS6detail15normal_iteratorINS8_7pointerItNS8_11hip_rocprim5par_tENS8_11use_defaultESE_EEEENSA_INSB_IiSD_SE_SE_EEEEZNS1_13binary_searchIS3_S5_PtSG_SI_NS1_16binary_search_opENS9_16wrapped_functionINS8_6system6detail7generic6detail18binary_search_lessEbEEEE10hipError_tPvRmT1_T2_T3_mmT4_T5_P12ihipStream_tbEUlRKtE_EEST_SX_SY_mSZ_S12_bEUlT_E_NS1_11comp_targetILNS1_3genE9ELNS1_11target_archE1100ELNS1_3gpuE3ELNS1_3repE0EEENS1_30default_config_static_selectorELNS0_4arch9wavefront6targetE1EEEvSW_,"axG",@progbits,_ZN7rocprim17ROCPRIM_400000_NS6detail17trampoline_kernelINS0_14default_configENS1_29binary_search_config_selectorItiEEZNS1_14transform_implILb0ES3_S5_N6thrust23THRUST_200600_302600_NS6detail15normal_iteratorINS8_7pointerItNS8_11hip_rocprim5par_tENS8_11use_defaultESE_EEEENSA_INSB_IiSD_SE_SE_EEEEZNS1_13binary_searchIS3_S5_PtSG_SI_NS1_16binary_search_opENS9_16wrapped_functionINS8_6system6detail7generic6detail18binary_search_lessEbEEEE10hipError_tPvRmT1_T2_T3_mmT4_T5_P12ihipStream_tbEUlRKtE_EEST_SX_SY_mSZ_S12_bEUlT_E_NS1_11comp_targetILNS1_3genE9ELNS1_11target_archE1100ELNS1_3gpuE3ELNS1_3repE0EEENS1_30default_config_static_selectorELNS0_4arch9wavefront6targetE1EEEvSW_,comdat
.Lfunc_end290:
	.size	_ZN7rocprim17ROCPRIM_400000_NS6detail17trampoline_kernelINS0_14default_configENS1_29binary_search_config_selectorItiEEZNS1_14transform_implILb0ES3_S5_N6thrust23THRUST_200600_302600_NS6detail15normal_iteratorINS8_7pointerItNS8_11hip_rocprim5par_tENS8_11use_defaultESE_EEEENSA_INSB_IiSD_SE_SE_EEEEZNS1_13binary_searchIS3_S5_PtSG_SI_NS1_16binary_search_opENS9_16wrapped_functionINS8_6system6detail7generic6detail18binary_search_lessEbEEEE10hipError_tPvRmT1_T2_T3_mmT4_T5_P12ihipStream_tbEUlRKtE_EEST_SX_SY_mSZ_S12_bEUlT_E_NS1_11comp_targetILNS1_3genE9ELNS1_11target_archE1100ELNS1_3gpuE3ELNS1_3repE0EEENS1_30default_config_static_selectorELNS0_4arch9wavefront6targetE1EEEvSW_, .Lfunc_end290-_ZN7rocprim17ROCPRIM_400000_NS6detail17trampoline_kernelINS0_14default_configENS1_29binary_search_config_selectorItiEEZNS1_14transform_implILb0ES3_S5_N6thrust23THRUST_200600_302600_NS6detail15normal_iteratorINS8_7pointerItNS8_11hip_rocprim5par_tENS8_11use_defaultESE_EEEENSA_INSB_IiSD_SE_SE_EEEEZNS1_13binary_searchIS3_S5_PtSG_SI_NS1_16binary_search_opENS9_16wrapped_functionINS8_6system6detail7generic6detail18binary_search_lessEbEEEE10hipError_tPvRmT1_T2_T3_mmT4_T5_P12ihipStream_tbEUlRKtE_EEST_SX_SY_mSZ_S12_bEUlT_E_NS1_11comp_targetILNS1_3genE9ELNS1_11target_archE1100ELNS1_3gpuE3ELNS1_3repE0EEENS1_30default_config_static_selectorELNS0_4arch9wavefront6targetE1EEEvSW_
                                        ; -- End function
	.set _ZN7rocprim17ROCPRIM_400000_NS6detail17trampoline_kernelINS0_14default_configENS1_29binary_search_config_selectorItiEEZNS1_14transform_implILb0ES3_S5_N6thrust23THRUST_200600_302600_NS6detail15normal_iteratorINS8_7pointerItNS8_11hip_rocprim5par_tENS8_11use_defaultESE_EEEENSA_INSB_IiSD_SE_SE_EEEEZNS1_13binary_searchIS3_S5_PtSG_SI_NS1_16binary_search_opENS9_16wrapped_functionINS8_6system6detail7generic6detail18binary_search_lessEbEEEE10hipError_tPvRmT1_T2_T3_mmT4_T5_P12ihipStream_tbEUlRKtE_EEST_SX_SY_mSZ_S12_bEUlT_E_NS1_11comp_targetILNS1_3genE9ELNS1_11target_archE1100ELNS1_3gpuE3ELNS1_3repE0EEENS1_30default_config_static_selectorELNS0_4arch9wavefront6targetE1EEEvSW_.num_vgpr, 0
	.set _ZN7rocprim17ROCPRIM_400000_NS6detail17trampoline_kernelINS0_14default_configENS1_29binary_search_config_selectorItiEEZNS1_14transform_implILb0ES3_S5_N6thrust23THRUST_200600_302600_NS6detail15normal_iteratorINS8_7pointerItNS8_11hip_rocprim5par_tENS8_11use_defaultESE_EEEENSA_INSB_IiSD_SE_SE_EEEEZNS1_13binary_searchIS3_S5_PtSG_SI_NS1_16binary_search_opENS9_16wrapped_functionINS8_6system6detail7generic6detail18binary_search_lessEbEEEE10hipError_tPvRmT1_T2_T3_mmT4_T5_P12ihipStream_tbEUlRKtE_EEST_SX_SY_mSZ_S12_bEUlT_E_NS1_11comp_targetILNS1_3genE9ELNS1_11target_archE1100ELNS1_3gpuE3ELNS1_3repE0EEENS1_30default_config_static_selectorELNS0_4arch9wavefront6targetE1EEEvSW_.num_agpr, 0
	.set _ZN7rocprim17ROCPRIM_400000_NS6detail17trampoline_kernelINS0_14default_configENS1_29binary_search_config_selectorItiEEZNS1_14transform_implILb0ES3_S5_N6thrust23THRUST_200600_302600_NS6detail15normal_iteratorINS8_7pointerItNS8_11hip_rocprim5par_tENS8_11use_defaultESE_EEEENSA_INSB_IiSD_SE_SE_EEEEZNS1_13binary_searchIS3_S5_PtSG_SI_NS1_16binary_search_opENS9_16wrapped_functionINS8_6system6detail7generic6detail18binary_search_lessEbEEEE10hipError_tPvRmT1_T2_T3_mmT4_T5_P12ihipStream_tbEUlRKtE_EEST_SX_SY_mSZ_S12_bEUlT_E_NS1_11comp_targetILNS1_3genE9ELNS1_11target_archE1100ELNS1_3gpuE3ELNS1_3repE0EEENS1_30default_config_static_selectorELNS0_4arch9wavefront6targetE1EEEvSW_.numbered_sgpr, 0
	.set _ZN7rocprim17ROCPRIM_400000_NS6detail17trampoline_kernelINS0_14default_configENS1_29binary_search_config_selectorItiEEZNS1_14transform_implILb0ES3_S5_N6thrust23THRUST_200600_302600_NS6detail15normal_iteratorINS8_7pointerItNS8_11hip_rocprim5par_tENS8_11use_defaultESE_EEEENSA_INSB_IiSD_SE_SE_EEEEZNS1_13binary_searchIS3_S5_PtSG_SI_NS1_16binary_search_opENS9_16wrapped_functionINS8_6system6detail7generic6detail18binary_search_lessEbEEEE10hipError_tPvRmT1_T2_T3_mmT4_T5_P12ihipStream_tbEUlRKtE_EEST_SX_SY_mSZ_S12_bEUlT_E_NS1_11comp_targetILNS1_3genE9ELNS1_11target_archE1100ELNS1_3gpuE3ELNS1_3repE0EEENS1_30default_config_static_selectorELNS0_4arch9wavefront6targetE1EEEvSW_.num_named_barrier, 0
	.set _ZN7rocprim17ROCPRIM_400000_NS6detail17trampoline_kernelINS0_14default_configENS1_29binary_search_config_selectorItiEEZNS1_14transform_implILb0ES3_S5_N6thrust23THRUST_200600_302600_NS6detail15normal_iteratorINS8_7pointerItNS8_11hip_rocprim5par_tENS8_11use_defaultESE_EEEENSA_INSB_IiSD_SE_SE_EEEEZNS1_13binary_searchIS3_S5_PtSG_SI_NS1_16binary_search_opENS9_16wrapped_functionINS8_6system6detail7generic6detail18binary_search_lessEbEEEE10hipError_tPvRmT1_T2_T3_mmT4_T5_P12ihipStream_tbEUlRKtE_EEST_SX_SY_mSZ_S12_bEUlT_E_NS1_11comp_targetILNS1_3genE9ELNS1_11target_archE1100ELNS1_3gpuE3ELNS1_3repE0EEENS1_30default_config_static_selectorELNS0_4arch9wavefront6targetE1EEEvSW_.private_seg_size, 0
	.set _ZN7rocprim17ROCPRIM_400000_NS6detail17trampoline_kernelINS0_14default_configENS1_29binary_search_config_selectorItiEEZNS1_14transform_implILb0ES3_S5_N6thrust23THRUST_200600_302600_NS6detail15normal_iteratorINS8_7pointerItNS8_11hip_rocprim5par_tENS8_11use_defaultESE_EEEENSA_INSB_IiSD_SE_SE_EEEEZNS1_13binary_searchIS3_S5_PtSG_SI_NS1_16binary_search_opENS9_16wrapped_functionINS8_6system6detail7generic6detail18binary_search_lessEbEEEE10hipError_tPvRmT1_T2_T3_mmT4_T5_P12ihipStream_tbEUlRKtE_EEST_SX_SY_mSZ_S12_bEUlT_E_NS1_11comp_targetILNS1_3genE9ELNS1_11target_archE1100ELNS1_3gpuE3ELNS1_3repE0EEENS1_30default_config_static_selectorELNS0_4arch9wavefront6targetE1EEEvSW_.uses_vcc, 0
	.set _ZN7rocprim17ROCPRIM_400000_NS6detail17trampoline_kernelINS0_14default_configENS1_29binary_search_config_selectorItiEEZNS1_14transform_implILb0ES3_S5_N6thrust23THRUST_200600_302600_NS6detail15normal_iteratorINS8_7pointerItNS8_11hip_rocprim5par_tENS8_11use_defaultESE_EEEENSA_INSB_IiSD_SE_SE_EEEEZNS1_13binary_searchIS3_S5_PtSG_SI_NS1_16binary_search_opENS9_16wrapped_functionINS8_6system6detail7generic6detail18binary_search_lessEbEEEE10hipError_tPvRmT1_T2_T3_mmT4_T5_P12ihipStream_tbEUlRKtE_EEST_SX_SY_mSZ_S12_bEUlT_E_NS1_11comp_targetILNS1_3genE9ELNS1_11target_archE1100ELNS1_3gpuE3ELNS1_3repE0EEENS1_30default_config_static_selectorELNS0_4arch9wavefront6targetE1EEEvSW_.uses_flat_scratch, 0
	.set _ZN7rocprim17ROCPRIM_400000_NS6detail17trampoline_kernelINS0_14default_configENS1_29binary_search_config_selectorItiEEZNS1_14transform_implILb0ES3_S5_N6thrust23THRUST_200600_302600_NS6detail15normal_iteratorINS8_7pointerItNS8_11hip_rocprim5par_tENS8_11use_defaultESE_EEEENSA_INSB_IiSD_SE_SE_EEEEZNS1_13binary_searchIS3_S5_PtSG_SI_NS1_16binary_search_opENS9_16wrapped_functionINS8_6system6detail7generic6detail18binary_search_lessEbEEEE10hipError_tPvRmT1_T2_T3_mmT4_T5_P12ihipStream_tbEUlRKtE_EEST_SX_SY_mSZ_S12_bEUlT_E_NS1_11comp_targetILNS1_3genE9ELNS1_11target_archE1100ELNS1_3gpuE3ELNS1_3repE0EEENS1_30default_config_static_selectorELNS0_4arch9wavefront6targetE1EEEvSW_.has_dyn_sized_stack, 0
	.set _ZN7rocprim17ROCPRIM_400000_NS6detail17trampoline_kernelINS0_14default_configENS1_29binary_search_config_selectorItiEEZNS1_14transform_implILb0ES3_S5_N6thrust23THRUST_200600_302600_NS6detail15normal_iteratorINS8_7pointerItNS8_11hip_rocprim5par_tENS8_11use_defaultESE_EEEENSA_INSB_IiSD_SE_SE_EEEEZNS1_13binary_searchIS3_S5_PtSG_SI_NS1_16binary_search_opENS9_16wrapped_functionINS8_6system6detail7generic6detail18binary_search_lessEbEEEE10hipError_tPvRmT1_T2_T3_mmT4_T5_P12ihipStream_tbEUlRKtE_EEST_SX_SY_mSZ_S12_bEUlT_E_NS1_11comp_targetILNS1_3genE9ELNS1_11target_archE1100ELNS1_3gpuE3ELNS1_3repE0EEENS1_30default_config_static_selectorELNS0_4arch9wavefront6targetE1EEEvSW_.has_recursion, 0
	.set _ZN7rocprim17ROCPRIM_400000_NS6detail17trampoline_kernelINS0_14default_configENS1_29binary_search_config_selectorItiEEZNS1_14transform_implILb0ES3_S5_N6thrust23THRUST_200600_302600_NS6detail15normal_iteratorINS8_7pointerItNS8_11hip_rocprim5par_tENS8_11use_defaultESE_EEEENSA_INSB_IiSD_SE_SE_EEEEZNS1_13binary_searchIS3_S5_PtSG_SI_NS1_16binary_search_opENS9_16wrapped_functionINS8_6system6detail7generic6detail18binary_search_lessEbEEEE10hipError_tPvRmT1_T2_T3_mmT4_T5_P12ihipStream_tbEUlRKtE_EEST_SX_SY_mSZ_S12_bEUlT_E_NS1_11comp_targetILNS1_3genE9ELNS1_11target_archE1100ELNS1_3gpuE3ELNS1_3repE0EEENS1_30default_config_static_selectorELNS0_4arch9wavefront6targetE1EEEvSW_.has_indirect_call, 0
	.section	.AMDGPU.csdata,"",@progbits
; Kernel info:
; codeLenInByte = 0
; TotalNumSgprs: 4
; NumVgprs: 0
; ScratchSize: 0
; MemoryBound: 0
; FloatMode: 240
; IeeeMode: 1
; LDSByteSize: 0 bytes/workgroup (compile time only)
; SGPRBlocks: 0
; VGPRBlocks: 0
; NumSGPRsForWavesPerEU: 4
; NumVGPRsForWavesPerEU: 1
; Occupancy: 10
; WaveLimiterHint : 0
; COMPUTE_PGM_RSRC2:SCRATCH_EN: 0
; COMPUTE_PGM_RSRC2:USER_SGPR: 6
; COMPUTE_PGM_RSRC2:TRAP_HANDLER: 0
; COMPUTE_PGM_RSRC2:TGID_X_EN: 1
; COMPUTE_PGM_RSRC2:TGID_Y_EN: 0
; COMPUTE_PGM_RSRC2:TGID_Z_EN: 0
; COMPUTE_PGM_RSRC2:TIDIG_COMP_CNT: 0
	.section	.text._ZN7rocprim17ROCPRIM_400000_NS6detail17trampoline_kernelINS0_14default_configENS1_29binary_search_config_selectorItiEEZNS1_14transform_implILb0ES3_S5_N6thrust23THRUST_200600_302600_NS6detail15normal_iteratorINS8_7pointerItNS8_11hip_rocprim5par_tENS8_11use_defaultESE_EEEENSA_INSB_IiSD_SE_SE_EEEEZNS1_13binary_searchIS3_S5_PtSG_SI_NS1_16binary_search_opENS9_16wrapped_functionINS8_6system6detail7generic6detail18binary_search_lessEbEEEE10hipError_tPvRmT1_T2_T3_mmT4_T5_P12ihipStream_tbEUlRKtE_EEST_SX_SY_mSZ_S12_bEUlT_E_NS1_11comp_targetILNS1_3genE8ELNS1_11target_archE1030ELNS1_3gpuE2ELNS1_3repE0EEENS1_30default_config_static_selectorELNS0_4arch9wavefront6targetE1EEEvSW_,"axG",@progbits,_ZN7rocprim17ROCPRIM_400000_NS6detail17trampoline_kernelINS0_14default_configENS1_29binary_search_config_selectorItiEEZNS1_14transform_implILb0ES3_S5_N6thrust23THRUST_200600_302600_NS6detail15normal_iteratorINS8_7pointerItNS8_11hip_rocprim5par_tENS8_11use_defaultESE_EEEENSA_INSB_IiSD_SE_SE_EEEEZNS1_13binary_searchIS3_S5_PtSG_SI_NS1_16binary_search_opENS9_16wrapped_functionINS8_6system6detail7generic6detail18binary_search_lessEbEEEE10hipError_tPvRmT1_T2_T3_mmT4_T5_P12ihipStream_tbEUlRKtE_EEST_SX_SY_mSZ_S12_bEUlT_E_NS1_11comp_targetILNS1_3genE8ELNS1_11target_archE1030ELNS1_3gpuE2ELNS1_3repE0EEENS1_30default_config_static_selectorELNS0_4arch9wavefront6targetE1EEEvSW_,comdat
	.protected	_ZN7rocprim17ROCPRIM_400000_NS6detail17trampoline_kernelINS0_14default_configENS1_29binary_search_config_selectorItiEEZNS1_14transform_implILb0ES3_S5_N6thrust23THRUST_200600_302600_NS6detail15normal_iteratorINS8_7pointerItNS8_11hip_rocprim5par_tENS8_11use_defaultESE_EEEENSA_INSB_IiSD_SE_SE_EEEEZNS1_13binary_searchIS3_S5_PtSG_SI_NS1_16binary_search_opENS9_16wrapped_functionINS8_6system6detail7generic6detail18binary_search_lessEbEEEE10hipError_tPvRmT1_T2_T3_mmT4_T5_P12ihipStream_tbEUlRKtE_EEST_SX_SY_mSZ_S12_bEUlT_E_NS1_11comp_targetILNS1_3genE8ELNS1_11target_archE1030ELNS1_3gpuE2ELNS1_3repE0EEENS1_30default_config_static_selectorELNS0_4arch9wavefront6targetE1EEEvSW_ ; -- Begin function _ZN7rocprim17ROCPRIM_400000_NS6detail17trampoline_kernelINS0_14default_configENS1_29binary_search_config_selectorItiEEZNS1_14transform_implILb0ES3_S5_N6thrust23THRUST_200600_302600_NS6detail15normal_iteratorINS8_7pointerItNS8_11hip_rocprim5par_tENS8_11use_defaultESE_EEEENSA_INSB_IiSD_SE_SE_EEEEZNS1_13binary_searchIS3_S5_PtSG_SI_NS1_16binary_search_opENS9_16wrapped_functionINS8_6system6detail7generic6detail18binary_search_lessEbEEEE10hipError_tPvRmT1_T2_T3_mmT4_T5_P12ihipStream_tbEUlRKtE_EEST_SX_SY_mSZ_S12_bEUlT_E_NS1_11comp_targetILNS1_3genE8ELNS1_11target_archE1030ELNS1_3gpuE2ELNS1_3repE0EEENS1_30default_config_static_selectorELNS0_4arch9wavefront6targetE1EEEvSW_
	.globl	_ZN7rocprim17ROCPRIM_400000_NS6detail17trampoline_kernelINS0_14default_configENS1_29binary_search_config_selectorItiEEZNS1_14transform_implILb0ES3_S5_N6thrust23THRUST_200600_302600_NS6detail15normal_iteratorINS8_7pointerItNS8_11hip_rocprim5par_tENS8_11use_defaultESE_EEEENSA_INSB_IiSD_SE_SE_EEEEZNS1_13binary_searchIS3_S5_PtSG_SI_NS1_16binary_search_opENS9_16wrapped_functionINS8_6system6detail7generic6detail18binary_search_lessEbEEEE10hipError_tPvRmT1_T2_T3_mmT4_T5_P12ihipStream_tbEUlRKtE_EEST_SX_SY_mSZ_S12_bEUlT_E_NS1_11comp_targetILNS1_3genE8ELNS1_11target_archE1030ELNS1_3gpuE2ELNS1_3repE0EEENS1_30default_config_static_selectorELNS0_4arch9wavefront6targetE1EEEvSW_
	.p2align	8
	.type	_ZN7rocprim17ROCPRIM_400000_NS6detail17trampoline_kernelINS0_14default_configENS1_29binary_search_config_selectorItiEEZNS1_14transform_implILb0ES3_S5_N6thrust23THRUST_200600_302600_NS6detail15normal_iteratorINS8_7pointerItNS8_11hip_rocprim5par_tENS8_11use_defaultESE_EEEENSA_INSB_IiSD_SE_SE_EEEEZNS1_13binary_searchIS3_S5_PtSG_SI_NS1_16binary_search_opENS9_16wrapped_functionINS8_6system6detail7generic6detail18binary_search_lessEbEEEE10hipError_tPvRmT1_T2_T3_mmT4_T5_P12ihipStream_tbEUlRKtE_EEST_SX_SY_mSZ_S12_bEUlT_E_NS1_11comp_targetILNS1_3genE8ELNS1_11target_archE1030ELNS1_3gpuE2ELNS1_3repE0EEENS1_30default_config_static_selectorELNS0_4arch9wavefront6targetE1EEEvSW_,@function
_ZN7rocprim17ROCPRIM_400000_NS6detail17trampoline_kernelINS0_14default_configENS1_29binary_search_config_selectorItiEEZNS1_14transform_implILb0ES3_S5_N6thrust23THRUST_200600_302600_NS6detail15normal_iteratorINS8_7pointerItNS8_11hip_rocprim5par_tENS8_11use_defaultESE_EEEENSA_INSB_IiSD_SE_SE_EEEEZNS1_13binary_searchIS3_S5_PtSG_SI_NS1_16binary_search_opENS9_16wrapped_functionINS8_6system6detail7generic6detail18binary_search_lessEbEEEE10hipError_tPvRmT1_T2_T3_mmT4_T5_P12ihipStream_tbEUlRKtE_EEST_SX_SY_mSZ_S12_bEUlT_E_NS1_11comp_targetILNS1_3genE8ELNS1_11target_archE1030ELNS1_3gpuE2ELNS1_3repE0EEENS1_30default_config_static_selectorELNS0_4arch9wavefront6targetE1EEEvSW_: ; @_ZN7rocprim17ROCPRIM_400000_NS6detail17trampoline_kernelINS0_14default_configENS1_29binary_search_config_selectorItiEEZNS1_14transform_implILb0ES3_S5_N6thrust23THRUST_200600_302600_NS6detail15normal_iteratorINS8_7pointerItNS8_11hip_rocprim5par_tENS8_11use_defaultESE_EEEENSA_INSB_IiSD_SE_SE_EEEEZNS1_13binary_searchIS3_S5_PtSG_SI_NS1_16binary_search_opENS9_16wrapped_functionINS8_6system6detail7generic6detail18binary_search_lessEbEEEE10hipError_tPvRmT1_T2_T3_mmT4_T5_P12ihipStream_tbEUlRKtE_EEST_SX_SY_mSZ_S12_bEUlT_E_NS1_11comp_targetILNS1_3genE8ELNS1_11target_archE1030ELNS1_3gpuE2ELNS1_3repE0EEENS1_30default_config_static_selectorELNS0_4arch9wavefront6targetE1EEEvSW_
; %bb.0:
	.section	.rodata,"a",@progbits
	.p2align	6, 0x0
	.amdhsa_kernel _ZN7rocprim17ROCPRIM_400000_NS6detail17trampoline_kernelINS0_14default_configENS1_29binary_search_config_selectorItiEEZNS1_14transform_implILb0ES3_S5_N6thrust23THRUST_200600_302600_NS6detail15normal_iteratorINS8_7pointerItNS8_11hip_rocprim5par_tENS8_11use_defaultESE_EEEENSA_INSB_IiSD_SE_SE_EEEEZNS1_13binary_searchIS3_S5_PtSG_SI_NS1_16binary_search_opENS9_16wrapped_functionINS8_6system6detail7generic6detail18binary_search_lessEbEEEE10hipError_tPvRmT1_T2_T3_mmT4_T5_P12ihipStream_tbEUlRKtE_EEST_SX_SY_mSZ_S12_bEUlT_E_NS1_11comp_targetILNS1_3genE8ELNS1_11target_archE1030ELNS1_3gpuE2ELNS1_3repE0EEENS1_30default_config_static_selectorELNS0_4arch9wavefront6targetE1EEEvSW_
		.amdhsa_group_segment_fixed_size 0
		.amdhsa_private_segment_fixed_size 0
		.amdhsa_kernarg_size 56
		.amdhsa_user_sgpr_count 6
		.amdhsa_user_sgpr_private_segment_buffer 1
		.amdhsa_user_sgpr_dispatch_ptr 0
		.amdhsa_user_sgpr_queue_ptr 0
		.amdhsa_user_sgpr_kernarg_segment_ptr 1
		.amdhsa_user_sgpr_dispatch_id 0
		.amdhsa_user_sgpr_flat_scratch_init 0
		.amdhsa_user_sgpr_private_segment_size 0
		.amdhsa_uses_dynamic_stack 0
		.amdhsa_system_sgpr_private_segment_wavefront_offset 0
		.amdhsa_system_sgpr_workgroup_id_x 1
		.amdhsa_system_sgpr_workgroup_id_y 0
		.amdhsa_system_sgpr_workgroup_id_z 0
		.amdhsa_system_sgpr_workgroup_info 0
		.amdhsa_system_vgpr_workitem_id 0
		.amdhsa_next_free_vgpr 1
		.amdhsa_next_free_sgpr 0
		.amdhsa_reserve_vcc 0
		.amdhsa_reserve_flat_scratch 0
		.amdhsa_float_round_mode_32 0
		.amdhsa_float_round_mode_16_64 0
		.amdhsa_float_denorm_mode_32 3
		.amdhsa_float_denorm_mode_16_64 3
		.amdhsa_dx10_clamp 1
		.amdhsa_ieee_mode 1
		.amdhsa_fp16_overflow 0
		.amdhsa_exception_fp_ieee_invalid_op 0
		.amdhsa_exception_fp_denorm_src 0
		.amdhsa_exception_fp_ieee_div_zero 0
		.amdhsa_exception_fp_ieee_overflow 0
		.amdhsa_exception_fp_ieee_underflow 0
		.amdhsa_exception_fp_ieee_inexact 0
		.amdhsa_exception_int_div_zero 0
	.end_amdhsa_kernel
	.section	.text._ZN7rocprim17ROCPRIM_400000_NS6detail17trampoline_kernelINS0_14default_configENS1_29binary_search_config_selectorItiEEZNS1_14transform_implILb0ES3_S5_N6thrust23THRUST_200600_302600_NS6detail15normal_iteratorINS8_7pointerItNS8_11hip_rocprim5par_tENS8_11use_defaultESE_EEEENSA_INSB_IiSD_SE_SE_EEEEZNS1_13binary_searchIS3_S5_PtSG_SI_NS1_16binary_search_opENS9_16wrapped_functionINS8_6system6detail7generic6detail18binary_search_lessEbEEEE10hipError_tPvRmT1_T2_T3_mmT4_T5_P12ihipStream_tbEUlRKtE_EEST_SX_SY_mSZ_S12_bEUlT_E_NS1_11comp_targetILNS1_3genE8ELNS1_11target_archE1030ELNS1_3gpuE2ELNS1_3repE0EEENS1_30default_config_static_selectorELNS0_4arch9wavefront6targetE1EEEvSW_,"axG",@progbits,_ZN7rocprim17ROCPRIM_400000_NS6detail17trampoline_kernelINS0_14default_configENS1_29binary_search_config_selectorItiEEZNS1_14transform_implILb0ES3_S5_N6thrust23THRUST_200600_302600_NS6detail15normal_iteratorINS8_7pointerItNS8_11hip_rocprim5par_tENS8_11use_defaultESE_EEEENSA_INSB_IiSD_SE_SE_EEEEZNS1_13binary_searchIS3_S5_PtSG_SI_NS1_16binary_search_opENS9_16wrapped_functionINS8_6system6detail7generic6detail18binary_search_lessEbEEEE10hipError_tPvRmT1_T2_T3_mmT4_T5_P12ihipStream_tbEUlRKtE_EEST_SX_SY_mSZ_S12_bEUlT_E_NS1_11comp_targetILNS1_3genE8ELNS1_11target_archE1030ELNS1_3gpuE2ELNS1_3repE0EEENS1_30default_config_static_selectorELNS0_4arch9wavefront6targetE1EEEvSW_,comdat
.Lfunc_end291:
	.size	_ZN7rocprim17ROCPRIM_400000_NS6detail17trampoline_kernelINS0_14default_configENS1_29binary_search_config_selectorItiEEZNS1_14transform_implILb0ES3_S5_N6thrust23THRUST_200600_302600_NS6detail15normal_iteratorINS8_7pointerItNS8_11hip_rocprim5par_tENS8_11use_defaultESE_EEEENSA_INSB_IiSD_SE_SE_EEEEZNS1_13binary_searchIS3_S5_PtSG_SI_NS1_16binary_search_opENS9_16wrapped_functionINS8_6system6detail7generic6detail18binary_search_lessEbEEEE10hipError_tPvRmT1_T2_T3_mmT4_T5_P12ihipStream_tbEUlRKtE_EEST_SX_SY_mSZ_S12_bEUlT_E_NS1_11comp_targetILNS1_3genE8ELNS1_11target_archE1030ELNS1_3gpuE2ELNS1_3repE0EEENS1_30default_config_static_selectorELNS0_4arch9wavefront6targetE1EEEvSW_, .Lfunc_end291-_ZN7rocprim17ROCPRIM_400000_NS6detail17trampoline_kernelINS0_14default_configENS1_29binary_search_config_selectorItiEEZNS1_14transform_implILb0ES3_S5_N6thrust23THRUST_200600_302600_NS6detail15normal_iteratorINS8_7pointerItNS8_11hip_rocprim5par_tENS8_11use_defaultESE_EEEENSA_INSB_IiSD_SE_SE_EEEEZNS1_13binary_searchIS3_S5_PtSG_SI_NS1_16binary_search_opENS9_16wrapped_functionINS8_6system6detail7generic6detail18binary_search_lessEbEEEE10hipError_tPvRmT1_T2_T3_mmT4_T5_P12ihipStream_tbEUlRKtE_EEST_SX_SY_mSZ_S12_bEUlT_E_NS1_11comp_targetILNS1_3genE8ELNS1_11target_archE1030ELNS1_3gpuE2ELNS1_3repE0EEENS1_30default_config_static_selectorELNS0_4arch9wavefront6targetE1EEEvSW_
                                        ; -- End function
	.set _ZN7rocprim17ROCPRIM_400000_NS6detail17trampoline_kernelINS0_14default_configENS1_29binary_search_config_selectorItiEEZNS1_14transform_implILb0ES3_S5_N6thrust23THRUST_200600_302600_NS6detail15normal_iteratorINS8_7pointerItNS8_11hip_rocprim5par_tENS8_11use_defaultESE_EEEENSA_INSB_IiSD_SE_SE_EEEEZNS1_13binary_searchIS3_S5_PtSG_SI_NS1_16binary_search_opENS9_16wrapped_functionINS8_6system6detail7generic6detail18binary_search_lessEbEEEE10hipError_tPvRmT1_T2_T3_mmT4_T5_P12ihipStream_tbEUlRKtE_EEST_SX_SY_mSZ_S12_bEUlT_E_NS1_11comp_targetILNS1_3genE8ELNS1_11target_archE1030ELNS1_3gpuE2ELNS1_3repE0EEENS1_30default_config_static_selectorELNS0_4arch9wavefront6targetE1EEEvSW_.num_vgpr, 0
	.set _ZN7rocprim17ROCPRIM_400000_NS6detail17trampoline_kernelINS0_14default_configENS1_29binary_search_config_selectorItiEEZNS1_14transform_implILb0ES3_S5_N6thrust23THRUST_200600_302600_NS6detail15normal_iteratorINS8_7pointerItNS8_11hip_rocprim5par_tENS8_11use_defaultESE_EEEENSA_INSB_IiSD_SE_SE_EEEEZNS1_13binary_searchIS3_S5_PtSG_SI_NS1_16binary_search_opENS9_16wrapped_functionINS8_6system6detail7generic6detail18binary_search_lessEbEEEE10hipError_tPvRmT1_T2_T3_mmT4_T5_P12ihipStream_tbEUlRKtE_EEST_SX_SY_mSZ_S12_bEUlT_E_NS1_11comp_targetILNS1_3genE8ELNS1_11target_archE1030ELNS1_3gpuE2ELNS1_3repE0EEENS1_30default_config_static_selectorELNS0_4arch9wavefront6targetE1EEEvSW_.num_agpr, 0
	.set _ZN7rocprim17ROCPRIM_400000_NS6detail17trampoline_kernelINS0_14default_configENS1_29binary_search_config_selectorItiEEZNS1_14transform_implILb0ES3_S5_N6thrust23THRUST_200600_302600_NS6detail15normal_iteratorINS8_7pointerItNS8_11hip_rocprim5par_tENS8_11use_defaultESE_EEEENSA_INSB_IiSD_SE_SE_EEEEZNS1_13binary_searchIS3_S5_PtSG_SI_NS1_16binary_search_opENS9_16wrapped_functionINS8_6system6detail7generic6detail18binary_search_lessEbEEEE10hipError_tPvRmT1_T2_T3_mmT4_T5_P12ihipStream_tbEUlRKtE_EEST_SX_SY_mSZ_S12_bEUlT_E_NS1_11comp_targetILNS1_3genE8ELNS1_11target_archE1030ELNS1_3gpuE2ELNS1_3repE0EEENS1_30default_config_static_selectorELNS0_4arch9wavefront6targetE1EEEvSW_.numbered_sgpr, 0
	.set _ZN7rocprim17ROCPRIM_400000_NS6detail17trampoline_kernelINS0_14default_configENS1_29binary_search_config_selectorItiEEZNS1_14transform_implILb0ES3_S5_N6thrust23THRUST_200600_302600_NS6detail15normal_iteratorINS8_7pointerItNS8_11hip_rocprim5par_tENS8_11use_defaultESE_EEEENSA_INSB_IiSD_SE_SE_EEEEZNS1_13binary_searchIS3_S5_PtSG_SI_NS1_16binary_search_opENS9_16wrapped_functionINS8_6system6detail7generic6detail18binary_search_lessEbEEEE10hipError_tPvRmT1_T2_T3_mmT4_T5_P12ihipStream_tbEUlRKtE_EEST_SX_SY_mSZ_S12_bEUlT_E_NS1_11comp_targetILNS1_3genE8ELNS1_11target_archE1030ELNS1_3gpuE2ELNS1_3repE0EEENS1_30default_config_static_selectorELNS0_4arch9wavefront6targetE1EEEvSW_.num_named_barrier, 0
	.set _ZN7rocprim17ROCPRIM_400000_NS6detail17trampoline_kernelINS0_14default_configENS1_29binary_search_config_selectorItiEEZNS1_14transform_implILb0ES3_S5_N6thrust23THRUST_200600_302600_NS6detail15normal_iteratorINS8_7pointerItNS8_11hip_rocprim5par_tENS8_11use_defaultESE_EEEENSA_INSB_IiSD_SE_SE_EEEEZNS1_13binary_searchIS3_S5_PtSG_SI_NS1_16binary_search_opENS9_16wrapped_functionINS8_6system6detail7generic6detail18binary_search_lessEbEEEE10hipError_tPvRmT1_T2_T3_mmT4_T5_P12ihipStream_tbEUlRKtE_EEST_SX_SY_mSZ_S12_bEUlT_E_NS1_11comp_targetILNS1_3genE8ELNS1_11target_archE1030ELNS1_3gpuE2ELNS1_3repE0EEENS1_30default_config_static_selectorELNS0_4arch9wavefront6targetE1EEEvSW_.private_seg_size, 0
	.set _ZN7rocprim17ROCPRIM_400000_NS6detail17trampoline_kernelINS0_14default_configENS1_29binary_search_config_selectorItiEEZNS1_14transform_implILb0ES3_S5_N6thrust23THRUST_200600_302600_NS6detail15normal_iteratorINS8_7pointerItNS8_11hip_rocprim5par_tENS8_11use_defaultESE_EEEENSA_INSB_IiSD_SE_SE_EEEEZNS1_13binary_searchIS3_S5_PtSG_SI_NS1_16binary_search_opENS9_16wrapped_functionINS8_6system6detail7generic6detail18binary_search_lessEbEEEE10hipError_tPvRmT1_T2_T3_mmT4_T5_P12ihipStream_tbEUlRKtE_EEST_SX_SY_mSZ_S12_bEUlT_E_NS1_11comp_targetILNS1_3genE8ELNS1_11target_archE1030ELNS1_3gpuE2ELNS1_3repE0EEENS1_30default_config_static_selectorELNS0_4arch9wavefront6targetE1EEEvSW_.uses_vcc, 0
	.set _ZN7rocprim17ROCPRIM_400000_NS6detail17trampoline_kernelINS0_14default_configENS1_29binary_search_config_selectorItiEEZNS1_14transform_implILb0ES3_S5_N6thrust23THRUST_200600_302600_NS6detail15normal_iteratorINS8_7pointerItNS8_11hip_rocprim5par_tENS8_11use_defaultESE_EEEENSA_INSB_IiSD_SE_SE_EEEEZNS1_13binary_searchIS3_S5_PtSG_SI_NS1_16binary_search_opENS9_16wrapped_functionINS8_6system6detail7generic6detail18binary_search_lessEbEEEE10hipError_tPvRmT1_T2_T3_mmT4_T5_P12ihipStream_tbEUlRKtE_EEST_SX_SY_mSZ_S12_bEUlT_E_NS1_11comp_targetILNS1_3genE8ELNS1_11target_archE1030ELNS1_3gpuE2ELNS1_3repE0EEENS1_30default_config_static_selectorELNS0_4arch9wavefront6targetE1EEEvSW_.uses_flat_scratch, 0
	.set _ZN7rocprim17ROCPRIM_400000_NS6detail17trampoline_kernelINS0_14default_configENS1_29binary_search_config_selectorItiEEZNS1_14transform_implILb0ES3_S5_N6thrust23THRUST_200600_302600_NS6detail15normal_iteratorINS8_7pointerItNS8_11hip_rocprim5par_tENS8_11use_defaultESE_EEEENSA_INSB_IiSD_SE_SE_EEEEZNS1_13binary_searchIS3_S5_PtSG_SI_NS1_16binary_search_opENS9_16wrapped_functionINS8_6system6detail7generic6detail18binary_search_lessEbEEEE10hipError_tPvRmT1_T2_T3_mmT4_T5_P12ihipStream_tbEUlRKtE_EEST_SX_SY_mSZ_S12_bEUlT_E_NS1_11comp_targetILNS1_3genE8ELNS1_11target_archE1030ELNS1_3gpuE2ELNS1_3repE0EEENS1_30default_config_static_selectorELNS0_4arch9wavefront6targetE1EEEvSW_.has_dyn_sized_stack, 0
	.set _ZN7rocprim17ROCPRIM_400000_NS6detail17trampoline_kernelINS0_14default_configENS1_29binary_search_config_selectorItiEEZNS1_14transform_implILb0ES3_S5_N6thrust23THRUST_200600_302600_NS6detail15normal_iteratorINS8_7pointerItNS8_11hip_rocprim5par_tENS8_11use_defaultESE_EEEENSA_INSB_IiSD_SE_SE_EEEEZNS1_13binary_searchIS3_S5_PtSG_SI_NS1_16binary_search_opENS9_16wrapped_functionINS8_6system6detail7generic6detail18binary_search_lessEbEEEE10hipError_tPvRmT1_T2_T3_mmT4_T5_P12ihipStream_tbEUlRKtE_EEST_SX_SY_mSZ_S12_bEUlT_E_NS1_11comp_targetILNS1_3genE8ELNS1_11target_archE1030ELNS1_3gpuE2ELNS1_3repE0EEENS1_30default_config_static_selectorELNS0_4arch9wavefront6targetE1EEEvSW_.has_recursion, 0
	.set _ZN7rocprim17ROCPRIM_400000_NS6detail17trampoline_kernelINS0_14default_configENS1_29binary_search_config_selectorItiEEZNS1_14transform_implILb0ES3_S5_N6thrust23THRUST_200600_302600_NS6detail15normal_iteratorINS8_7pointerItNS8_11hip_rocprim5par_tENS8_11use_defaultESE_EEEENSA_INSB_IiSD_SE_SE_EEEEZNS1_13binary_searchIS3_S5_PtSG_SI_NS1_16binary_search_opENS9_16wrapped_functionINS8_6system6detail7generic6detail18binary_search_lessEbEEEE10hipError_tPvRmT1_T2_T3_mmT4_T5_P12ihipStream_tbEUlRKtE_EEST_SX_SY_mSZ_S12_bEUlT_E_NS1_11comp_targetILNS1_3genE8ELNS1_11target_archE1030ELNS1_3gpuE2ELNS1_3repE0EEENS1_30default_config_static_selectorELNS0_4arch9wavefront6targetE1EEEvSW_.has_indirect_call, 0
	.section	.AMDGPU.csdata,"",@progbits
; Kernel info:
; codeLenInByte = 0
; TotalNumSgprs: 4
; NumVgprs: 0
; ScratchSize: 0
; MemoryBound: 0
; FloatMode: 240
; IeeeMode: 1
; LDSByteSize: 0 bytes/workgroup (compile time only)
; SGPRBlocks: 0
; VGPRBlocks: 0
; NumSGPRsForWavesPerEU: 4
; NumVGPRsForWavesPerEU: 1
; Occupancy: 10
; WaveLimiterHint : 0
; COMPUTE_PGM_RSRC2:SCRATCH_EN: 0
; COMPUTE_PGM_RSRC2:USER_SGPR: 6
; COMPUTE_PGM_RSRC2:TRAP_HANDLER: 0
; COMPUTE_PGM_RSRC2:TGID_X_EN: 1
; COMPUTE_PGM_RSRC2:TGID_Y_EN: 0
; COMPUTE_PGM_RSRC2:TGID_Z_EN: 0
; COMPUTE_PGM_RSRC2:TIDIG_COMP_CNT: 0
	.section	.text._Z20binary_search_kernelIxEvmPT_Pb,"axG",@progbits,_Z20binary_search_kernelIxEvmPT_Pb,comdat
	.protected	_Z20binary_search_kernelIxEvmPT_Pb ; -- Begin function _Z20binary_search_kernelIxEvmPT_Pb
	.globl	_Z20binary_search_kernelIxEvmPT_Pb
	.p2align	8
	.type	_Z20binary_search_kernelIxEvmPT_Pb,@function
_Z20binary_search_kernelIxEvmPT_Pb:     ; @_Z20binary_search_kernelIxEvmPT_Pb
; %bb.0:
	s_load_dwordx4 s[8:11], s[4:5], 0x0
	s_load_dwordx2 s[2:3], s[4:5], 0x10
	s_waitcnt lgkmcnt(0)
	s_lshl_b64 s[0:1], s[8:9], 3
	s_add_u32 s0, s10, s0
	s_addc_u32 s1, s11, s1
	s_sub_u32 s0, s0, s10
	s_subb_u32 s1, s1, s11
	s_ashr_i64 s[4:5], s[0:1], 3
	v_cmp_lt_i64_e64 s[6:7], s[4:5], 1
	s_mov_b64 s[0:1], 0
	s_and_b64 vcc, exec, s[6:7]
	s_cbranch_vccnz .LBB292_3
; %bb.1:
	s_mov_b64 s[6:7], s[4:5]
.LBB292_2:                              ; =>This Inner Loop Header: Depth=1
	s_sub_u32 s12, s6, s0
	s_subb_u32 s13, s7, s1
	s_lshr_b64 s[12:13], s[12:13], 1
	s_add_u32 s12, s12, s0
	s_addc_u32 s13, s13, s1
	s_lshl_b64 s[14:15], s[12:13], 3
	s_add_u32 s14, s10, s14
	s_addc_u32 s15, s11, s15
	s_load_dwordx2 s[14:15], s[14:15], 0x0
	s_add_u32 s16, s12, 1
	s_addc_u32 s17, s13, 0
	s_waitcnt lgkmcnt(0)
	v_cmp_lt_i64_e64 s[14:15], s[14:15], 0
	s_and_b64 s[14:15], s[14:15], exec
	s_cselect_b32 s6, s6, s12
	s_cselect_b32 s7, s7, s13
	v_mov_b32_e32 v0, s6
	s_cselect_b32 s1, s17, s1
	s_cselect_b32 s0, s16, s0
	v_mov_b32_e32 v1, s7
	v_cmp_lt_i64_e32 vcc, s[0:1], v[0:1]
	s_cbranch_vccnz .LBB292_2
.LBB292_3:
	v_cmp_gt_i64_e64 s[12:13], s[4:5], 0
	s_mov_b64 s[6:7], 0
	s_cmp_eq_u64 s[0:1], s[8:9]
	s_mov_b64 s[14:15], 0
	s_cbranch_scc1 .LBB292_5
; %bb.4:
	s_lshl_b64 s[0:1], s[0:1], 3
	s_add_u32 s0, s10, s0
	s_addc_u32 s1, s11, s1
	s_load_dwordx2 s[0:1], s[0:1], 0x0
	s_waitcnt lgkmcnt(0)
	v_cmp_lt_i64_e64 s[14:15], s[0:1], 1
.LBB292_5:
	v_cndmask_b32_e64 v2, 0, 1, s[12:13]
	v_mov_b32_e32 v0, 0
	v_cndmask_b32_e64 v1, 0, 1, s[14:15]
	v_cmp_ne_u32_e64 s[0:1], 1, v2
	s_andn2_b64 vcc, exec, s[12:13]
	global_store_byte v0, v1, s[2:3]
	s_cbranch_vccnz .LBB292_8
; %bb.6:
	s_mov_b64 s[12:13], s[4:5]
.LBB292_7:                              ; =>This Inner Loop Header: Depth=1
	s_sub_u32 s14, s12, s6
	s_subb_u32 s15, s13, s7
	s_lshr_b64 s[14:15], s[14:15], 1
	s_add_u32 s14, s14, s6
	s_addc_u32 s15, s15, s7
	s_lshl_b64 s[16:17], s[14:15], 3
	s_add_u32 s16, s10, s16
	s_addc_u32 s17, s11, s17
	s_load_dwordx2 s[16:17], s[16:17], 0x0
	s_add_u32 s18, s14, 1
	s_addc_u32 s19, s15, 0
	s_waitcnt lgkmcnt(0)
	v_cmp_lt_i64_e64 s[16:17], s[16:17], 1
	s_and_b64 s[16:17], s[16:17], exec
	s_cselect_b32 s12, s12, s14
	s_cselect_b32 s13, s13, s15
	v_mov_b32_e32 v0, s12
	s_cselect_b32 s7, s19, s7
	s_cselect_b32 s6, s18, s6
	v_mov_b32_e32 v1, s13
	v_cmp_lt_i64_e32 vcc, s[6:7], v[0:1]
	s_cbranch_vccnz .LBB292_7
.LBB292_8:
	s_mov_b64 s[12:13], 0
	s_cmp_eq_u64 s[6:7], s[8:9]
	s_mov_b64 s[14:15], 0
	s_cbranch_scc1 .LBB292_10
; %bb.9:
	s_lshl_b64 s[6:7], s[6:7], 3
	s_add_u32 s6, s10, s6
	s_addc_u32 s7, s11, s7
	s_load_dwordx2 s[6:7], s[6:7], 0x0
	s_waitcnt lgkmcnt(0)
	v_cmp_lt_i64_e64 s[14:15], s[6:7], 2
.LBB292_10:
	v_mov_b32_e32 v0, 0
	v_cndmask_b32_e64 v1, 0, 1, s[14:15]
	s_and_b64 vcc, exec, s[0:1]
	global_store_byte v0, v1, s[2:3] offset:1
	s_cbranch_vccnz .LBB292_13
; %bb.11:
	s_mov_b64 s[6:7], s[4:5]
.LBB292_12:                             ; =>This Inner Loop Header: Depth=1
	s_sub_u32 s14, s6, s12
	s_subb_u32 s15, s7, s13
	s_lshr_b64 s[14:15], s[14:15], 1
	s_add_u32 s14, s14, s12
	s_addc_u32 s15, s15, s13
	s_lshl_b64 s[16:17], s[14:15], 3
	s_add_u32 s16, s10, s16
	s_addc_u32 s17, s11, s17
	s_load_dwordx2 s[16:17], s[16:17], 0x0
	s_add_u32 s18, s14, 1
	s_addc_u32 s19, s15, 0
	s_waitcnt lgkmcnt(0)
	v_cmp_lt_i64_e64 s[16:17], s[16:17], 2
	s_and_b64 s[16:17], s[16:17], exec
	s_cselect_b32 s6, s6, s14
	s_cselect_b32 s7, s7, s15
	v_mov_b32_e32 v0, s6
	s_cselect_b32 s13, s19, s13
	s_cselect_b32 s12, s18, s12
	v_mov_b32_e32 v1, s7
	v_cmp_lt_i64_e32 vcc, s[12:13], v[0:1]
	s_cbranch_vccnz .LBB292_12
.LBB292_13:
	s_mov_b64 s[6:7], 0
	s_cmp_eq_u64 s[12:13], s[8:9]
	s_mov_b64 s[14:15], 0
	s_cbranch_scc1 .LBB292_15
; %bb.14:
	s_lshl_b64 s[12:13], s[12:13], 3
	s_add_u32 s12, s10, s12
	s_addc_u32 s13, s11, s13
	s_load_dwordx2 s[12:13], s[12:13], 0x0
	s_waitcnt lgkmcnt(0)
	v_cmp_lt_i64_e64 s[14:15], s[12:13], 3
.LBB292_15:
	v_mov_b32_e32 v0, 0
	v_cndmask_b32_e64 v1, 0, 1, s[14:15]
	s_and_b64 vcc, exec, s[0:1]
	global_store_byte v0, v1, s[2:3] offset:2
	s_cbranch_vccnz .LBB292_18
; %bb.16:
	s_mov_b64 s[12:13], s[4:5]
.LBB292_17:                             ; =>This Inner Loop Header: Depth=1
	s_sub_u32 s14, s12, s6
	s_subb_u32 s15, s13, s7
	s_lshr_b64 s[14:15], s[14:15], 1
	s_add_u32 s14, s14, s6
	s_addc_u32 s15, s15, s7
	s_lshl_b64 s[16:17], s[14:15], 3
	s_add_u32 s16, s10, s16
	s_addc_u32 s17, s11, s17
	s_load_dwordx2 s[16:17], s[16:17], 0x0
	s_add_u32 s18, s14, 1
	s_addc_u32 s19, s15, 0
	s_waitcnt lgkmcnt(0)
	v_cmp_lt_i64_e64 s[16:17], s[16:17], 3
	s_and_b64 s[16:17], s[16:17], exec
	s_cselect_b32 s12, s12, s14
	s_cselect_b32 s13, s13, s15
	v_mov_b32_e32 v0, s12
	s_cselect_b32 s7, s19, s7
	s_cselect_b32 s6, s18, s6
	v_mov_b32_e32 v1, s13
	v_cmp_lt_i64_e32 vcc, s[6:7], v[0:1]
	s_cbranch_vccnz .LBB292_17
.LBB292_18:
	;; [unrolled: 43-line block ×7, first 2 shown]
	s_mov_b64 s[6:7], 0
	s_cmp_eq_u64 s[12:13], s[8:9]
	s_mov_b64 s[14:15], 0
	s_cbranch_scc1 .LBB292_45
; %bb.44:
	s_lshl_b64 s[12:13], s[12:13], 3
	s_add_u32 s12, s10, s12
	s_addc_u32 s13, s11, s13
	s_load_dwordx2 s[12:13], s[12:13], 0x0
	s_waitcnt lgkmcnt(0)
	v_cmp_lt_i64_e64 s[14:15], s[12:13], 9
.LBB292_45:
	v_mov_b32_e32 v0, 0
	v_cndmask_b32_e64 v1, 0, 1, s[14:15]
	s_and_b64 vcc, exec, s[0:1]
	global_store_byte v0, v1, s[2:3] offset:8
	s_cbranch_vccnz .LBB292_47
.LBB292_46:                             ; =>This Inner Loop Header: Depth=1
	s_sub_u32 s0, s4, s6
	s_subb_u32 s1, s5, s7
	s_lshr_b64 s[0:1], s[0:1], 1
	s_add_u32 s0, s0, s6
	s_addc_u32 s1, s1, s7
	s_lshl_b64 s[12:13], s[0:1], 3
	s_add_u32 s12, s10, s12
	s_addc_u32 s13, s11, s13
	s_load_dwordx2 s[12:13], s[12:13], 0x0
	s_add_u32 s14, s0, 1
	s_addc_u32 s15, s1, 0
	s_waitcnt lgkmcnt(0)
	v_cmp_lt_i64_e64 s[12:13], s[12:13], 9
	s_and_b64 s[12:13], s[12:13], exec
	s_cselect_b32 s4, s4, s0
	s_cselect_b32 s5, s5, s1
	v_mov_b32_e32 v0, s4
	s_cselect_b32 s7, s15, s7
	s_cselect_b32 s6, s14, s6
	v_mov_b32_e32 v1, s5
	v_cmp_lt_i64_e32 vcc, s[6:7], v[0:1]
	s_cbranch_vccnz .LBB292_46
.LBB292_47:
	s_cmp_eq_u64 s[6:7], s[8:9]
	s_mov_b64 s[0:1], 0
	s_cbranch_scc1 .LBB292_49
; %bb.48:
	s_lshl_b64 s[0:1], s[6:7], 3
	s_add_u32 s0, s10, s0
	s_addc_u32 s1, s11, s1
	s_load_dwordx2 s[0:1], s[0:1], 0x0
	s_waitcnt lgkmcnt(0)
	v_cmp_lt_i64_e64 s[0:1], s[0:1], 10
.LBB292_49:
	v_mov_b32_e32 v0, 0
	v_cndmask_b32_e64 v1, 0, 1, s[0:1]
	global_store_byte v0, v1, s[2:3] offset:9
	s_endpgm
	.section	.rodata,"a",@progbits
	.p2align	6, 0x0
	.amdhsa_kernel _Z20binary_search_kernelIxEvmPT_Pb
		.amdhsa_group_segment_fixed_size 0
		.amdhsa_private_segment_fixed_size 0
		.amdhsa_kernarg_size 24
		.amdhsa_user_sgpr_count 6
		.amdhsa_user_sgpr_private_segment_buffer 1
		.amdhsa_user_sgpr_dispatch_ptr 0
		.amdhsa_user_sgpr_queue_ptr 0
		.amdhsa_user_sgpr_kernarg_segment_ptr 1
		.amdhsa_user_sgpr_dispatch_id 0
		.amdhsa_user_sgpr_flat_scratch_init 0
		.amdhsa_user_sgpr_private_segment_size 0
		.amdhsa_uses_dynamic_stack 0
		.amdhsa_system_sgpr_private_segment_wavefront_offset 0
		.amdhsa_system_sgpr_workgroup_id_x 1
		.amdhsa_system_sgpr_workgroup_id_y 0
		.amdhsa_system_sgpr_workgroup_id_z 0
		.amdhsa_system_sgpr_workgroup_info 0
		.amdhsa_system_vgpr_workitem_id 0
		.amdhsa_next_free_vgpr 3
		.amdhsa_next_free_sgpr 20
		.amdhsa_reserve_vcc 1
		.amdhsa_reserve_flat_scratch 0
		.amdhsa_float_round_mode_32 0
		.amdhsa_float_round_mode_16_64 0
		.amdhsa_float_denorm_mode_32 3
		.amdhsa_float_denorm_mode_16_64 3
		.amdhsa_dx10_clamp 1
		.amdhsa_ieee_mode 1
		.amdhsa_fp16_overflow 0
		.amdhsa_exception_fp_ieee_invalid_op 0
		.amdhsa_exception_fp_denorm_src 0
		.amdhsa_exception_fp_ieee_div_zero 0
		.amdhsa_exception_fp_ieee_overflow 0
		.amdhsa_exception_fp_ieee_underflow 0
		.amdhsa_exception_fp_ieee_inexact 0
		.amdhsa_exception_int_div_zero 0
	.end_amdhsa_kernel
	.section	.text._Z20binary_search_kernelIxEvmPT_Pb,"axG",@progbits,_Z20binary_search_kernelIxEvmPT_Pb,comdat
.Lfunc_end292:
	.size	_Z20binary_search_kernelIxEvmPT_Pb, .Lfunc_end292-_Z20binary_search_kernelIxEvmPT_Pb
                                        ; -- End function
	.set _Z20binary_search_kernelIxEvmPT_Pb.num_vgpr, 3
	.set _Z20binary_search_kernelIxEvmPT_Pb.num_agpr, 0
	.set _Z20binary_search_kernelIxEvmPT_Pb.numbered_sgpr, 20
	.set _Z20binary_search_kernelIxEvmPT_Pb.num_named_barrier, 0
	.set _Z20binary_search_kernelIxEvmPT_Pb.private_seg_size, 0
	.set _Z20binary_search_kernelIxEvmPT_Pb.uses_vcc, 1
	.set _Z20binary_search_kernelIxEvmPT_Pb.uses_flat_scratch, 0
	.set _Z20binary_search_kernelIxEvmPT_Pb.has_dyn_sized_stack, 0
	.set _Z20binary_search_kernelIxEvmPT_Pb.has_recursion, 0
	.set _Z20binary_search_kernelIxEvmPT_Pb.has_indirect_call, 0
	.section	.AMDGPU.csdata,"",@progbits
; Kernel info:
; codeLenInByte = 1836
; TotalNumSgprs: 24
; NumVgprs: 3
; ScratchSize: 0
; MemoryBound: 0
; FloatMode: 240
; IeeeMode: 1
; LDSByteSize: 0 bytes/workgroup (compile time only)
; SGPRBlocks: 2
; VGPRBlocks: 0
; NumSGPRsForWavesPerEU: 24
; NumVGPRsForWavesPerEU: 3
; Occupancy: 10
; WaveLimiterHint : 0
; COMPUTE_PGM_RSRC2:SCRATCH_EN: 0
; COMPUTE_PGM_RSRC2:USER_SGPR: 6
; COMPUTE_PGM_RSRC2:TRAP_HANDLER: 0
; COMPUTE_PGM_RSRC2:TGID_X_EN: 1
; COMPUTE_PGM_RSRC2:TGID_Y_EN: 0
; COMPUTE_PGM_RSRC2:TGID_Z_EN: 0
; COMPUTE_PGM_RSRC2:TIDIG_COMP_CNT: 0
	.section	.text._ZN7rocprim17ROCPRIM_400000_NS6detail17trampoline_kernelINS0_14default_configENS1_29binary_search_config_selectorIxiEEZNS1_14transform_implILb0ES3_S5_N6thrust23THRUST_200600_302600_NS6detail15normal_iteratorINS8_7pointerIxNS8_11hip_rocprim5par_tENS8_11use_defaultESE_EEEENSA_INSB_IiSD_SE_SE_EEEEZNS1_13binary_searchIS3_S5_PxSG_SI_NS1_16binary_search_opENS9_16wrapped_functionINS8_6system6detail7generic6detail18binary_search_lessEbEEEE10hipError_tPvRmT1_T2_T3_mmT4_T5_P12ihipStream_tbEUlRKxE_EEST_SX_SY_mSZ_S12_bEUlT_E_NS1_11comp_targetILNS1_3genE0ELNS1_11target_archE4294967295ELNS1_3gpuE0ELNS1_3repE0EEENS1_30default_config_static_selectorELNS0_4arch9wavefront6targetE1EEEvSW_,"axG",@progbits,_ZN7rocprim17ROCPRIM_400000_NS6detail17trampoline_kernelINS0_14default_configENS1_29binary_search_config_selectorIxiEEZNS1_14transform_implILb0ES3_S5_N6thrust23THRUST_200600_302600_NS6detail15normal_iteratorINS8_7pointerIxNS8_11hip_rocprim5par_tENS8_11use_defaultESE_EEEENSA_INSB_IiSD_SE_SE_EEEEZNS1_13binary_searchIS3_S5_PxSG_SI_NS1_16binary_search_opENS9_16wrapped_functionINS8_6system6detail7generic6detail18binary_search_lessEbEEEE10hipError_tPvRmT1_T2_T3_mmT4_T5_P12ihipStream_tbEUlRKxE_EEST_SX_SY_mSZ_S12_bEUlT_E_NS1_11comp_targetILNS1_3genE0ELNS1_11target_archE4294967295ELNS1_3gpuE0ELNS1_3repE0EEENS1_30default_config_static_selectorELNS0_4arch9wavefront6targetE1EEEvSW_,comdat
	.protected	_ZN7rocprim17ROCPRIM_400000_NS6detail17trampoline_kernelINS0_14default_configENS1_29binary_search_config_selectorIxiEEZNS1_14transform_implILb0ES3_S5_N6thrust23THRUST_200600_302600_NS6detail15normal_iteratorINS8_7pointerIxNS8_11hip_rocprim5par_tENS8_11use_defaultESE_EEEENSA_INSB_IiSD_SE_SE_EEEEZNS1_13binary_searchIS3_S5_PxSG_SI_NS1_16binary_search_opENS9_16wrapped_functionINS8_6system6detail7generic6detail18binary_search_lessEbEEEE10hipError_tPvRmT1_T2_T3_mmT4_T5_P12ihipStream_tbEUlRKxE_EEST_SX_SY_mSZ_S12_bEUlT_E_NS1_11comp_targetILNS1_3genE0ELNS1_11target_archE4294967295ELNS1_3gpuE0ELNS1_3repE0EEENS1_30default_config_static_selectorELNS0_4arch9wavefront6targetE1EEEvSW_ ; -- Begin function _ZN7rocprim17ROCPRIM_400000_NS6detail17trampoline_kernelINS0_14default_configENS1_29binary_search_config_selectorIxiEEZNS1_14transform_implILb0ES3_S5_N6thrust23THRUST_200600_302600_NS6detail15normal_iteratorINS8_7pointerIxNS8_11hip_rocprim5par_tENS8_11use_defaultESE_EEEENSA_INSB_IiSD_SE_SE_EEEEZNS1_13binary_searchIS3_S5_PxSG_SI_NS1_16binary_search_opENS9_16wrapped_functionINS8_6system6detail7generic6detail18binary_search_lessEbEEEE10hipError_tPvRmT1_T2_T3_mmT4_T5_P12ihipStream_tbEUlRKxE_EEST_SX_SY_mSZ_S12_bEUlT_E_NS1_11comp_targetILNS1_3genE0ELNS1_11target_archE4294967295ELNS1_3gpuE0ELNS1_3repE0EEENS1_30default_config_static_selectorELNS0_4arch9wavefront6targetE1EEEvSW_
	.globl	_ZN7rocprim17ROCPRIM_400000_NS6detail17trampoline_kernelINS0_14default_configENS1_29binary_search_config_selectorIxiEEZNS1_14transform_implILb0ES3_S5_N6thrust23THRUST_200600_302600_NS6detail15normal_iteratorINS8_7pointerIxNS8_11hip_rocprim5par_tENS8_11use_defaultESE_EEEENSA_INSB_IiSD_SE_SE_EEEEZNS1_13binary_searchIS3_S5_PxSG_SI_NS1_16binary_search_opENS9_16wrapped_functionINS8_6system6detail7generic6detail18binary_search_lessEbEEEE10hipError_tPvRmT1_T2_T3_mmT4_T5_P12ihipStream_tbEUlRKxE_EEST_SX_SY_mSZ_S12_bEUlT_E_NS1_11comp_targetILNS1_3genE0ELNS1_11target_archE4294967295ELNS1_3gpuE0ELNS1_3repE0EEENS1_30default_config_static_selectorELNS0_4arch9wavefront6targetE1EEEvSW_
	.p2align	8
	.type	_ZN7rocprim17ROCPRIM_400000_NS6detail17trampoline_kernelINS0_14default_configENS1_29binary_search_config_selectorIxiEEZNS1_14transform_implILb0ES3_S5_N6thrust23THRUST_200600_302600_NS6detail15normal_iteratorINS8_7pointerIxNS8_11hip_rocprim5par_tENS8_11use_defaultESE_EEEENSA_INSB_IiSD_SE_SE_EEEEZNS1_13binary_searchIS3_S5_PxSG_SI_NS1_16binary_search_opENS9_16wrapped_functionINS8_6system6detail7generic6detail18binary_search_lessEbEEEE10hipError_tPvRmT1_T2_T3_mmT4_T5_P12ihipStream_tbEUlRKxE_EEST_SX_SY_mSZ_S12_bEUlT_E_NS1_11comp_targetILNS1_3genE0ELNS1_11target_archE4294967295ELNS1_3gpuE0ELNS1_3repE0EEENS1_30default_config_static_selectorELNS0_4arch9wavefront6targetE1EEEvSW_,@function
_ZN7rocprim17ROCPRIM_400000_NS6detail17trampoline_kernelINS0_14default_configENS1_29binary_search_config_selectorIxiEEZNS1_14transform_implILb0ES3_S5_N6thrust23THRUST_200600_302600_NS6detail15normal_iteratorINS8_7pointerIxNS8_11hip_rocprim5par_tENS8_11use_defaultESE_EEEENSA_INSB_IiSD_SE_SE_EEEEZNS1_13binary_searchIS3_S5_PxSG_SI_NS1_16binary_search_opENS9_16wrapped_functionINS8_6system6detail7generic6detail18binary_search_lessEbEEEE10hipError_tPvRmT1_T2_T3_mmT4_T5_P12ihipStream_tbEUlRKxE_EEST_SX_SY_mSZ_S12_bEUlT_E_NS1_11comp_targetILNS1_3genE0ELNS1_11target_archE4294967295ELNS1_3gpuE0ELNS1_3repE0EEENS1_30default_config_static_selectorELNS0_4arch9wavefront6targetE1EEEvSW_: ; @_ZN7rocprim17ROCPRIM_400000_NS6detail17trampoline_kernelINS0_14default_configENS1_29binary_search_config_selectorIxiEEZNS1_14transform_implILb0ES3_S5_N6thrust23THRUST_200600_302600_NS6detail15normal_iteratorINS8_7pointerIxNS8_11hip_rocprim5par_tENS8_11use_defaultESE_EEEENSA_INSB_IiSD_SE_SE_EEEEZNS1_13binary_searchIS3_S5_PxSG_SI_NS1_16binary_search_opENS9_16wrapped_functionINS8_6system6detail7generic6detail18binary_search_lessEbEEEE10hipError_tPvRmT1_T2_T3_mmT4_T5_P12ihipStream_tbEUlRKxE_EEST_SX_SY_mSZ_S12_bEUlT_E_NS1_11comp_targetILNS1_3genE0ELNS1_11target_archE4294967295ELNS1_3gpuE0ELNS1_3repE0EEENS1_30default_config_static_selectorELNS0_4arch9wavefront6targetE1EEEvSW_
; %bb.0:
	.section	.rodata,"a",@progbits
	.p2align	6, 0x0
	.amdhsa_kernel _ZN7rocprim17ROCPRIM_400000_NS6detail17trampoline_kernelINS0_14default_configENS1_29binary_search_config_selectorIxiEEZNS1_14transform_implILb0ES3_S5_N6thrust23THRUST_200600_302600_NS6detail15normal_iteratorINS8_7pointerIxNS8_11hip_rocprim5par_tENS8_11use_defaultESE_EEEENSA_INSB_IiSD_SE_SE_EEEEZNS1_13binary_searchIS3_S5_PxSG_SI_NS1_16binary_search_opENS9_16wrapped_functionINS8_6system6detail7generic6detail18binary_search_lessEbEEEE10hipError_tPvRmT1_T2_T3_mmT4_T5_P12ihipStream_tbEUlRKxE_EEST_SX_SY_mSZ_S12_bEUlT_E_NS1_11comp_targetILNS1_3genE0ELNS1_11target_archE4294967295ELNS1_3gpuE0ELNS1_3repE0EEENS1_30default_config_static_selectorELNS0_4arch9wavefront6targetE1EEEvSW_
		.amdhsa_group_segment_fixed_size 0
		.amdhsa_private_segment_fixed_size 0
		.amdhsa_kernarg_size 56
		.amdhsa_user_sgpr_count 6
		.amdhsa_user_sgpr_private_segment_buffer 1
		.amdhsa_user_sgpr_dispatch_ptr 0
		.amdhsa_user_sgpr_queue_ptr 0
		.amdhsa_user_sgpr_kernarg_segment_ptr 1
		.amdhsa_user_sgpr_dispatch_id 0
		.amdhsa_user_sgpr_flat_scratch_init 0
		.amdhsa_user_sgpr_private_segment_size 0
		.amdhsa_uses_dynamic_stack 0
		.amdhsa_system_sgpr_private_segment_wavefront_offset 0
		.amdhsa_system_sgpr_workgroup_id_x 1
		.amdhsa_system_sgpr_workgroup_id_y 0
		.amdhsa_system_sgpr_workgroup_id_z 0
		.amdhsa_system_sgpr_workgroup_info 0
		.amdhsa_system_vgpr_workitem_id 0
		.amdhsa_next_free_vgpr 1
		.amdhsa_next_free_sgpr 0
		.amdhsa_reserve_vcc 0
		.amdhsa_reserve_flat_scratch 0
		.amdhsa_float_round_mode_32 0
		.amdhsa_float_round_mode_16_64 0
		.amdhsa_float_denorm_mode_32 3
		.amdhsa_float_denorm_mode_16_64 3
		.amdhsa_dx10_clamp 1
		.amdhsa_ieee_mode 1
		.amdhsa_fp16_overflow 0
		.amdhsa_exception_fp_ieee_invalid_op 0
		.amdhsa_exception_fp_denorm_src 0
		.amdhsa_exception_fp_ieee_div_zero 0
		.amdhsa_exception_fp_ieee_overflow 0
		.amdhsa_exception_fp_ieee_underflow 0
		.amdhsa_exception_fp_ieee_inexact 0
		.amdhsa_exception_int_div_zero 0
	.end_amdhsa_kernel
	.section	.text._ZN7rocprim17ROCPRIM_400000_NS6detail17trampoline_kernelINS0_14default_configENS1_29binary_search_config_selectorIxiEEZNS1_14transform_implILb0ES3_S5_N6thrust23THRUST_200600_302600_NS6detail15normal_iteratorINS8_7pointerIxNS8_11hip_rocprim5par_tENS8_11use_defaultESE_EEEENSA_INSB_IiSD_SE_SE_EEEEZNS1_13binary_searchIS3_S5_PxSG_SI_NS1_16binary_search_opENS9_16wrapped_functionINS8_6system6detail7generic6detail18binary_search_lessEbEEEE10hipError_tPvRmT1_T2_T3_mmT4_T5_P12ihipStream_tbEUlRKxE_EEST_SX_SY_mSZ_S12_bEUlT_E_NS1_11comp_targetILNS1_3genE0ELNS1_11target_archE4294967295ELNS1_3gpuE0ELNS1_3repE0EEENS1_30default_config_static_selectorELNS0_4arch9wavefront6targetE1EEEvSW_,"axG",@progbits,_ZN7rocprim17ROCPRIM_400000_NS6detail17trampoline_kernelINS0_14default_configENS1_29binary_search_config_selectorIxiEEZNS1_14transform_implILb0ES3_S5_N6thrust23THRUST_200600_302600_NS6detail15normal_iteratorINS8_7pointerIxNS8_11hip_rocprim5par_tENS8_11use_defaultESE_EEEENSA_INSB_IiSD_SE_SE_EEEEZNS1_13binary_searchIS3_S5_PxSG_SI_NS1_16binary_search_opENS9_16wrapped_functionINS8_6system6detail7generic6detail18binary_search_lessEbEEEE10hipError_tPvRmT1_T2_T3_mmT4_T5_P12ihipStream_tbEUlRKxE_EEST_SX_SY_mSZ_S12_bEUlT_E_NS1_11comp_targetILNS1_3genE0ELNS1_11target_archE4294967295ELNS1_3gpuE0ELNS1_3repE0EEENS1_30default_config_static_selectorELNS0_4arch9wavefront6targetE1EEEvSW_,comdat
.Lfunc_end293:
	.size	_ZN7rocprim17ROCPRIM_400000_NS6detail17trampoline_kernelINS0_14default_configENS1_29binary_search_config_selectorIxiEEZNS1_14transform_implILb0ES3_S5_N6thrust23THRUST_200600_302600_NS6detail15normal_iteratorINS8_7pointerIxNS8_11hip_rocprim5par_tENS8_11use_defaultESE_EEEENSA_INSB_IiSD_SE_SE_EEEEZNS1_13binary_searchIS3_S5_PxSG_SI_NS1_16binary_search_opENS9_16wrapped_functionINS8_6system6detail7generic6detail18binary_search_lessEbEEEE10hipError_tPvRmT1_T2_T3_mmT4_T5_P12ihipStream_tbEUlRKxE_EEST_SX_SY_mSZ_S12_bEUlT_E_NS1_11comp_targetILNS1_3genE0ELNS1_11target_archE4294967295ELNS1_3gpuE0ELNS1_3repE0EEENS1_30default_config_static_selectorELNS0_4arch9wavefront6targetE1EEEvSW_, .Lfunc_end293-_ZN7rocprim17ROCPRIM_400000_NS6detail17trampoline_kernelINS0_14default_configENS1_29binary_search_config_selectorIxiEEZNS1_14transform_implILb0ES3_S5_N6thrust23THRUST_200600_302600_NS6detail15normal_iteratorINS8_7pointerIxNS8_11hip_rocprim5par_tENS8_11use_defaultESE_EEEENSA_INSB_IiSD_SE_SE_EEEEZNS1_13binary_searchIS3_S5_PxSG_SI_NS1_16binary_search_opENS9_16wrapped_functionINS8_6system6detail7generic6detail18binary_search_lessEbEEEE10hipError_tPvRmT1_T2_T3_mmT4_T5_P12ihipStream_tbEUlRKxE_EEST_SX_SY_mSZ_S12_bEUlT_E_NS1_11comp_targetILNS1_3genE0ELNS1_11target_archE4294967295ELNS1_3gpuE0ELNS1_3repE0EEENS1_30default_config_static_selectorELNS0_4arch9wavefront6targetE1EEEvSW_
                                        ; -- End function
	.set _ZN7rocprim17ROCPRIM_400000_NS6detail17trampoline_kernelINS0_14default_configENS1_29binary_search_config_selectorIxiEEZNS1_14transform_implILb0ES3_S5_N6thrust23THRUST_200600_302600_NS6detail15normal_iteratorINS8_7pointerIxNS8_11hip_rocprim5par_tENS8_11use_defaultESE_EEEENSA_INSB_IiSD_SE_SE_EEEEZNS1_13binary_searchIS3_S5_PxSG_SI_NS1_16binary_search_opENS9_16wrapped_functionINS8_6system6detail7generic6detail18binary_search_lessEbEEEE10hipError_tPvRmT1_T2_T3_mmT4_T5_P12ihipStream_tbEUlRKxE_EEST_SX_SY_mSZ_S12_bEUlT_E_NS1_11comp_targetILNS1_3genE0ELNS1_11target_archE4294967295ELNS1_3gpuE0ELNS1_3repE0EEENS1_30default_config_static_selectorELNS0_4arch9wavefront6targetE1EEEvSW_.num_vgpr, 0
	.set _ZN7rocprim17ROCPRIM_400000_NS6detail17trampoline_kernelINS0_14default_configENS1_29binary_search_config_selectorIxiEEZNS1_14transform_implILb0ES3_S5_N6thrust23THRUST_200600_302600_NS6detail15normal_iteratorINS8_7pointerIxNS8_11hip_rocprim5par_tENS8_11use_defaultESE_EEEENSA_INSB_IiSD_SE_SE_EEEEZNS1_13binary_searchIS3_S5_PxSG_SI_NS1_16binary_search_opENS9_16wrapped_functionINS8_6system6detail7generic6detail18binary_search_lessEbEEEE10hipError_tPvRmT1_T2_T3_mmT4_T5_P12ihipStream_tbEUlRKxE_EEST_SX_SY_mSZ_S12_bEUlT_E_NS1_11comp_targetILNS1_3genE0ELNS1_11target_archE4294967295ELNS1_3gpuE0ELNS1_3repE0EEENS1_30default_config_static_selectorELNS0_4arch9wavefront6targetE1EEEvSW_.num_agpr, 0
	.set _ZN7rocprim17ROCPRIM_400000_NS6detail17trampoline_kernelINS0_14default_configENS1_29binary_search_config_selectorIxiEEZNS1_14transform_implILb0ES3_S5_N6thrust23THRUST_200600_302600_NS6detail15normal_iteratorINS8_7pointerIxNS8_11hip_rocprim5par_tENS8_11use_defaultESE_EEEENSA_INSB_IiSD_SE_SE_EEEEZNS1_13binary_searchIS3_S5_PxSG_SI_NS1_16binary_search_opENS9_16wrapped_functionINS8_6system6detail7generic6detail18binary_search_lessEbEEEE10hipError_tPvRmT1_T2_T3_mmT4_T5_P12ihipStream_tbEUlRKxE_EEST_SX_SY_mSZ_S12_bEUlT_E_NS1_11comp_targetILNS1_3genE0ELNS1_11target_archE4294967295ELNS1_3gpuE0ELNS1_3repE0EEENS1_30default_config_static_selectorELNS0_4arch9wavefront6targetE1EEEvSW_.numbered_sgpr, 0
	.set _ZN7rocprim17ROCPRIM_400000_NS6detail17trampoline_kernelINS0_14default_configENS1_29binary_search_config_selectorIxiEEZNS1_14transform_implILb0ES3_S5_N6thrust23THRUST_200600_302600_NS6detail15normal_iteratorINS8_7pointerIxNS8_11hip_rocprim5par_tENS8_11use_defaultESE_EEEENSA_INSB_IiSD_SE_SE_EEEEZNS1_13binary_searchIS3_S5_PxSG_SI_NS1_16binary_search_opENS9_16wrapped_functionINS8_6system6detail7generic6detail18binary_search_lessEbEEEE10hipError_tPvRmT1_T2_T3_mmT4_T5_P12ihipStream_tbEUlRKxE_EEST_SX_SY_mSZ_S12_bEUlT_E_NS1_11comp_targetILNS1_3genE0ELNS1_11target_archE4294967295ELNS1_3gpuE0ELNS1_3repE0EEENS1_30default_config_static_selectorELNS0_4arch9wavefront6targetE1EEEvSW_.num_named_barrier, 0
	.set _ZN7rocprim17ROCPRIM_400000_NS6detail17trampoline_kernelINS0_14default_configENS1_29binary_search_config_selectorIxiEEZNS1_14transform_implILb0ES3_S5_N6thrust23THRUST_200600_302600_NS6detail15normal_iteratorINS8_7pointerIxNS8_11hip_rocprim5par_tENS8_11use_defaultESE_EEEENSA_INSB_IiSD_SE_SE_EEEEZNS1_13binary_searchIS3_S5_PxSG_SI_NS1_16binary_search_opENS9_16wrapped_functionINS8_6system6detail7generic6detail18binary_search_lessEbEEEE10hipError_tPvRmT1_T2_T3_mmT4_T5_P12ihipStream_tbEUlRKxE_EEST_SX_SY_mSZ_S12_bEUlT_E_NS1_11comp_targetILNS1_3genE0ELNS1_11target_archE4294967295ELNS1_3gpuE0ELNS1_3repE0EEENS1_30default_config_static_selectorELNS0_4arch9wavefront6targetE1EEEvSW_.private_seg_size, 0
	.set _ZN7rocprim17ROCPRIM_400000_NS6detail17trampoline_kernelINS0_14default_configENS1_29binary_search_config_selectorIxiEEZNS1_14transform_implILb0ES3_S5_N6thrust23THRUST_200600_302600_NS6detail15normal_iteratorINS8_7pointerIxNS8_11hip_rocprim5par_tENS8_11use_defaultESE_EEEENSA_INSB_IiSD_SE_SE_EEEEZNS1_13binary_searchIS3_S5_PxSG_SI_NS1_16binary_search_opENS9_16wrapped_functionINS8_6system6detail7generic6detail18binary_search_lessEbEEEE10hipError_tPvRmT1_T2_T3_mmT4_T5_P12ihipStream_tbEUlRKxE_EEST_SX_SY_mSZ_S12_bEUlT_E_NS1_11comp_targetILNS1_3genE0ELNS1_11target_archE4294967295ELNS1_3gpuE0ELNS1_3repE0EEENS1_30default_config_static_selectorELNS0_4arch9wavefront6targetE1EEEvSW_.uses_vcc, 0
	.set _ZN7rocprim17ROCPRIM_400000_NS6detail17trampoline_kernelINS0_14default_configENS1_29binary_search_config_selectorIxiEEZNS1_14transform_implILb0ES3_S5_N6thrust23THRUST_200600_302600_NS6detail15normal_iteratorINS8_7pointerIxNS8_11hip_rocprim5par_tENS8_11use_defaultESE_EEEENSA_INSB_IiSD_SE_SE_EEEEZNS1_13binary_searchIS3_S5_PxSG_SI_NS1_16binary_search_opENS9_16wrapped_functionINS8_6system6detail7generic6detail18binary_search_lessEbEEEE10hipError_tPvRmT1_T2_T3_mmT4_T5_P12ihipStream_tbEUlRKxE_EEST_SX_SY_mSZ_S12_bEUlT_E_NS1_11comp_targetILNS1_3genE0ELNS1_11target_archE4294967295ELNS1_3gpuE0ELNS1_3repE0EEENS1_30default_config_static_selectorELNS0_4arch9wavefront6targetE1EEEvSW_.uses_flat_scratch, 0
	.set _ZN7rocprim17ROCPRIM_400000_NS6detail17trampoline_kernelINS0_14default_configENS1_29binary_search_config_selectorIxiEEZNS1_14transform_implILb0ES3_S5_N6thrust23THRUST_200600_302600_NS6detail15normal_iteratorINS8_7pointerIxNS8_11hip_rocprim5par_tENS8_11use_defaultESE_EEEENSA_INSB_IiSD_SE_SE_EEEEZNS1_13binary_searchIS3_S5_PxSG_SI_NS1_16binary_search_opENS9_16wrapped_functionINS8_6system6detail7generic6detail18binary_search_lessEbEEEE10hipError_tPvRmT1_T2_T3_mmT4_T5_P12ihipStream_tbEUlRKxE_EEST_SX_SY_mSZ_S12_bEUlT_E_NS1_11comp_targetILNS1_3genE0ELNS1_11target_archE4294967295ELNS1_3gpuE0ELNS1_3repE0EEENS1_30default_config_static_selectorELNS0_4arch9wavefront6targetE1EEEvSW_.has_dyn_sized_stack, 0
	.set _ZN7rocprim17ROCPRIM_400000_NS6detail17trampoline_kernelINS0_14default_configENS1_29binary_search_config_selectorIxiEEZNS1_14transform_implILb0ES3_S5_N6thrust23THRUST_200600_302600_NS6detail15normal_iteratorINS8_7pointerIxNS8_11hip_rocprim5par_tENS8_11use_defaultESE_EEEENSA_INSB_IiSD_SE_SE_EEEEZNS1_13binary_searchIS3_S5_PxSG_SI_NS1_16binary_search_opENS9_16wrapped_functionINS8_6system6detail7generic6detail18binary_search_lessEbEEEE10hipError_tPvRmT1_T2_T3_mmT4_T5_P12ihipStream_tbEUlRKxE_EEST_SX_SY_mSZ_S12_bEUlT_E_NS1_11comp_targetILNS1_3genE0ELNS1_11target_archE4294967295ELNS1_3gpuE0ELNS1_3repE0EEENS1_30default_config_static_selectorELNS0_4arch9wavefront6targetE1EEEvSW_.has_recursion, 0
	.set _ZN7rocprim17ROCPRIM_400000_NS6detail17trampoline_kernelINS0_14default_configENS1_29binary_search_config_selectorIxiEEZNS1_14transform_implILb0ES3_S5_N6thrust23THRUST_200600_302600_NS6detail15normal_iteratorINS8_7pointerIxNS8_11hip_rocprim5par_tENS8_11use_defaultESE_EEEENSA_INSB_IiSD_SE_SE_EEEEZNS1_13binary_searchIS3_S5_PxSG_SI_NS1_16binary_search_opENS9_16wrapped_functionINS8_6system6detail7generic6detail18binary_search_lessEbEEEE10hipError_tPvRmT1_T2_T3_mmT4_T5_P12ihipStream_tbEUlRKxE_EEST_SX_SY_mSZ_S12_bEUlT_E_NS1_11comp_targetILNS1_3genE0ELNS1_11target_archE4294967295ELNS1_3gpuE0ELNS1_3repE0EEENS1_30default_config_static_selectorELNS0_4arch9wavefront6targetE1EEEvSW_.has_indirect_call, 0
	.section	.AMDGPU.csdata,"",@progbits
; Kernel info:
; codeLenInByte = 0
; TotalNumSgprs: 4
; NumVgprs: 0
; ScratchSize: 0
; MemoryBound: 0
; FloatMode: 240
; IeeeMode: 1
; LDSByteSize: 0 bytes/workgroup (compile time only)
; SGPRBlocks: 0
; VGPRBlocks: 0
; NumSGPRsForWavesPerEU: 4
; NumVGPRsForWavesPerEU: 1
; Occupancy: 10
; WaveLimiterHint : 0
; COMPUTE_PGM_RSRC2:SCRATCH_EN: 0
; COMPUTE_PGM_RSRC2:USER_SGPR: 6
; COMPUTE_PGM_RSRC2:TRAP_HANDLER: 0
; COMPUTE_PGM_RSRC2:TGID_X_EN: 1
; COMPUTE_PGM_RSRC2:TGID_Y_EN: 0
; COMPUTE_PGM_RSRC2:TGID_Z_EN: 0
; COMPUTE_PGM_RSRC2:TIDIG_COMP_CNT: 0
	.section	.text._ZN7rocprim17ROCPRIM_400000_NS6detail17trampoline_kernelINS0_14default_configENS1_29binary_search_config_selectorIxiEEZNS1_14transform_implILb0ES3_S5_N6thrust23THRUST_200600_302600_NS6detail15normal_iteratorINS8_7pointerIxNS8_11hip_rocprim5par_tENS8_11use_defaultESE_EEEENSA_INSB_IiSD_SE_SE_EEEEZNS1_13binary_searchIS3_S5_PxSG_SI_NS1_16binary_search_opENS9_16wrapped_functionINS8_6system6detail7generic6detail18binary_search_lessEbEEEE10hipError_tPvRmT1_T2_T3_mmT4_T5_P12ihipStream_tbEUlRKxE_EEST_SX_SY_mSZ_S12_bEUlT_E_NS1_11comp_targetILNS1_3genE5ELNS1_11target_archE942ELNS1_3gpuE9ELNS1_3repE0EEENS1_30default_config_static_selectorELNS0_4arch9wavefront6targetE1EEEvSW_,"axG",@progbits,_ZN7rocprim17ROCPRIM_400000_NS6detail17trampoline_kernelINS0_14default_configENS1_29binary_search_config_selectorIxiEEZNS1_14transform_implILb0ES3_S5_N6thrust23THRUST_200600_302600_NS6detail15normal_iteratorINS8_7pointerIxNS8_11hip_rocprim5par_tENS8_11use_defaultESE_EEEENSA_INSB_IiSD_SE_SE_EEEEZNS1_13binary_searchIS3_S5_PxSG_SI_NS1_16binary_search_opENS9_16wrapped_functionINS8_6system6detail7generic6detail18binary_search_lessEbEEEE10hipError_tPvRmT1_T2_T3_mmT4_T5_P12ihipStream_tbEUlRKxE_EEST_SX_SY_mSZ_S12_bEUlT_E_NS1_11comp_targetILNS1_3genE5ELNS1_11target_archE942ELNS1_3gpuE9ELNS1_3repE0EEENS1_30default_config_static_selectorELNS0_4arch9wavefront6targetE1EEEvSW_,comdat
	.protected	_ZN7rocprim17ROCPRIM_400000_NS6detail17trampoline_kernelINS0_14default_configENS1_29binary_search_config_selectorIxiEEZNS1_14transform_implILb0ES3_S5_N6thrust23THRUST_200600_302600_NS6detail15normal_iteratorINS8_7pointerIxNS8_11hip_rocprim5par_tENS8_11use_defaultESE_EEEENSA_INSB_IiSD_SE_SE_EEEEZNS1_13binary_searchIS3_S5_PxSG_SI_NS1_16binary_search_opENS9_16wrapped_functionINS8_6system6detail7generic6detail18binary_search_lessEbEEEE10hipError_tPvRmT1_T2_T3_mmT4_T5_P12ihipStream_tbEUlRKxE_EEST_SX_SY_mSZ_S12_bEUlT_E_NS1_11comp_targetILNS1_3genE5ELNS1_11target_archE942ELNS1_3gpuE9ELNS1_3repE0EEENS1_30default_config_static_selectorELNS0_4arch9wavefront6targetE1EEEvSW_ ; -- Begin function _ZN7rocprim17ROCPRIM_400000_NS6detail17trampoline_kernelINS0_14default_configENS1_29binary_search_config_selectorIxiEEZNS1_14transform_implILb0ES3_S5_N6thrust23THRUST_200600_302600_NS6detail15normal_iteratorINS8_7pointerIxNS8_11hip_rocprim5par_tENS8_11use_defaultESE_EEEENSA_INSB_IiSD_SE_SE_EEEEZNS1_13binary_searchIS3_S5_PxSG_SI_NS1_16binary_search_opENS9_16wrapped_functionINS8_6system6detail7generic6detail18binary_search_lessEbEEEE10hipError_tPvRmT1_T2_T3_mmT4_T5_P12ihipStream_tbEUlRKxE_EEST_SX_SY_mSZ_S12_bEUlT_E_NS1_11comp_targetILNS1_3genE5ELNS1_11target_archE942ELNS1_3gpuE9ELNS1_3repE0EEENS1_30default_config_static_selectorELNS0_4arch9wavefront6targetE1EEEvSW_
	.globl	_ZN7rocprim17ROCPRIM_400000_NS6detail17trampoline_kernelINS0_14default_configENS1_29binary_search_config_selectorIxiEEZNS1_14transform_implILb0ES3_S5_N6thrust23THRUST_200600_302600_NS6detail15normal_iteratorINS8_7pointerIxNS8_11hip_rocprim5par_tENS8_11use_defaultESE_EEEENSA_INSB_IiSD_SE_SE_EEEEZNS1_13binary_searchIS3_S5_PxSG_SI_NS1_16binary_search_opENS9_16wrapped_functionINS8_6system6detail7generic6detail18binary_search_lessEbEEEE10hipError_tPvRmT1_T2_T3_mmT4_T5_P12ihipStream_tbEUlRKxE_EEST_SX_SY_mSZ_S12_bEUlT_E_NS1_11comp_targetILNS1_3genE5ELNS1_11target_archE942ELNS1_3gpuE9ELNS1_3repE0EEENS1_30default_config_static_selectorELNS0_4arch9wavefront6targetE1EEEvSW_
	.p2align	8
	.type	_ZN7rocprim17ROCPRIM_400000_NS6detail17trampoline_kernelINS0_14default_configENS1_29binary_search_config_selectorIxiEEZNS1_14transform_implILb0ES3_S5_N6thrust23THRUST_200600_302600_NS6detail15normal_iteratorINS8_7pointerIxNS8_11hip_rocprim5par_tENS8_11use_defaultESE_EEEENSA_INSB_IiSD_SE_SE_EEEEZNS1_13binary_searchIS3_S5_PxSG_SI_NS1_16binary_search_opENS9_16wrapped_functionINS8_6system6detail7generic6detail18binary_search_lessEbEEEE10hipError_tPvRmT1_T2_T3_mmT4_T5_P12ihipStream_tbEUlRKxE_EEST_SX_SY_mSZ_S12_bEUlT_E_NS1_11comp_targetILNS1_3genE5ELNS1_11target_archE942ELNS1_3gpuE9ELNS1_3repE0EEENS1_30default_config_static_selectorELNS0_4arch9wavefront6targetE1EEEvSW_,@function
_ZN7rocprim17ROCPRIM_400000_NS6detail17trampoline_kernelINS0_14default_configENS1_29binary_search_config_selectorIxiEEZNS1_14transform_implILb0ES3_S5_N6thrust23THRUST_200600_302600_NS6detail15normal_iteratorINS8_7pointerIxNS8_11hip_rocprim5par_tENS8_11use_defaultESE_EEEENSA_INSB_IiSD_SE_SE_EEEEZNS1_13binary_searchIS3_S5_PxSG_SI_NS1_16binary_search_opENS9_16wrapped_functionINS8_6system6detail7generic6detail18binary_search_lessEbEEEE10hipError_tPvRmT1_T2_T3_mmT4_T5_P12ihipStream_tbEUlRKxE_EEST_SX_SY_mSZ_S12_bEUlT_E_NS1_11comp_targetILNS1_3genE5ELNS1_11target_archE942ELNS1_3gpuE9ELNS1_3repE0EEENS1_30default_config_static_selectorELNS0_4arch9wavefront6targetE1EEEvSW_: ; @_ZN7rocprim17ROCPRIM_400000_NS6detail17trampoline_kernelINS0_14default_configENS1_29binary_search_config_selectorIxiEEZNS1_14transform_implILb0ES3_S5_N6thrust23THRUST_200600_302600_NS6detail15normal_iteratorINS8_7pointerIxNS8_11hip_rocprim5par_tENS8_11use_defaultESE_EEEENSA_INSB_IiSD_SE_SE_EEEEZNS1_13binary_searchIS3_S5_PxSG_SI_NS1_16binary_search_opENS9_16wrapped_functionINS8_6system6detail7generic6detail18binary_search_lessEbEEEE10hipError_tPvRmT1_T2_T3_mmT4_T5_P12ihipStream_tbEUlRKxE_EEST_SX_SY_mSZ_S12_bEUlT_E_NS1_11comp_targetILNS1_3genE5ELNS1_11target_archE942ELNS1_3gpuE9ELNS1_3repE0EEENS1_30default_config_static_selectorELNS0_4arch9wavefront6targetE1EEEvSW_
; %bb.0:
	.section	.rodata,"a",@progbits
	.p2align	6, 0x0
	.amdhsa_kernel _ZN7rocprim17ROCPRIM_400000_NS6detail17trampoline_kernelINS0_14default_configENS1_29binary_search_config_selectorIxiEEZNS1_14transform_implILb0ES3_S5_N6thrust23THRUST_200600_302600_NS6detail15normal_iteratorINS8_7pointerIxNS8_11hip_rocprim5par_tENS8_11use_defaultESE_EEEENSA_INSB_IiSD_SE_SE_EEEEZNS1_13binary_searchIS3_S5_PxSG_SI_NS1_16binary_search_opENS9_16wrapped_functionINS8_6system6detail7generic6detail18binary_search_lessEbEEEE10hipError_tPvRmT1_T2_T3_mmT4_T5_P12ihipStream_tbEUlRKxE_EEST_SX_SY_mSZ_S12_bEUlT_E_NS1_11comp_targetILNS1_3genE5ELNS1_11target_archE942ELNS1_3gpuE9ELNS1_3repE0EEENS1_30default_config_static_selectorELNS0_4arch9wavefront6targetE1EEEvSW_
		.amdhsa_group_segment_fixed_size 0
		.amdhsa_private_segment_fixed_size 0
		.amdhsa_kernarg_size 56
		.amdhsa_user_sgpr_count 6
		.amdhsa_user_sgpr_private_segment_buffer 1
		.amdhsa_user_sgpr_dispatch_ptr 0
		.amdhsa_user_sgpr_queue_ptr 0
		.amdhsa_user_sgpr_kernarg_segment_ptr 1
		.amdhsa_user_sgpr_dispatch_id 0
		.amdhsa_user_sgpr_flat_scratch_init 0
		.amdhsa_user_sgpr_private_segment_size 0
		.amdhsa_uses_dynamic_stack 0
		.amdhsa_system_sgpr_private_segment_wavefront_offset 0
		.amdhsa_system_sgpr_workgroup_id_x 1
		.amdhsa_system_sgpr_workgroup_id_y 0
		.amdhsa_system_sgpr_workgroup_id_z 0
		.amdhsa_system_sgpr_workgroup_info 0
		.amdhsa_system_vgpr_workitem_id 0
		.amdhsa_next_free_vgpr 1
		.amdhsa_next_free_sgpr 0
		.amdhsa_reserve_vcc 0
		.amdhsa_reserve_flat_scratch 0
		.amdhsa_float_round_mode_32 0
		.amdhsa_float_round_mode_16_64 0
		.amdhsa_float_denorm_mode_32 3
		.amdhsa_float_denorm_mode_16_64 3
		.amdhsa_dx10_clamp 1
		.amdhsa_ieee_mode 1
		.amdhsa_fp16_overflow 0
		.amdhsa_exception_fp_ieee_invalid_op 0
		.amdhsa_exception_fp_denorm_src 0
		.amdhsa_exception_fp_ieee_div_zero 0
		.amdhsa_exception_fp_ieee_overflow 0
		.amdhsa_exception_fp_ieee_underflow 0
		.amdhsa_exception_fp_ieee_inexact 0
		.amdhsa_exception_int_div_zero 0
	.end_amdhsa_kernel
	.section	.text._ZN7rocprim17ROCPRIM_400000_NS6detail17trampoline_kernelINS0_14default_configENS1_29binary_search_config_selectorIxiEEZNS1_14transform_implILb0ES3_S5_N6thrust23THRUST_200600_302600_NS6detail15normal_iteratorINS8_7pointerIxNS8_11hip_rocprim5par_tENS8_11use_defaultESE_EEEENSA_INSB_IiSD_SE_SE_EEEEZNS1_13binary_searchIS3_S5_PxSG_SI_NS1_16binary_search_opENS9_16wrapped_functionINS8_6system6detail7generic6detail18binary_search_lessEbEEEE10hipError_tPvRmT1_T2_T3_mmT4_T5_P12ihipStream_tbEUlRKxE_EEST_SX_SY_mSZ_S12_bEUlT_E_NS1_11comp_targetILNS1_3genE5ELNS1_11target_archE942ELNS1_3gpuE9ELNS1_3repE0EEENS1_30default_config_static_selectorELNS0_4arch9wavefront6targetE1EEEvSW_,"axG",@progbits,_ZN7rocprim17ROCPRIM_400000_NS6detail17trampoline_kernelINS0_14default_configENS1_29binary_search_config_selectorIxiEEZNS1_14transform_implILb0ES3_S5_N6thrust23THRUST_200600_302600_NS6detail15normal_iteratorINS8_7pointerIxNS8_11hip_rocprim5par_tENS8_11use_defaultESE_EEEENSA_INSB_IiSD_SE_SE_EEEEZNS1_13binary_searchIS3_S5_PxSG_SI_NS1_16binary_search_opENS9_16wrapped_functionINS8_6system6detail7generic6detail18binary_search_lessEbEEEE10hipError_tPvRmT1_T2_T3_mmT4_T5_P12ihipStream_tbEUlRKxE_EEST_SX_SY_mSZ_S12_bEUlT_E_NS1_11comp_targetILNS1_3genE5ELNS1_11target_archE942ELNS1_3gpuE9ELNS1_3repE0EEENS1_30default_config_static_selectorELNS0_4arch9wavefront6targetE1EEEvSW_,comdat
.Lfunc_end294:
	.size	_ZN7rocprim17ROCPRIM_400000_NS6detail17trampoline_kernelINS0_14default_configENS1_29binary_search_config_selectorIxiEEZNS1_14transform_implILb0ES3_S5_N6thrust23THRUST_200600_302600_NS6detail15normal_iteratorINS8_7pointerIxNS8_11hip_rocprim5par_tENS8_11use_defaultESE_EEEENSA_INSB_IiSD_SE_SE_EEEEZNS1_13binary_searchIS3_S5_PxSG_SI_NS1_16binary_search_opENS9_16wrapped_functionINS8_6system6detail7generic6detail18binary_search_lessEbEEEE10hipError_tPvRmT1_T2_T3_mmT4_T5_P12ihipStream_tbEUlRKxE_EEST_SX_SY_mSZ_S12_bEUlT_E_NS1_11comp_targetILNS1_3genE5ELNS1_11target_archE942ELNS1_3gpuE9ELNS1_3repE0EEENS1_30default_config_static_selectorELNS0_4arch9wavefront6targetE1EEEvSW_, .Lfunc_end294-_ZN7rocprim17ROCPRIM_400000_NS6detail17trampoline_kernelINS0_14default_configENS1_29binary_search_config_selectorIxiEEZNS1_14transform_implILb0ES3_S5_N6thrust23THRUST_200600_302600_NS6detail15normal_iteratorINS8_7pointerIxNS8_11hip_rocprim5par_tENS8_11use_defaultESE_EEEENSA_INSB_IiSD_SE_SE_EEEEZNS1_13binary_searchIS3_S5_PxSG_SI_NS1_16binary_search_opENS9_16wrapped_functionINS8_6system6detail7generic6detail18binary_search_lessEbEEEE10hipError_tPvRmT1_T2_T3_mmT4_T5_P12ihipStream_tbEUlRKxE_EEST_SX_SY_mSZ_S12_bEUlT_E_NS1_11comp_targetILNS1_3genE5ELNS1_11target_archE942ELNS1_3gpuE9ELNS1_3repE0EEENS1_30default_config_static_selectorELNS0_4arch9wavefront6targetE1EEEvSW_
                                        ; -- End function
	.set _ZN7rocprim17ROCPRIM_400000_NS6detail17trampoline_kernelINS0_14default_configENS1_29binary_search_config_selectorIxiEEZNS1_14transform_implILb0ES3_S5_N6thrust23THRUST_200600_302600_NS6detail15normal_iteratorINS8_7pointerIxNS8_11hip_rocprim5par_tENS8_11use_defaultESE_EEEENSA_INSB_IiSD_SE_SE_EEEEZNS1_13binary_searchIS3_S5_PxSG_SI_NS1_16binary_search_opENS9_16wrapped_functionINS8_6system6detail7generic6detail18binary_search_lessEbEEEE10hipError_tPvRmT1_T2_T3_mmT4_T5_P12ihipStream_tbEUlRKxE_EEST_SX_SY_mSZ_S12_bEUlT_E_NS1_11comp_targetILNS1_3genE5ELNS1_11target_archE942ELNS1_3gpuE9ELNS1_3repE0EEENS1_30default_config_static_selectorELNS0_4arch9wavefront6targetE1EEEvSW_.num_vgpr, 0
	.set _ZN7rocprim17ROCPRIM_400000_NS6detail17trampoline_kernelINS0_14default_configENS1_29binary_search_config_selectorIxiEEZNS1_14transform_implILb0ES3_S5_N6thrust23THRUST_200600_302600_NS6detail15normal_iteratorINS8_7pointerIxNS8_11hip_rocprim5par_tENS8_11use_defaultESE_EEEENSA_INSB_IiSD_SE_SE_EEEEZNS1_13binary_searchIS3_S5_PxSG_SI_NS1_16binary_search_opENS9_16wrapped_functionINS8_6system6detail7generic6detail18binary_search_lessEbEEEE10hipError_tPvRmT1_T2_T3_mmT4_T5_P12ihipStream_tbEUlRKxE_EEST_SX_SY_mSZ_S12_bEUlT_E_NS1_11comp_targetILNS1_3genE5ELNS1_11target_archE942ELNS1_3gpuE9ELNS1_3repE0EEENS1_30default_config_static_selectorELNS0_4arch9wavefront6targetE1EEEvSW_.num_agpr, 0
	.set _ZN7rocprim17ROCPRIM_400000_NS6detail17trampoline_kernelINS0_14default_configENS1_29binary_search_config_selectorIxiEEZNS1_14transform_implILb0ES3_S5_N6thrust23THRUST_200600_302600_NS6detail15normal_iteratorINS8_7pointerIxNS8_11hip_rocprim5par_tENS8_11use_defaultESE_EEEENSA_INSB_IiSD_SE_SE_EEEEZNS1_13binary_searchIS3_S5_PxSG_SI_NS1_16binary_search_opENS9_16wrapped_functionINS8_6system6detail7generic6detail18binary_search_lessEbEEEE10hipError_tPvRmT1_T2_T3_mmT4_T5_P12ihipStream_tbEUlRKxE_EEST_SX_SY_mSZ_S12_bEUlT_E_NS1_11comp_targetILNS1_3genE5ELNS1_11target_archE942ELNS1_3gpuE9ELNS1_3repE0EEENS1_30default_config_static_selectorELNS0_4arch9wavefront6targetE1EEEvSW_.numbered_sgpr, 0
	.set _ZN7rocprim17ROCPRIM_400000_NS6detail17trampoline_kernelINS0_14default_configENS1_29binary_search_config_selectorIxiEEZNS1_14transform_implILb0ES3_S5_N6thrust23THRUST_200600_302600_NS6detail15normal_iteratorINS8_7pointerIxNS8_11hip_rocprim5par_tENS8_11use_defaultESE_EEEENSA_INSB_IiSD_SE_SE_EEEEZNS1_13binary_searchIS3_S5_PxSG_SI_NS1_16binary_search_opENS9_16wrapped_functionINS8_6system6detail7generic6detail18binary_search_lessEbEEEE10hipError_tPvRmT1_T2_T3_mmT4_T5_P12ihipStream_tbEUlRKxE_EEST_SX_SY_mSZ_S12_bEUlT_E_NS1_11comp_targetILNS1_3genE5ELNS1_11target_archE942ELNS1_3gpuE9ELNS1_3repE0EEENS1_30default_config_static_selectorELNS0_4arch9wavefront6targetE1EEEvSW_.num_named_barrier, 0
	.set _ZN7rocprim17ROCPRIM_400000_NS6detail17trampoline_kernelINS0_14default_configENS1_29binary_search_config_selectorIxiEEZNS1_14transform_implILb0ES3_S5_N6thrust23THRUST_200600_302600_NS6detail15normal_iteratorINS8_7pointerIxNS8_11hip_rocprim5par_tENS8_11use_defaultESE_EEEENSA_INSB_IiSD_SE_SE_EEEEZNS1_13binary_searchIS3_S5_PxSG_SI_NS1_16binary_search_opENS9_16wrapped_functionINS8_6system6detail7generic6detail18binary_search_lessEbEEEE10hipError_tPvRmT1_T2_T3_mmT4_T5_P12ihipStream_tbEUlRKxE_EEST_SX_SY_mSZ_S12_bEUlT_E_NS1_11comp_targetILNS1_3genE5ELNS1_11target_archE942ELNS1_3gpuE9ELNS1_3repE0EEENS1_30default_config_static_selectorELNS0_4arch9wavefront6targetE1EEEvSW_.private_seg_size, 0
	.set _ZN7rocprim17ROCPRIM_400000_NS6detail17trampoline_kernelINS0_14default_configENS1_29binary_search_config_selectorIxiEEZNS1_14transform_implILb0ES3_S5_N6thrust23THRUST_200600_302600_NS6detail15normal_iteratorINS8_7pointerIxNS8_11hip_rocprim5par_tENS8_11use_defaultESE_EEEENSA_INSB_IiSD_SE_SE_EEEEZNS1_13binary_searchIS3_S5_PxSG_SI_NS1_16binary_search_opENS9_16wrapped_functionINS8_6system6detail7generic6detail18binary_search_lessEbEEEE10hipError_tPvRmT1_T2_T3_mmT4_T5_P12ihipStream_tbEUlRKxE_EEST_SX_SY_mSZ_S12_bEUlT_E_NS1_11comp_targetILNS1_3genE5ELNS1_11target_archE942ELNS1_3gpuE9ELNS1_3repE0EEENS1_30default_config_static_selectorELNS0_4arch9wavefront6targetE1EEEvSW_.uses_vcc, 0
	.set _ZN7rocprim17ROCPRIM_400000_NS6detail17trampoline_kernelINS0_14default_configENS1_29binary_search_config_selectorIxiEEZNS1_14transform_implILb0ES3_S5_N6thrust23THRUST_200600_302600_NS6detail15normal_iteratorINS8_7pointerIxNS8_11hip_rocprim5par_tENS8_11use_defaultESE_EEEENSA_INSB_IiSD_SE_SE_EEEEZNS1_13binary_searchIS3_S5_PxSG_SI_NS1_16binary_search_opENS9_16wrapped_functionINS8_6system6detail7generic6detail18binary_search_lessEbEEEE10hipError_tPvRmT1_T2_T3_mmT4_T5_P12ihipStream_tbEUlRKxE_EEST_SX_SY_mSZ_S12_bEUlT_E_NS1_11comp_targetILNS1_3genE5ELNS1_11target_archE942ELNS1_3gpuE9ELNS1_3repE0EEENS1_30default_config_static_selectorELNS0_4arch9wavefront6targetE1EEEvSW_.uses_flat_scratch, 0
	.set _ZN7rocprim17ROCPRIM_400000_NS6detail17trampoline_kernelINS0_14default_configENS1_29binary_search_config_selectorIxiEEZNS1_14transform_implILb0ES3_S5_N6thrust23THRUST_200600_302600_NS6detail15normal_iteratorINS8_7pointerIxNS8_11hip_rocprim5par_tENS8_11use_defaultESE_EEEENSA_INSB_IiSD_SE_SE_EEEEZNS1_13binary_searchIS3_S5_PxSG_SI_NS1_16binary_search_opENS9_16wrapped_functionINS8_6system6detail7generic6detail18binary_search_lessEbEEEE10hipError_tPvRmT1_T2_T3_mmT4_T5_P12ihipStream_tbEUlRKxE_EEST_SX_SY_mSZ_S12_bEUlT_E_NS1_11comp_targetILNS1_3genE5ELNS1_11target_archE942ELNS1_3gpuE9ELNS1_3repE0EEENS1_30default_config_static_selectorELNS0_4arch9wavefront6targetE1EEEvSW_.has_dyn_sized_stack, 0
	.set _ZN7rocprim17ROCPRIM_400000_NS6detail17trampoline_kernelINS0_14default_configENS1_29binary_search_config_selectorIxiEEZNS1_14transform_implILb0ES3_S5_N6thrust23THRUST_200600_302600_NS6detail15normal_iteratorINS8_7pointerIxNS8_11hip_rocprim5par_tENS8_11use_defaultESE_EEEENSA_INSB_IiSD_SE_SE_EEEEZNS1_13binary_searchIS3_S5_PxSG_SI_NS1_16binary_search_opENS9_16wrapped_functionINS8_6system6detail7generic6detail18binary_search_lessEbEEEE10hipError_tPvRmT1_T2_T3_mmT4_T5_P12ihipStream_tbEUlRKxE_EEST_SX_SY_mSZ_S12_bEUlT_E_NS1_11comp_targetILNS1_3genE5ELNS1_11target_archE942ELNS1_3gpuE9ELNS1_3repE0EEENS1_30default_config_static_selectorELNS0_4arch9wavefront6targetE1EEEvSW_.has_recursion, 0
	.set _ZN7rocprim17ROCPRIM_400000_NS6detail17trampoline_kernelINS0_14default_configENS1_29binary_search_config_selectorIxiEEZNS1_14transform_implILb0ES3_S5_N6thrust23THRUST_200600_302600_NS6detail15normal_iteratorINS8_7pointerIxNS8_11hip_rocprim5par_tENS8_11use_defaultESE_EEEENSA_INSB_IiSD_SE_SE_EEEEZNS1_13binary_searchIS3_S5_PxSG_SI_NS1_16binary_search_opENS9_16wrapped_functionINS8_6system6detail7generic6detail18binary_search_lessEbEEEE10hipError_tPvRmT1_T2_T3_mmT4_T5_P12ihipStream_tbEUlRKxE_EEST_SX_SY_mSZ_S12_bEUlT_E_NS1_11comp_targetILNS1_3genE5ELNS1_11target_archE942ELNS1_3gpuE9ELNS1_3repE0EEENS1_30default_config_static_selectorELNS0_4arch9wavefront6targetE1EEEvSW_.has_indirect_call, 0
	.section	.AMDGPU.csdata,"",@progbits
; Kernel info:
; codeLenInByte = 0
; TotalNumSgprs: 4
; NumVgprs: 0
; ScratchSize: 0
; MemoryBound: 0
; FloatMode: 240
; IeeeMode: 1
; LDSByteSize: 0 bytes/workgroup (compile time only)
; SGPRBlocks: 0
; VGPRBlocks: 0
; NumSGPRsForWavesPerEU: 4
; NumVGPRsForWavesPerEU: 1
; Occupancy: 10
; WaveLimiterHint : 0
; COMPUTE_PGM_RSRC2:SCRATCH_EN: 0
; COMPUTE_PGM_RSRC2:USER_SGPR: 6
; COMPUTE_PGM_RSRC2:TRAP_HANDLER: 0
; COMPUTE_PGM_RSRC2:TGID_X_EN: 1
; COMPUTE_PGM_RSRC2:TGID_Y_EN: 0
; COMPUTE_PGM_RSRC2:TGID_Z_EN: 0
; COMPUTE_PGM_RSRC2:TIDIG_COMP_CNT: 0
	.section	.text._ZN7rocprim17ROCPRIM_400000_NS6detail17trampoline_kernelINS0_14default_configENS1_29binary_search_config_selectorIxiEEZNS1_14transform_implILb0ES3_S5_N6thrust23THRUST_200600_302600_NS6detail15normal_iteratorINS8_7pointerIxNS8_11hip_rocprim5par_tENS8_11use_defaultESE_EEEENSA_INSB_IiSD_SE_SE_EEEEZNS1_13binary_searchIS3_S5_PxSG_SI_NS1_16binary_search_opENS9_16wrapped_functionINS8_6system6detail7generic6detail18binary_search_lessEbEEEE10hipError_tPvRmT1_T2_T3_mmT4_T5_P12ihipStream_tbEUlRKxE_EEST_SX_SY_mSZ_S12_bEUlT_E_NS1_11comp_targetILNS1_3genE4ELNS1_11target_archE910ELNS1_3gpuE8ELNS1_3repE0EEENS1_30default_config_static_selectorELNS0_4arch9wavefront6targetE1EEEvSW_,"axG",@progbits,_ZN7rocprim17ROCPRIM_400000_NS6detail17trampoline_kernelINS0_14default_configENS1_29binary_search_config_selectorIxiEEZNS1_14transform_implILb0ES3_S5_N6thrust23THRUST_200600_302600_NS6detail15normal_iteratorINS8_7pointerIxNS8_11hip_rocprim5par_tENS8_11use_defaultESE_EEEENSA_INSB_IiSD_SE_SE_EEEEZNS1_13binary_searchIS3_S5_PxSG_SI_NS1_16binary_search_opENS9_16wrapped_functionINS8_6system6detail7generic6detail18binary_search_lessEbEEEE10hipError_tPvRmT1_T2_T3_mmT4_T5_P12ihipStream_tbEUlRKxE_EEST_SX_SY_mSZ_S12_bEUlT_E_NS1_11comp_targetILNS1_3genE4ELNS1_11target_archE910ELNS1_3gpuE8ELNS1_3repE0EEENS1_30default_config_static_selectorELNS0_4arch9wavefront6targetE1EEEvSW_,comdat
	.protected	_ZN7rocprim17ROCPRIM_400000_NS6detail17trampoline_kernelINS0_14default_configENS1_29binary_search_config_selectorIxiEEZNS1_14transform_implILb0ES3_S5_N6thrust23THRUST_200600_302600_NS6detail15normal_iteratorINS8_7pointerIxNS8_11hip_rocprim5par_tENS8_11use_defaultESE_EEEENSA_INSB_IiSD_SE_SE_EEEEZNS1_13binary_searchIS3_S5_PxSG_SI_NS1_16binary_search_opENS9_16wrapped_functionINS8_6system6detail7generic6detail18binary_search_lessEbEEEE10hipError_tPvRmT1_T2_T3_mmT4_T5_P12ihipStream_tbEUlRKxE_EEST_SX_SY_mSZ_S12_bEUlT_E_NS1_11comp_targetILNS1_3genE4ELNS1_11target_archE910ELNS1_3gpuE8ELNS1_3repE0EEENS1_30default_config_static_selectorELNS0_4arch9wavefront6targetE1EEEvSW_ ; -- Begin function _ZN7rocprim17ROCPRIM_400000_NS6detail17trampoline_kernelINS0_14default_configENS1_29binary_search_config_selectorIxiEEZNS1_14transform_implILb0ES3_S5_N6thrust23THRUST_200600_302600_NS6detail15normal_iteratorINS8_7pointerIxNS8_11hip_rocprim5par_tENS8_11use_defaultESE_EEEENSA_INSB_IiSD_SE_SE_EEEEZNS1_13binary_searchIS3_S5_PxSG_SI_NS1_16binary_search_opENS9_16wrapped_functionINS8_6system6detail7generic6detail18binary_search_lessEbEEEE10hipError_tPvRmT1_T2_T3_mmT4_T5_P12ihipStream_tbEUlRKxE_EEST_SX_SY_mSZ_S12_bEUlT_E_NS1_11comp_targetILNS1_3genE4ELNS1_11target_archE910ELNS1_3gpuE8ELNS1_3repE0EEENS1_30default_config_static_selectorELNS0_4arch9wavefront6targetE1EEEvSW_
	.globl	_ZN7rocprim17ROCPRIM_400000_NS6detail17trampoline_kernelINS0_14default_configENS1_29binary_search_config_selectorIxiEEZNS1_14transform_implILb0ES3_S5_N6thrust23THRUST_200600_302600_NS6detail15normal_iteratorINS8_7pointerIxNS8_11hip_rocprim5par_tENS8_11use_defaultESE_EEEENSA_INSB_IiSD_SE_SE_EEEEZNS1_13binary_searchIS3_S5_PxSG_SI_NS1_16binary_search_opENS9_16wrapped_functionINS8_6system6detail7generic6detail18binary_search_lessEbEEEE10hipError_tPvRmT1_T2_T3_mmT4_T5_P12ihipStream_tbEUlRKxE_EEST_SX_SY_mSZ_S12_bEUlT_E_NS1_11comp_targetILNS1_3genE4ELNS1_11target_archE910ELNS1_3gpuE8ELNS1_3repE0EEENS1_30default_config_static_selectorELNS0_4arch9wavefront6targetE1EEEvSW_
	.p2align	8
	.type	_ZN7rocprim17ROCPRIM_400000_NS6detail17trampoline_kernelINS0_14default_configENS1_29binary_search_config_selectorIxiEEZNS1_14transform_implILb0ES3_S5_N6thrust23THRUST_200600_302600_NS6detail15normal_iteratorINS8_7pointerIxNS8_11hip_rocprim5par_tENS8_11use_defaultESE_EEEENSA_INSB_IiSD_SE_SE_EEEEZNS1_13binary_searchIS3_S5_PxSG_SI_NS1_16binary_search_opENS9_16wrapped_functionINS8_6system6detail7generic6detail18binary_search_lessEbEEEE10hipError_tPvRmT1_T2_T3_mmT4_T5_P12ihipStream_tbEUlRKxE_EEST_SX_SY_mSZ_S12_bEUlT_E_NS1_11comp_targetILNS1_3genE4ELNS1_11target_archE910ELNS1_3gpuE8ELNS1_3repE0EEENS1_30default_config_static_selectorELNS0_4arch9wavefront6targetE1EEEvSW_,@function
_ZN7rocprim17ROCPRIM_400000_NS6detail17trampoline_kernelINS0_14default_configENS1_29binary_search_config_selectorIxiEEZNS1_14transform_implILb0ES3_S5_N6thrust23THRUST_200600_302600_NS6detail15normal_iteratorINS8_7pointerIxNS8_11hip_rocprim5par_tENS8_11use_defaultESE_EEEENSA_INSB_IiSD_SE_SE_EEEEZNS1_13binary_searchIS3_S5_PxSG_SI_NS1_16binary_search_opENS9_16wrapped_functionINS8_6system6detail7generic6detail18binary_search_lessEbEEEE10hipError_tPvRmT1_T2_T3_mmT4_T5_P12ihipStream_tbEUlRKxE_EEST_SX_SY_mSZ_S12_bEUlT_E_NS1_11comp_targetILNS1_3genE4ELNS1_11target_archE910ELNS1_3gpuE8ELNS1_3repE0EEENS1_30default_config_static_selectorELNS0_4arch9wavefront6targetE1EEEvSW_: ; @_ZN7rocprim17ROCPRIM_400000_NS6detail17trampoline_kernelINS0_14default_configENS1_29binary_search_config_selectorIxiEEZNS1_14transform_implILb0ES3_S5_N6thrust23THRUST_200600_302600_NS6detail15normal_iteratorINS8_7pointerIxNS8_11hip_rocprim5par_tENS8_11use_defaultESE_EEEENSA_INSB_IiSD_SE_SE_EEEEZNS1_13binary_searchIS3_S5_PxSG_SI_NS1_16binary_search_opENS9_16wrapped_functionINS8_6system6detail7generic6detail18binary_search_lessEbEEEE10hipError_tPvRmT1_T2_T3_mmT4_T5_P12ihipStream_tbEUlRKxE_EEST_SX_SY_mSZ_S12_bEUlT_E_NS1_11comp_targetILNS1_3genE4ELNS1_11target_archE910ELNS1_3gpuE8ELNS1_3repE0EEENS1_30default_config_static_selectorELNS0_4arch9wavefront6targetE1EEEvSW_
; %bb.0:
	.section	.rodata,"a",@progbits
	.p2align	6, 0x0
	.amdhsa_kernel _ZN7rocprim17ROCPRIM_400000_NS6detail17trampoline_kernelINS0_14default_configENS1_29binary_search_config_selectorIxiEEZNS1_14transform_implILb0ES3_S5_N6thrust23THRUST_200600_302600_NS6detail15normal_iteratorINS8_7pointerIxNS8_11hip_rocprim5par_tENS8_11use_defaultESE_EEEENSA_INSB_IiSD_SE_SE_EEEEZNS1_13binary_searchIS3_S5_PxSG_SI_NS1_16binary_search_opENS9_16wrapped_functionINS8_6system6detail7generic6detail18binary_search_lessEbEEEE10hipError_tPvRmT1_T2_T3_mmT4_T5_P12ihipStream_tbEUlRKxE_EEST_SX_SY_mSZ_S12_bEUlT_E_NS1_11comp_targetILNS1_3genE4ELNS1_11target_archE910ELNS1_3gpuE8ELNS1_3repE0EEENS1_30default_config_static_selectorELNS0_4arch9wavefront6targetE1EEEvSW_
		.amdhsa_group_segment_fixed_size 0
		.amdhsa_private_segment_fixed_size 0
		.amdhsa_kernarg_size 56
		.amdhsa_user_sgpr_count 6
		.amdhsa_user_sgpr_private_segment_buffer 1
		.amdhsa_user_sgpr_dispatch_ptr 0
		.amdhsa_user_sgpr_queue_ptr 0
		.amdhsa_user_sgpr_kernarg_segment_ptr 1
		.amdhsa_user_sgpr_dispatch_id 0
		.amdhsa_user_sgpr_flat_scratch_init 0
		.amdhsa_user_sgpr_private_segment_size 0
		.amdhsa_uses_dynamic_stack 0
		.amdhsa_system_sgpr_private_segment_wavefront_offset 0
		.amdhsa_system_sgpr_workgroup_id_x 1
		.amdhsa_system_sgpr_workgroup_id_y 0
		.amdhsa_system_sgpr_workgroup_id_z 0
		.amdhsa_system_sgpr_workgroup_info 0
		.amdhsa_system_vgpr_workitem_id 0
		.amdhsa_next_free_vgpr 1
		.amdhsa_next_free_sgpr 0
		.amdhsa_reserve_vcc 0
		.amdhsa_reserve_flat_scratch 0
		.amdhsa_float_round_mode_32 0
		.amdhsa_float_round_mode_16_64 0
		.amdhsa_float_denorm_mode_32 3
		.amdhsa_float_denorm_mode_16_64 3
		.amdhsa_dx10_clamp 1
		.amdhsa_ieee_mode 1
		.amdhsa_fp16_overflow 0
		.amdhsa_exception_fp_ieee_invalid_op 0
		.amdhsa_exception_fp_denorm_src 0
		.amdhsa_exception_fp_ieee_div_zero 0
		.amdhsa_exception_fp_ieee_overflow 0
		.amdhsa_exception_fp_ieee_underflow 0
		.amdhsa_exception_fp_ieee_inexact 0
		.amdhsa_exception_int_div_zero 0
	.end_amdhsa_kernel
	.section	.text._ZN7rocprim17ROCPRIM_400000_NS6detail17trampoline_kernelINS0_14default_configENS1_29binary_search_config_selectorIxiEEZNS1_14transform_implILb0ES3_S5_N6thrust23THRUST_200600_302600_NS6detail15normal_iteratorINS8_7pointerIxNS8_11hip_rocprim5par_tENS8_11use_defaultESE_EEEENSA_INSB_IiSD_SE_SE_EEEEZNS1_13binary_searchIS3_S5_PxSG_SI_NS1_16binary_search_opENS9_16wrapped_functionINS8_6system6detail7generic6detail18binary_search_lessEbEEEE10hipError_tPvRmT1_T2_T3_mmT4_T5_P12ihipStream_tbEUlRKxE_EEST_SX_SY_mSZ_S12_bEUlT_E_NS1_11comp_targetILNS1_3genE4ELNS1_11target_archE910ELNS1_3gpuE8ELNS1_3repE0EEENS1_30default_config_static_selectorELNS0_4arch9wavefront6targetE1EEEvSW_,"axG",@progbits,_ZN7rocprim17ROCPRIM_400000_NS6detail17trampoline_kernelINS0_14default_configENS1_29binary_search_config_selectorIxiEEZNS1_14transform_implILb0ES3_S5_N6thrust23THRUST_200600_302600_NS6detail15normal_iteratorINS8_7pointerIxNS8_11hip_rocprim5par_tENS8_11use_defaultESE_EEEENSA_INSB_IiSD_SE_SE_EEEEZNS1_13binary_searchIS3_S5_PxSG_SI_NS1_16binary_search_opENS9_16wrapped_functionINS8_6system6detail7generic6detail18binary_search_lessEbEEEE10hipError_tPvRmT1_T2_T3_mmT4_T5_P12ihipStream_tbEUlRKxE_EEST_SX_SY_mSZ_S12_bEUlT_E_NS1_11comp_targetILNS1_3genE4ELNS1_11target_archE910ELNS1_3gpuE8ELNS1_3repE0EEENS1_30default_config_static_selectorELNS0_4arch9wavefront6targetE1EEEvSW_,comdat
.Lfunc_end295:
	.size	_ZN7rocprim17ROCPRIM_400000_NS6detail17trampoline_kernelINS0_14default_configENS1_29binary_search_config_selectorIxiEEZNS1_14transform_implILb0ES3_S5_N6thrust23THRUST_200600_302600_NS6detail15normal_iteratorINS8_7pointerIxNS8_11hip_rocprim5par_tENS8_11use_defaultESE_EEEENSA_INSB_IiSD_SE_SE_EEEEZNS1_13binary_searchIS3_S5_PxSG_SI_NS1_16binary_search_opENS9_16wrapped_functionINS8_6system6detail7generic6detail18binary_search_lessEbEEEE10hipError_tPvRmT1_T2_T3_mmT4_T5_P12ihipStream_tbEUlRKxE_EEST_SX_SY_mSZ_S12_bEUlT_E_NS1_11comp_targetILNS1_3genE4ELNS1_11target_archE910ELNS1_3gpuE8ELNS1_3repE0EEENS1_30default_config_static_selectorELNS0_4arch9wavefront6targetE1EEEvSW_, .Lfunc_end295-_ZN7rocprim17ROCPRIM_400000_NS6detail17trampoline_kernelINS0_14default_configENS1_29binary_search_config_selectorIxiEEZNS1_14transform_implILb0ES3_S5_N6thrust23THRUST_200600_302600_NS6detail15normal_iteratorINS8_7pointerIxNS8_11hip_rocprim5par_tENS8_11use_defaultESE_EEEENSA_INSB_IiSD_SE_SE_EEEEZNS1_13binary_searchIS3_S5_PxSG_SI_NS1_16binary_search_opENS9_16wrapped_functionINS8_6system6detail7generic6detail18binary_search_lessEbEEEE10hipError_tPvRmT1_T2_T3_mmT4_T5_P12ihipStream_tbEUlRKxE_EEST_SX_SY_mSZ_S12_bEUlT_E_NS1_11comp_targetILNS1_3genE4ELNS1_11target_archE910ELNS1_3gpuE8ELNS1_3repE0EEENS1_30default_config_static_selectorELNS0_4arch9wavefront6targetE1EEEvSW_
                                        ; -- End function
	.set _ZN7rocprim17ROCPRIM_400000_NS6detail17trampoline_kernelINS0_14default_configENS1_29binary_search_config_selectorIxiEEZNS1_14transform_implILb0ES3_S5_N6thrust23THRUST_200600_302600_NS6detail15normal_iteratorINS8_7pointerIxNS8_11hip_rocprim5par_tENS8_11use_defaultESE_EEEENSA_INSB_IiSD_SE_SE_EEEEZNS1_13binary_searchIS3_S5_PxSG_SI_NS1_16binary_search_opENS9_16wrapped_functionINS8_6system6detail7generic6detail18binary_search_lessEbEEEE10hipError_tPvRmT1_T2_T3_mmT4_T5_P12ihipStream_tbEUlRKxE_EEST_SX_SY_mSZ_S12_bEUlT_E_NS1_11comp_targetILNS1_3genE4ELNS1_11target_archE910ELNS1_3gpuE8ELNS1_3repE0EEENS1_30default_config_static_selectorELNS0_4arch9wavefront6targetE1EEEvSW_.num_vgpr, 0
	.set _ZN7rocprim17ROCPRIM_400000_NS6detail17trampoline_kernelINS0_14default_configENS1_29binary_search_config_selectorIxiEEZNS1_14transform_implILb0ES3_S5_N6thrust23THRUST_200600_302600_NS6detail15normal_iteratorINS8_7pointerIxNS8_11hip_rocprim5par_tENS8_11use_defaultESE_EEEENSA_INSB_IiSD_SE_SE_EEEEZNS1_13binary_searchIS3_S5_PxSG_SI_NS1_16binary_search_opENS9_16wrapped_functionINS8_6system6detail7generic6detail18binary_search_lessEbEEEE10hipError_tPvRmT1_T2_T3_mmT4_T5_P12ihipStream_tbEUlRKxE_EEST_SX_SY_mSZ_S12_bEUlT_E_NS1_11comp_targetILNS1_3genE4ELNS1_11target_archE910ELNS1_3gpuE8ELNS1_3repE0EEENS1_30default_config_static_selectorELNS0_4arch9wavefront6targetE1EEEvSW_.num_agpr, 0
	.set _ZN7rocprim17ROCPRIM_400000_NS6detail17trampoline_kernelINS0_14default_configENS1_29binary_search_config_selectorIxiEEZNS1_14transform_implILb0ES3_S5_N6thrust23THRUST_200600_302600_NS6detail15normal_iteratorINS8_7pointerIxNS8_11hip_rocprim5par_tENS8_11use_defaultESE_EEEENSA_INSB_IiSD_SE_SE_EEEEZNS1_13binary_searchIS3_S5_PxSG_SI_NS1_16binary_search_opENS9_16wrapped_functionINS8_6system6detail7generic6detail18binary_search_lessEbEEEE10hipError_tPvRmT1_T2_T3_mmT4_T5_P12ihipStream_tbEUlRKxE_EEST_SX_SY_mSZ_S12_bEUlT_E_NS1_11comp_targetILNS1_3genE4ELNS1_11target_archE910ELNS1_3gpuE8ELNS1_3repE0EEENS1_30default_config_static_selectorELNS0_4arch9wavefront6targetE1EEEvSW_.numbered_sgpr, 0
	.set _ZN7rocprim17ROCPRIM_400000_NS6detail17trampoline_kernelINS0_14default_configENS1_29binary_search_config_selectorIxiEEZNS1_14transform_implILb0ES3_S5_N6thrust23THRUST_200600_302600_NS6detail15normal_iteratorINS8_7pointerIxNS8_11hip_rocprim5par_tENS8_11use_defaultESE_EEEENSA_INSB_IiSD_SE_SE_EEEEZNS1_13binary_searchIS3_S5_PxSG_SI_NS1_16binary_search_opENS9_16wrapped_functionINS8_6system6detail7generic6detail18binary_search_lessEbEEEE10hipError_tPvRmT1_T2_T3_mmT4_T5_P12ihipStream_tbEUlRKxE_EEST_SX_SY_mSZ_S12_bEUlT_E_NS1_11comp_targetILNS1_3genE4ELNS1_11target_archE910ELNS1_3gpuE8ELNS1_3repE0EEENS1_30default_config_static_selectorELNS0_4arch9wavefront6targetE1EEEvSW_.num_named_barrier, 0
	.set _ZN7rocprim17ROCPRIM_400000_NS6detail17trampoline_kernelINS0_14default_configENS1_29binary_search_config_selectorIxiEEZNS1_14transform_implILb0ES3_S5_N6thrust23THRUST_200600_302600_NS6detail15normal_iteratorINS8_7pointerIxNS8_11hip_rocprim5par_tENS8_11use_defaultESE_EEEENSA_INSB_IiSD_SE_SE_EEEEZNS1_13binary_searchIS3_S5_PxSG_SI_NS1_16binary_search_opENS9_16wrapped_functionINS8_6system6detail7generic6detail18binary_search_lessEbEEEE10hipError_tPvRmT1_T2_T3_mmT4_T5_P12ihipStream_tbEUlRKxE_EEST_SX_SY_mSZ_S12_bEUlT_E_NS1_11comp_targetILNS1_3genE4ELNS1_11target_archE910ELNS1_3gpuE8ELNS1_3repE0EEENS1_30default_config_static_selectorELNS0_4arch9wavefront6targetE1EEEvSW_.private_seg_size, 0
	.set _ZN7rocprim17ROCPRIM_400000_NS6detail17trampoline_kernelINS0_14default_configENS1_29binary_search_config_selectorIxiEEZNS1_14transform_implILb0ES3_S5_N6thrust23THRUST_200600_302600_NS6detail15normal_iteratorINS8_7pointerIxNS8_11hip_rocprim5par_tENS8_11use_defaultESE_EEEENSA_INSB_IiSD_SE_SE_EEEEZNS1_13binary_searchIS3_S5_PxSG_SI_NS1_16binary_search_opENS9_16wrapped_functionINS8_6system6detail7generic6detail18binary_search_lessEbEEEE10hipError_tPvRmT1_T2_T3_mmT4_T5_P12ihipStream_tbEUlRKxE_EEST_SX_SY_mSZ_S12_bEUlT_E_NS1_11comp_targetILNS1_3genE4ELNS1_11target_archE910ELNS1_3gpuE8ELNS1_3repE0EEENS1_30default_config_static_selectorELNS0_4arch9wavefront6targetE1EEEvSW_.uses_vcc, 0
	.set _ZN7rocprim17ROCPRIM_400000_NS6detail17trampoline_kernelINS0_14default_configENS1_29binary_search_config_selectorIxiEEZNS1_14transform_implILb0ES3_S5_N6thrust23THRUST_200600_302600_NS6detail15normal_iteratorINS8_7pointerIxNS8_11hip_rocprim5par_tENS8_11use_defaultESE_EEEENSA_INSB_IiSD_SE_SE_EEEEZNS1_13binary_searchIS3_S5_PxSG_SI_NS1_16binary_search_opENS9_16wrapped_functionINS8_6system6detail7generic6detail18binary_search_lessEbEEEE10hipError_tPvRmT1_T2_T3_mmT4_T5_P12ihipStream_tbEUlRKxE_EEST_SX_SY_mSZ_S12_bEUlT_E_NS1_11comp_targetILNS1_3genE4ELNS1_11target_archE910ELNS1_3gpuE8ELNS1_3repE0EEENS1_30default_config_static_selectorELNS0_4arch9wavefront6targetE1EEEvSW_.uses_flat_scratch, 0
	.set _ZN7rocprim17ROCPRIM_400000_NS6detail17trampoline_kernelINS0_14default_configENS1_29binary_search_config_selectorIxiEEZNS1_14transform_implILb0ES3_S5_N6thrust23THRUST_200600_302600_NS6detail15normal_iteratorINS8_7pointerIxNS8_11hip_rocprim5par_tENS8_11use_defaultESE_EEEENSA_INSB_IiSD_SE_SE_EEEEZNS1_13binary_searchIS3_S5_PxSG_SI_NS1_16binary_search_opENS9_16wrapped_functionINS8_6system6detail7generic6detail18binary_search_lessEbEEEE10hipError_tPvRmT1_T2_T3_mmT4_T5_P12ihipStream_tbEUlRKxE_EEST_SX_SY_mSZ_S12_bEUlT_E_NS1_11comp_targetILNS1_3genE4ELNS1_11target_archE910ELNS1_3gpuE8ELNS1_3repE0EEENS1_30default_config_static_selectorELNS0_4arch9wavefront6targetE1EEEvSW_.has_dyn_sized_stack, 0
	.set _ZN7rocprim17ROCPRIM_400000_NS6detail17trampoline_kernelINS0_14default_configENS1_29binary_search_config_selectorIxiEEZNS1_14transform_implILb0ES3_S5_N6thrust23THRUST_200600_302600_NS6detail15normal_iteratorINS8_7pointerIxNS8_11hip_rocprim5par_tENS8_11use_defaultESE_EEEENSA_INSB_IiSD_SE_SE_EEEEZNS1_13binary_searchIS3_S5_PxSG_SI_NS1_16binary_search_opENS9_16wrapped_functionINS8_6system6detail7generic6detail18binary_search_lessEbEEEE10hipError_tPvRmT1_T2_T3_mmT4_T5_P12ihipStream_tbEUlRKxE_EEST_SX_SY_mSZ_S12_bEUlT_E_NS1_11comp_targetILNS1_3genE4ELNS1_11target_archE910ELNS1_3gpuE8ELNS1_3repE0EEENS1_30default_config_static_selectorELNS0_4arch9wavefront6targetE1EEEvSW_.has_recursion, 0
	.set _ZN7rocprim17ROCPRIM_400000_NS6detail17trampoline_kernelINS0_14default_configENS1_29binary_search_config_selectorIxiEEZNS1_14transform_implILb0ES3_S5_N6thrust23THRUST_200600_302600_NS6detail15normal_iteratorINS8_7pointerIxNS8_11hip_rocprim5par_tENS8_11use_defaultESE_EEEENSA_INSB_IiSD_SE_SE_EEEEZNS1_13binary_searchIS3_S5_PxSG_SI_NS1_16binary_search_opENS9_16wrapped_functionINS8_6system6detail7generic6detail18binary_search_lessEbEEEE10hipError_tPvRmT1_T2_T3_mmT4_T5_P12ihipStream_tbEUlRKxE_EEST_SX_SY_mSZ_S12_bEUlT_E_NS1_11comp_targetILNS1_3genE4ELNS1_11target_archE910ELNS1_3gpuE8ELNS1_3repE0EEENS1_30default_config_static_selectorELNS0_4arch9wavefront6targetE1EEEvSW_.has_indirect_call, 0
	.section	.AMDGPU.csdata,"",@progbits
; Kernel info:
; codeLenInByte = 0
; TotalNumSgprs: 4
; NumVgprs: 0
; ScratchSize: 0
; MemoryBound: 0
; FloatMode: 240
; IeeeMode: 1
; LDSByteSize: 0 bytes/workgroup (compile time only)
; SGPRBlocks: 0
; VGPRBlocks: 0
; NumSGPRsForWavesPerEU: 4
; NumVGPRsForWavesPerEU: 1
; Occupancy: 10
; WaveLimiterHint : 0
; COMPUTE_PGM_RSRC2:SCRATCH_EN: 0
; COMPUTE_PGM_RSRC2:USER_SGPR: 6
; COMPUTE_PGM_RSRC2:TRAP_HANDLER: 0
; COMPUTE_PGM_RSRC2:TGID_X_EN: 1
; COMPUTE_PGM_RSRC2:TGID_Y_EN: 0
; COMPUTE_PGM_RSRC2:TGID_Z_EN: 0
; COMPUTE_PGM_RSRC2:TIDIG_COMP_CNT: 0
	.section	.text._ZN7rocprim17ROCPRIM_400000_NS6detail17trampoline_kernelINS0_14default_configENS1_29binary_search_config_selectorIxiEEZNS1_14transform_implILb0ES3_S5_N6thrust23THRUST_200600_302600_NS6detail15normal_iteratorINS8_7pointerIxNS8_11hip_rocprim5par_tENS8_11use_defaultESE_EEEENSA_INSB_IiSD_SE_SE_EEEEZNS1_13binary_searchIS3_S5_PxSG_SI_NS1_16binary_search_opENS9_16wrapped_functionINS8_6system6detail7generic6detail18binary_search_lessEbEEEE10hipError_tPvRmT1_T2_T3_mmT4_T5_P12ihipStream_tbEUlRKxE_EEST_SX_SY_mSZ_S12_bEUlT_E_NS1_11comp_targetILNS1_3genE3ELNS1_11target_archE908ELNS1_3gpuE7ELNS1_3repE0EEENS1_30default_config_static_selectorELNS0_4arch9wavefront6targetE1EEEvSW_,"axG",@progbits,_ZN7rocprim17ROCPRIM_400000_NS6detail17trampoline_kernelINS0_14default_configENS1_29binary_search_config_selectorIxiEEZNS1_14transform_implILb0ES3_S5_N6thrust23THRUST_200600_302600_NS6detail15normal_iteratorINS8_7pointerIxNS8_11hip_rocprim5par_tENS8_11use_defaultESE_EEEENSA_INSB_IiSD_SE_SE_EEEEZNS1_13binary_searchIS3_S5_PxSG_SI_NS1_16binary_search_opENS9_16wrapped_functionINS8_6system6detail7generic6detail18binary_search_lessEbEEEE10hipError_tPvRmT1_T2_T3_mmT4_T5_P12ihipStream_tbEUlRKxE_EEST_SX_SY_mSZ_S12_bEUlT_E_NS1_11comp_targetILNS1_3genE3ELNS1_11target_archE908ELNS1_3gpuE7ELNS1_3repE0EEENS1_30default_config_static_selectorELNS0_4arch9wavefront6targetE1EEEvSW_,comdat
	.protected	_ZN7rocprim17ROCPRIM_400000_NS6detail17trampoline_kernelINS0_14default_configENS1_29binary_search_config_selectorIxiEEZNS1_14transform_implILb0ES3_S5_N6thrust23THRUST_200600_302600_NS6detail15normal_iteratorINS8_7pointerIxNS8_11hip_rocprim5par_tENS8_11use_defaultESE_EEEENSA_INSB_IiSD_SE_SE_EEEEZNS1_13binary_searchIS3_S5_PxSG_SI_NS1_16binary_search_opENS9_16wrapped_functionINS8_6system6detail7generic6detail18binary_search_lessEbEEEE10hipError_tPvRmT1_T2_T3_mmT4_T5_P12ihipStream_tbEUlRKxE_EEST_SX_SY_mSZ_S12_bEUlT_E_NS1_11comp_targetILNS1_3genE3ELNS1_11target_archE908ELNS1_3gpuE7ELNS1_3repE0EEENS1_30default_config_static_selectorELNS0_4arch9wavefront6targetE1EEEvSW_ ; -- Begin function _ZN7rocprim17ROCPRIM_400000_NS6detail17trampoline_kernelINS0_14default_configENS1_29binary_search_config_selectorIxiEEZNS1_14transform_implILb0ES3_S5_N6thrust23THRUST_200600_302600_NS6detail15normal_iteratorINS8_7pointerIxNS8_11hip_rocprim5par_tENS8_11use_defaultESE_EEEENSA_INSB_IiSD_SE_SE_EEEEZNS1_13binary_searchIS3_S5_PxSG_SI_NS1_16binary_search_opENS9_16wrapped_functionINS8_6system6detail7generic6detail18binary_search_lessEbEEEE10hipError_tPvRmT1_T2_T3_mmT4_T5_P12ihipStream_tbEUlRKxE_EEST_SX_SY_mSZ_S12_bEUlT_E_NS1_11comp_targetILNS1_3genE3ELNS1_11target_archE908ELNS1_3gpuE7ELNS1_3repE0EEENS1_30default_config_static_selectorELNS0_4arch9wavefront6targetE1EEEvSW_
	.globl	_ZN7rocprim17ROCPRIM_400000_NS6detail17trampoline_kernelINS0_14default_configENS1_29binary_search_config_selectorIxiEEZNS1_14transform_implILb0ES3_S5_N6thrust23THRUST_200600_302600_NS6detail15normal_iteratorINS8_7pointerIxNS8_11hip_rocprim5par_tENS8_11use_defaultESE_EEEENSA_INSB_IiSD_SE_SE_EEEEZNS1_13binary_searchIS3_S5_PxSG_SI_NS1_16binary_search_opENS9_16wrapped_functionINS8_6system6detail7generic6detail18binary_search_lessEbEEEE10hipError_tPvRmT1_T2_T3_mmT4_T5_P12ihipStream_tbEUlRKxE_EEST_SX_SY_mSZ_S12_bEUlT_E_NS1_11comp_targetILNS1_3genE3ELNS1_11target_archE908ELNS1_3gpuE7ELNS1_3repE0EEENS1_30default_config_static_selectorELNS0_4arch9wavefront6targetE1EEEvSW_
	.p2align	8
	.type	_ZN7rocprim17ROCPRIM_400000_NS6detail17trampoline_kernelINS0_14default_configENS1_29binary_search_config_selectorIxiEEZNS1_14transform_implILb0ES3_S5_N6thrust23THRUST_200600_302600_NS6detail15normal_iteratorINS8_7pointerIxNS8_11hip_rocprim5par_tENS8_11use_defaultESE_EEEENSA_INSB_IiSD_SE_SE_EEEEZNS1_13binary_searchIS3_S5_PxSG_SI_NS1_16binary_search_opENS9_16wrapped_functionINS8_6system6detail7generic6detail18binary_search_lessEbEEEE10hipError_tPvRmT1_T2_T3_mmT4_T5_P12ihipStream_tbEUlRKxE_EEST_SX_SY_mSZ_S12_bEUlT_E_NS1_11comp_targetILNS1_3genE3ELNS1_11target_archE908ELNS1_3gpuE7ELNS1_3repE0EEENS1_30default_config_static_selectorELNS0_4arch9wavefront6targetE1EEEvSW_,@function
_ZN7rocprim17ROCPRIM_400000_NS6detail17trampoline_kernelINS0_14default_configENS1_29binary_search_config_selectorIxiEEZNS1_14transform_implILb0ES3_S5_N6thrust23THRUST_200600_302600_NS6detail15normal_iteratorINS8_7pointerIxNS8_11hip_rocprim5par_tENS8_11use_defaultESE_EEEENSA_INSB_IiSD_SE_SE_EEEEZNS1_13binary_searchIS3_S5_PxSG_SI_NS1_16binary_search_opENS9_16wrapped_functionINS8_6system6detail7generic6detail18binary_search_lessEbEEEE10hipError_tPvRmT1_T2_T3_mmT4_T5_P12ihipStream_tbEUlRKxE_EEST_SX_SY_mSZ_S12_bEUlT_E_NS1_11comp_targetILNS1_3genE3ELNS1_11target_archE908ELNS1_3gpuE7ELNS1_3repE0EEENS1_30default_config_static_selectorELNS0_4arch9wavefront6targetE1EEEvSW_: ; @_ZN7rocprim17ROCPRIM_400000_NS6detail17trampoline_kernelINS0_14default_configENS1_29binary_search_config_selectorIxiEEZNS1_14transform_implILb0ES3_S5_N6thrust23THRUST_200600_302600_NS6detail15normal_iteratorINS8_7pointerIxNS8_11hip_rocprim5par_tENS8_11use_defaultESE_EEEENSA_INSB_IiSD_SE_SE_EEEEZNS1_13binary_searchIS3_S5_PxSG_SI_NS1_16binary_search_opENS9_16wrapped_functionINS8_6system6detail7generic6detail18binary_search_lessEbEEEE10hipError_tPvRmT1_T2_T3_mmT4_T5_P12ihipStream_tbEUlRKxE_EEST_SX_SY_mSZ_S12_bEUlT_E_NS1_11comp_targetILNS1_3genE3ELNS1_11target_archE908ELNS1_3gpuE7ELNS1_3repE0EEENS1_30default_config_static_selectorELNS0_4arch9wavefront6targetE1EEEvSW_
; %bb.0:
	.section	.rodata,"a",@progbits
	.p2align	6, 0x0
	.amdhsa_kernel _ZN7rocprim17ROCPRIM_400000_NS6detail17trampoline_kernelINS0_14default_configENS1_29binary_search_config_selectorIxiEEZNS1_14transform_implILb0ES3_S5_N6thrust23THRUST_200600_302600_NS6detail15normal_iteratorINS8_7pointerIxNS8_11hip_rocprim5par_tENS8_11use_defaultESE_EEEENSA_INSB_IiSD_SE_SE_EEEEZNS1_13binary_searchIS3_S5_PxSG_SI_NS1_16binary_search_opENS9_16wrapped_functionINS8_6system6detail7generic6detail18binary_search_lessEbEEEE10hipError_tPvRmT1_T2_T3_mmT4_T5_P12ihipStream_tbEUlRKxE_EEST_SX_SY_mSZ_S12_bEUlT_E_NS1_11comp_targetILNS1_3genE3ELNS1_11target_archE908ELNS1_3gpuE7ELNS1_3repE0EEENS1_30default_config_static_selectorELNS0_4arch9wavefront6targetE1EEEvSW_
		.amdhsa_group_segment_fixed_size 0
		.amdhsa_private_segment_fixed_size 0
		.amdhsa_kernarg_size 56
		.amdhsa_user_sgpr_count 6
		.amdhsa_user_sgpr_private_segment_buffer 1
		.amdhsa_user_sgpr_dispatch_ptr 0
		.amdhsa_user_sgpr_queue_ptr 0
		.amdhsa_user_sgpr_kernarg_segment_ptr 1
		.amdhsa_user_sgpr_dispatch_id 0
		.amdhsa_user_sgpr_flat_scratch_init 0
		.amdhsa_user_sgpr_private_segment_size 0
		.amdhsa_uses_dynamic_stack 0
		.amdhsa_system_sgpr_private_segment_wavefront_offset 0
		.amdhsa_system_sgpr_workgroup_id_x 1
		.amdhsa_system_sgpr_workgroup_id_y 0
		.amdhsa_system_sgpr_workgroup_id_z 0
		.amdhsa_system_sgpr_workgroup_info 0
		.amdhsa_system_vgpr_workitem_id 0
		.amdhsa_next_free_vgpr 1
		.amdhsa_next_free_sgpr 0
		.amdhsa_reserve_vcc 0
		.amdhsa_reserve_flat_scratch 0
		.amdhsa_float_round_mode_32 0
		.amdhsa_float_round_mode_16_64 0
		.amdhsa_float_denorm_mode_32 3
		.amdhsa_float_denorm_mode_16_64 3
		.amdhsa_dx10_clamp 1
		.amdhsa_ieee_mode 1
		.amdhsa_fp16_overflow 0
		.amdhsa_exception_fp_ieee_invalid_op 0
		.amdhsa_exception_fp_denorm_src 0
		.amdhsa_exception_fp_ieee_div_zero 0
		.amdhsa_exception_fp_ieee_overflow 0
		.amdhsa_exception_fp_ieee_underflow 0
		.amdhsa_exception_fp_ieee_inexact 0
		.amdhsa_exception_int_div_zero 0
	.end_amdhsa_kernel
	.section	.text._ZN7rocprim17ROCPRIM_400000_NS6detail17trampoline_kernelINS0_14default_configENS1_29binary_search_config_selectorIxiEEZNS1_14transform_implILb0ES3_S5_N6thrust23THRUST_200600_302600_NS6detail15normal_iteratorINS8_7pointerIxNS8_11hip_rocprim5par_tENS8_11use_defaultESE_EEEENSA_INSB_IiSD_SE_SE_EEEEZNS1_13binary_searchIS3_S5_PxSG_SI_NS1_16binary_search_opENS9_16wrapped_functionINS8_6system6detail7generic6detail18binary_search_lessEbEEEE10hipError_tPvRmT1_T2_T3_mmT4_T5_P12ihipStream_tbEUlRKxE_EEST_SX_SY_mSZ_S12_bEUlT_E_NS1_11comp_targetILNS1_3genE3ELNS1_11target_archE908ELNS1_3gpuE7ELNS1_3repE0EEENS1_30default_config_static_selectorELNS0_4arch9wavefront6targetE1EEEvSW_,"axG",@progbits,_ZN7rocprim17ROCPRIM_400000_NS6detail17trampoline_kernelINS0_14default_configENS1_29binary_search_config_selectorIxiEEZNS1_14transform_implILb0ES3_S5_N6thrust23THRUST_200600_302600_NS6detail15normal_iteratorINS8_7pointerIxNS8_11hip_rocprim5par_tENS8_11use_defaultESE_EEEENSA_INSB_IiSD_SE_SE_EEEEZNS1_13binary_searchIS3_S5_PxSG_SI_NS1_16binary_search_opENS9_16wrapped_functionINS8_6system6detail7generic6detail18binary_search_lessEbEEEE10hipError_tPvRmT1_T2_T3_mmT4_T5_P12ihipStream_tbEUlRKxE_EEST_SX_SY_mSZ_S12_bEUlT_E_NS1_11comp_targetILNS1_3genE3ELNS1_11target_archE908ELNS1_3gpuE7ELNS1_3repE0EEENS1_30default_config_static_selectorELNS0_4arch9wavefront6targetE1EEEvSW_,comdat
.Lfunc_end296:
	.size	_ZN7rocprim17ROCPRIM_400000_NS6detail17trampoline_kernelINS0_14default_configENS1_29binary_search_config_selectorIxiEEZNS1_14transform_implILb0ES3_S5_N6thrust23THRUST_200600_302600_NS6detail15normal_iteratorINS8_7pointerIxNS8_11hip_rocprim5par_tENS8_11use_defaultESE_EEEENSA_INSB_IiSD_SE_SE_EEEEZNS1_13binary_searchIS3_S5_PxSG_SI_NS1_16binary_search_opENS9_16wrapped_functionINS8_6system6detail7generic6detail18binary_search_lessEbEEEE10hipError_tPvRmT1_T2_T3_mmT4_T5_P12ihipStream_tbEUlRKxE_EEST_SX_SY_mSZ_S12_bEUlT_E_NS1_11comp_targetILNS1_3genE3ELNS1_11target_archE908ELNS1_3gpuE7ELNS1_3repE0EEENS1_30default_config_static_selectorELNS0_4arch9wavefront6targetE1EEEvSW_, .Lfunc_end296-_ZN7rocprim17ROCPRIM_400000_NS6detail17trampoline_kernelINS0_14default_configENS1_29binary_search_config_selectorIxiEEZNS1_14transform_implILb0ES3_S5_N6thrust23THRUST_200600_302600_NS6detail15normal_iteratorINS8_7pointerIxNS8_11hip_rocprim5par_tENS8_11use_defaultESE_EEEENSA_INSB_IiSD_SE_SE_EEEEZNS1_13binary_searchIS3_S5_PxSG_SI_NS1_16binary_search_opENS9_16wrapped_functionINS8_6system6detail7generic6detail18binary_search_lessEbEEEE10hipError_tPvRmT1_T2_T3_mmT4_T5_P12ihipStream_tbEUlRKxE_EEST_SX_SY_mSZ_S12_bEUlT_E_NS1_11comp_targetILNS1_3genE3ELNS1_11target_archE908ELNS1_3gpuE7ELNS1_3repE0EEENS1_30default_config_static_selectorELNS0_4arch9wavefront6targetE1EEEvSW_
                                        ; -- End function
	.set _ZN7rocprim17ROCPRIM_400000_NS6detail17trampoline_kernelINS0_14default_configENS1_29binary_search_config_selectorIxiEEZNS1_14transform_implILb0ES3_S5_N6thrust23THRUST_200600_302600_NS6detail15normal_iteratorINS8_7pointerIxNS8_11hip_rocprim5par_tENS8_11use_defaultESE_EEEENSA_INSB_IiSD_SE_SE_EEEEZNS1_13binary_searchIS3_S5_PxSG_SI_NS1_16binary_search_opENS9_16wrapped_functionINS8_6system6detail7generic6detail18binary_search_lessEbEEEE10hipError_tPvRmT1_T2_T3_mmT4_T5_P12ihipStream_tbEUlRKxE_EEST_SX_SY_mSZ_S12_bEUlT_E_NS1_11comp_targetILNS1_3genE3ELNS1_11target_archE908ELNS1_3gpuE7ELNS1_3repE0EEENS1_30default_config_static_selectorELNS0_4arch9wavefront6targetE1EEEvSW_.num_vgpr, 0
	.set _ZN7rocprim17ROCPRIM_400000_NS6detail17trampoline_kernelINS0_14default_configENS1_29binary_search_config_selectorIxiEEZNS1_14transform_implILb0ES3_S5_N6thrust23THRUST_200600_302600_NS6detail15normal_iteratorINS8_7pointerIxNS8_11hip_rocprim5par_tENS8_11use_defaultESE_EEEENSA_INSB_IiSD_SE_SE_EEEEZNS1_13binary_searchIS3_S5_PxSG_SI_NS1_16binary_search_opENS9_16wrapped_functionINS8_6system6detail7generic6detail18binary_search_lessEbEEEE10hipError_tPvRmT1_T2_T3_mmT4_T5_P12ihipStream_tbEUlRKxE_EEST_SX_SY_mSZ_S12_bEUlT_E_NS1_11comp_targetILNS1_3genE3ELNS1_11target_archE908ELNS1_3gpuE7ELNS1_3repE0EEENS1_30default_config_static_selectorELNS0_4arch9wavefront6targetE1EEEvSW_.num_agpr, 0
	.set _ZN7rocprim17ROCPRIM_400000_NS6detail17trampoline_kernelINS0_14default_configENS1_29binary_search_config_selectorIxiEEZNS1_14transform_implILb0ES3_S5_N6thrust23THRUST_200600_302600_NS6detail15normal_iteratorINS8_7pointerIxNS8_11hip_rocprim5par_tENS8_11use_defaultESE_EEEENSA_INSB_IiSD_SE_SE_EEEEZNS1_13binary_searchIS3_S5_PxSG_SI_NS1_16binary_search_opENS9_16wrapped_functionINS8_6system6detail7generic6detail18binary_search_lessEbEEEE10hipError_tPvRmT1_T2_T3_mmT4_T5_P12ihipStream_tbEUlRKxE_EEST_SX_SY_mSZ_S12_bEUlT_E_NS1_11comp_targetILNS1_3genE3ELNS1_11target_archE908ELNS1_3gpuE7ELNS1_3repE0EEENS1_30default_config_static_selectorELNS0_4arch9wavefront6targetE1EEEvSW_.numbered_sgpr, 0
	.set _ZN7rocprim17ROCPRIM_400000_NS6detail17trampoline_kernelINS0_14default_configENS1_29binary_search_config_selectorIxiEEZNS1_14transform_implILb0ES3_S5_N6thrust23THRUST_200600_302600_NS6detail15normal_iteratorINS8_7pointerIxNS8_11hip_rocprim5par_tENS8_11use_defaultESE_EEEENSA_INSB_IiSD_SE_SE_EEEEZNS1_13binary_searchIS3_S5_PxSG_SI_NS1_16binary_search_opENS9_16wrapped_functionINS8_6system6detail7generic6detail18binary_search_lessEbEEEE10hipError_tPvRmT1_T2_T3_mmT4_T5_P12ihipStream_tbEUlRKxE_EEST_SX_SY_mSZ_S12_bEUlT_E_NS1_11comp_targetILNS1_3genE3ELNS1_11target_archE908ELNS1_3gpuE7ELNS1_3repE0EEENS1_30default_config_static_selectorELNS0_4arch9wavefront6targetE1EEEvSW_.num_named_barrier, 0
	.set _ZN7rocprim17ROCPRIM_400000_NS6detail17trampoline_kernelINS0_14default_configENS1_29binary_search_config_selectorIxiEEZNS1_14transform_implILb0ES3_S5_N6thrust23THRUST_200600_302600_NS6detail15normal_iteratorINS8_7pointerIxNS8_11hip_rocprim5par_tENS8_11use_defaultESE_EEEENSA_INSB_IiSD_SE_SE_EEEEZNS1_13binary_searchIS3_S5_PxSG_SI_NS1_16binary_search_opENS9_16wrapped_functionINS8_6system6detail7generic6detail18binary_search_lessEbEEEE10hipError_tPvRmT1_T2_T3_mmT4_T5_P12ihipStream_tbEUlRKxE_EEST_SX_SY_mSZ_S12_bEUlT_E_NS1_11comp_targetILNS1_3genE3ELNS1_11target_archE908ELNS1_3gpuE7ELNS1_3repE0EEENS1_30default_config_static_selectorELNS0_4arch9wavefront6targetE1EEEvSW_.private_seg_size, 0
	.set _ZN7rocprim17ROCPRIM_400000_NS6detail17trampoline_kernelINS0_14default_configENS1_29binary_search_config_selectorIxiEEZNS1_14transform_implILb0ES3_S5_N6thrust23THRUST_200600_302600_NS6detail15normal_iteratorINS8_7pointerIxNS8_11hip_rocprim5par_tENS8_11use_defaultESE_EEEENSA_INSB_IiSD_SE_SE_EEEEZNS1_13binary_searchIS3_S5_PxSG_SI_NS1_16binary_search_opENS9_16wrapped_functionINS8_6system6detail7generic6detail18binary_search_lessEbEEEE10hipError_tPvRmT1_T2_T3_mmT4_T5_P12ihipStream_tbEUlRKxE_EEST_SX_SY_mSZ_S12_bEUlT_E_NS1_11comp_targetILNS1_3genE3ELNS1_11target_archE908ELNS1_3gpuE7ELNS1_3repE0EEENS1_30default_config_static_selectorELNS0_4arch9wavefront6targetE1EEEvSW_.uses_vcc, 0
	.set _ZN7rocprim17ROCPRIM_400000_NS6detail17trampoline_kernelINS0_14default_configENS1_29binary_search_config_selectorIxiEEZNS1_14transform_implILb0ES3_S5_N6thrust23THRUST_200600_302600_NS6detail15normal_iteratorINS8_7pointerIxNS8_11hip_rocprim5par_tENS8_11use_defaultESE_EEEENSA_INSB_IiSD_SE_SE_EEEEZNS1_13binary_searchIS3_S5_PxSG_SI_NS1_16binary_search_opENS9_16wrapped_functionINS8_6system6detail7generic6detail18binary_search_lessEbEEEE10hipError_tPvRmT1_T2_T3_mmT4_T5_P12ihipStream_tbEUlRKxE_EEST_SX_SY_mSZ_S12_bEUlT_E_NS1_11comp_targetILNS1_3genE3ELNS1_11target_archE908ELNS1_3gpuE7ELNS1_3repE0EEENS1_30default_config_static_selectorELNS0_4arch9wavefront6targetE1EEEvSW_.uses_flat_scratch, 0
	.set _ZN7rocprim17ROCPRIM_400000_NS6detail17trampoline_kernelINS0_14default_configENS1_29binary_search_config_selectorIxiEEZNS1_14transform_implILb0ES3_S5_N6thrust23THRUST_200600_302600_NS6detail15normal_iteratorINS8_7pointerIxNS8_11hip_rocprim5par_tENS8_11use_defaultESE_EEEENSA_INSB_IiSD_SE_SE_EEEEZNS1_13binary_searchIS3_S5_PxSG_SI_NS1_16binary_search_opENS9_16wrapped_functionINS8_6system6detail7generic6detail18binary_search_lessEbEEEE10hipError_tPvRmT1_T2_T3_mmT4_T5_P12ihipStream_tbEUlRKxE_EEST_SX_SY_mSZ_S12_bEUlT_E_NS1_11comp_targetILNS1_3genE3ELNS1_11target_archE908ELNS1_3gpuE7ELNS1_3repE0EEENS1_30default_config_static_selectorELNS0_4arch9wavefront6targetE1EEEvSW_.has_dyn_sized_stack, 0
	.set _ZN7rocprim17ROCPRIM_400000_NS6detail17trampoline_kernelINS0_14default_configENS1_29binary_search_config_selectorIxiEEZNS1_14transform_implILb0ES3_S5_N6thrust23THRUST_200600_302600_NS6detail15normal_iteratorINS8_7pointerIxNS8_11hip_rocprim5par_tENS8_11use_defaultESE_EEEENSA_INSB_IiSD_SE_SE_EEEEZNS1_13binary_searchIS3_S5_PxSG_SI_NS1_16binary_search_opENS9_16wrapped_functionINS8_6system6detail7generic6detail18binary_search_lessEbEEEE10hipError_tPvRmT1_T2_T3_mmT4_T5_P12ihipStream_tbEUlRKxE_EEST_SX_SY_mSZ_S12_bEUlT_E_NS1_11comp_targetILNS1_3genE3ELNS1_11target_archE908ELNS1_3gpuE7ELNS1_3repE0EEENS1_30default_config_static_selectorELNS0_4arch9wavefront6targetE1EEEvSW_.has_recursion, 0
	.set _ZN7rocprim17ROCPRIM_400000_NS6detail17trampoline_kernelINS0_14default_configENS1_29binary_search_config_selectorIxiEEZNS1_14transform_implILb0ES3_S5_N6thrust23THRUST_200600_302600_NS6detail15normal_iteratorINS8_7pointerIxNS8_11hip_rocprim5par_tENS8_11use_defaultESE_EEEENSA_INSB_IiSD_SE_SE_EEEEZNS1_13binary_searchIS3_S5_PxSG_SI_NS1_16binary_search_opENS9_16wrapped_functionINS8_6system6detail7generic6detail18binary_search_lessEbEEEE10hipError_tPvRmT1_T2_T3_mmT4_T5_P12ihipStream_tbEUlRKxE_EEST_SX_SY_mSZ_S12_bEUlT_E_NS1_11comp_targetILNS1_3genE3ELNS1_11target_archE908ELNS1_3gpuE7ELNS1_3repE0EEENS1_30default_config_static_selectorELNS0_4arch9wavefront6targetE1EEEvSW_.has_indirect_call, 0
	.section	.AMDGPU.csdata,"",@progbits
; Kernel info:
; codeLenInByte = 0
; TotalNumSgprs: 4
; NumVgprs: 0
; ScratchSize: 0
; MemoryBound: 0
; FloatMode: 240
; IeeeMode: 1
; LDSByteSize: 0 bytes/workgroup (compile time only)
; SGPRBlocks: 0
; VGPRBlocks: 0
; NumSGPRsForWavesPerEU: 4
; NumVGPRsForWavesPerEU: 1
; Occupancy: 10
; WaveLimiterHint : 0
; COMPUTE_PGM_RSRC2:SCRATCH_EN: 0
; COMPUTE_PGM_RSRC2:USER_SGPR: 6
; COMPUTE_PGM_RSRC2:TRAP_HANDLER: 0
; COMPUTE_PGM_RSRC2:TGID_X_EN: 1
; COMPUTE_PGM_RSRC2:TGID_Y_EN: 0
; COMPUTE_PGM_RSRC2:TGID_Z_EN: 0
; COMPUTE_PGM_RSRC2:TIDIG_COMP_CNT: 0
	.section	.text._ZN7rocprim17ROCPRIM_400000_NS6detail17trampoline_kernelINS0_14default_configENS1_29binary_search_config_selectorIxiEEZNS1_14transform_implILb0ES3_S5_N6thrust23THRUST_200600_302600_NS6detail15normal_iteratorINS8_7pointerIxNS8_11hip_rocprim5par_tENS8_11use_defaultESE_EEEENSA_INSB_IiSD_SE_SE_EEEEZNS1_13binary_searchIS3_S5_PxSG_SI_NS1_16binary_search_opENS9_16wrapped_functionINS8_6system6detail7generic6detail18binary_search_lessEbEEEE10hipError_tPvRmT1_T2_T3_mmT4_T5_P12ihipStream_tbEUlRKxE_EEST_SX_SY_mSZ_S12_bEUlT_E_NS1_11comp_targetILNS1_3genE2ELNS1_11target_archE906ELNS1_3gpuE6ELNS1_3repE0EEENS1_30default_config_static_selectorELNS0_4arch9wavefront6targetE1EEEvSW_,"axG",@progbits,_ZN7rocprim17ROCPRIM_400000_NS6detail17trampoline_kernelINS0_14default_configENS1_29binary_search_config_selectorIxiEEZNS1_14transform_implILb0ES3_S5_N6thrust23THRUST_200600_302600_NS6detail15normal_iteratorINS8_7pointerIxNS8_11hip_rocprim5par_tENS8_11use_defaultESE_EEEENSA_INSB_IiSD_SE_SE_EEEEZNS1_13binary_searchIS3_S5_PxSG_SI_NS1_16binary_search_opENS9_16wrapped_functionINS8_6system6detail7generic6detail18binary_search_lessEbEEEE10hipError_tPvRmT1_T2_T3_mmT4_T5_P12ihipStream_tbEUlRKxE_EEST_SX_SY_mSZ_S12_bEUlT_E_NS1_11comp_targetILNS1_3genE2ELNS1_11target_archE906ELNS1_3gpuE6ELNS1_3repE0EEENS1_30default_config_static_selectorELNS0_4arch9wavefront6targetE1EEEvSW_,comdat
	.protected	_ZN7rocprim17ROCPRIM_400000_NS6detail17trampoline_kernelINS0_14default_configENS1_29binary_search_config_selectorIxiEEZNS1_14transform_implILb0ES3_S5_N6thrust23THRUST_200600_302600_NS6detail15normal_iteratorINS8_7pointerIxNS8_11hip_rocprim5par_tENS8_11use_defaultESE_EEEENSA_INSB_IiSD_SE_SE_EEEEZNS1_13binary_searchIS3_S5_PxSG_SI_NS1_16binary_search_opENS9_16wrapped_functionINS8_6system6detail7generic6detail18binary_search_lessEbEEEE10hipError_tPvRmT1_T2_T3_mmT4_T5_P12ihipStream_tbEUlRKxE_EEST_SX_SY_mSZ_S12_bEUlT_E_NS1_11comp_targetILNS1_3genE2ELNS1_11target_archE906ELNS1_3gpuE6ELNS1_3repE0EEENS1_30default_config_static_selectorELNS0_4arch9wavefront6targetE1EEEvSW_ ; -- Begin function _ZN7rocprim17ROCPRIM_400000_NS6detail17trampoline_kernelINS0_14default_configENS1_29binary_search_config_selectorIxiEEZNS1_14transform_implILb0ES3_S5_N6thrust23THRUST_200600_302600_NS6detail15normal_iteratorINS8_7pointerIxNS8_11hip_rocprim5par_tENS8_11use_defaultESE_EEEENSA_INSB_IiSD_SE_SE_EEEEZNS1_13binary_searchIS3_S5_PxSG_SI_NS1_16binary_search_opENS9_16wrapped_functionINS8_6system6detail7generic6detail18binary_search_lessEbEEEE10hipError_tPvRmT1_T2_T3_mmT4_T5_P12ihipStream_tbEUlRKxE_EEST_SX_SY_mSZ_S12_bEUlT_E_NS1_11comp_targetILNS1_3genE2ELNS1_11target_archE906ELNS1_3gpuE6ELNS1_3repE0EEENS1_30default_config_static_selectorELNS0_4arch9wavefront6targetE1EEEvSW_
	.globl	_ZN7rocprim17ROCPRIM_400000_NS6detail17trampoline_kernelINS0_14default_configENS1_29binary_search_config_selectorIxiEEZNS1_14transform_implILb0ES3_S5_N6thrust23THRUST_200600_302600_NS6detail15normal_iteratorINS8_7pointerIxNS8_11hip_rocprim5par_tENS8_11use_defaultESE_EEEENSA_INSB_IiSD_SE_SE_EEEEZNS1_13binary_searchIS3_S5_PxSG_SI_NS1_16binary_search_opENS9_16wrapped_functionINS8_6system6detail7generic6detail18binary_search_lessEbEEEE10hipError_tPvRmT1_T2_T3_mmT4_T5_P12ihipStream_tbEUlRKxE_EEST_SX_SY_mSZ_S12_bEUlT_E_NS1_11comp_targetILNS1_3genE2ELNS1_11target_archE906ELNS1_3gpuE6ELNS1_3repE0EEENS1_30default_config_static_selectorELNS0_4arch9wavefront6targetE1EEEvSW_
	.p2align	8
	.type	_ZN7rocprim17ROCPRIM_400000_NS6detail17trampoline_kernelINS0_14default_configENS1_29binary_search_config_selectorIxiEEZNS1_14transform_implILb0ES3_S5_N6thrust23THRUST_200600_302600_NS6detail15normal_iteratorINS8_7pointerIxNS8_11hip_rocprim5par_tENS8_11use_defaultESE_EEEENSA_INSB_IiSD_SE_SE_EEEEZNS1_13binary_searchIS3_S5_PxSG_SI_NS1_16binary_search_opENS9_16wrapped_functionINS8_6system6detail7generic6detail18binary_search_lessEbEEEE10hipError_tPvRmT1_T2_T3_mmT4_T5_P12ihipStream_tbEUlRKxE_EEST_SX_SY_mSZ_S12_bEUlT_E_NS1_11comp_targetILNS1_3genE2ELNS1_11target_archE906ELNS1_3gpuE6ELNS1_3repE0EEENS1_30default_config_static_selectorELNS0_4arch9wavefront6targetE1EEEvSW_,@function
_ZN7rocprim17ROCPRIM_400000_NS6detail17trampoline_kernelINS0_14default_configENS1_29binary_search_config_selectorIxiEEZNS1_14transform_implILb0ES3_S5_N6thrust23THRUST_200600_302600_NS6detail15normal_iteratorINS8_7pointerIxNS8_11hip_rocprim5par_tENS8_11use_defaultESE_EEEENSA_INSB_IiSD_SE_SE_EEEEZNS1_13binary_searchIS3_S5_PxSG_SI_NS1_16binary_search_opENS9_16wrapped_functionINS8_6system6detail7generic6detail18binary_search_lessEbEEEE10hipError_tPvRmT1_T2_T3_mmT4_T5_P12ihipStream_tbEUlRKxE_EEST_SX_SY_mSZ_S12_bEUlT_E_NS1_11comp_targetILNS1_3genE2ELNS1_11target_archE906ELNS1_3gpuE6ELNS1_3repE0EEENS1_30default_config_static_selectorELNS0_4arch9wavefront6targetE1EEEvSW_: ; @_ZN7rocprim17ROCPRIM_400000_NS6detail17trampoline_kernelINS0_14default_configENS1_29binary_search_config_selectorIxiEEZNS1_14transform_implILb0ES3_S5_N6thrust23THRUST_200600_302600_NS6detail15normal_iteratorINS8_7pointerIxNS8_11hip_rocprim5par_tENS8_11use_defaultESE_EEEENSA_INSB_IiSD_SE_SE_EEEEZNS1_13binary_searchIS3_S5_PxSG_SI_NS1_16binary_search_opENS9_16wrapped_functionINS8_6system6detail7generic6detail18binary_search_lessEbEEEE10hipError_tPvRmT1_T2_T3_mmT4_T5_P12ihipStream_tbEUlRKxE_EEST_SX_SY_mSZ_S12_bEUlT_E_NS1_11comp_targetILNS1_3genE2ELNS1_11target_archE906ELNS1_3gpuE6ELNS1_3repE0EEENS1_30default_config_static_selectorELNS0_4arch9wavefront6targetE1EEEvSW_
; %bb.0:
	s_load_dwordx4 s[0:3], s[4:5], 0x0
	s_load_dwordx4 s[8:11], s[4:5], 0x18
	s_load_dwordx2 s[14:15], s[4:5], 0x28
	s_load_dword s7, s[4:5], 0x38
	s_waitcnt lgkmcnt(0)
	s_lshl_b64 s[12:13], s[2:3], 3
	s_add_u32 s18, s0, s12
	s_addc_u32 s19, s1, s13
	s_lshl_b32 s12, s6, 8
	s_add_i32 s7, s7, -1
	s_cmp_lg_u32 s6, s7
	s_mov_b32 s13, 0
	s_cbranch_scc0 .LBB297_6
; %bb.1:
	s_lshl_b64 s[0:1], s[12:13], 3
	s_add_u32 s0, s18, s0
	s_addc_u32 s1, s19, s1
	v_lshlrev_b32_e32 v1, 3, v0
	v_mov_b32_e32 v2, s1
	v_add_co_u32_e32 v1, vcc, s0, v1
	v_addc_co_u32_e32 v2, vcc, 0, v2, vcc
	flat_load_dwordx2 v[2:3], v[1:2]
	v_mov_b32_e32 v4, 0
	v_mov_b32_e32 v1, 0
	s_cmp_eq_u64 s[14:15], 0
	s_mov_b64 s[0:1], 0
	v_mov_b32_e32 v5, 0
	s_cbranch_scc1 .LBB297_5
; %bb.2:
	v_mov_b32_e32 v6, s14
	v_mov_b32_e32 v7, s15
	;; [unrolled: 1-line block ×3, first 2 shown]
.LBB297_3:                              ; =>This Inner Loop Header: Depth=1
	v_sub_co_u32_e32 v9, vcc, v6, v4
	v_subb_co_u32_e32 v10, vcc, v7, v5, vcc
	v_lshrrev_b64 v[11:12], 1, v[9:10]
	v_lshrrev_b64 v[9:10], 6, v[9:10]
	v_add_co_u32_e32 v11, vcc, v11, v4
	v_addc_co_u32_e32 v12, vcc, v12, v5, vcc
	v_add_co_u32_e32 v9, vcc, v11, v9
	v_addc_co_u32_e32 v10, vcc, v12, v10, vcc
	v_lshlrev_b64 v[11:12], 3, v[9:10]
	v_add_co_u32_e32 v11, vcc, s10, v11
	v_addc_co_u32_e32 v12, vcc, v8, v12, vcc
	global_load_dwordx2 v[11:12], v[11:12], off
	v_add_co_u32_e32 v13, vcc, 1, v9
	v_addc_co_u32_e32 v14, vcc, 0, v10, vcc
	s_waitcnt vmcnt(0) lgkmcnt(0)
	v_cmp_lt_i64_e32 vcc, v[11:12], v[2:3]
	v_cndmask_b32_e32 v7, v10, v7, vcc
	v_cndmask_b32_e32 v6, v9, v6, vcc
	;; [unrolled: 1-line block ×4, first 2 shown]
	v_cmp_ge_u64_e32 vcc, v[4:5], v[6:7]
	s_or_b64 s[0:1], vcc, s[0:1]
	s_andn2_b64 exec, exec, s[0:1]
	s_cbranch_execnz .LBB297_3
; %bb.4:
	s_or_b64 exec, exec, s[0:1]
.LBB297_5:
	v_cmp_eq_u64_e64 s[6:7], s[14:15], v[4:5]
	v_cmp_ne_u64_e64 s[16:17], s[14:15], v[4:5]
	s_branch .LBB297_14
.LBB297_6:
	s_mov_b64 s[16:17], 0
	s_mov_b64 s[6:7], 0
                                        ; implicit-def: $vgpr2_vgpr3
                                        ; implicit-def: $vgpr4_vgpr5
	s_cbranch_execz .LBB297_14
; %bb.7:
	s_load_dword s0, s[4:5], 0x10
                                        ; implicit-def: $vgpr2_vgpr3
                                        ; implicit-def: $vgpr4_vgpr5
	s_waitcnt lgkmcnt(0)
	s_sub_i32 s0, s0, s12
	v_cmp_gt_u32_e32 vcc, s0, v0
	s_and_saveexec_b64 s[4:5], vcc
	s_cbranch_execz .LBB297_13
; %bb.8:
	s_lshl_b64 s[0:1], s[12:13], 3
	s_add_u32 s0, s18, s0
	s_addc_u32 s1, s19, s1
	v_lshlrev_b32_e32 v1, 3, v0
	s_waitcnt vmcnt(0)
	v_mov_b32_e32 v2, s1
	v_add_co_u32_e32 v1, vcc, s0, v1
	v_addc_co_u32_e32 v2, vcc, 0, v2, vcc
	flat_load_dwordx2 v[2:3], v[1:2]
	v_mov_b32_e32 v4, 0
	v_mov_b32_e32 v1, 0
	s_cmp_eq_u64 s[14:15], 0
	s_mov_b64 s[0:1], 0
	v_mov_b32_e32 v5, 0
	s_cbranch_scc1 .LBB297_12
; %bb.9:
	v_mov_b32_e32 v6, s14
	v_mov_b32_e32 v7, s15
	;; [unrolled: 1-line block ×3, first 2 shown]
.LBB297_10:                             ; =>This Inner Loop Header: Depth=1
	v_sub_co_u32_e32 v9, vcc, v6, v4
	v_subb_co_u32_e32 v10, vcc, v7, v5, vcc
	v_lshrrev_b64 v[11:12], 1, v[9:10]
	v_lshrrev_b64 v[9:10], 6, v[9:10]
	v_add_co_u32_e32 v11, vcc, v11, v4
	v_addc_co_u32_e32 v12, vcc, v12, v5, vcc
	v_add_co_u32_e32 v9, vcc, v11, v9
	v_addc_co_u32_e32 v10, vcc, v12, v10, vcc
	v_lshlrev_b64 v[11:12], 3, v[9:10]
	v_add_co_u32_e32 v11, vcc, s10, v11
	v_addc_co_u32_e32 v12, vcc, v8, v12, vcc
	global_load_dwordx2 v[11:12], v[11:12], off
	v_add_co_u32_e32 v13, vcc, 1, v9
	v_addc_co_u32_e32 v14, vcc, 0, v10, vcc
	s_waitcnt vmcnt(0) lgkmcnt(0)
	v_cmp_lt_i64_e32 vcc, v[11:12], v[2:3]
	v_cndmask_b32_e32 v7, v10, v7, vcc
	v_cndmask_b32_e32 v6, v9, v6, vcc
	;; [unrolled: 1-line block ×4, first 2 shown]
	v_cmp_ge_u64_e32 vcc, v[4:5], v[6:7]
	s_or_b64 s[0:1], vcc, s[0:1]
	s_andn2_b64 exec, exec, s[0:1]
	s_cbranch_execnz .LBB297_10
; %bb.11:
	s_or_b64 exec, exec, s[0:1]
.LBB297_12:
	v_cmp_eq_u64_e32 vcc, s[14:15], v[4:5]
	v_cmp_ne_u64_e64 s[0:1], s[14:15], v[4:5]
	s_andn2_b64 s[6:7], s[6:7], exec
	s_and_b64 s[14:15], vcc, exec
	s_or_b64 s[6:7], s[6:7], s[14:15]
	s_andn2_b64 s[14:15], s[16:17], exec
	s_and_b64 s[0:1], s[0:1], exec
	s_or_b64 s[16:17], s[14:15], s[0:1]
.LBB297_13:
	s_or_b64 exec, exec, s[4:5]
.LBB297_14:
	v_mov_b32_e32 v6, 0
	s_and_saveexec_b64 s[0:1], s[16:17]
	s_cbranch_execnz .LBB297_17
; %bb.15:
	s_or_b64 exec, exec, s[0:1]
	s_and_saveexec_b64 s[0:1], s[6:7]
	s_cbranch_execnz .LBB297_18
.LBB297_16:
	s_endpgm
.LBB297_17:
	v_lshlrev_b64 v[4:5], 3, v[4:5]
	v_mov_b32_e32 v6, s11
	v_add_co_u32_e32 v4, vcc, s10, v4
	v_addc_co_u32_e32 v5, vcc, v6, v5, vcc
	global_load_dwordx2 v[4:5], v[4:5], off
	s_or_b64 s[6:7], s[6:7], exec
	s_waitcnt vmcnt(0) lgkmcnt(0)
	v_cmp_ge_i64_e32 vcc, v[2:3], v[4:5]
	v_cndmask_b32_e64 v6, 0, 1, vcc
	s_or_b64 exec, exec, s[0:1]
	s_and_saveexec_b64 s[0:1], s[6:7]
	s_cbranch_execz .LBB297_16
.LBB297_18:
	s_lshl_b64 s[0:1], s[2:3], 2
	s_add_u32 s2, s8, s0
	s_addc_u32 s3, s9, s1
	s_lshl_b64 s[0:1], s[12:13], 2
	s_add_u32 s0, s2, s0
	v_lshlrev_b64 v[0:1], 2, v[0:1]
	s_addc_u32 s1, s3, s1
	s_waitcnt vmcnt(0) lgkmcnt(0)
	v_mov_b32_e32 v2, s1
	v_add_co_u32_e32 v0, vcc, s0, v0
	v_addc_co_u32_e32 v1, vcc, v2, v1, vcc
	flat_store_dword v[0:1], v6
	s_endpgm
	.section	.rodata,"a",@progbits
	.p2align	6, 0x0
	.amdhsa_kernel _ZN7rocprim17ROCPRIM_400000_NS6detail17trampoline_kernelINS0_14default_configENS1_29binary_search_config_selectorIxiEEZNS1_14transform_implILb0ES3_S5_N6thrust23THRUST_200600_302600_NS6detail15normal_iteratorINS8_7pointerIxNS8_11hip_rocprim5par_tENS8_11use_defaultESE_EEEENSA_INSB_IiSD_SE_SE_EEEEZNS1_13binary_searchIS3_S5_PxSG_SI_NS1_16binary_search_opENS9_16wrapped_functionINS8_6system6detail7generic6detail18binary_search_lessEbEEEE10hipError_tPvRmT1_T2_T3_mmT4_T5_P12ihipStream_tbEUlRKxE_EEST_SX_SY_mSZ_S12_bEUlT_E_NS1_11comp_targetILNS1_3genE2ELNS1_11target_archE906ELNS1_3gpuE6ELNS1_3repE0EEENS1_30default_config_static_selectorELNS0_4arch9wavefront6targetE1EEEvSW_
		.amdhsa_group_segment_fixed_size 0
		.amdhsa_private_segment_fixed_size 0
		.amdhsa_kernarg_size 312
		.amdhsa_user_sgpr_count 6
		.amdhsa_user_sgpr_private_segment_buffer 1
		.amdhsa_user_sgpr_dispatch_ptr 0
		.amdhsa_user_sgpr_queue_ptr 0
		.amdhsa_user_sgpr_kernarg_segment_ptr 1
		.amdhsa_user_sgpr_dispatch_id 0
		.amdhsa_user_sgpr_flat_scratch_init 0
		.amdhsa_user_sgpr_private_segment_size 0
		.amdhsa_uses_dynamic_stack 0
		.amdhsa_system_sgpr_private_segment_wavefront_offset 0
		.amdhsa_system_sgpr_workgroup_id_x 1
		.amdhsa_system_sgpr_workgroup_id_y 0
		.amdhsa_system_sgpr_workgroup_id_z 0
		.amdhsa_system_sgpr_workgroup_info 0
		.amdhsa_system_vgpr_workitem_id 0
		.amdhsa_next_free_vgpr 15
		.amdhsa_next_free_sgpr 20
		.amdhsa_reserve_vcc 1
		.amdhsa_reserve_flat_scratch 0
		.amdhsa_float_round_mode_32 0
		.amdhsa_float_round_mode_16_64 0
		.amdhsa_float_denorm_mode_32 3
		.amdhsa_float_denorm_mode_16_64 3
		.amdhsa_dx10_clamp 1
		.amdhsa_ieee_mode 1
		.amdhsa_fp16_overflow 0
		.amdhsa_exception_fp_ieee_invalid_op 0
		.amdhsa_exception_fp_denorm_src 0
		.amdhsa_exception_fp_ieee_div_zero 0
		.amdhsa_exception_fp_ieee_overflow 0
		.amdhsa_exception_fp_ieee_underflow 0
		.amdhsa_exception_fp_ieee_inexact 0
		.amdhsa_exception_int_div_zero 0
	.end_amdhsa_kernel
	.section	.text._ZN7rocprim17ROCPRIM_400000_NS6detail17trampoline_kernelINS0_14default_configENS1_29binary_search_config_selectorIxiEEZNS1_14transform_implILb0ES3_S5_N6thrust23THRUST_200600_302600_NS6detail15normal_iteratorINS8_7pointerIxNS8_11hip_rocprim5par_tENS8_11use_defaultESE_EEEENSA_INSB_IiSD_SE_SE_EEEEZNS1_13binary_searchIS3_S5_PxSG_SI_NS1_16binary_search_opENS9_16wrapped_functionINS8_6system6detail7generic6detail18binary_search_lessEbEEEE10hipError_tPvRmT1_T2_T3_mmT4_T5_P12ihipStream_tbEUlRKxE_EEST_SX_SY_mSZ_S12_bEUlT_E_NS1_11comp_targetILNS1_3genE2ELNS1_11target_archE906ELNS1_3gpuE6ELNS1_3repE0EEENS1_30default_config_static_selectorELNS0_4arch9wavefront6targetE1EEEvSW_,"axG",@progbits,_ZN7rocprim17ROCPRIM_400000_NS6detail17trampoline_kernelINS0_14default_configENS1_29binary_search_config_selectorIxiEEZNS1_14transform_implILb0ES3_S5_N6thrust23THRUST_200600_302600_NS6detail15normal_iteratorINS8_7pointerIxNS8_11hip_rocprim5par_tENS8_11use_defaultESE_EEEENSA_INSB_IiSD_SE_SE_EEEEZNS1_13binary_searchIS3_S5_PxSG_SI_NS1_16binary_search_opENS9_16wrapped_functionINS8_6system6detail7generic6detail18binary_search_lessEbEEEE10hipError_tPvRmT1_T2_T3_mmT4_T5_P12ihipStream_tbEUlRKxE_EEST_SX_SY_mSZ_S12_bEUlT_E_NS1_11comp_targetILNS1_3genE2ELNS1_11target_archE906ELNS1_3gpuE6ELNS1_3repE0EEENS1_30default_config_static_selectorELNS0_4arch9wavefront6targetE1EEEvSW_,comdat
.Lfunc_end297:
	.size	_ZN7rocprim17ROCPRIM_400000_NS6detail17trampoline_kernelINS0_14default_configENS1_29binary_search_config_selectorIxiEEZNS1_14transform_implILb0ES3_S5_N6thrust23THRUST_200600_302600_NS6detail15normal_iteratorINS8_7pointerIxNS8_11hip_rocprim5par_tENS8_11use_defaultESE_EEEENSA_INSB_IiSD_SE_SE_EEEEZNS1_13binary_searchIS3_S5_PxSG_SI_NS1_16binary_search_opENS9_16wrapped_functionINS8_6system6detail7generic6detail18binary_search_lessEbEEEE10hipError_tPvRmT1_T2_T3_mmT4_T5_P12ihipStream_tbEUlRKxE_EEST_SX_SY_mSZ_S12_bEUlT_E_NS1_11comp_targetILNS1_3genE2ELNS1_11target_archE906ELNS1_3gpuE6ELNS1_3repE0EEENS1_30default_config_static_selectorELNS0_4arch9wavefront6targetE1EEEvSW_, .Lfunc_end297-_ZN7rocprim17ROCPRIM_400000_NS6detail17trampoline_kernelINS0_14default_configENS1_29binary_search_config_selectorIxiEEZNS1_14transform_implILb0ES3_S5_N6thrust23THRUST_200600_302600_NS6detail15normal_iteratorINS8_7pointerIxNS8_11hip_rocprim5par_tENS8_11use_defaultESE_EEEENSA_INSB_IiSD_SE_SE_EEEEZNS1_13binary_searchIS3_S5_PxSG_SI_NS1_16binary_search_opENS9_16wrapped_functionINS8_6system6detail7generic6detail18binary_search_lessEbEEEE10hipError_tPvRmT1_T2_T3_mmT4_T5_P12ihipStream_tbEUlRKxE_EEST_SX_SY_mSZ_S12_bEUlT_E_NS1_11comp_targetILNS1_3genE2ELNS1_11target_archE906ELNS1_3gpuE6ELNS1_3repE0EEENS1_30default_config_static_selectorELNS0_4arch9wavefront6targetE1EEEvSW_
                                        ; -- End function
	.set _ZN7rocprim17ROCPRIM_400000_NS6detail17trampoline_kernelINS0_14default_configENS1_29binary_search_config_selectorIxiEEZNS1_14transform_implILb0ES3_S5_N6thrust23THRUST_200600_302600_NS6detail15normal_iteratorINS8_7pointerIxNS8_11hip_rocprim5par_tENS8_11use_defaultESE_EEEENSA_INSB_IiSD_SE_SE_EEEEZNS1_13binary_searchIS3_S5_PxSG_SI_NS1_16binary_search_opENS9_16wrapped_functionINS8_6system6detail7generic6detail18binary_search_lessEbEEEE10hipError_tPvRmT1_T2_T3_mmT4_T5_P12ihipStream_tbEUlRKxE_EEST_SX_SY_mSZ_S12_bEUlT_E_NS1_11comp_targetILNS1_3genE2ELNS1_11target_archE906ELNS1_3gpuE6ELNS1_3repE0EEENS1_30default_config_static_selectorELNS0_4arch9wavefront6targetE1EEEvSW_.num_vgpr, 15
	.set _ZN7rocprim17ROCPRIM_400000_NS6detail17trampoline_kernelINS0_14default_configENS1_29binary_search_config_selectorIxiEEZNS1_14transform_implILb0ES3_S5_N6thrust23THRUST_200600_302600_NS6detail15normal_iteratorINS8_7pointerIxNS8_11hip_rocprim5par_tENS8_11use_defaultESE_EEEENSA_INSB_IiSD_SE_SE_EEEEZNS1_13binary_searchIS3_S5_PxSG_SI_NS1_16binary_search_opENS9_16wrapped_functionINS8_6system6detail7generic6detail18binary_search_lessEbEEEE10hipError_tPvRmT1_T2_T3_mmT4_T5_P12ihipStream_tbEUlRKxE_EEST_SX_SY_mSZ_S12_bEUlT_E_NS1_11comp_targetILNS1_3genE2ELNS1_11target_archE906ELNS1_3gpuE6ELNS1_3repE0EEENS1_30default_config_static_selectorELNS0_4arch9wavefront6targetE1EEEvSW_.num_agpr, 0
	.set _ZN7rocprim17ROCPRIM_400000_NS6detail17trampoline_kernelINS0_14default_configENS1_29binary_search_config_selectorIxiEEZNS1_14transform_implILb0ES3_S5_N6thrust23THRUST_200600_302600_NS6detail15normal_iteratorINS8_7pointerIxNS8_11hip_rocprim5par_tENS8_11use_defaultESE_EEEENSA_INSB_IiSD_SE_SE_EEEEZNS1_13binary_searchIS3_S5_PxSG_SI_NS1_16binary_search_opENS9_16wrapped_functionINS8_6system6detail7generic6detail18binary_search_lessEbEEEE10hipError_tPvRmT1_T2_T3_mmT4_T5_P12ihipStream_tbEUlRKxE_EEST_SX_SY_mSZ_S12_bEUlT_E_NS1_11comp_targetILNS1_3genE2ELNS1_11target_archE906ELNS1_3gpuE6ELNS1_3repE0EEENS1_30default_config_static_selectorELNS0_4arch9wavefront6targetE1EEEvSW_.numbered_sgpr, 20
	.set _ZN7rocprim17ROCPRIM_400000_NS6detail17trampoline_kernelINS0_14default_configENS1_29binary_search_config_selectorIxiEEZNS1_14transform_implILb0ES3_S5_N6thrust23THRUST_200600_302600_NS6detail15normal_iteratorINS8_7pointerIxNS8_11hip_rocprim5par_tENS8_11use_defaultESE_EEEENSA_INSB_IiSD_SE_SE_EEEEZNS1_13binary_searchIS3_S5_PxSG_SI_NS1_16binary_search_opENS9_16wrapped_functionINS8_6system6detail7generic6detail18binary_search_lessEbEEEE10hipError_tPvRmT1_T2_T3_mmT4_T5_P12ihipStream_tbEUlRKxE_EEST_SX_SY_mSZ_S12_bEUlT_E_NS1_11comp_targetILNS1_3genE2ELNS1_11target_archE906ELNS1_3gpuE6ELNS1_3repE0EEENS1_30default_config_static_selectorELNS0_4arch9wavefront6targetE1EEEvSW_.num_named_barrier, 0
	.set _ZN7rocprim17ROCPRIM_400000_NS6detail17trampoline_kernelINS0_14default_configENS1_29binary_search_config_selectorIxiEEZNS1_14transform_implILb0ES3_S5_N6thrust23THRUST_200600_302600_NS6detail15normal_iteratorINS8_7pointerIxNS8_11hip_rocprim5par_tENS8_11use_defaultESE_EEEENSA_INSB_IiSD_SE_SE_EEEEZNS1_13binary_searchIS3_S5_PxSG_SI_NS1_16binary_search_opENS9_16wrapped_functionINS8_6system6detail7generic6detail18binary_search_lessEbEEEE10hipError_tPvRmT1_T2_T3_mmT4_T5_P12ihipStream_tbEUlRKxE_EEST_SX_SY_mSZ_S12_bEUlT_E_NS1_11comp_targetILNS1_3genE2ELNS1_11target_archE906ELNS1_3gpuE6ELNS1_3repE0EEENS1_30default_config_static_selectorELNS0_4arch9wavefront6targetE1EEEvSW_.private_seg_size, 0
	.set _ZN7rocprim17ROCPRIM_400000_NS6detail17trampoline_kernelINS0_14default_configENS1_29binary_search_config_selectorIxiEEZNS1_14transform_implILb0ES3_S5_N6thrust23THRUST_200600_302600_NS6detail15normal_iteratorINS8_7pointerIxNS8_11hip_rocprim5par_tENS8_11use_defaultESE_EEEENSA_INSB_IiSD_SE_SE_EEEEZNS1_13binary_searchIS3_S5_PxSG_SI_NS1_16binary_search_opENS9_16wrapped_functionINS8_6system6detail7generic6detail18binary_search_lessEbEEEE10hipError_tPvRmT1_T2_T3_mmT4_T5_P12ihipStream_tbEUlRKxE_EEST_SX_SY_mSZ_S12_bEUlT_E_NS1_11comp_targetILNS1_3genE2ELNS1_11target_archE906ELNS1_3gpuE6ELNS1_3repE0EEENS1_30default_config_static_selectorELNS0_4arch9wavefront6targetE1EEEvSW_.uses_vcc, 1
	.set _ZN7rocprim17ROCPRIM_400000_NS6detail17trampoline_kernelINS0_14default_configENS1_29binary_search_config_selectorIxiEEZNS1_14transform_implILb0ES3_S5_N6thrust23THRUST_200600_302600_NS6detail15normal_iteratorINS8_7pointerIxNS8_11hip_rocprim5par_tENS8_11use_defaultESE_EEEENSA_INSB_IiSD_SE_SE_EEEEZNS1_13binary_searchIS3_S5_PxSG_SI_NS1_16binary_search_opENS9_16wrapped_functionINS8_6system6detail7generic6detail18binary_search_lessEbEEEE10hipError_tPvRmT1_T2_T3_mmT4_T5_P12ihipStream_tbEUlRKxE_EEST_SX_SY_mSZ_S12_bEUlT_E_NS1_11comp_targetILNS1_3genE2ELNS1_11target_archE906ELNS1_3gpuE6ELNS1_3repE0EEENS1_30default_config_static_selectorELNS0_4arch9wavefront6targetE1EEEvSW_.uses_flat_scratch, 0
	.set _ZN7rocprim17ROCPRIM_400000_NS6detail17trampoline_kernelINS0_14default_configENS1_29binary_search_config_selectorIxiEEZNS1_14transform_implILb0ES3_S5_N6thrust23THRUST_200600_302600_NS6detail15normal_iteratorINS8_7pointerIxNS8_11hip_rocprim5par_tENS8_11use_defaultESE_EEEENSA_INSB_IiSD_SE_SE_EEEEZNS1_13binary_searchIS3_S5_PxSG_SI_NS1_16binary_search_opENS9_16wrapped_functionINS8_6system6detail7generic6detail18binary_search_lessEbEEEE10hipError_tPvRmT1_T2_T3_mmT4_T5_P12ihipStream_tbEUlRKxE_EEST_SX_SY_mSZ_S12_bEUlT_E_NS1_11comp_targetILNS1_3genE2ELNS1_11target_archE906ELNS1_3gpuE6ELNS1_3repE0EEENS1_30default_config_static_selectorELNS0_4arch9wavefront6targetE1EEEvSW_.has_dyn_sized_stack, 0
	.set _ZN7rocprim17ROCPRIM_400000_NS6detail17trampoline_kernelINS0_14default_configENS1_29binary_search_config_selectorIxiEEZNS1_14transform_implILb0ES3_S5_N6thrust23THRUST_200600_302600_NS6detail15normal_iteratorINS8_7pointerIxNS8_11hip_rocprim5par_tENS8_11use_defaultESE_EEEENSA_INSB_IiSD_SE_SE_EEEEZNS1_13binary_searchIS3_S5_PxSG_SI_NS1_16binary_search_opENS9_16wrapped_functionINS8_6system6detail7generic6detail18binary_search_lessEbEEEE10hipError_tPvRmT1_T2_T3_mmT4_T5_P12ihipStream_tbEUlRKxE_EEST_SX_SY_mSZ_S12_bEUlT_E_NS1_11comp_targetILNS1_3genE2ELNS1_11target_archE906ELNS1_3gpuE6ELNS1_3repE0EEENS1_30default_config_static_selectorELNS0_4arch9wavefront6targetE1EEEvSW_.has_recursion, 0
	.set _ZN7rocprim17ROCPRIM_400000_NS6detail17trampoline_kernelINS0_14default_configENS1_29binary_search_config_selectorIxiEEZNS1_14transform_implILb0ES3_S5_N6thrust23THRUST_200600_302600_NS6detail15normal_iteratorINS8_7pointerIxNS8_11hip_rocprim5par_tENS8_11use_defaultESE_EEEENSA_INSB_IiSD_SE_SE_EEEEZNS1_13binary_searchIS3_S5_PxSG_SI_NS1_16binary_search_opENS9_16wrapped_functionINS8_6system6detail7generic6detail18binary_search_lessEbEEEE10hipError_tPvRmT1_T2_T3_mmT4_T5_P12ihipStream_tbEUlRKxE_EEST_SX_SY_mSZ_S12_bEUlT_E_NS1_11comp_targetILNS1_3genE2ELNS1_11target_archE906ELNS1_3gpuE6ELNS1_3repE0EEENS1_30default_config_static_selectorELNS0_4arch9wavefront6targetE1EEEvSW_.has_indirect_call, 0
	.section	.AMDGPU.csdata,"",@progbits
; Kernel info:
; codeLenInByte = 696
; TotalNumSgprs: 24
; NumVgprs: 15
; ScratchSize: 0
; MemoryBound: 0
; FloatMode: 240
; IeeeMode: 1
; LDSByteSize: 0 bytes/workgroup (compile time only)
; SGPRBlocks: 2
; VGPRBlocks: 3
; NumSGPRsForWavesPerEU: 24
; NumVGPRsForWavesPerEU: 15
; Occupancy: 10
; WaveLimiterHint : 0
; COMPUTE_PGM_RSRC2:SCRATCH_EN: 0
; COMPUTE_PGM_RSRC2:USER_SGPR: 6
; COMPUTE_PGM_RSRC2:TRAP_HANDLER: 0
; COMPUTE_PGM_RSRC2:TGID_X_EN: 1
; COMPUTE_PGM_RSRC2:TGID_Y_EN: 0
; COMPUTE_PGM_RSRC2:TGID_Z_EN: 0
; COMPUTE_PGM_RSRC2:TIDIG_COMP_CNT: 0
	.section	.text._ZN7rocprim17ROCPRIM_400000_NS6detail17trampoline_kernelINS0_14default_configENS1_29binary_search_config_selectorIxiEEZNS1_14transform_implILb0ES3_S5_N6thrust23THRUST_200600_302600_NS6detail15normal_iteratorINS8_7pointerIxNS8_11hip_rocprim5par_tENS8_11use_defaultESE_EEEENSA_INSB_IiSD_SE_SE_EEEEZNS1_13binary_searchIS3_S5_PxSG_SI_NS1_16binary_search_opENS9_16wrapped_functionINS8_6system6detail7generic6detail18binary_search_lessEbEEEE10hipError_tPvRmT1_T2_T3_mmT4_T5_P12ihipStream_tbEUlRKxE_EEST_SX_SY_mSZ_S12_bEUlT_E_NS1_11comp_targetILNS1_3genE10ELNS1_11target_archE1201ELNS1_3gpuE5ELNS1_3repE0EEENS1_30default_config_static_selectorELNS0_4arch9wavefront6targetE1EEEvSW_,"axG",@progbits,_ZN7rocprim17ROCPRIM_400000_NS6detail17trampoline_kernelINS0_14default_configENS1_29binary_search_config_selectorIxiEEZNS1_14transform_implILb0ES3_S5_N6thrust23THRUST_200600_302600_NS6detail15normal_iteratorINS8_7pointerIxNS8_11hip_rocprim5par_tENS8_11use_defaultESE_EEEENSA_INSB_IiSD_SE_SE_EEEEZNS1_13binary_searchIS3_S5_PxSG_SI_NS1_16binary_search_opENS9_16wrapped_functionINS8_6system6detail7generic6detail18binary_search_lessEbEEEE10hipError_tPvRmT1_T2_T3_mmT4_T5_P12ihipStream_tbEUlRKxE_EEST_SX_SY_mSZ_S12_bEUlT_E_NS1_11comp_targetILNS1_3genE10ELNS1_11target_archE1201ELNS1_3gpuE5ELNS1_3repE0EEENS1_30default_config_static_selectorELNS0_4arch9wavefront6targetE1EEEvSW_,comdat
	.protected	_ZN7rocprim17ROCPRIM_400000_NS6detail17trampoline_kernelINS0_14default_configENS1_29binary_search_config_selectorIxiEEZNS1_14transform_implILb0ES3_S5_N6thrust23THRUST_200600_302600_NS6detail15normal_iteratorINS8_7pointerIxNS8_11hip_rocprim5par_tENS8_11use_defaultESE_EEEENSA_INSB_IiSD_SE_SE_EEEEZNS1_13binary_searchIS3_S5_PxSG_SI_NS1_16binary_search_opENS9_16wrapped_functionINS8_6system6detail7generic6detail18binary_search_lessEbEEEE10hipError_tPvRmT1_T2_T3_mmT4_T5_P12ihipStream_tbEUlRKxE_EEST_SX_SY_mSZ_S12_bEUlT_E_NS1_11comp_targetILNS1_3genE10ELNS1_11target_archE1201ELNS1_3gpuE5ELNS1_3repE0EEENS1_30default_config_static_selectorELNS0_4arch9wavefront6targetE1EEEvSW_ ; -- Begin function _ZN7rocprim17ROCPRIM_400000_NS6detail17trampoline_kernelINS0_14default_configENS1_29binary_search_config_selectorIxiEEZNS1_14transform_implILb0ES3_S5_N6thrust23THRUST_200600_302600_NS6detail15normal_iteratorINS8_7pointerIxNS8_11hip_rocprim5par_tENS8_11use_defaultESE_EEEENSA_INSB_IiSD_SE_SE_EEEEZNS1_13binary_searchIS3_S5_PxSG_SI_NS1_16binary_search_opENS9_16wrapped_functionINS8_6system6detail7generic6detail18binary_search_lessEbEEEE10hipError_tPvRmT1_T2_T3_mmT4_T5_P12ihipStream_tbEUlRKxE_EEST_SX_SY_mSZ_S12_bEUlT_E_NS1_11comp_targetILNS1_3genE10ELNS1_11target_archE1201ELNS1_3gpuE5ELNS1_3repE0EEENS1_30default_config_static_selectorELNS0_4arch9wavefront6targetE1EEEvSW_
	.globl	_ZN7rocprim17ROCPRIM_400000_NS6detail17trampoline_kernelINS0_14default_configENS1_29binary_search_config_selectorIxiEEZNS1_14transform_implILb0ES3_S5_N6thrust23THRUST_200600_302600_NS6detail15normal_iteratorINS8_7pointerIxNS8_11hip_rocprim5par_tENS8_11use_defaultESE_EEEENSA_INSB_IiSD_SE_SE_EEEEZNS1_13binary_searchIS3_S5_PxSG_SI_NS1_16binary_search_opENS9_16wrapped_functionINS8_6system6detail7generic6detail18binary_search_lessEbEEEE10hipError_tPvRmT1_T2_T3_mmT4_T5_P12ihipStream_tbEUlRKxE_EEST_SX_SY_mSZ_S12_bEUlT_E_NS1_11comp_targetILNS1_3genE10ELNS1_11target_archE1201ELNS1_3gpuE5ELNS1_3repE0EEENS1_30default_config_static_selectorELNS0_4arch9wavefront6targetE1EEEvSW_
	.p2align	8
	.type	_ZN7rocprim17ROCPRIM_400000_NS6detail17trampoline_kernelINS0_14default_configENS1_29binary_search_config_selectorIxiEEZNS1_14transform_implILb0ES3_S5_N6thrust23THRUST_200600_302600_NS6detail15normal_iteratorINS8_7pointerIxNS8_11hip_rocprim5par_tENS8_11use_defaultESE_EEEENSA_INSB_IiSD_SE_SE_EEEEZNS1_13binary_searchIS3_S5_PxSG_SI_NS1_16binary_search_opENS9_16wrapped_functionINS8_6system6detail7generic6detail18binary_search_lessEbEEEE10hipError_tPvRmT1_T2_T3_mmT4_T5_P12ihipStream_tbEUlRKxE_EEST_SX_SY_mSZ_S12_bEUlT_E_NS1_11comp_targetILNS1_3genE10ELNS1_11target_archE1201ELNS1_3gpuE5ELNS1_3repE0EEENS1_30default_config_static_selectorELNS0_4arch9wavefront6targetE1EEEvSW_,@function
_ZN7rocprim17ROCPRIM_400000_NS6detail17trampoline_kernelINS0_14default_configENS1_29binary_search_config_selectorIxiEEZNS1_14transform_implILb0ES3_S5_N6thrust23THRUST_200600_302600_NS6detail15normal_iteratorINS8_7pointerIxNS8_11hip_rocprim5par_tENS8_11use_defaultESE_EEEENSA_INSB_IiSD_SE_SE_EEEEZNS1_13binary_searchIS3_S5_PxSG_SI_NS1_16binary_search_opENS9_16wrapped_functionINS8_6system6detail7generic6detail18binary_search_lessEbEEEE10hipError_tPvRmT1_T2_T3_mmT4_T5_P12ihipStream_tbEUlRKxE_EEST_SX_SY_mSZ_S12_bEUlT_E_NS1_11comp_targetILNS1_3genE10ELNS1_11target_archE1201ELNS1_3gpuE5ELNS1_3repE0EEENS1_30default_config_static_selectorELNS0_4arch9wavefront6targetE1EEEvSW_: ; @_ZN7rocprim17ROCPRIM_400000_NS6detail17trampoline_kernelINS0_14default_configENS1_29binary_search_config_selectorIxiEEZNS1_14transform_implILb0ES3_S5_N6thrust23THRUST_200600_302600_NS6detail15normal_iteratorINS8_7pointerIxNS8_11hip_rocprim5par_tENS8_11use_defaultESE_EEEENSA_INSB_IiSD_SE_SE_EEEEZNS1_13binary_searchIS3_S5_PxSG_SI_NS1_16binary_search_opENS9_16wrapped_functionINS8_6system6detail7generic6detail18binary_search_lessEbEEEE10hipError_tPvRmT1_T2_T3_mmT4_T5_P12ihipStream_tbEUlRKxE_EEST_SX_SY_mSZ_S12_bEUlT_E_NS1_11comp_targetILNS1_3genE10ELNS1_11target_archE1201ELNS1_3gpuE5ELNS1_3repE0EEENS1_30default_config_static_selectorELNS0_4arch9wavefront6targetE1EEEvSW_
; %bb.0:
	.section	.rodata,"a",@progbits
	.p2align	6, 0x0
	.amdhsa_kernel _ZN7rocprim17ROCPRIM_400000_NS6detail17trampoline_kernelINS0_14default_configENS1_29binary_search_config_selectorIxiEEZNS1_14transform_implILb0ES3_S5_N6thrust23THRUST_200600_302600_NS6detail15normal_iteratorINS8_7pointerIxNS8_11hip_rocprim5par_tENS8_11use_defaultESE_EEEENSA_INSB_IiSD_SE_SE_EEEEZNS1_13binary_searchIS3_S5_PxSG_SI_NS1_16binary_search_opENS9_16wrapped_functionINS8_6system6detail7generic6detail18binary_search_lessEbEEEE10hipError_tPvRmT1_T2_T3_mmT4_T5_P12ihipStream_tbEUlRKxE_EEST_SX_SY_mSZ_S12_bEUlT_E_NS1_11comp_targetILNS1_3genE10ELNS1_11target_archE1201ELNS1_3gpuE5ELNS1_3repE0EEENS1_30default_config_static_selectorELNS0_4arch9wavefront6targetE1EEEvSW_
		.amdhsa_group_segment_fixed_size 0
		.amdhsa_private_segment_fixed_size 0
		.amdhsa_kernarg_size 56
		.amdhsa_user_sgpr_count 6
		.amdhsa_user_sgpr_private_segment_buffer 1
		.amdhsa_user_sgpr_dispatch_ptr 0
		.amdhsa_user_sgpr_queue_ptr 0
		.amdhsa_user_sgpr_kernarg_segment_ptr 1
		.amdhsa_user_sgpr_dispatch_id 0
		.amdhsa_user_sgpr_flat_scratch_init 0
		.amdhsa_user_sgpr_private_segment_size 0
		.amdhsa_uses_dynamic_stack 0
		.amdhsa_system_sgpr_private_segment_wavefront_offset 0
		.amdhsa_system_sgpr_workgroup_id_x 1
		.amdhsa_system_sgpr_workgroup_id_y 0
		.amdhsa_system_sgpr_workgroup_id_z 0
		.amdhsa_system_sgpr_workgroup_info 0
		.amdhsa_system_vgpr_workitem_id 0
		.amdhsa_next_free_vgpr 1
		.amdhsa_next_free_sgpr 0
		.amdhsa_reserve_vcc 0
		.amdhsa_reserve_flat_scratch 0
		.amdhsa_float_round_mode_32 0
		.amdhsa_float_round_mode_16_64 0
		.amdhsa_float_denorm_mode_32 3
		.amdhsa_float_denorm_mode_16_64 3
		.amdhsa_dx10_clamp 1
		.amdhsa_ieee_mode 1
		.amdhsa_fp16_overflow 0
		.amdhsa_exception_fp_ieee_invalid_op 0
		.amdhsa_exception_fp_denorm_src 0
		.amdhsa_exception_fp_ieee_div_zero 0
		.amdhsa_exception_fp_ieee_overflow 0
		.amdhsa_exception_fp_ieee_underflow 0
		.amdhsa_exception_fp_ieee_inexact 0
		.amdhsa_exception_int_div_zero 0
	.end_amdhsa_kernel
	.section	.text._ZN7rocprim17ROCPRIM_400000_NS6detail17trampoline_kernelINS0_14default_configENS1_29binary_search_config_selectorIxiEEZNS1_14transform_implILb0ES3_S5_N6thrust23THRUST_200600_302600_NS6detail15normal_iteratorINS8_7pointerIxNS8_11hip_rocprim5par_tENS8_11use_defaultESE_EEEENSA_INSB_IiSD_SE_SE_EEEEZNS1_13binary_searchIS3_S5_PxSG_SI_NS1_16binary_search_opENS9_16wrapped_functionINS8_6system6detail7generic6detail18binary_search_lessEbEEEE10hipError_tPvRmT1_T2_T3_mmT4_T5_P12ihipStream_tbEUlRKxE_EEST_SX_SY_mSZ_S12_bEUlT_E_NS1_11comp_targetILNS1_3genE10ELNS1_11target_archE1201ELNS1_3gpuE5ELNS1_3repE0EEENS1_30default_config_static_selectorELNS0_4arch9wavefront6targetE1EEEvSW_,"axG",@progbits,_ZN7rocprim17ROCPRIM_400000_NS6detail17trampoline_kernelINS0_14default_configENS1_29binary_search_config_selectorIxiEEZNS1_14transform_implILb0ES3_S5_N6thrust23THRUST_200600_302600_NS6detail15normal_iteratorINS8_7pointerIxNS8_11hip_rocprim5par_tENS8_11use_defaultESE_EEEENSA_INSB_IiSD_SE_SE_EEEEZNS1_13binary_searchIS3_S5_PxSG_SI_NS1_16binary_search_opENS9_16wrapped_functionINS8_6system6detail7generic6detail18binary_search_lessEbEEEE10hipError_tPvRmT1_T2_T3_mmT4_T5_P12ihipStream_tbEUlRKxE_EEST_SX_SY_mSZ_S12_bEUlT_E_NS1_11comp_targetILNS1_3genE10ELNS1_11target_archE1201ELNS1_3gpuE5ELNS1_3repE0EEENS1_30default_config_static_selectorELNS0_4arch9wavefront6targetE1EEEvSW_,comdat
.Lfunc_end298:
	.size	_ZN7rocprim17ROCPRIM_400000_NS6detail17trampoline_kernelINS0_14default_configENS1_29binary_search_config_selectorIxiEEZNS1_14transform_implILb0ES3_S5_N6thrust23THRUST_200600_302600_NS6detail15normal_iteratorINS8_7pointerIxNS8_11hip_rocprim5par_tENS8_11use_defaultESE_EEEENSA_INSB_IiSD_SE_SE_EEEEZNS1_13binary_searchIS3_S5_PxSG_SI_NS1_16binary_search_opENS9_16wrapped_functionINS8_6system6detail7generic6detail18binary_search_lessEbEEEE10hipError_tPvRmT1_T2_T3_mmT4_T5_P12ihipStream_tbEUlRKxE_EEST_SX_SY_mSZ_S12_bEUlT_E_NS1_11comp_targetILNS1_3genE10ELNS1_11target_archE1201ELNS1_3gpuE5ELNS1_3repE0EEENS1_30default_config_static_selectorELNS0_4arch9wavefront6targetE1EEEvSW_, .Lfunc_end298-_ZN7rocprim17ROCPRIM_400000_NS6detail17trampoline_kernelINS0_14default_configENS1_29binary_search_config_selectorIxiEEZNS1_14transform_implILb0ES3_S5_N6thrust23THRUST_200600_302600_NS6detail15normal_iteratorINS8_7pointerIxNS8_11hip_rocprim5par_tENS8_11use_defaultESE_EEEENSA_INSB_IiSD_SE_SE_EEEEZNS1_13binary_searchIS3_S5_PxSG_SI_NS1_16binary_search_opENS9_16wrapped_functionINS8_6system6detail7generic6detail18binary_search_lessEbEEEE10hipError_tPvRmT1_T2_T3_mmT4_T5_P12ihipStream_tbEUlRKxE_EEST_SX_SY_mSZ_S12_bEUlT_E_NS1_11comp_targetILNS1_3genE10ELNS1_11target_archE1201ELNS1_3gpuE5ELNS1_3repE0EEENS1_30default_config_static_selectorELNS0_4arch9wavefront6targetE1EEEvSW_
                                        ; -- End function
	.set _ZN7rocprim17ROCPRIM_400000_NS6detail17trampoline_kernelINS0_14default_configENS1_29binary_search_config_selectorIxiEEZNS1_14transform_implILb0ES3_S5_N6thrust23THRUST_200600_302600_NS6detail15normal_iteratorINS8_7pointerIxNS8_11hip_rocprim5par_tENS8_11use_defaultESE_EEEENSA_INSB_IiSD_SE_SE_EEEEZNS1_13binary_searchIS3_S5_PxSG_SI_NS1_16binary_search_opENS9_16wrapped_functionINS8_6system6detail7generic6detail18binary_search_lessEbEEEE10hipError_tPvRmT1_T2_T3_mmT4_T5_P12ihipStream_tbEUlRKxE_EEST_SX_SY_mSZ_S12_bEUlT_E_NS1_11comp_targetILNS1_3genE10ELNS1_11target_archE1201ELNS1_3gpuE5ELNS1_3repE0EEENS1_30default_config_static_selectorELNS0_4arch9wavefront6targetE1EEEvSW_.num_vgpr, 0
	.set _ZN7rocprim17ROCPRIM_400000_NS6detail17trampoline_kernelINS0_14default_configENS1_29binary_search_config_selectorIxiEEZNS1_14transform_implILb0ES3_S5_N6thrust23THRUST_200600_302600_NS6detail15normal_iteratorINS8_7pointerIxNS8_11hip_rocprim5par_tENS8_11use_defaultESE_EEEENSA_INSB_IiSD_SE_SE_EEEEZNS1_13binary_searchIS3_S5_PxSG_SI_NS1_16binary_search_opENS9_16wrapped_functionINS8_6system6detail7generic6detail18binary_search_lessEbEEEE10hipError_tPvRmT1_T2_T3_mmT4_T5_P12ihipStream_tbEUlRKxE_EEST_SX_SY_mSZ_S12_bEUlT_E_NS1_11comp_targetILNS1_3genE10ELNS1_11target_archE1201ELNS1_3gpuE5ELNS1_3repE0EEENS1_30default_config_static_selectorELNS0_4arch9wavefront6targetE1EEEvSW_.num_agpr, 0
	.set _ZN7rocprim17ROCPRIM_400000_NS6detail17trampoline_kernelINS0_14default_configENS1_29binary_search_config_selectorIxiEEZNS1_14transform_implILb0ES3_S5_N6thrust23THRUST_200600_302600_NS6detail15normal_iteratorINS8_7pointerIxNS8_11hip_rocprim5par_tENS8_11use_defaultESE_EEEENSA_INSB_IiSD_SE_SE_EEEEZNS1_13binary_searchIS3_S5_PxSG_SI_NS1_16binary_search_opENS9_16wrapped_functionINS8_6system6detail7generic6detail18binary_search_lessEbEEEE10hipError_tPvRmT1_T2_T3_mmT4_T5_P12ihipStream_tbEUlRKxE_EEST_SX_SY_mSZ_S12_bEUlT_E_NS1_11comp_targetILNS1_3genE10ELNS1_11target_archE1201ELNS1_3gpuE5ELNS1_3repE0EEENS1_30default_config_static_selectorELNS0_4arch9wavefront6targetE1EEEvSW_.numbered_sgpr, 0
	.set _ZN7rocprim17ROCPRIM_400000_NS6detail17trampoline_kernelINS0_14default_configENS1_29binary_search_config_selectorIxiEEZNS1_14transform_implILb0ES3_S5_N6thrust23THRUST_200600_302600_NS6detail15normal_iteratorINS8_7pointerIxNS8_11hip_rocprim5par_tENS8_11use_defaultESE_EEEENSA_INSB_IiSD_SE_SE_EEEEZNS1_13binary_searchIS3_S5_PxSG_SI_NS1_16binary_search_opENS9_16wrapped_functionINS8_6system6detail7generic6detail18binary_search_lessEbEEEE10hipError_tPvRmT1_T2_T3_mmT4_T5_P12ihipStream_tbEUlRKxE_EEST_SX_SY_mSZ_S12_bEUlT_E_NS1_11comp_targetILNS1_3genE10ELNS1_11target_archE1201ELNS1_3gpuE5ELNS1_3repE0EEENS1_30default_config_static_selectorELNS0_4arch9wavefront6targetE1EEEvSW_.num_named_barrier, 0
	.set _ZN7rocprim17ROCPRIM_400000_NS6detail17trampoline_kernelINS0_14default_configENS1_29binary_search_config_selectorIxiEEZNS1_14transform_implILb0ES3_S5_N6thrust23THRUST_200600_302600_NS6detail15normal_iteratorINS8_7pointerIxNS8_11hip_rocprim5par_tENS8_11use_defaultESE_EEEENSA_INSB_IiSD_SE_SE_EEEEZNS1_13binary_searchIS3_S5_PxSG_SI_NS1_16binary_search_opENS9_16wrapped_functionINS8_6system6detail7generic6detail18binary_search_lessEbEEEE10hipError_tPvRmT1_T2_T3_mmT4_T5_P12ihipStream_tbEUlRKxE_EEST_SX_SY_mSZ_S12_bEUlT_E_NS1_11comp_targetILNS1_3genE10ELNS1_11target_archE1201ELNS1_3gpuE5ELNS1_3repE0EEENS1_30default_config_static_selectorELNS0_4arch9wavefront6targetE1EEEvSW_.private_seg_size, 0
	.set _ZN7rocprim17ROCPRIM_400000_NS6detail17trampoline_kernelINS0_14default_configENS1_29binary_search_config_selectorIxiEEZNS1_14transform_implILb0ES3_S5_N6thrust23THRUST_200600_302600_NS6detail15normal_iteratorINS8_7pointerIxNS8_11hip_rocprim5par_tENS8_11use_defaultESE_EEEENSA_INSB_IiSD_SE_SE_EEEEZNS1_13binary_searchIS3_S5_PxSG_SI_NS1_16binary_search_opENS9_16wrapped_functionINS8_6system6detail7generic6detail18binary_search_lessEbEEEE10hipError_tPvRmT1_T2_T3_mmT4_T5_P12ihipStream_tbEUlRKxE_EEST_SX_SY_mSZ_S12_bEUlT_E_NS1_11comp_targetILNS1_3genE10ELNS1_11target_archE1201ELNS1_3gpuE5ELNS1_3repE0EEENS1_30default_config_static_selectorELNS0_4arch9wavefront6targetE1EEEvSW_.uses_vcc, 0
	.set _ZN7rocprim17ROCPRIM_400000_NS6detail17trampoline_kernelINS0_14default_configENS1_29binary_search_config_selectorIxiEEZNS1_14transform_implILb0ES3_S5_N6thrust23THRUST_200600_302600_NS6detail15normal_iteratorINS8_7pointerIxNS8_11hip_rocprim5par_tENS8_11use_defaultESE_EEEENSA_INSB_IiSD_SE_SE_EEEEZNS1_13binary_searchIS3_S5_PxSG_SI_NS1_16binary_search_opENS9_16wrapped_functionINS8_6system6detail7generic6detail18binary_search_lessEbEEEE10hipError_tPvRmT1_T2_T3_mmT4_T5_P12ihipStream_tbEUlRKxE_EEST_SX_SY_mSZ_S12_bEUlT_E_NS1_11comp_targetILNS1_3genE10ELNS1_11target_archE1201ELNS1_3gpuE5ELNS1_3repE0EEENS1_30default_config_static_selectorELNS0_4arch9wavefront6targetE1EEEvSW_.uses_flat_scratch, 0
	.set _ZN7rocprim17ROCPRIM_400000_NS6detail17trampoline_kernelINS0_14default_configENS1_29binary_search_config_selectorIxiEEZNS1_14transform_implILb0ES3_S5_N6thrust23THRUST_200600_302600_NS6detail15normal_iteratorINS8_7pointerIxNS8_11hip_rocprim5par_tENS8_11use_defaultESE_EEEENSA_INSB_IiSD_SE_SE_EEEEZNS1_13binary_searchIS3_S5_PxSG_SI_NS1_16binary_search_opENS9_16wrapped_functionINS8_6system6detail7generic6detail18binary_search_lessEbEEEE10hipError_tPvRmT1_T2_T3_mmT4_T5_P12ihipStream_tbEUlRKxE_EEST_SX_SY_mSZ_S12_bEUlT_E_NS1_11comp_targetILNS1_3genE10ELNS1_11target_archE1201ELNS1_3gpuE5ELNS1_3repE0EEENS1_30default_config_static_selectorELNS0_4arch9wavefront6targetE1EEEvSW_.has_dyn_sized_stack, 0
	.set _ZN7rocprim17ROCPRIM_400000_NS6detail17trampoline_kernelINS0_14default_configENS1_29binary_search_config_selectorIxiEEZNS1_14transform_implILb0ES3_S5_N6thrust23THRUST_200600_302600_NS6detail15normal_iteratorINS8_7pointerIxNS8_11hip_rocprim5par_tENS8_11use_defaultESE_EEEENSA_INSB_IiSD_SE_SE_EEEEZNS1_13binary_searchIS3_S5_PxSG_SI_NS1_16binary_search_opENS9_16wrapped_functionINS8_6system6detail7generic6detail18binary_search_lessEbEEEE10hipError_tPvRmT1_T2_T3_mmT4_T5_P12ihipStream_tbEUlRKxE_EEST_SX_SY_mSZ_S12_bEUlT_E_NS1_11comp_targetILNS1_3genE10ELNS1_11target_archE1201ELNS1_3gpuE5ELNS1_3repE0EEENS1_30default_config_static_selectorELNS0_4arch9wavefront6targetE1EEEvSW_.has_recursion, 0
	.set _ZN7rocprim17ROCPRIM_400000_NS6detail17trampoline_kernelINS0_14default_configENS1_29binary_search_config_selectorIxiEEZNS1_14transform_implILb0ES3_S5_N6thrust23THRUST_200600_302600_NS6detail15normal_iteratorINS8_7pointerIxNS8_11hip_rocprim5par_tENS8_11use_defaultESE_EEEENSA_INSB_IiSD_SE_SE_EEEEZNS1_13binary_searchIS3_S5_PxSG_SI_NS1_16binary_search_opENS9_16wrapped_functionINS8_6system6detail7generic6detail18binary_search_lessEbEEEE10hipError_tPvRmT1_T2_T3_mmT4_T5_P12ihipStream_tbEUlRKxE_EEST_SX_SY_mSZ_S12_bEUlT_E_NS1_11comp_targetILNS1_3genE10ELNS1_11target_archE1201ELNS1_3gpuE5ELNS1_3repE0EEENS1_30default_config_static_selectorELNS0_4arch9wavefront6targetE1EEEvSW_.has_indirect_call, 0
	.section	.AMDGPU.csdata,"",@progbits
; Kernel info:
; codeLenInByte = 0
; TotalNumSgprs: 4
; NumVgprs: 0
; ScratchSize: 0
; MemoryBound: 0
; FloatMode: 240
; IeeeMode: 1
; LDSByteSize: 0 bytes/workgroup (compile time only)
; SGPRBlocks: 0
; VGPRBlocks: 0
; NumSGPRsForWavesPerEU: 4
; NumVGPRsForWavesPerEU: 1
; Occupancy: 10
; WaveLimiterHint : 0
; COMPUTE_PGM_RSRC2:SCRATCH_EN: 0
; COMPUTE_PGM_RSRC2:USER_SGPR: 6
; COMPUTE_PGM_RSRC2:TRAP_HANDLER: 0
; COMPUTE_PGM_RSRC2:TGID_X_EN: 1
; COMPUTE_PGM_RSRC2:TGID_Y_EN: 0
; COMPUTE_PGM_RSRC2:TGID_Z_EN: 0
; COMPUTE_PGM_RSRC2:TIDIG_COMP_CNT: 0
	.section	.text._ZN7rocprim17ROCPRIM_400000_NS6detail17trampoline_kernelINS0_14default_configENS1_29binary_search_config_selectorIxiEEZNS1_14transform_implILb0ES3_S5_N6thrust23THRUST_200600_302600_NS6detail15normal_iteratorINS8_7pointerIxNS8_11hip_rocprim5par_tENS8_11use_defaultESE_EEEENSA_INSB_IiSD_SE_SE_EEEEZNS1_13binary_searchIS3_S5_PxSG_SI_NS1_16binary_search_opENS9_16wrapped_functionINS8_6system6detail7generic6detail18binary_search_lessEbEEEE10hipError_tPvRmT1_T2_T3_mmT4_T5_P12ihipStream_tbEUlRKxE_EEST_SX_SY_mSZ_S12_bEUlT_E_NS1_11comp_targetILNS1_3genE10ELNS1_11target_archE1200ELNS1_3gpuE4ELNS1_3repE0EEENS1_30default_config_static_selectorELNS0_4arch9wavefront6targetE1EEEvSW_,"axG",@progbits,_ZN7rocprim17ROCPRIM_400000_NS6detail17trampoline_kernelINS0_14default_configENS1_29binary_search_config_selectorIxiEEZNS1_14transform_implILb0ES3_S5_N6thrust23THRUST_200600_302600_NS6detail15normal_iteratorINS8_7pointerIxNS8_11hip_rocprim5par_tENS8_11use_defaultESE_EEEENSA_INSB_IiSD_SE_SE_EEEEZNS1_13binary_searchIS3_S5_PxSG_SI_NS1_16binary_search_opENS9_16wrapped_functionINS8_6system6detail7generic6detail18binary_search_lessEbEEEE10hipError_tPvRmT1_T2_T3_mmT4_T5_P12ihipStream_tbEUlRKxE_EEST_SX_SY_mSZ_S12_bEUlT_E_NS1_11comp_targetILNS1_3genE10ELNS1_11target_archE1200ELNS1_3gpuE4ELNS1_3repE0EEENS1_30default_config_static_selectorELNS0_4arch9wavefront6targetE1EEEvSW_,comdat
	.protected	_ZN7rocprim17ROCPRIM_400000_NS6detail17trampoline_kernelINS0_14default_configENS1_29binary_search_config_selectorIxiEEZNS1_14transform_implILb0ES3_S5_N6thrust23THRUST_200600_302600_NS6detail15normal_iteratorINS8_7pointerIxNS8_11hip_rocprim5par_tENS8_11use_defaultESE_EEEENSA_INSB_IiSD_SE_SE_EEEEZNS1_13binary_searchIS3_S5_PxSG_SI_NS1_16binary_search_opENS9_16wrapped_functionINS8_6system6detail7generic6detail18binary_search_lessEbEEEE10hipError_tPvRmT1_T2_T3_mmT4_T5_P12ihipStream_tbEUlRKxE_EEST_SX_SY_mSZ_S12_bEUlT_E_NS1_11comp_targetILNS1_3genE10ELNS1_11target_archE1200ELNS1_3gpuE4ELNS1_3repE0EEENS1_30default_config_static_selectorELNS0_4arch9wavefront6targetE1EEEvSW_ ; -- Begin function _ZN7rocprim17ROCPRIM_400000_NS6detail17trampoline_kernelINS0_14default_configENS1_29binary_search_config_selectorIxiEEZNS1_14transform_implILb0ES3_S5_N6thrust23THRUST_200600_302600_NS6detail15normal_iteratorINS8_7pointerIxNS8_11hip_rocprim5par_tENS8_11use_defaultESE_EEEENSA_INSB_IiSD_SE_SE_EEEEZNS1_13binary_searchIS3_S5_PxSG_SI_NS1_16binary_search_opENS9_16wrapped_functionINS8_6system6detail7generic6detail18binary_search_lessEbEEEE10hipError_tPvRmT1_T2_T3_mmT4_T5_P12ihipStream_tbEUlRKxE_EEST_SX_SY_mSZ_S12_bEUlT_E_NS1_11comp_targetILNS1_3genE10ELNS1_11target_archE1200ELNS1_3gpuE4ELNS1_3repE0EEENS1_30default_config_static_selectorELNS0_4arch9wavefront6targetE1EEEvSW_
	.globl	_ZN7rocprim17ROCPRIM_400000_NS6detail17trampoline_kernelINS0_14default_configENS1_29binary_search_config_selectorIxiEEZNS1_14transform_implILb0ES3_S5_N6thrust23THRUST_200600_302600_NS6detail15normal_iteratorINS8_7pointerIxNS8_11hip_rocprim5par_tENS8_11use_defaultESE_EEEENSA_INSB_IiSD_SE_SE_EEEEZNS1_13binary_searchIS3_S5_PxSG_SI_NS1_16binary_search_opENS9_16wrapped_functionINS8_6system6detail7generic6detail18binary_search_lessEbEEEE10hipError_tPvRmT1_T2_T3_mmT4_T5_P12ihipStream_tbEUlRKxE_EEST_SX_SY_mSZ_S12_bEUlT_E_NS1_11comp_targetILNS1_3genE10ELNS1_11target_archE1200ELNS1_3gpuE4ELNS1_3repE0EEENS1_30default_config_static_selectorELNS0_4arch9wavefront6targetE1EEEvSW_
	.p2align	8
	.type	_ZN7rocprim17ROCPRIM_400000_NS6detail17trampoline_kernelINS0_14default_configENS1_29binary_search_config_selectorIxiEEZNS1_14transform_implILb0ES3_S5_N6thrust23THRUST_200600_302600_NS6detail15normal_iteratorINS8_7pointerIxNS8_11hip_rocprim5par_tENS8_11use_defaultESE_EEEENSA_INSB_IiSD_SE_SE_EEEEZNS1_13binary_searchIS3_S5_PxSG_SI_NS1_16binary_search_opENS9_16wrapped_functionINS8_6system6detail7generic6detail18binary_search_lessEbEEEE10hipError_tPvRmT1_T2_T3_mmT4_T5_P12ihipStream_tbEUlRKxE_EEST_SX_SY_mSZ_S12_bEUlT_E_NS1_11comp_targetILNS1_3genE10ELNS1_11target_archE1200ELNS1_3gpuE4ELNS1_3repE0EEENS1_30default_config_static_selectorELNS0_4arch9wavefront6targetE1EEEvSW_,@function
_ZN7rocprim17ROCPRIM_400000_NS6detail17trampoline_kernelINS0_14default_configENS1_29binary_search_config_selectorIxiEEZNS1_14transform_implILb0ES3_S5_N6thrust23THRUST_200600_302600_NS6detail15normal_iteratorINS8_7pointerIxNS8_11hip_rocprim5par_tENS8_11use_defaultESE_EEEENSA_INSB_IiSD_SE_SE_EEEEZNS1_13binary_searchIS3_S5_PxSG_SI_NS1_16binary_search_opENS9_16wrapped_functionINS8_6system6detail7generic6detail18binary_search_lessEbEEEE10hipError_tPvRmT1_T2_T3_mmT4_T5_P12ihipStream_tbEUlRKxE_EEST_SX_SY_mSZ_S12_bEUlT_E_NS1_11comp_targetILNS1_3genE10ELNS1_11target_archE1200ELNS1_3gpuE4ELNS1_3repE0EEENS1_30default_config_static_selectorELNS0_4arch9wavefront6targetE1EEEvSW_: ; @_ZN7rocprim17ROCPRIM_400000_NS6detail17trampoline_kernelINS0_14default_configENS1_29binary_search_config_selectorIxiEEZNS1_14transform_implILb0ES3_S5_N6thrust23THRUST_200600_302600_NS6detail15normal_iteratorINS8_7pointerIxNS8_11hip_rocprim5par_tENS8_11use_defaultESE_EEEENSA_INSB_IiSD_SE_SE_EEEEZNS1_13binary_searchIS3_S5_PxSG_SI_NS1_16binary_search_opENS9_16wrapped_functionINS8_6system6detail7generic6detail18binary_search_lessEbEEEE10hipError_tPvRmT1_T2_T3_mmT4_T5_P12ihipStream_tbEUlRKxE_EEST_SX_SY_mSZ_S12_bEUlT_E_NS1_11comp_targetILNS1_3genE10ELNS1_11target_archE1200ELNS1_3gpuE4ELNS1_3repE0EEENS1_30default_config_static_selectorELNS0_4arch9wavefront6targetE1EEEvSW_
; %bb.0:
	.section	.rodata,"a",@progbits
	.p2align	6, 0x0
	.amdhsa_kernel _ZN7rocprim17ROCPRIM_400000_NS6detail17trampoline_kernelINS0_14default_configENS1_29binary_search_config_selectorIxiEEZNS1_14transform_implILb0ES3_S5_N6thrust23THRUST_200600_302600_NS6detail15normal_iteratorINS8_7pointerIxNS8_11hip_rocprim5par_tENS8_11use_defaultESE_EEEENSA_INSB_IiSD_SE_SE_EEEEZNS1_13binary_searchIS3_S5_PxSG_SI_NS1_16binary_search_opENS9_16wrapped_functionINS8_6system6detail7generic6detail18binary_search_lessEbEEEE10hipError_tPvRmT1_T2_T3_mmT4_T5_P12ihipStream_tbEUlRKxE_EEST_SX_SY_mSZ_S12_bEUlT_E_NS1_11comp_targetILNS1_3genE10ELNS1_11target_archE1200ELNS1_3gpuE4ELNS1_3repE0EEENS1_30default_config_static_selectorELNS0_4arch9wavefront6targetE1EEEvSW_
		.amdhsa_group_segment_fixed_size 0
		.amdhsa_private_segment_fixed_size 0
		.amdhsa_kernarg_size 56
		.amdhsa_user_sgpr_count 6
		.amdhsa_user_sgpr_private_segment_buffer 1
		.amdhsa_user_sgpr_dispatch_ptr 0
		.amdhsa_user_sgpr_queue_ptr 0
		.amdhsa_user_sgpr_kernarg_segment_ptr 1
		.amdhsa_user_sgpr_dispatch_id 0
		.amdhsa_user_sgpr_flat_scratch_init 0
		.amdhsa_user_sgpr_private_segment_size 0
		.amdhsa_uses_dynamic_stack 0
		.amdhsa_system_sgpr_private_segment_wavefront_offset 0
		.amdhsa_system_sgpr_workgroup_id_x 1
		.amdhsa_system_sgpr_workgroup_id_y 0
		.amdhsa_system_sgpr_workgroup_id_z 0
		.amdhsa_system_sgpr_workgroup_info 0
		.amdhsa_system_vgpr_workitem_id 0
		.amdhsa_next_free_vgpr 1
		.amdhsa_next_free_sgpr 0
		.amdhsa_reserve_vcc 0
		.amdhsa_reserve_flat_scratch 0
		.amdhsa_float_round_mode_32 0
		.amdhsa_float_round_mode_16_64 0
		.amdhsa_float_denorm_mode_32 3
		.amdhsa_float_denorm_mode_16_64 3
		.amdhsa_dx10_clamp 1
		.amdhsa_ieee_mode 1
		.amdhsa_fp16_overflow 0
		.amdhsa_exception_fp_ieee_invalid_op 0
		.amdhsa_exception_fp_denorm_src 0
		.amdhsa_exception_fp_ieee_div_zero 0
		.amdhsa_exception_fp_ieee_overflow 0
		.amdhsa_exception_fp_ieee_underflow 0
		.amdhsa_exception_fp_ieee_inexact 0
		.amdhsa_exception_int_div_zero 0
	.end_amdhsa_kernel
	.section	.text._ZN7rocprim17ROCPRIM_400000_NS6detail17trampoline_kernelINS0_14default_configENS1_29binary_search_config_selectorIxiEEZNS1_14transform_implILb0ES3_S5_N6thrust23THRUST_200600_302600_NS6detail15normal_iteratorINS8_7pointerIxNS8_11hip_rocprim5par_tENS8_11use_defaultESE_EEEENSA_INSB_IiSD_SE_SE_EEEEZNS1_13binary_searchIS3_S5_PxSG_SI_NS1_16binary_search_opENS9_16wrapped_functionINS8_6system6detail7generic6detail18binary_search_lessEbEEEE10hipError_tPvRmT1_T2_T3_mmT4_T5_P12ihipStream_tbEUlRKxE_EEST_SX_SY_mSZ_S12_bEUlT_E_NS1_11comp_targetILNS1_3genE10ELNS1_11target_archE1200ELNS1_3gpuE4ELNS1_3repE0EEENS1_30default_config_static_selectorELNS0_4arch9wavefront6targetE1EEEvSW_,"axG",@progbits,_ZN7rocprim17ROCPRIM_400000_NS6detail17trampoline_kernelINS0_14default_configENS1_29binary_search_config_selectorIxiEEZNS1_14transform_implILb0ES3_S5_N6thrust23THRUST_200600_302600_NS6detail15normal_iteratorINS8_7pointerIxNS8_11hip_rocprim5par_tENS8_11use_defaultESE_EEEENSA_INSB_IiSD_SE_SE_EEEEZNS1_13binary_searchIS3_S5_PxSG_SI_NS1_16binary_search_opENS9_16wrapped_functionINS8_6system6detail7generic6detail18binary_search_lessEbEEEE10hipError_tPvRmT1_T2_T3_mmT4_T5_P12ihipStream_tbEUlRKxE_EEST_SX_SY_mSZ_S12_bEUlT_E_NS1_11comp_targetILNS1_3genE10ELNS1_11target_archE1200ELNS1_3gpuE4ELNS1_3repE0EEENS1_30default_config_static_selectorELNS0_4arch9wavefront6targetE1EEEvSW_,comdat
.Lfunc_end299:
	.size	_ZN7rocprim17ROCPRIM_400000_NS6detail17trampoline_kernelINS0_14default_configENS1_29binary_search_config_selectorIxiEEZNS1_14transform_implILb0ES3_S5_N6thrust23THRUST_200600_302600_NS6detail15normal_iteratorINS8_7pointerIxNS8_11hip_rocprim5par_tENS8_11use_defaultESE_EEEENSA_INSB_IiSD_SE_SE_EEEEZNS1_13binary_searchIS3_S5_PxSG_SI_NS1_16binary_search_opENS9_16wrapped_functionINS8_6system6detail7generic6detail18binary_search_lessEbEEEE10hipError_tPvRmT1_T2_T3_mmT4_T5_P12ihipStream_tbEUlRKxE_EEST_SX_SY_mSZ_S12_bEUlT_E_NS1_11comp_targetILNS1_3genE10ELNS1_11target_archE1200ELNS1_3gpuE4ELNS1_3repE0EEENS1_30default_config_static_selectorELNS0_4arch9wavefront6targetE1EEEvSW_, .Lfunc_end299-_ZN7rocprim17ROCPRIM_400000_NS6detail17trampoline_kernelINS0_14default_configENS1_29binary_search_config_selectorIxiEEZNS1_14transform_implILb0ES3_S5_N6thrust23THRUST_200600_302600_NS6detail15normal_iteratorINS8_7pointerIxNS8_11hip_rocprim5par_tENS8_11use_defaultESE_EEEENSA_INSB_IiSD_SE_SE_EEEEZNS1_13binary_searchIS3_S5_PxSG_SI_NS1_16binary_search_opENS9_16wrapped_functionINS8_6system6detail7generic6detail18binary_search_lessEbEEEE10hipError_tPvRmT1_T2_T3_mmT4_T5_P12ihipStream_tbEUlRKxE_EEST_SX_SY_mSZ_S12_bEUlT_E_NS1_11comp_targetILNS1_3genE10ELNS1_11target_archE1200ELNS1_3gpuE4ELNS1_3repE0EEENS1_30default_config_static_selectorELNS0_4arch9wavefront6targetE1EEEvSW_
                                        ; -- End function
	.set _ZN7rocprim17ROCPRIM_400000_NS6detail17trampoline_kernelINS0_14default_configENS1_29binary_search_config_selectorIxiEEZNS1_14transform_implILb0ES3_S5_N6thrust23THRUST_200600_302600_NS6detail15normal_iteratorINS8_7pointerIxNS8_11hip_rocprim5par_tENS8_11use_defaultESE_EEEENSA_INSB_IiSD_SE_SE_EEEEZNS1_13binary_searchIS3_S5_PxSG_SI_NS1_16binary_search_opENS9_16wrapped_functionINS8_6system6detail7generic6detail18binary_search_lessEbEEEE10hipError_tPvRmT1_T2_T3_mmT4_T5_P12ihipStream_tbEUlRKxE_EEST_SX_SY_mSZ_S12_bEUlT_E_NS1_11comp_targetILNS1_3genE10ELNS1_11target_archE1200ELNS1_3gpuE4ELNS1_3repE0EEENS1_30default_config_static_selectorELNS0_4arch9wavefront6targetE1EEEvSW_.num_vgpr, 0
	.set _ZN7rocprim17ROCPRIM_400000_NS6detail17trampoline_kernelINS0_14default_configENS1_29binary_search_config_selectorIxiEEZNS1_14transform_implILb0ES3_S5_N6thrust23THRUST_200600_302600_NS6detail15normal_iteratorINS8_7pointerIxNS8_11hip_rocprim5par_tENS8_11use_defaultESE_EEEENSA_INSB_IiSD_SE_SE_EEEEZNS1_13binary_searchIS3_S5_PxSG_SI_NS1_16binary_search_opENS9_16wrapped_functionINS8_6system6detail7generic6detail18binary_search_lessEbEEEE10hipError_tPvRmT1_T2_T3_mmT4_T5_P12ihipStream_tbEUlRKxE_EEST_SX_SY_mSZ_S12_bEUlT_E_NS1_11comp_targetILNS1_3genE10ELNS1_11target_archE1200ELNS1_3gpuE4ELNS1_3repE0EEENS1_30default_config_static_selectorELNS0_4arch9wavefront6targetE1EEEvSW_.num_agpr, 0
	.set _ZN7rocprim17ROCPRIM_400000_NS6detail17trampoline_kernelINS0_14default_configENS1_29binary_search_config_selectorIxiEEZNS1_14transform_implILb0ES3_S5_N6thrust23THRUST_200600_302600_NS6detail15normal_iteratorINS8_7pointerIxNS8_11hip_rocprim5par_tENS8_11use_defaultESE_EEEENSA_INSB_IiSD_SE_SE_EEEEZNS1_13binary_searchIS3_S5_PxSG_SI_NS1_16binary_search_opENS9_16wrapped_functionINS8_6system6detail7generic6detail18binary_search_lessEbEEEE10hipError_tPvRmT1_T2_T3_mmT4_T5_P12ihipStream_tbEUlRKxE_EEST_SX_SY_mSZ_S12_bEUlT_E_NS1_11comp_targetILNS1_3genE10ELNS1_11target_archE1200ELNS1_3gpuE4ELNS1_3repE0EEENS1_30default_config_static_selectorELNS0_4arch9wavefront6targetE1EEEvSW_.numbered_sgpr, 0
	.set _ZN7rocprim17ROCPRIM_400000_NS6detail17trampoline_kernelINS0_14default_configENS1_29binary_search_config_selectorIxiEEZNS1_14transform_implILb0ES3_S5_N6thrust23THRUST_200600_302600_NS6detail15normal_iteratorINS8_7pointerIxNS8_11hip_rocprim5par_tENS8_11use_defaultESE_EEEENSA_INSB_IiSD_SE_SE_EEEEZNS1_13binary_searchIS3_S5_PxSG_SI_NS1_16binary_search_opENS9_16wrapped_functionINS8_6system6detail7generic6detail18binary_search_lessEbEEEE10hipError_tPvRmT1_T2_T3_mmT4_T5_P12ihipStream_tbEUlRKxE_EEST_SX_SY_mSZ_S12_bEUlT_E_NS1_11comp_targetILNS1_3genE10ELNS1_11target_archE1200ELNS1_3gpuE4ELNS1_3repE0EEENS1_30default_config_static_selectorELNS0_4arch9wavefront6targetE1EEEvSW_.num_named_barrier, 0
	.set _ZN7rocprim17ROCPRIM_400000_NS6detail17trampoline_kernelINS0_14default_configENS1_29binary_search_config_selectorIxiEEZNS1_14transform_implILb0ES3_S5_N6thrust23THRUST_200600_302600_NS6detail15normal_iteratorINS8_7pointerIxNS8_11hip_rocprim5par_tENS8_11use_defaultESE_EEEENSA_INSB_IiSD_SE_SE_EEEEZNS1_13binary_searchIS3_S5_PxSG_SI_NS1_16binary_search_opENS9_16wrapped_functionINS8_6system6detail7generic6detail18binary_search_lessEbEEEE10hipError_tPvRmT1_T2_T3_mmT4_T5_P12ihipStream_tbEUlRKxE_EEST_SX_SY_mSZ_S12_bEUlT_E_NS1_11comp_targetILNS1_3genE10ELNS1_11target_archE1200ELNS1_3gpuE4ELNS1_3repE0EEENS1_30default_config_static_selectorELNS0_4arch9wavefront6targetE1EEEvSW_.private_seg_size, 0
	.set _ZN7rocprim17ROCPRIM_400000_NS6detail17trampoline_kernelINS0_14default_configENS1_29binary_search_config_selectorIxiEEZNS1_14transform_implILb0ES3_S5_N6thrust23THRUST_200600_302600_NS6detail15normal_iteratorINS8_7pointerIxNS8_11hip_rocprim5par_tENS8_11use_defaultESE_EEEENSA_INSB_IiSD_SE_SE_EEEEZNS1_13binary_searchIS3_S5_PxSG_SI_NS1_16binary_search_opENS9_16wrapped_functionINS8_6system6detail7generic6detail18binary_search_lessEbEEEE10hipError_tPvRmT1_T2_T3_mmT4_T5_P12ihipStream_tbEUlRKxE_EEST_SX_SY_mSZ_S12_bEUlT_E_NS1_11comp_targetILNS1_3genE10ELNS1_11target_archE1200ELNS1_3gpuE4ELNS1_3repE0EEENS1_30default_config_static_selectorELNS0_4arch9wavefront6targetE1EEEvSW_.uses_vcc, 0
	.set _ZN7rocprim17ROCPRIM_400000_NS6detail17trampoline_kernelINS0_14default_configENS1_29binary_search_config_selectorIxiEEZNS1_14transform_implILb0ES3_S5_N6thrust23THRUST_200600_302600_NS6detail15normal_iteratorINS8_7pointerIxNS8_11hip_rocprim5par_tENS8_11use_defaultESE_EEEENSA_INSB_IiSD_SE_SE_EEEEZNS1_13binary_searchIS3_S5_PxSG_SI_NS1_16binary_search_opENS9_16wrapped_functionINS8_6system6detail7generic6detail18binary_search_lessEbEEEE10hipError_tPvRmT1_T2_T3_mmT4_T5_P12ihipStream_tbEUlRKxE_EEST_SX_SY_mSZ_S12_bEUlT_E_NS1_11comp_targetILNS1_3genE10ELNS1_11target_archE1200ELNS1_3gpuE4ELNS1_3repE0EEENS1_30default_config_static_selectorELNS0_4arch9wavefront6targetE1EEEvSW_.uses_flat_scratch, 0
	.set _ZN7rocprim17ROCPRIM_400000_NS6detail17trampoline_kernelINS0_14default_configENS1_29binary_search_config_selectorIxiEEZNS1_14transform_implILb0ES3_S5_N6thrust23THRUST_200600_302600_NS6detail15normal_iteratorINS8_7pointerIxNS8_11hip_rocprim5par_tENS8_11use_defaultESE_EEEENSA_INSB_IiSD_SE_SE_EEEEZNS1_13binary_searchIS3_S5_PxSG_SI_NS1_16binary_search_opENS9_16wrapped_functionINS8_6system6detail7generic6detail18binary_search_lessEbEEEE10hipError_tPvRmT1_T2_T3_mmT4_T5_P12ihipStream_tbEUlRKxE_EEST_SX_SY_mSZ_S12_bEUlT_E_NS1_11comp_targetILNS1_3genE10ELNS1_11target_archE1200ELNS1_3gpuE4ELNS1_3repE0EEENS1_30default_config_static_selectorELNS0_4arch9wavefront6targetE1EEEvSW_.has_dyn_sized_stack, 0
	.set _ZN7rocprim17ROCPRIM_400000_NS6detail17trampoline_kernelINS0_14default_configENS1_29binary_search_config_selectorIxiEEZNS1_14transform_implILb0ES3_S5_N6thrust23THRUST_200600_302600_NS6detail15normal_iteratorINS8_7pointerIxNS8_11hip_rocprim5par_tENS8_11use_defaultESE_EEEENSA_INSB_IiSD_SE_SE_EEEEZNS1_13binary_searchIS3_S5_PxSG_SI_NS1_16binary_search_opENS9_16wrapped_functionINS8_6system6detail7generic6detail18binary_search_lessEbEEEE10hipError_tPvRmT1_T2_T3_mmT4_T5_P12ihipStream_tbEUlRKxE_EEST_SX_SY_mSZ_S12_bEUlT_E_NS1_11comp_targetILNS1_3genE10ELNS1_11target_archE1200ELNS1_3gpuE4ELNS1_3repE0EEENS1_30default_config_static_selectorELNS0_4arch9wavefront6targetE1EEEvSW_.has_recursion, 0
	.set _ZN7rocprim17ROCPRIM_400000_NS6detail17trampoline_kernelINS0_14default_configENS1_29binary_search_config_selectorIxiEEZNS1_14transform_implILb0ES3_S5_N6thrust23THRUST_200600_302600_NS6detail15normal_iteratorINS8_7pointerIxNS8_11hip_rocprim5par_tENS8_11use_defaultESE_EEEENSA_INSB_IiSD_SE_SE_EEEEZNS1_13binary_searchIS3_S5_PxSG_SI_NS1_16binary_search_opENS9_16wrapped_functionINS8_6system6detail7generic6detail18binary_search_lessEbEEEE10hipError_tPvRmT1_T2_T3_mmT4_T5_P12ihipStream_tbEUlRKxE_EEST_SX_SY_mSZ_S12_bEUlT_E_NS1_11comp_targetILNS1_3genE10ELNS1_11target_archE1200ELNS1_3gpuE4ELNS1_3repE0EEENS1_30default_config_static_selectorELNS0_4arch9wavefront6targetE1EEEvSW_.has_indirect_call, 0
	.section	.AMDGPU.csdata,"",@progbits
; Kernel info:
; codeLenInByte = 0
; TotalNumSgprs: 4
; NumVgprs: 0
; ScratchSize: 0
; MemoryBound: 0
; FloatMode: 240
; IeeeMode: 1
; LDSByteSize: 0 bytes/workgroup (compile time only)
; SGPRBlocks: 0
; VGPRBlocks: 0
; NumSGPRsForWavesPerEU: 4
; NumVGPRsForWavesPerEU: 1
; Occupancy: 10
; WaveLimiterHint : 0
; COMPUTE_PGM_RSRC2:SCRATCH_EN: 0
; COMPUTE_PGM_RSRC2:USER_SGPR: 6
; COMPUTE_PGM_RSRC2:TRAP_HANDLER: 0
; COMPUTE_PGM_RSRC2:TGID_X_EN: 1
; COMPUTE_PGM_RSRC2:TGID_Y_EN: 0
; COMPUTE_PGM_RSRC2:TGID_Z_EN: 0
; COMPUTE_PGM_RSRC2:TIDIG_COMP_CNT: 0
	.section	.text._ZN7rocprim17ROCPRIM_400000_NS6detail17trampoline_kernelINS0_14default_configENS1_29binary_search_config_selectorIxiEEZNS1_14transform_implILb0ES3_S5_N6thrust23THRUST_200600_302600_NS6detail15normal_iteratorINS8_7pointerIxNS8_11hip_rocprim5par_tENS8_11use_defaultESE_EEEENSA_INSB_IiSD_SE_SE_EEEEZNS1_13binary_searchIS3_S5_PxSG_SI_NS1_16binary_search_opENS9_16wrapped_functionINS8_6system6detail7generic6detail18binary_search_lessEbEEEE10hipError_tPvRmT1_T2_T3_mmT4_T5_P12ihipStream_tbEUlRKxE_EEST_SX_SY_mSZ_S12_bEUlT_E_NS1_11comp_targetILNS1_3genE9ELNS1_11target_archE1100ELNS1_3gpuE3ELNS1_3repE0EEENS1_30default_config_static_selectorELNS0_4arch9wavefront6targetE1EEEvSW_,"axG",@progbits,_ZN7rocprim17ROCPRIM_400000_NS6detail17trampoline_kernelINS0_14default_configENS1_29binary_search_config_selectorIxiEEZNS1_14transform_implILb0ES3_S5_N6thrust23THRUST_200600_302600_NS6detail15normal_iteratorINS8_7pointerIxNS8_11hip_rocprim5par_tENS8_11use_defaultESE_EEEENSA_INSB_IiSD_SE_SE_EEEEZNS1_13binary_searchIS3_S5_PxSG_SI_NS1_16binary_search_opENS9_16wrapped_functionINS8_6system6detail7generic6detail18binary_search_lessEbEEEE10hipError_tPvRmT1_T2_T3_mmT4_T5_P12ihipStream_tbEUlRKxE_EEST_SX_SY_mSZ_S12_bEUlT_E_NS1_11comp_targetILNS1_3genE9ELNS1_11target_archE1100ELNS1_3gpuE3ELNS1_3repE0EEENS1_30default_config_static_selectorELNS0_4arch9wavefront6targetE1EEEvSW_,comdat
	.protected	_ZN7rocprim17ROCPRIM_400000_NS6detail17trampoline_kernelINS0_14default_configENS1_29binary_search_config_selectorIxiEEZNS1_14transform_implILb0ES3_S5_N6thrust23THRUST_200600_302600_NS6detail15normal_iteratorINS8_7pointerIxNS8_11hip_rocprim5par_tENS8_11use_defaultESE_EEEENSA_INSB_IiSD_SE_SE_EEEEZNS1_13binary_searchIS3_S5_PxSG_SI_NS1_16binary_search_opENS9_16wrapped_functionINS8_6system6detail7generic6detail18binary_search_lessEbEEEE10hipError_tPvRmT1_T2_T3_mmT4_T5_P12ihipStream_tbEUlRKxE_EEST_SX_SY_mSZ_S12_bEUlT_E_NS1_11comp_targetILNS1_3genE9ELNS1_11target_archE1100ELNS1_3gpuE3ELNS1_3repE0EEENS1_30default_config_static_selectorELNS0_4arch9wavefront6targetE1EEEvSW_ ; -- Begin function _ZN7rocprim17ROCPRIM_400000_NS6detail17trampoline_kernelINS0_14default_configENS1_29binary_search_config_selectorIxiEEZNS1_14transform_implILb0ES3_S5_N6thrust23THRUST_200600_302600_NS6detail15normal_iteratorINS8_7pointerIxNS8_11hip_rocprim5par_tENS8_11use_defaultESE_EEEENSA_INSB_IiSD_SE_SE_EEEEZNS1_13binary_searchIS3_S5_PxSG_SI_NS1_16binary_search_opENS9_16wrapped_functionINS8_6system6detail7generic6detail18binary_search_lessEbEEEE10hipError_tPvRmT1_T2_T3_mmT4_T5_P12ihipStream_tbEUlRKxE_EEST_SX_SY_mSZ_S12_bEUlT_E_NS1_11comp_targetILNS1_3genE9ELNS1_11target_archE1100ELNS1_3gpuE3ELNS1_3repE0EEENS1_30default_config_static_selectorELNS0_4arch9wavefront6targetE1EEEvSW_
	.globl	_ZN7rocprim17ROCPRIM_400000_NS6detail17trampoline_kernelINS0_14default_configENS1_29binary_search_config_selectorIxiEEZNS1_14transform_implILb0ES3_S5_N6thrust23THRUST_200600_302600_NS6detail15normal_iteratorINS8_7pointerIxNS8_11hip_rocprim5par_tENS8_11use_defaultESE_EEEENSA_INSB_IiSD_SE_SE_EEEEZNS1_13binary_searchIS3_S5_PxSG_SI_NS1_16binary_search_opENS9_16wrapped_functionINS8_6system6detail7generic6detail18binary_search_lessEbEEEE10hipError_tPvRmT1_T2_T3_mmT4_T5_P12ihipStream_tbEUlRKxE_EEST_SX_SY_mSZ_S12_bEUlT_E_NS1_11comp_targetILNS1_3genE9ELNS1_11target_archE1100ELNS1_3gpuE3ELNS1_3repE0EEENS1_30default_config_static_selectorELNS0_4arch9wavefront6targetE1EEEvSW_
	.p2align	8
	.type	_ZN7rocprim17ROCPRIM_400000_NS6detail17trampoline_kernelINS0_14default_configENS1_29binary_search_config_selectorIxiEEZNS1_14transform_implILb0ES3_S5_N6thrust23THRUST_200600_302600_NS6detail15normal_iteratorINS8_7pointerIxNS8_11hip_rocprim5par_tENS8_11use_defaultESE_EEEENSA_INSB_IiSD_SE_SE_EEEEZNS1_13binary_searchIS3_S5_PxSG_SI_NS1_16binary_search_opENS9_16wrapped_functionINS8_6system6detail7generic6detail18binary_search_lessEbEEEE10hipError_tPvRmT1_T2_T3_mmT4_T5_P12ihipStream_tbEUlRKxE_EEST_SX_SY_mSZ_S12_bEUlT_E_NS1_11comp_targetILNS1_3genE9ELNS1_11target_archE1100ELNS1_3gpuE3ELNS1_3repE0EEENS1_30default_config_static_selectorELNS0_4arch9wavefront6targetE1EEEvSW_,@function
_ZN7rocprim17ROCPRIM_400000_NS6detail17trampoline_kernelINS0_14default_configENS1_29binary_search_config_selectorIxiEEZNS1_14transform_implILb0ES3_S5_N6thrust23THRUST_200600_302600_NS6detail15normal_iteratorINS8_7pointerIxNS8_11hip_rocprim5par_tENS8_11use_defaultESE_EEEENSA_INSB_IiSD_SE_SE_EEEEZNS1_13binary_searchIS3_S5_PxSG_SI_NS1_16binary_search_opENS9_16wrapped_functionINS8_6system6detail7generic6detail18binary_search_lessEbEEEE10hipError_tPvRmT1_T2_T3_mmT4_T5_P12ihipStream_tbEUlRKxE_EEST_SX_SY_mSZ_S12_bEUlT_E_NS1_11comp_targetILNS1_3genE9ELNS1_11target_archE1100ELNS1_3gpuE3ELNS1_3repE0EEENS1_30default_config_static_selectorELNS0_4arch9wavefront6targetE1EEEvSW_: ; @_ZN7rocprim17ROCPRIM_400000_NS6detail17trampoline_kernelINS0_14default_configENS1_29binary_search_config_selectorIxiEEZNS1_14transform_implILb0ES3_S5_N6thrust23THRUST_200600_302600_NS6detail15normal_iteratorINS8_7pointerIxNS8_11hip_rocprim5par_tENS8_11use_defaultESE_EEEENSA_INSB_IiSD_SE_SE_EEEEZNS1_13binary_searchIS3_S5_PxSG_SI_NS1_16binary_search_opENS9_16wrapped_functionINS8_6system6detail7generic6detail18binary_search_lessEbEEEE10hipError_tPvRmT1_T2_T3_mmT4_T5_P12ihipStream_tbEUlRKxE_EEST_SX_SY_mSZ_S12_bEUlT_E_NS1_11comp_targetILNS1_3genE9ELNS1_11target_archE1100ELNS1_3gpuE3ELNS1_3repE0EEENS1_30default_config_static_selectorELNS0_4arch9wavefront6targetE1EEEvSW_
; %bb.0:
	.section	.rodata,"a",@progbits
	.p2align	6, 0x0
	.amdhsa_kernel _ZN7rocprim17ROCPRIM_400000_NS6detail17trampoline_kernelINS0_14default_configENS1_29binary_search_config_selectorIxiEEZNS1_14transform_implILb0ES3_S5_N6thrust23THRUST_200600_302600_NS6detail15normal_iteratorINS8_7pointerIxNS8_11hip_rocprim5par_tENS8_11use_defaultESE_EEEENSA_INSB_IiSD_SE_SE_EEEEZNS1_13binary_searchIS3_S5_PxSG_SI_NS1_16binary_search_opENS9_16wrapped_functionINS8_6system6detail7generic6detail18binary_search_lessEbEEEE10hipError_tPvRmT1_T2_T3_mmT4_T5_P12ihipStream_tbEUlRKxE_EEST_SX_SY_mSZ_S12_bEUlT_E_NS1_11comp_targetILNS1_3genE9ELNS1_11target_archE1100ELNS1_3gpuE3ELNS1_3repE0EEENS1_30default_config_static_selectorELNS0_4arch9wavefront6targetE1EEEvSW_
		.amdhsa_group_segment_fixed_size 0
		.amdhsa_private_segment_fixed_size 0
		.amdhsa_kernarg_size 56
		.amdhsa_user_sgpr_count 6
		.amdhsa_user_sgpr_private_segment_buffer 1
		.amdhsa_user_sgpr_dispatch_ptr 0
		.amdhsa_user_sgpr_queue_ptr 0
		.amdhsa_user_sgpr_kernarg_segment_ptr 1
		.amdhsa_user_sgpr_dispatch_id 0
		.amdhsa_user_sgpr_flat_scratch_init 0
		.amdhsa_user_sgpr_private_segment_size 0
		.amdhsa_uses_dynamic_stack 0
		.amdhsa_system_sgpr_private_segment_wavefront_offset 0
		.amdhsa_system_sgpr_workgroup_id_x 1
		.amdhsa_system_sgpr_workgroup_id_y 0
		.amdhsa_system_sgpr_workgroup_id_z 0
		.amdhsa_system_sgpr_workgroup_info 0
		.amdhsa_system_vgpr_workitem_id 0
		.amdhsa_next_free_vgpr 1
		.amdhsa_next_free_sgpr 0
		.amdhsa_reserve_vcc 0
		.amdhsa_reserve_flat_scratch 0
		.amdhsa_float_round_mode_32 0
		.amdhsa_float_round_mode_16_64 0
		.amdhsa_float_denorm_mode_32 3
		.amdhsa_float_denorm_mode_16_64 3
		.amdhsa_dx10_clamp 1
		.amdhsa_ieee_mode 1
		.amdhsa_fp16_overflow 0
		.amdhsa_exception_fp_ieee_invalid_op 0
		.amdhsa_exception_fp_denorm_src 0
		.amdhsa_exception_fp_ieee_div_zero 0
		.amdhsa_exception_fp_ieee_overflow 0
		.amdhsa_exception_fp_ieee_underflow 0
		.amdhsa_exception_fp_ieee_inexact 0
		.amdhsa_exception_int_div_zero 0
	.end_amdhsa_kernel
	.section	.text._ZN7rocprim17ROCPRIM_400000_NS6detail17trampoline_kernelINS0_14default_configENS1_29binary_search_config_selectorIxiEEZNS1_14transform_implILb0ES3_S5_N6thrust23THRUST_200600_302600_NS6detail15normal_iteratorINS8_7pointerIxNS8_11hip_rocprim5par_tENS8_11use_defaultESE_EEEENSA_INSB_IiSD_SE_SE_EEEEZNS1_13binary_searchIS3_S5_PxSG_SI_NS1_16binary_search_opENS9_16wrapped_functionINS8_6system6detail7generic6detail18binary_search_lessEbEEEE10hipError_tPvRmT1_T2_T3_mmT4_T5_P12ihipStream_tbEUlRKxE_EEST_SX_SY_mSZ_S12_bEUlT_E_NS1_11comp_targetILNS1_3genE9ELNS1_11target_archE1100ELNS1_3gpuE3ELNS1_3repE0EEENS1_30default_config_static_selectorELNS0_4arch9wavefront6targetE1EEEvSW_,"axG",@progbits,_ZN7rocprim17ROCPRIM_400000_NS6detail17trampoline_kernelINS0_14default_configENS1_29binary_search_config_selectorIxiEEZNS1_14transform_implILb0ES3_S5_N6thrust23THRUST_200600_302600_NS6detail15normal_iteratorINS8_7pointerIxNS8_11hip_rocprim5par_tENS8_11use_defaultESE_EEEENSA_INSB_IiSD_SE_SE_EEEEZNS1_13binary_searchIS3_S5_PxSG_SI_NS1_16binary_search_opENS9_16wrapped_functionINS8_6system6detail7generic6detail18binary_search_lessEbEEEE10hipError_tPvRmT1_T2_T3_mmT4_T5_P12ihipStream_tbEUlRKxE_EEST_SX_SY_mSZ_S12_bEUlT_E_NS1_11comp_targetILNS1_3genE9ELNS1_11target_archE1100ELNS1_3gpuE3ELNS1_3repE0EEENS1_30default_config_static_selectorELNS0_4arch9wavefront6targetE1EEEvSW_,comdat
.Lfunc_end300:
	.size	_ZN7rocprim17ROCPRIM_400000_NS6detail17trampoline_kernelINS0_14default_configENS1_29binary_search_config_selectorIxiEEZNS1_14transform_implILb0ES3_S5_N6thrust23THRUST_200600_302600_NS6detail15normal_iteratorINS8_7pointerIxNS8_11hip_rocprim5par_tENS8_11use_defaultESE_EEEENSA_INSB_IiSD_SE_SE_EEEEZNS1_13binary_searchIS3_S5_PxSG_SI_NS1_16binary_search_opENS9_16wrapped_functionINS8_6system6detail7generic6detail18binary_search_lessEbEEEE10hipError_tPvRmT1_T2_T3_mmT4_T5_P12ihipStream_tbEUlRKxE_EEST_SX_SY_mSZ_S12_bEUlT_E_NS1_11comp_targetILNS1_3genE9ELNS1_11target_archE1100ELNS1_3gpuE3ELNS1_3repE0EEENS1_30default_config_static_selectorELNS0_4arch9wavefront6targetE1EEEvSW_, .Lfunc_end300-_ZN7rocprim17ROCPRIM_400000_NS6detail17trampoline_kernelINS0_14default_configENS1_29binary_search_config_selectorIxiEEZNS1_14transform_implILb0ES3_S5_N6thrust23THRUST_200600_302600_NS6detail15normal_iteratorINS8_7pointerIxNS8_11hip_rocprim5par_tENS8_11use_defaultESE_EEEENSA_INSB_IiSD_SE_SE_EEEEZNS1_13binary_searchIS3_S5_PxSG_SI_NS1_16binary_search_opENS9_16wrapped_functionINS8_6system6detail7generic6detail18binary_search_lessEbEEEE10hipError_tPvRmT1_T2_T3_mmT4_T5_P12ihipStream_tbEUlRKxE_EEST_SX_SY_mSZ_S12_bEUlT_E_NS1_11comp_targetILNS1_3genE9ELNS1_11target_archE1100ELNS1_3gpuE3ELNS1_3repE0EEENS1_30default_config_static_selectorELNS0_4arch9wavefront6targetE1EEEvSW_
                                        ; -- End function
	.set _ZN7rocprim17ROCPRIM_400000_NS6detail17trampoline_kernelINS0_14default_configENS1_29binary_search_config_selectorIxiEEZNS1_14transform_implILb0ES3_S5_N6thrust23THRUST_200600_302600_NS6detail15normal_iteratorINS8_7pointerIxNS8_11hip_rocprim5par_tENS8_11use_defaultESE_EEEENSA_INSB_IiSD_SE_SE_EEEEZNS1_13binary_searchIS3_S5_PxSG_SI_NS1_16binary_search_opENS9_16wrapped_functionINS8_6system6detail7generic6detail18binary_search_lessEbEEEE10hipError_tPvRmT1_T2_T3_mmT4_T5_P12ihipStream_tbEUlRKxE_EEST_SX_SY_mSZ_S12_bEUlT_E_NS1_11comp_targetILNS1_3genE9ELNS1_11target_archE1100ELNS1_3gpuE3ELNS1_3repE0EEENS1_30default_config_static_selectorELNS0_4arch9wavefront6targetE1EEEvSW_.num_vgpr, 0
	.set _ZN7rocprim17ROCPRIM_400000_NS6detail17trampoline_kernelINS0_14default_configENS1_29binary_search_config_selectorIxiEEZNS1_14transform_implILb0ES3_S5_N6thrust23THRUST_200600_302600_NS6detail15normal_iteratorINS8_7pointerIxNS8_11hip_rocprim5par_tENS8_11use_defaultESE_EEEENSA_INSB_IiSD_SE_SE_EEEEZNS1_13binary_searchIS3_S5_PxSG_SI_NS1_16binary_search_opENS9_16wrapped_functionINS8_6system6detail7generic6detail18binary_search_lessEbEEEE10hipError_tPvRmT1_T2_T3_mmT4_T5_P12ihipStream_tbEUlRKxE_EEST_SX_SY_mSZ_S12_bEUlT_E_NS1_11comp_targetILNS1_3genE9ELNS1_11target_archE1100ELNS1_3gpuE3ELNS1_3repE0EEENS1_30default_config_static_selectorELNS0_4arch9wavefront6targetE1EEEvSW_.num_agpr, 0
	.set _ZN7rocprim17ROCPRIM_400000_NS6detail17trampoline_kernelINS0_14default_configENS1_29binary_search_config_selectorIxiEEZNS1_14transform_implILb0ES3_S5_N6thrust23THRUST_200600_302600_NS6detail15normal_iteratorINS8_7pointerIxNS8_11hip_rocprim5par_tENS8_11use_defaultESE_EEEENSA_INSB_IiSD_SE_SE_EEEEZNS1_13binary_searchIS3_S5_PxSG_SI_NS1_16binary_search_opENS9_16wrapped_functionINS8_6system6detail7generic6detail18binary_search_lessEbEEEE10hipError_tPvRmT1_T2_T3_mmT4_T5_P12ihipStream_tbEUlRKxE_EEST_SX_SY_mSZ_S12_bEUlT_E_NS1_11comp_targetILNS1_3genE9ELNS1_11target_archE1100ELNS1_3gpuE3ELNS1_3repE0EEENS1_30default_config_static_selectorELNS0_4arch9wavefront6targetE1EEEvSW_.numbered_sgpr, 0
	.set _ZN7rocprim17ROCPRIM_400000_NS6detail17trampoline_kernelINS0_14default_configENS1_29binary_search_config_selectorIxiEEZNS1_14transform_implILb0ES3_S5_N6thrust23THRUST_200600_302600_NS6detail15normal_iteratorINS8_7pointerIxNS8_11hip_rocprim5par_tENS8_11use_defaultESE_EEEENSA_INSB_IiSD_SE_SE_EEEEZNS1_13binary_searchIS3_S5_PxSG_SI_NS1_16binary_search_opENS9_16wrapped_functionINS8_6system6detail7generic6detail18binary_search_lessEbEEEE10hipError_tPvRmT1_T2_T3_mmT4_T5_P12ihipStream_tbEUlRKxE_EEST_SX_SY_mSZ_S12_bEUlT_E_NS1_11comp_targetILNS1_3genE9ELNS1_11target_archE1100ELNS1_3gpuE3ELNS1_3repE0EEENS1_30default_config_static_selectorELNS0_4arch9wavefront6targetE1EEEvSW_.num_named_barrier, 0
	.set _ZN7rocprim17ROCPRIM_400000_NS6detail17trampoline_kernelINS0_14default_configENS1_29binary_search_config_selectorIxiEEZNS1_14transform_implILb0ES3_S5_N6thrust23THRUST_200600_302600_NS6detail15normal_iteratorINS8_7pointerIxNS8_11hip_rocprim5par_tENS8_11use_defaultESE_EEEENSA_INSB_IiSD_SE_SE_EEEEZNS1_13binary_searchIS3_S5_PxSG_SI_NS1_16binary_search_opENS9_16wrapped_functionINS8_6system6detail7generic6detail18binary_search_lessEbEEEE10hipError_tPvRmT1_T2_T3_mmT4_T5_P12ihipStream_tbEUlRKxE_EEST_SX_SY_mSZ_S12_bEUlT_E_NS1_11comp_targetILNS1_3genE9ELNS1_11target_archE1100ELNS1_3gpuE3ELNS1_3repE0EEENS1_30default_config_static_selectorELNS0_4arch9wavefront6targetE1EEEvSW_.private_seg_size, 0
	.set _ZN7rocprim17ROCPRIM_400000_NS6detail17trampoline_kernelINS0_14default_configENS1_29binary_search_config_selectorIxiEEZNS1_14transform_implILb0ES3_S5_N6thrust23THRUST_200600_302600_NS6detail15normal_iteratorINS8_7pointerIxNS8_11hip_rocprim5par_tENS8_11use_defaultESE_EEEENSA_INSB_IiSD_SE_SE_EEEEZNS1_13binary_searchIS3_S5_PxSG_SI_NS1_16binary_search_opENS9_16wrapped_functionINS8_6system6detail7generic6detail18binary_search_lessEbEEEE10hipError_tPvRmT1_T2_T3_mmT4_T5_P12ihipStream_tbEUlRKxE_EEST_SX_SY_mSZ_S12_bEUlT_E_NS1_11comp_targetILNS1_3genE9ELNS1_11target_archE1100ELNS1_3gpuE3ELNS1_3repE0EEENS1_30default_config_static_selectorELNS0_4arch9wavefront6targetE1EEEvSW_.uses_vcc, 0
	.set _ZN7rocprim17ROCPRIM_400000_NS6detail17trampoline_kernelINS0_14default_configENS1_29binary_search_config_selectorIxiEEZNS1_14transform_implILb0ES3_S5_N6thrust23THRUST_200600_302600_NS6detail15normal_iteratorINS8_7pointerIxNS8_11hip_rocprim5par_tENS8_11use_defaultESE_EEEENSA_INSB_IiSD_SE_SE_EEEEZNS1_13binary_searchIS3_S5_PxSG_SI_NS1_16binary_search_opENS9_16wrapped_functionINS8_6system6detail7generic6detail18binary_search_lessEbEEEE10hipError_tPvRmT1_T2_T3_mmT4_T5_P12ihipStream_tbEUlRKxE_EEST_SX_SY_mSZ_S12_bEUlT_E_NS1_11comp_targetILNS1_3genE9ELNS1_11target_archE1100ELNS1_3gpuE3ELNS1_3repE0EEENS1_30default_config_static_selectorELNS0_4arch9wavefront6targetE1EEEvSW_.uses_flat_scratch, 0
	.set _ZN7rocprim17ROCPRIM_400000_NS6detail17trampoline_kernelINS0_14default_configENS1_29binary_search_config_selectorIxiEEZNS1_14transform_implILb0ES3_S5_N6thrust23THRUST_200600_302600_NS6detail15normal_iteratorINS8_7pointerIxNS8_11hip_rocprim5par_tENS8_11use_defaultESE_EEEENSA_INSB_IiSD_SE_SE_EEEEZNS1_13binary_searchIS3_S5_PxSG_SI_NS1_16binary_search_opENS9_16wrapped_functionINS8_6system6detail7generic6detail18binary_search_lessEbEEEE10hipError_tPvRmT1_T2_T3_mmT4_T5_P12ihipStream_tbEUlRKxE_EEST_SX_SY_mSZ_S12_bEUlT_E_NS1_11comp_targetILNS1_3genE9ELNS1_11target_archE1100ELNS1_3gpuE3ELNS1_3repE0EEENS1_30default_config_static_selectorELNS0_4arch9wavefront6targetE1EEEvSW_.has_dyn_sized_stack, 0
	.set _ZN7rocprim17ROCPRIM_400000_NS6detail17trampoline_kernelINS0_14default_configENS1_29binary_search_config_selectorIxiEEZNS1_14transform_implILb0ES3_S5_N6thrust23THRUST_200600_302600_NS6detail15normal_iteratorINS8_7pointerIxNS8_11hip_rocprim5par_tENS8_11use_defaultESE_EEEENSA_INSB_IiSD_SE_SE_EEEEZNS1_13binary_searchIS3_S5_PxSG_SI_NS1_16binary_search_opENS9_16wrapped_functionINS8_6system6detail7generic6detail18binary_search_lessEbEEEE10hipError_tPvRmT1_T2_T3_mmT4_T5_P12ihipStream_tbEUlRKxE_EEST_SX_SY_mSZ_S12_bEUlT_E_NS1_11comp_targetILNS1_3genE9ELNS1_11target_archE1100ELNS1_3gpuE3ELNS1_3repE0EEENS1_30default_config_static_selectorELNS0_4arch9wavefront6targetE1EEEvSW_.has_recursion, 0
	.set _ZN7rocprim17ROCPRIM_400000_NS6detail17trampoline_kernelINS0_14default_configENS1_29binary_search_config_selectorIxiEEZNS1_14transform_implILb0ES3_S5_N6thrust23THRUST_200600_302600_NS6detail15normal_iteratorINS8_7pointerIxNS8_11hip_rocprim5par_tENS8_11use_defaultESE_EEEENSA_INSB_IiSD_SE_SE_EEEEZNS1_13binary_searchIS3_S5_PxSG_SI_NS1_16binary_search_opENS9_16wrapped_functionINS8_6system6detail7generic6detail18binary_search_lessEbEEEE10hipError_tPvRmT1_T2_T3_mmT4_T5_P12ihipStream_tbEUlRKxE_EEST_SX_SY_mSZ_S12_bEUlT_E_NS1_11comp_targetILNS1_3genE9ELNS1_11target_archE1100ELNS1_3gpuE3ELNS1_3repE0EEENS1_30default_config_static_selectorELNS0_4arch9wavefront6targetE1EEEvSW_.has_indirect_call, 0
	.section	.AMDGPU.csdata,"",@progbits
; Kernel info:
; codeLenInByte = 0
; TotalNumSgprs: 4
; NumVgprs: 0
; ScratchSize: 0
; MemoryBound: 0
; FloatMode: 240
; IeeeMode: 1
; LDSByteSize: 0 bytes/workgroup (compile time only)
; SGPRBlocks: 0
; VGPRBlocks: 0
; NumSGPRsForWavesPerEU: 4
; NumVGPRsForWavesPerEU: 1
; Occupancy: 10
; WaveLimiterHint : 0
; COMPUTE_PGM_RSRC2:SCRATCH_EN: 0
; COMPUTE_PGM_RSRC2:USER_SGPR: 6
; COMPUTE_PGM_RSRC2:TRAP_HANDLER: 0
; COMPUTE_PGM_RSRC2:TGID_X_EN: 1
; COMPUTE_PGM_RSRC2:TGID_Y_EN: 0
; COMPUTE_PGM_RSRC2:TGID_Z_EN: 0
; COMPUTE_PGM_RSRC2:TIDIG_COMP_CNT: 0
	.section	.text._ZN7rocprim17ROCPRIM_400000_NS6detail17trampoline_kernelINS0_14default_configENS1_29binary_search_config_selectorIxiEEZNS1_14transform_implILb0ES3_S5_N6thrust23THRUST_200600_302600_NS6detail15normal_iteratorINS8_7pointerIxNS8_11hip_rocprim5par_tENS8_11use_defaultESE_EEEENSA_INSB_IiSD_SE_SE_EEEEZNS1_13binary_searchIS3_S5_PxSG_SI_NS1_16binary_search_opENS9_16wrapped_functionINS8_6system6detail7generic6detail18binary_search_lessEbEEEE10hipError_tPvRmT1_T2_T3_mmT4_T5_P12ihipStream_tbEUlRKxE_EEST_SX_SY_mSZ_S12_bEUlT_E_NS1_11comp_targetILNS1_3genE8ELNS1_11target_archE1030ELNS1_3gpuE2ELNS1_3repE0EEENS1_30default_config_static_selectorELNS0_4arch9wavefront6targetE1EEEvSW_,"axG",@progbits,_ZN7rocprim17ROCPRIM_400000_NS6detail17trampoline_kernelINS0_14default_configENS1_29binary_search_config_selectorIxiEEZNS1_14transform_implILb0ES3_S5_N6thrust23THRUST_200600_302600_NS6detail15normal_iteratorINS8_7pointerIxNS8_11hip_rocprim5par_tENS8_11use_defaultESE_EEEENSA_INSB_IiSD_SE_SE_EEEEZNS1_13binary_searchIS3_S5_PxSG_SI_NS1_16binary_search_opENS9_16wrapped_functionINS8_6system6detail7generic6detail18binary_search_lessEbEEEE10hipError_tPvRmT1_T2_T3_mmT4_T5_P12ihipStream_tbEUlRKxE_EEST_SX_SY_mSZ_S12_bEUlT_E_NS1_11comp_targetILNS1_3genE8ELNS1_11target_archE1030ELNS1_3gpuE2ELNS1_3repE0EEENS1_30default_config_static_selectorELNS0_4arch9wavefront6targetE1EEEvSW_,comdat
	.protected	_ZN7rocprim17ROCPRIM_400000_NS6detail17trampoline_kernelINS0_14default_configENS1_29binary_search_config_selectorIxiEEZNS1_14transform_implILb0ES3_S5_N6thrust23THRUST_200600_302600_NS6detail15normal_iteratorINS8_7pointerIxNS8_11hip_rocprim5par_tENS8_11use_defaultESE_EEEENSA_INSB_IiSD_SE_SE_EEEEZNS1_13binary_searchIS3_S5_PxSG_SI_NS1_16binary_search_opENS9_16wrapped_functionINS8_6system6detail7generic6detail18binary_search_lessEbEEEE10hipError_tPvRmT1_T2_T3_mmT4_T5_P12ihipStream_tbEUlRKxE_EEST_SX_SY_mSZ_S12_bEUlT_E_NS1_11comp_targetILNS1_3genE8ELNS1_11target_archE1030ELNS1_3gpuE2ELNS1_3repE0EEENS1_30default_config_static_selectorELNS0_4arch9wavefront6targetE1EEEvSW_ ; -- Begin function _ZN7rocprim17ROCPRIM_400000_NS6detail17trampoline_kernelINS0_14default_configENS1_29binary_search_config_selectorIxiEEZNS1_14transform_implILb0ES3_S5_N6thrust23THRUST_200600_302600_NS6detail15normal_iteratorINS8_7pointerIxNS8_11hip_rocprim5par_tENS8_11use_defaultESE_EEEENSA_INSB_IiSD_SE_SE_EEEEZNS1_13binary_searchIS3_S5_PxSG_SI_NS1_16binary_search_opENS9_16wrapped_functionINS8_6system6detail7generic6detail18binary_search_lessEbEEEE10hipError_tPvRmT1_T2_T3_mmT4_T5_P12ihipStream_tbEUlRKxE_EEST_SX_SY_mSZ_S12_bEUlT_E_NS1_11comp_targetILNS1_3genE8ELNS1_11target_archE1030ELNS1_3gpuE2ELNS1_3repE0EEENS1_30default_config_static_selectorELNS0_4arch9wavefront6targetE1EEEvSW_
	.globl	_ZN7rocprim17ROCPRIM_400000_NS6detail17trampoline_kernelINS0_14default_configENS1_29binary_search_config_selectorIxiEEZNS1_14transform_implILb0ES3_S5_N6thrust23THRUST_200600_302600_NS6detail15normal_iteratorINS8_7pointerIxNS8_11hip_rocprim5par_tENS8_11use_defaultESE_EEEENSA_INSB_IiSD_SE_SE_EEEEZNS1_13binary_searchIS3_S5_PxSG_SI_NS1_16binary_search_opENS9_16wrapped_functionINS8_6system6detail7generic6detail18binary_search_lessEbEEEE10hipError_tPvRmT1_T2_T3_mmT4_T5_P12ihipStream_tbEUlRKxE_EEST_SX_SY_mSZ_S12_bEUlT_E_NS1_11comp_targetILNS1_3genE8ELNS1_11target_archE1030ELNS1_3gpuE2ELNS1_3repE0EEENS1_30default_config_static_selectorELNS0_4arch9wavefront6targetE1EEEvSW_
	.p2align	8
	.type	_ZN7rocprim17ROCPRIM_400000_NS6detail17trampoline_kernelINS0_14default_configENS1_29binary_search_config_selectorIxiEEZNS1_14transform_implILb0ES3_S5_N6thrust23THRUST_200600_302600_NS6detail15normal_iteratorINS8_7pointerIxNS8_11hip_rocprim5par_tENS8_11use_defaultESE_EEEENSA_INSB_IiSD_SE_SE_EEEEZNS1_13binary_searchIS3_S5_PxSG_SI_NS1_16binary_search_opENS9_16wrapped_functionINS8_6system6detail7generic6detail18binary_search_lessEbEEEE10hipError_tPvRmT1_T2_T3_mmT4_T5_P12ihipStream_tbEUlRKxE_EEST_SX_SY_mSZ_S12_bEUlT_E_NS1_11comp_targetILNS1_3genE8ELNS1_11target_archE1030ELNS1_3gpuE2ELNS1_3repE0EEENS1_30default_config_static_selectorELNS0_4arch9wavefront6targetE1EEEvSW_,@function
_ZN7rocprim17ROCPRIM_400000_NS6detail17trampoline_kernelINS0_14default_configENS1_29binary_search_config_selectorIxiEEZNS1_14transform_implILb0ES3_S5_N6thrust23THRUST_200600_302600_NS6detail15normal_iteratorINS8_7pointerIxNS8_11hip_rocprim5par_tENS8_11use_defaultESE_EEEENSA_INSB_IiSD_SE_SE_EEEEZNS1_13binary_searchIS3_S5_PxSG_SI_NS1_16binary_search_opENS9_16wrapped_functionINS8_6system6detail7generic6detail18binary_search_lessEbEEEE10hipError_tPvRmT1_T2_T3_mmT4_T5_P12ihipStream_tbEUlRKxE_EEST_SX_SY_mSZ_S12_bEUlT_E_NS1_11comp_targetILNS1_3genE8ELNS1_11target_archE1030ELNS1_3gpuE2ELNS1_3repE0EEENS1_30default_config_static_selectorELNS0_4arch9wavefront6targetE1EEEvSW_: ; @_ZN7rocprim17ROCPRIM_400000_NS6detail17trampoline_kernelINS0_14default_configENS1_29binary_search_config_selectorIxiEEZNS1_14transform_implILb0ES3_S5_N6thrust23THRUST_200600_302600_NS6detail15normal_iteratorINS8_7pointerIxNS8_11hip_rocprim5par_tENS8_11use_defaultESE_EEEENSA_INSB_IiSD_SE_SE_EEEEZNS1_13binary_searchIS3_S5_PxSG_SI_NS1_16binary_search_opENS9_16wrapped_functionINS8_6system6detail7generic6detail18binary_search_lessEbEEEE10hipError_tPvRmT1_T2_T3_mmT4_T5_P12ihipStream_tbEUlRKxE_EEST_SX_SY_mSZ_S12_bEUlT_E_NS1_11comp_targetILNS1_3genE8ELNS1_11target_archE1030ELNS1_3gpuE2ELNS1_3repE0EEENS1_30default_config_static_selectorELNS0_4arch9wavefront6targetE1EEEvSW_
; %bb.0:
	.section	.rodata,"a",@progbits
	.p2align	6, 0x0
	.amdhsa_kernel _ZN7rocprim17ROCPRIM_400000_NS6detail17trampoline_kernelINS0_14default_configENS1_29binary_search_config_selectorIxiEEZNS1_14transform_implILb0ES3_S5_N6thrust23THRUST_200600_302600_NS6detail15normal_iteratorINS8_7pointerIxNS8_11hip_rocprim5par_tENS8_11use_defaultESE_EEEENSA_INSB_IiSD_SE_SE_EEEEZNS1_13binary_searchIS3_S5_PxSG_SI_NS1_16binary_search_opENS9_16wrapped_functionINS8_6system6detail7generic6detail18binary_search_lessEbEEEE10hipError_tPvRmT1_T2_T3_mmT4_T5_P12ihipStream_tbEUlRKxE_EEST_SX_SY_mSZ_S12_bEUlT_E_NS1_11comp_targetILNS1_3genE8ELNS1_11target_archE1030ELNS1_3gpuE2ELNS1_3repE0EEENS1_30default_config_static_selectorELNS0_4arch9wavefront6targetE1EEEvSW_
		.amdhsa_group_segment_fixed_size 0
		.amdhsa_private_segment_fixed_size 0
		.amdhsa_kernarg_size 56
		.amdhsa_user_sgpr_count 6
		.amdhsa_user_sgpr_private_segment_buffer 1
		.amdhsa_user_sgpr_dispatch_ptr 0
		.amdhsa_user_sgpr_queue_ptr 0
		.amdhsa_user_sgpr_kernarg_segment_ptr 1
		.amdhsa_user_sgpr_dispatch_id 0
		.amdhsa_user_sgpr_flat_scratch_init 0
		.amdhsa_user_sgpr_private_segment_size 0
		.amdhsa_uses_dynamic_stack 0
		.amdhsa_system_sgpr_private_segment_wavefront_offset 0
		.amdhsa_system_sgpr_workgroup_id_x 1
		.amdhsa_system_sgpr_workgroup_id_y 0
		.amdhsa_system_sgpr_workgroup_id_z 0
		.amdhsa_system_sgpr_workgroup_info 0
		.amdhsa_system_vgpr_workitem_id 0
		.amdhsa_next_free_vgpr 1
		.amdhsa_next_free_sgpr 0
		.amdhsa_reserve_vcc 0
		.amdhsa_reserve_flat_scratch 0
		.amdhsa_float_round_mode_32 0
		.amdhsa_float_round_mode_16_64 0
		.amdhsa_float_denorm_mode_32 3
		.amdhsa_float_denorm_mode_16_64 3
		.amdhsa_dx10_clamp 1
		.amdhsa_ieee_mode 1
		.amdhsa_fp16_overflow 0
		.amdhsa_exception_fp_ieee_invalid_op 0
		.amdhsa_exception_fp_denorm_src 0
		.amdhsa_exception_fp_ieee_div_zero 0
		.amdhsa_exception_fp_ieee_overflow 0
		.amdhsa_exception_fp_ieee_underflow 0
		.amdhsa_exception_fp_ieee_inexact 0
		.amdhsa_exception_int_div_zero 0
	.end_amdhsa_kernel
	.section	.text._ZN7rocprim17ROCPRIM_400000_NS6detail17trampoline_kernelINS0_14default_configENS1_29binary_search_config_selectorIxiEEZNS1_14transform_implILb0ES3_S5_N6thrust23THRUST_200600_302600_NS6detail15normal_iteratorINS8_7pointerIxNS8_11hip_rocprim5par_tENS8_11use_defaultESE_EEEENSA_INSB_IiSD_SE_SE_EEEEZNS1_13binary_searchIS3_S5_PxSG_SI_NS1_16binary_search_opENS9_16wrapped_functionINS8_6system6detail7generic6detail18binary_search_lessEbEEEE10hipError_tPvRmT1_T2_T3_mmT4_T5_P12ihipStream_tbEUlRKxE_EEST_SX_SY_mSZ_S12_bEUlT_E_NS1_11comp_targetILNS1_3genE8ELNS1_11target_archE1030ELNS1_3gpuE2ELNS1_3repE0EEENS1_30default_config_static_selectorELNS0_4arch9wavefront6targetE1EEEvSW_,"axG",@progbits,_ZN7rocprim17ROCPRIM_400000_NS6detail17trampoline_kernelINS0_14default_configENS1_29binary_search_config_selectorIxiEEZNS1_14transform_implILb0ES3_S5_N6thrust23THRUST_200600_302600_NS6detail15normal_iteratorINS8_7pointerIxNS8_11hip_rocprim5par_tENS8_11use_defaultESE_EEEENSA_INSB_IiSD_SE_SE_EEEEZNS1_13binary_searchIS3_S5_PxSG_SI_NS1_16binary_search_opENS9_16wrapped_functionINS8_6system6detail7generic6detail18binary_search_lessEbEEEE10hipError_tPvRmT1_T2_T3_mmT4_T5_P12ihipStream_tbEUlRKxE_EEST_SX_SY_mSZ_S12_bEUlT_E_NS1_11comp_targetILNS1_3genE8ELNS1_11target_archE1030ELNS1_3gpuE2ELNS1_3repE0EEENS1_30default_config_static_selectorELNS0_4arch9wavefront6targetE1EEEvSW_,comdat
.Lfunc_end301:
	.size	_ZN7rocprim17ROCPRIM_400000_NS6detail17trampoline_kernelINS0_14default_configENS1_29binary_search_config_selectorIxiEEZNS1_14transform_implILb0ES3_S5_N6thrust23THRUST_200600_302600_NS6detail15normal_iteratorINS8_7pointerIxNS8_11hip_rocprim5par_tENS8_11use_defaultESE_EEEENSA_INSB_IiSD_SE_SE_EEEEZNS1_13binary_searchIS3_S5_PxSG_SI_NS1_16binary_search_opENS9_16wrapped_functionINS8_6system6detail7generic6detail18binary_search_lessEbEEEE10hipError_tPvRmT1_T2_T3_mmT4_T5_P12ihipStream_tbEUlRKxE_EEST_SX_SY_mSZ_S12_bEUlT_E_NS1_11comp_targetILNS1_3genE8ELNS1_11target_archE1030ELNS1_3gpuE2ELNS1_3repE0EEENS1_30default_config_static_selectorELNS0_4arch9wavefront6targetE1EEEvSW_, .Lfunc_end301-_ZN7rocprim17ROCPRIM_400000_NS6detail17trampoline_kernelINS0_14default_configENS1_29binary_search_config_selectorIxiEEZNS1_14transform_implILb0ES3_S5_N6thrust23THRUST_200600_302600_NS6detail15normal_iteratorINS8_7pointerIxNS8_11hip_rocprim5par_tENS8_11use_defaultESE_EEEENSA_INSB_IiSD_SE_SE_EEEEZNS1_13binary_searchIS3_S5_PxSG_SI_NS1_16binary_search_opENS9_16wrapped_functionINS8_6system6detail7generic6detail18binary_search_lessEbEEEE10hipError_tPvRmT1_T2_T3_mmT4_T5_P12ihipStream_tbEUlRKxE_EEST_SX_SY_mSZ_S12_bEUlT_E_NS1_11comp_targetILNS1_3genE8ELNS1_11target_archE1030ELNS1_3gpuE2ELNS1_3repE0EEENS1_30default_config_static_selectorELNS0_4arch9wavefront6targetE1EEEvSW_
                                        ; -- End function
	.set _ZN7rocprim17ROCPRIM_400000_NS6detail17trampoline_kernelINS0_14default_configENS1_29binary_search_config_selectorIxiEEZNS1_14transform_implILb0ES3_S5_N6thrust23THRUST_200600_302600_NS6detail15normal_iteratorINS8_7pointerIxNS8_11hip_rocprim5par_tENS8_11use_defaultESE_EEEENSA_INSB_IiSD_SE_SE_EEEEZNS1_13binary_searchIS3_S5_PxSG_SI_NS1_16binary_search_opENS9_16wrapped_functionINS8_6system6detail7generic6detail18binary_search_lessEbEEEE10hipError_tPvRmT1_T2_T3_mmT4_T5_P12ihipStream_tbEUlRKxE_EEST_SX_SY_mSZ_S12_bEUlT_E_NS1_11comp_targetILNS1_3genE8ELNS1_11target_archE1030ELNS1_3gpuE2ELNS1_3repE0EEENS1_30default_config_static_selectorELNS0_4arch9wavefront6targetE1EEEvSW_.num_vgpr, 0
	.set _ZN7rocprim17ROCPRIM_400000_NS6detail17trampoline_kernelINS0_14default_configENS1_29binary_search_config_selectorIxiEEZNS1_14transform_implILb0ES3_S5_N6thrust23THRUST_200600_302600_NS6detail15normal_iteratorINS8_7pointerIxNS8_11hip_rocprim5par_tENS8_11use_defaultESE_EEEENSA_INSB_IiSD_SE_SE_EEEEZNS1_13binary_searchIS3_S5_PxSG_SI_NS1_16binary_search_opENS9_16wrapped_functionINS8_6system6detail7generic6detail18binary_search_lessEbEEEE10hipError_tPvRmT1_T2_T3_mmT4_T5_P12ihipStream_tbEUlRKxE_EEST_SX_SY_mSZ_S12_bEUlT_E_NS1_11comp_targetILNS1_3genE8ELNS1_11target_archE1030ELNS1_3gpuE2ELNS1_3repE0EEENS1_30default_config_static_selectorELNS0_4arch9wavefront6targetE1EEEvSW_.num_agpr, 0
	.set _ZN7rocprim17ROCPRIM_400000_NS6detail17trampoline_kernelINS0_14default_configENS1_29binary_search_config_selectorIxiEEZNS1_14transform_implILb0ES3_S5_N6thrust23THRUST_200600_302600_NS6detail15normal_iteratorINS8_7pointerIxNS8_11hip_rocprim5par_tENS8_11use_defaultESE_EEEENSA_INSB_IiSD_SE_SE_EEEEZNS1_13binary_searchIS3_S5_PxSG_SI_NS1_16binary_search_opENS9_16wrapped_functionINS8_6system6detail7generic6detail18binary_search_lessEbEEEE10hipError_tPvRmT1_T2_T3_mmT4_T5_P12ihipStream_tbEUlRKxE_EEST_SX_SY_mSZ_S12_bEUlT_E_NS1_11comp_targetILNS1_3genE8ELNS1_11target_archE1030ELNS1_3gpuE2ELNS1_3repE0EEENS1_30default_config_static_selectorELNS0_4arch9wavefront6targetE1EEEvSW_.numbered_sgpr, 0
	.set _ZN7rocprim17ROCPRIM_400000_NS6detail17trampoline_kernelINS0_14default_configENS1_29binary_search_config_selectorIxiEEZNS1_14transform_implILb0ES3_S5_N6thrust23THRUST_200600_302600_NS6detail15normal_iteratorINS8_7pointerIxNS8_11hip_rocprim5par_tENS8_11use_defaultESE_EEEENSA_INSB_IiSD_SE_SE_EEEEZNS1_13binary_searchIS3_S5_PxSG_SI_NS1_16binary_search_opENS9_16wrapped_functionINS8_6system6detail7generic6detail18binary_search_lessEbEEEE10hipError_tPvRmT1_T2_T3_mmT4_T5_P12ihipStream_tbEUlRKxE_EEST_SX_SY_mSZ_S12_bEUlT_E_NS1_11comp_targetILNS1_3genE8ELNS1_11target_archE1030ELNS1_3gpuE2ELNS1_3repE0EEENS1_30default_config_static_selectorELNS0_4arch9wavefront6targetE1EEEvSW_.num_named_barrier, 0
	.set _ZN7rocprim17ROCPRIM_400000_NS6detail17trampoline_kernelINS0_14default_configENS1_29binary_search_config_selectorIxiEEZNS1_14transform_implILb0ES3_S5_N6thrust23THRUST_200600_302600_NS6detail15normal_iteratorINS8_7pointerIxNS8_11hip_rocprim5par_tENS8_11use_defaultESE_EEEENSA_INSB_IiSD_SE_SE_EEEEZNS1_13binary_searchIS3_S5_PxSG_SI_NS1_16binary_search_opENS9_16wrapped_functionINS8_6system6detail7generic6detail18binary_search_lessEbEEEE10hipError_tPvRmT1_T2_T3_mmT4_T5_P12ihipStream_tbEUlRKxE_EEST_SX_SY_mSZ_S12_bEUlT_E_NS1_11comp_targetILNS1_3genE8ELNS1_11target_archE1030ELNS1_3gpuE2ELNS1_3repE0EEENS1_30default_config_static_selectorELNS0_4arch9wavefront6targetE1EEEvSW_.private_seg_size, 0
	.set _ZN7rocprim17ROCPRIM_400000_NS6detail17trampoline_kernelINS0_14default_configENS1_29binary_search_config_selectorIxiEEZNS1_14transform_implILb0ES3_S5_N6thrust23THRUST_200600_302600_NS6detail15normal_iteratorINS8_7pointerIxNS8_11hip_rocprim5par_tENS8_11use_defaultESE_EEEENSA_INSB_IiSD_SE_SE_EEEEZNS1_13binary_searchIS3_S5_PxSG_SI_NS1_16binary_search_opENS9_16wrapped_functionINS8_6system6detail7generic6detail18binary_search_lessEbEEEE10hipError_tPvRmT1_T2_T3_mmT4_T5_P12ihipStream_tbEUlRKxE_EEST_SX_SY_mSZ_S12_bEUlT_E_NS1_11comp_targetILNS1_3genE8ELNS1_11target_archE1030ELNS1_3gpuE2ELNS1_3repE0EEENS1_30default_config_static_selectorELNS0_4arch9wavefront6targetE1EEEvSW_.uses_vcc, 0
	.set _ZN7rocprim17ROCPRIM_400000_NS6detail17trampoline_kernelINS0_14default_configENS1_29binary_search_config_selectorIxiEEZNS1_14transform_implILb0ES3_S5_N6thrust23THRUST_200600_302600_NS6detail15normal_iteratorINS8_7pointerIxNS8_11hip_rocprim5par_tENS8_11use_defaultESE_EEEENSA_INSB_IiSD_SE_SE_EEEEZNS1_13binary_searchIS3_S5_PxSG_SI_NS1_16binary_search_opENS9_16wrapped_functionINS8_6system6detail7generic6detail18binary_search_lessEbEEEE10hipError_tPvRmT1_T2_T3_mmT4_T5_P12ihipStream_tbEUlRKxE_EEST_SX_SY_mSZ_S12_bEUlT_E_NS1_11comp_targetILNS1_3genE8ELNS1_11target_archE1030ELNS1_3gpuE2ELNS1_3repE0EEENS1_30default_config_static_selectorELNS0_4arch9wavefront6targetE1EEEvSW_.uses_flat_scratch, 0
	.set _ZN7rocprim17ROCPRIM_400000_NS6detail17trampoline_kernelINS0_14default_configENS1_29binary_search_config_selectorIxiEEZNS1_14transform_implILb0ES3_S5_N6thrust23THRUST_200600_302600_NS6detail15normal_iteratorINS8_7pointerIxNS8_11hip_rocprim5par_tENS8_11use_defaultESE_EEEENSA_INSB_IiSD_SE_SE_EEEEZNS1_13binary_searchIS3_S5_PxSG_SI_NS1_16binary_search_opENS9_16wrapped_functionINS8_6system6detail7generic6detail18binary_search_lessEbEEEE10hipError_tPvRmT1_T2_T3_mmT4_T5_P12ihipStream_tbEUlRKxE_EEST_SX_SY_mSZ_S12_bEUlT_E_NS1_11comp_targetILNS1_3genE8ELNS1_11target_archE1030ELNS1_3gpuE2ELNS1_3repE0EEENS1_30default_config_static_selectorELNS0_4arch9wavefront6targetE1EEEvSW_.has_dyn_sized_stack, 0
	.set _ZN7rocprim17ROCPRIM_400000_NS6detail17trampoline_kernelINS0_14default_configENS1_29binary_search_config_selectorIxiEEZNS1_14transform_implILb0ES3_S5_N6thrust23THRUST_200600_302600_NS6detail15normal_iteratorINS8_7pointerIxNS8_11hip_rocprim5par_tENS8_11use_defaultESE_EEEENSA_INSB_IiSD_SE_SE_EEEEZNS1_13binary_searchIS3_S5_PxSG_SI_NS1_16binary_search_opENS9_16wrapped_functionINS8_6system6detail7generic6detail18binary_search_lessEbEEEE10hipError_tPvRmT1_T2_T3_mmT4_T5_P12ihipStream_tbEUlRKxE_EEST_SX_SY_mSZ_S12_bEUlT_E_NS1_11comp_targetILNS1_3genE8ELNS1_11target_archE1030ELNS1_3gpuE2ELNS1_3repE0EEENS1_30default_config_static_selectorELNS0_4arch9wavefront6targetE1EEEvSW_.has_recursion, 0
	.set _ZN7rocprim17ROCPRIM_400000_NS6detail17trampoline_kernelINS0_14default_configENS1_29binary_search_config_selectorIxiEEZNS1_14transform_implILb0ES3_S5_N6thrust23THRUST_200600_302600_NS6detail15normal_iteratorINS8_7pointerIxNS8_11hip_rocprim5par_tENS8_11use_defaultESE_EEEENSA_INSB_IiSD_SE_SE_EEEEZNS1_13binary_searchIS3_S5_PxSG_SI_NS1_16binary_search_opENS9_16wrapped_functionINS8_6system6detail7generic6detail18binary_search_lessEbEEEE10hipError_tPvRmT1_T2_T3_mmT4_T5_P12ihipStream_tbEUlRKxE_EEST_SX_SY_mSZ_S12_bEUlT_E_NS1_11comp_targetILNS1_3genE8ELNS1_11target_archE1030ELNS1_3gpuE2ELNS1_3repE0EEENS1_30default_config_static_selectorELNS0_4arch9wavefront6targetE1EEEvSW_.has_indirect_call, 0
	.section	.AMDGPU.csdata,"",@progbits
; Kernel info:
; codeLenInByte = 0
; TotalNumSgprs: 4
; NumVgprs: 0
; ScratchSize: 0
; MemoryBound: 0
; FloatMode: 240
; IeeeMode: 1
; LDSByteSize: 0 bytes/workgroup (compile time only)
; SGPRBlocks: 0
; VGPRBlocks: 0
; NumSGPRsForWavesPerEU: 4
; NumVGPRsForWavesPerEU: 1
; Occupancy: 10
; WaveLimiterHint : 0
; COMPUTE_PGM_RSRC2:SCRATCH_EN: 0
; COMPUTE_PGM_RSRC2:USER_SGPR: 6
; COMPUTE_PGM_RSRC2:TRAP_HANDLER: 0
; COMPUTE_PGM_RSRC2:TGID_X_EN: 1
; COMPUTE_PGM_RSRC2:TGID_Y_EN: 0
; COMPUTE_PGM_RSRC2:TGID_Z_EN: 0
; COMPUTE_PGM_RSRC2:TIDIG_COMP_CNT: 0
	.section	.text._Z20binary_search_kernelIiEvmPT_Pb,"axG",@progbits,_Z20binary_search_kernelIiEvmPT_Pb,comdat
	.protected	_Z20binary_search_kernelIiEvmPT_Pb ; -- Begin function _Z20binary_search_kernelIiEvmPT_Pb
	.globl	_Z20binary_search_kernelIiEvmPT_Pb
	.p2align	8
	.type	_Z20binary_search_kernelIiEvmPT_Pb,@function
_Z20binary_search_kernelIiEvmPT_Pb:     ; @_Z20binary_search_kernelIiEvmPT_Pb
; %bb.0:
	s_load_dwordx4 s[8:11], s[4:5], 0x0
	s_load_dwordx2 s[2:3], s[4:5], 0x10
	s_waitcnt lgkmcnt(0)
	s_lshl_b64 s[0:1], s[8:9], 2
	s_add_u32 s0, s10, s0
	s_addc_u32 s1, s11, s1
	s_sub_u32 s0, s0, s10
	s_subb_u32 s1, s1, s11
	s_ashr_i64 s[4:5], s[0:1], 2
	v_cmp_lt_i64_e64 s[6:7], s[4:5], 1
	s_mov_b64 s[0:1], 0
	s_and_b64 vcc, exec, s[6:7]
	s_cbranch_vccnz .LBB302_3
; %bb.1:
	s_mov_b64 s[6:7], s[4:5]
.LBB302_2:                              ; =>This Inner Loop Header: Depth=1
	s_sub_u32 s12, s6, s0
	s_subb_u32 s13, s7, s1
	s_lshr_b64 s[12:13], s[12:13], 1
	s_add_u32 s12, s12, s0
	s_addc_u32 s13, s13, s1
	s_lshl_b64 s[14:15], s[12:13], 2
	s_add_u32 s14, s10, s14
	s_addc_u32 s15, s11, s15
	s_load_dword s14, s[14:15], 0x0
	s_add_u32 s15, s12, 1
	s_addc_u32 s16, s13, 0
	s_waitcnt lgkmcnt(0)
	s_cmp_lt_i32 s14, 0
	s_cselect_b32 s6, s6, s12
	s_cselect_b32 s7, s7, s13
	v_mov_b32_e32 v0, s6
	s_cselect_b32 s1, s16, s1
	s_cselect_b32 s0, s15, s0
	v_mov_b32_e32 v1, s7
	v_cmp_lt_i64_e32 vcc, s[0:1], v[0:1]
	s_cbranch_vccnz .LBB302_2
.LBB302_3:
	v_cmp_gt_i64_e64 s[12:13], s[4:5], 0
	s_mov_b64 s[6:7], 0
	s_cmp_eq_u64 s[0:1], s[8:9]
	s_mov_b64 s[14:15], 0
	s_cbranch_scc1 .LBB302_5
; %bb.4:
	s_lshl_b64 s[0:1], s[0:1], 2
	s_add_u32 s0, s10, s0
	s_addc_u32 s1, s11, s1
	s_load_dword s0, s[0:1], 0x0
	s_waitcnt lgkmcnt(0)
	s_cmp_lt_i32 s0, 1
	s_cselect_b64 s[14:15], -1, 0
.LBB302_5:
	v_cndmask_b32_e64 v2, 0, 1, s[12:13]
	v_mov_b32_e32 v0, 0
	v_cndmask_b32_e64 v1, 0, 1, s[14:15]
	v_cmp_ne_u32_e64 s[0:1], 1, v2
	s_andn2_b64 vcc, exec, s[12:13]
	global_store_byte v0, v1, s[2:3]
	s_cbranch_vccnz .LBB302_8
; %bb.6:
	s_mov_b64 s[12:13], s[4:5]
.LBB302_7:                              ; =>This Inner Loop Header: Depth=1
	s_sub_u32 s14, s12, s6
	s_subb_u32 s15, s13, s7
	s_lshr_b64 s[14:15], s[14:15], 1
	s_add_u32 s14, s14, s6
	s_addc_u32 s15, s15, s7
	s_lshl_b64 s[16:17], s[14:15], 2
	s_add_u32 s16, s10, s16
	s_addc_u32 s17, s11, s17
	s_load_dword s16, s[16:17], 0x0
	s_add_u32 s17, s14, 1
	s_addc_u32 s18, s15, 0
	s_waitcnt lgkmcnt(0)
	s_cmp_lt_i32 s16, 1
	s_cselect_b32 s12, s12, s14
	s_cselect_b32 s13, s13, s15
	v_mov_b32_e32 v0, s12
	s_cselect_b32 s7, s18, s7
	s_cselect_b32 s6, s17, s6
	v_mov_b32_e32 v1, s13
	v_cmp_lt_i64_e32 vcc, s[6:7], v[0:1]
	s_cbranch_vccnz .LBB302_7
.LBB302_8:
	s_mov_b64 s[12:13], 0
	s_cmp_eq_u64 s[6:7], s[8:9]
	s_mov_b64 s[14:15], 0
	s_cbranch_scc1 .LBB302_10
; %bb.9:
	s_lshl_b64 s[6:7], s[6:7], 2
	s_add_u32 s6, s10, s6
	s_addc_u32 s7, s11, s7
	s_load_dword s6, s[6:7], 0x0
	s_waitcnt lgkmcnt(0)
	s_cmp_lt_i32 s6, 2
	s_cselect_b64 s[14:15], -1, 0
.LBB302_10:
	v_mov_b32_e32 v0, 0
	v_cndmask_b32_e64 v1, 0, 1, s[14:15]
	s_and_b64 vcc, exec, s[0:1]
	global_store_byte v0, v1, s[2:3] offset:1
	s_cbranch_vccnz .LBB302_13
; %bb.11:
	s_mov_b64 s[6:7], s[4:5]
.LBB302_12:                             ; =>This Inner Loop Header: Depth=1
	s_sub_u32 s14, s6, s12
	s_subb_u32 s15, s7, s13
	s_lshr_b64 s[14:15], s[14:15], 1
	s_add_u32 s14, s14, s12
	s_addc_u32 s15, s15, s13
	s_lshl_b64 s[16:17], s[14:15], 2
	s_add_u32 s16, s10, s16
	s_addc_u32 s17, s11, s17
	s_load_dword s16, s[16:17], 0x0
	s_add_u32 s17, s14, 1
	s_addc_u32 s18, s15, 0
	s_waitcnt lgkmcnt(0)
	s_cmp_lt_i32 s16, 2
	s_cselect_b32 s6, s6, s14
	s_cselect_b32 s7, s7, s15
	v_mov_b32_e32 v0, s6
	s_cselect_b32 s13, s18, s13
	s_cselect_b32 s12, s17, s12
	v_mov_b32_e32 v1, s7
	v_cmp_lt_i64_e32 vcc, s[12:13], v[0:1]
	s_cbranch_vccnz .LBB302_12
.LBB302_13:
	s_mov_b64 s[6:7], 0
	s_cmp_eq_u64 s[12:13], s[8:9]
	s_mov_b64 s[14:15], 0
	s_cbranch_scc1 .LBB302_15
; %bb.14:
	s_lshl_b64 s[12:13], s[12:13], 2
	s_add_u32 s12, s10, s12
	s_addc_u32 s13, s11, s13
	s_load_dword s12, s[12:13], 0x0
	s_waitcnt lgkmcnt(0)
	s_cmp_lt_i32 s12, 3
	s_cselect_b64 s[14:15], -1, 0
.LBB302_15:
	v_mov_b32_e32 v0, 0
	v_cndmask_b32_e64 v1, 0, 1, s[14:15]
	s_and_b64 vcc, exec, s[0:1]
	global_store_byte v0, v1, s[2:3] offset:2
	s_cbranch_vccnz .LBB302_18
; %bb.16:
	s_mov_b64 s[12:13], s[4:5]
.LBB302_17:                             ; =>This Inner Loop Header: Depth=1
	s_sub_u32 s14, s12, s6
	s_subb_u32 s15, s13, s7
	s_lshr_b64 s[14:15], s[14:15], 1
	s_add_u32 s14, s14, s6
	s_addc_u32 s15, s15, s7
	s_lshl_b64 s[16:17], s[14:15], 2
	s_add_u32 s16, s10, s16
	s_addc_u32 s17, s11, s17
	s_load_dword s16, s[16:17], 0x0
	s_add_u32 s17, s14, 1
	s_addc_u32 s18, s15, 0
	s_waitcnt lgkmcnt(0)
	s_cmp_lt_i32 s16, 3
	s_cselect_b32 s12, s12, s14
	s_cselect_b32 s13, s13, s15
	v_mov_b32_e32 v0, s12
	s_cselect_b32 s7, s18, s7
	s_cselect_b32 s6, s17, s6
	v_mov_b32_e32 v1, s13
	v_cmp_lt_i64_e32 vcc, s[6:7], v[0:1]
	s_cbranch_vccnz .LBB302_17
.LBB302_18:
	;; [unrolled: 43-line block ×7, first 2 shown]
	s_mov_b64 s[6:7], 0
	s_cmp_eq_u64 s[12:13], s[8:9]
	s_mov_b64 s[14:15], 0
	s_cbranch_scc1 .LBB302_45
; %bb.44:
	s_lshl_b64 s[12:13], s[12:13], 2
	s_add_u32 s12, s10, s12
	s_addc_u32 s13, s11, s13
	s_load_dword s12, s[12:13], 0x0
	s_waitcnt lgkmcnt(0)
	s_cmp_lt_i32 s12, 9
	s_cselect_b64 s[14:15], -1, 0
.LBB302_45:
	v_mov_b32_e32 v0, 0
	v_cndmask_b32_e64 v1, 0, 1, s[14:15]
	s_and_b64 vcc, exec, s[0:1]
	global_store_byte v0, v1, s[2:3] offset:8
	s_cbranch_vccnz .LBB302_47
.LBB302_46:                             ; =>This Inner Loop Header: Depth=1
	s_sub_u32 s0, s4, s6
	s_subb_u32 s1, s5, s7
	s_lshr_b64 s[0:1], s[0:1], 1
	s_add_u32 s0, s0, s6
	s_addc_u32 s1, s1, s7
	s_lshl_b64 s[12:13], s[0:1], 2
	s_add_u32 s12, s10, s12
	s_addc_u32 s13, s11, s13
	s_load_dword s12, s[12:13], 0x0
	s_add_u32 s13, s0, 1
	s_addc_u32 s14, s1, 0
	s_waitcnt lgkmcnt(0)
	s_cmp_lt_i32 s12, 9
	s_cselect_b32 s4, s4, s0
	s_cselect_b32 s5, s5, s1
	v_mov_b32_e32 v0, s4
	s_cselect_b32 s7, s14, s7
	s_cselect_b32 s6, s13, s6
	v_mov_b32_e32 v1, s5
	v_cmp_lt_i64_e32 vcc, s[6:7], v[0:1]
	s_cbranch_vccnz .LBB302_46
.LBB302_47:
	s_cmp_eq_u64 s[6:7], s[8:9]
	s_mov_b64 s[0:1], 0
	s_cbranch_scc1 .LBB302_49
; %bb.48:
	s_lshl_b64 s[0:1], s[6:7], 2
	s_add_u32 s0, s10, s0
	s_addc_u32 s1, s11, s1
	s_load_dword s0, s[0:1], 0x0
	s_waitcnt lgkmcnt(0)
	s_cmp_lt_i32 s0, 10
	s_cselect_b64 s[0:1], -1, 0
.LBB302_49:
	v_mov_b32_e32 v0, 0
	v_cndmask_b32_e64 v1, 0, 1, s[0:1]
	global_store_byte v0, v1, s[2:3] offset:9
	s_endpgm
	.section	.rodata,"a",@progbits
	.p2align	6, 0x0
	.amdhsa_kernel _Z20binary_search_kernelIiEvmPT_Pb
		.amdhsa_group_segment_fixed_size 0
		.amdhsa_private_segment_fixed_size 0
		.amdhsa_kernarg_size 24
		.amdhsa_user_sgpr_count 6
		.amdhsa_user_sgpr_private_segment_buffer 1
		.amdhsa_user_sgpr_dispatch_ptr 0
		.amdhsa_user_sgpr_queue_ptr 0
		.amdhsa_user_sgpr_kernarg_segment_ptr 1
		.amdhsa_user_sgpr_dispatch_id 0
		.amdhsa_user_sgpr_flat_scratch_init 0
		.amdhsa_user_sgpr_private_segment_size 0
		.amdhsa_uses_dynamic_stack 0
		.amdhsa_system_sgpr_private_segment_wavefront_offset 0
		.amdhsa_system_sgpr_workgroup_id_x 1
		.amdhsa_system_sgpr_workgroup_id_y 0
		.amdhsa_system_sgpr_workgroup_id_z 0
		.amdhsa_system_sgpr_workgroup_info 0
		.amdhsa_system_vgpr_workitem_id 0
		.amdhsa_next_free_vgpr 3
		.amdhsa_next_free_sgpr 19
		.amdhsa_reserve_vcc 1
		.amdhsa_reserve_flat_scratch 0
		.amdhsa_float_round_mode_32 0
		.amdhsa_float_round_mode_16_64 0
		.amdhsa_float_denorm_mode_32 3
		.amdhsa_float_denorm_mode_16_64 3
		.amdhsa_dx10_clamp 1
		.amdhsa_ieee_mode 1
		.amdhsa_fp16_overflow 0
		.amdhsa_exception_fp_ieee_invalid_op 0
		.amdhsa_exception_fp_denorm_src 0
		.amdhsa_exception_fp_ieee_div_zero 0
		.amdhsa_exception_fp_ieee_overflow 0
		.amdhsa_exception_fp_ieee_underflow 0
		.amdhsa_exception_fp_ieee_inexact 0
		.amdhsa_exception_int_div_zero 0
	.end_amdhsa_kernel
	.section	.text._Z20binary_search_kernelIiEvmPT_Pb,"axG",@progbits,_Z20binary_search_kernelIiEvmPT_Pb,comdat
.Lfunc_end302:
	.size	_Z20binary_search_kernelIiEvmPT_Pb, .Lfunc_end302-_Z20binary_search_kernelIiEvmPT_Pb
                                        ; -- End function
	.set _Z20binary_search_kernelIiEvmPT_Pb.num_vgpr, 3
	.set _Z20binary_search_kernelIiEvmPT_Pb.num_agpr, 0
	.set _Z20binary_search_kernelIiEvmPT_Pb.numbered_sgpr, 19
	.set _Z20binary_search_kernelIiEvmPT_Pb.num_named_barrier, 0
	.set _Z20binary_search_kernelIiEvmPT_Pb.private_seg_size, 0
	.set _Z20binary_search_kernelIiEvmPT_Pb.uses_vcc, 1
	.set _Z20binary_search_kernelIiEvmPT_Pb.uses_flat_scratch, 0
	.set _Z20binary_search_kernelIiEvmPT_Pb.has_dyn_sized_stack, 0
	.set _Z20binary_search_kernelIiEvmPT_Pb.has_recursion, 0
	.set _Z20binary_search_kernelIiEvmPT_Pb.has_indirect_call, 0
	.section	.AMDGPU.csdata,"",@progbits
; Kernel info:
; codeLenInByte = 1756
; TotalNumSgprs: 23
; NumVgprs: 3
; ScratchSize: 0
; MemoryBound: 0
; FloatMode: 240
; IeeeMode: 1
; LDSByteSize: 0 bytes/workgroup (compile time only)
; SGPRBlocks: 2
; VGPRBlocks: 0
; NumSGPRsForWavesPerEU: 23
; NumVGPRsForWavesPerEU: 3
; Occupancy: 10
; WaveLimiterHint : 0
; COMPUTE_PGM_RSRC2:SCRATCH_EN: 0
; COMPUTE_PGM_RSRC2:USER_SGPR: 6
; COMPUTE_PGM_RSRC2:TRAP_HANDLER: 0
; COMPUTE_PGM_RSRC2:TGID_X_EN: 1
; COMPUTE_PGM_RSRC2:TGID_Y_EN: 0
; COMPUTE_PGM_RSRC2:TGID_Z_EN: 0
; COMPUTE_PGM_RSRC2:TIDIG_COMP_CNT: 0
	.section	.text._ZN7rocprim17ROCPRIM_400000_NS6detail17trampoline_kernelINS0_14default_configENS1_29binary_search_config_selectorIiiEEZNS1_14transform_implILb0ES3_S5_N6thrust23THRUST_200600_302600_NS6detail15normal_iteratorINS8_7pointerIiNS8_11hip_rocprim5par_tENS8_11use_defaultESE_EEEESG_ZNS1_13binary_searchIS3_S5_PiSG_SG_NS1_16binary_search_opENS9_16wrapped_functionINS8_6system6detail7generic6detail18binary_search_lessEbEEEE10hipError_tPvRmT1_T2_T3_mmT4_T5_P12ihipStream_tbEUlRKiE_EESR_SV_SW_mSX_S10_bEUlT_E_NS1_11comp_targetILNS1_3genE0ELNS1_11target_archE4294967295ELNS1_3gpuE0ELNS1_3repE0EEENS1_30default_config_static_selectorELNS0_4arch9wavefront6targetE1EEEvSU_,"axG",@progbits,_ZN7rocprim17ROCPRIM_400000_NS6detail17trampoline_kernelINS0_14default_configENS1_29binary_search_config_selectorIiiEEZNS1_14transform_implILb0ES3_S5_N6thrust23THRUST_200600_302600_NS6detail15normal_iteratorINS8_7pointerIiNS8_11hip_rocprim5par_tENS8_11use_defaultESE_EEEESG_ZNS1_13binary_searchIS3_S5_PiSG_SG_NS1_16binary_search_opENS9_16wrapped_functionINS8_6system6detail7generic6detail18binary_search_lessEbEEEE10hipError_tPvRmT1_T2_T3_mmT4_T5_P12ihipStream_tbEUlRKiE_EESR_SV_SW_mSX_S10_bEUlT_E_NS1_11comp_targetILNS1_3genE0ELNS1_11target_archE4294967295ELNS1_3gpuE0ELNS1_3repE0EEENS1_30default_config_static_selectorELNS0_4arch9wavefront6targetE1EEEvSU_,comdat
	.protected	_ZN7rocprim17ROCPRIM_400000_NS6detail17trampoline_kernelINS0_14default_configENS1_29binary_search_config_selectorIiiEEZNS1_14transform_implILb0ES3_S5_N6thrust23THRUST_200600_302600_NS6detail15normal_iteratorINS8_7pointerIiNS8_11hip_rocprim5par_tENS8_11use_defaultESE_EEEESG_ZNS1_13binary_searchIS3_S5_PiSG_SG_NS1_16binary_search_opENS9_16wrapped_functionINS8_6system6detail7generic6detail18binary_search_lessEbEEEE10hipError_tPvRmT1_T2_T3_mmT4_T5_P12ihipStream_tbEUlRKiE_EESR_SV_SW_mSX_S10_bEUlT_E_NS1_11comp_targetILNS1_3genE0ELNS1_11target_archE4294967295ELNS1_3gpuE0ELNS1_3repE0EEENS1_30default_config_static_selectorELNS0_4arch9wavefront6targetE1EEEvSU_ ; -- Begin function _ZN7rocprim17ROCPRIM_400000_NS6detail17trampoline_kernelINS0_14default_configENS1_29binary_search_config_selectorIiiEEZNS1_14transform_implILb0ES3_S5_N6thrust23THRUST_200600_302600_NS6detail15normal_iteratorINS8_7pointerIiNS8_11hip_rocprim5par_tENS8_11use_defaultESE_EEEESG_ZNS1_13binary_searchIS3_S5_PiSG_SG_NS1_16binary_search_opENS9_16wrapped_functionINS8_6system6detail7generic6detail18binary_search_lessEbEEEE10hipError_tPvRmT1_T2_T3_mmT4_T5_P12ihipStream_tbEUlRKiE_EESR_SV_SW_mSX_S10_bEUlT_E_NS1_11comp_targetILNS1_3genE0ELNS1_11target_archE4294967295ELNS1_3gpuE0ELNS1_3repE0EEENS1_30default_config_static_selectorELNS0_4arch9wavefront6targetE1EEEvSU_
	.globl	_ZN7rocprim17ROCPRIM_400000_NS6detail17trampoline_kernelINS0_14default_configENS1_29binary_search_config_selectorIiiEEZNS1_14transform_implILb0ES3_S5_N6thrust23THRUST_200600_302600_NS6detail15normal_iteratorINS8_7pointerIiNS8_11hip_rocprim5par_tENS8_11use_defaultESE_EEEESG_ZNS1_13binary_searchIS3_S5_PiSG_SG_NS1_16binary_search_opENS9_16wrapped_functionINS8_6system6detail7generic6detail18binary_search_lessEbEEEE10hipError_tPvRmT1_T2_T3_mmT4_T5_P12ihipStream_tbEUlRKiE_EESR_SV_SW_mSX_S10_bEUlT_E_NS1_11comp_targetILNS1_3genE0ELNS1_11target_archE4294967295ELNS1_3gpuE0ELNS1_3repE0EEENS1_30default_config_static_selectorELNS0_4arch9wavefront6targetE1EEEvSU_
	.p2align	8
	.type	_ZN7rocprim17ROCPRIM_400000_NS6detail17trampoline_kernelINS0_14default_configENS1_29binary_search_config_selectorIiiEEZNS1_14transform_implILb0ES3_S5_N6thrust23THRUST_200600_302600_NS6detail15normal_iteratorINS8_7pointerIiNS8_11hip_rocprim5par_tENS8_11use_defaultESE_EEEESG_ZNS1_13binary_searchIS3_S5_PiSG_SG_NS1_16binary_search_opENS9_16wrapped_functionINS8_6system6detail7generic6detail18binary_search_lessEbEEEE10hipError_tPvRmT1_T2_T3_mmT4_T5_P12ihipStream_tbEUlRKiE_EESR_SV_SW_mSX_S10_bEUlT_E_NS1_11comp_targetILNS1_3genE0ELNS1_11target_archE4294967295ELNS1_3gpuE0ELNS1_3repE0EEENS1_30default_config_static_selectorELNS0_4arch9wavefront6targetE1EEEvSU_,@function
_ZN7rocprim17ROCPRIM_400000_NS6detail17trampoline_kernelINS0_14default_configENS1_29binary_search_config_selectorIiiEEZNS1_14transform_implILb0ES3_S5_N6thrust23THRUST_200600_302600_NS6detail15normal_iteratorINS8_7pointerIiNS8_11hip_rocprim5par_tENS8_11use_defaultESE_EEEESG_ZNS1_13binary_searchIS3_S5_PiSG_SG_NS1_16binary_search_opENS9_16wrapped_functionINS8_6system6detail7generic6detail18binary_search_lessEbEEEE10hipError_tPvRmT1_T2_T3_mmT4_T5_P12ihipStream_tbEUlRKiE_EESR_SV_SW_mSX_S10_bEUlT_E_NS1_11comp_targetILNS1_3genE0ELNS1_11target_archE4294967295ELNS1_3gpuE0ELNS1_3repE0EEENS1_30default_config_static_selectorELNS0_4arch9wavefront6targetE1EEEvSU_: ; @_ZN7rocprim17ROCPRIM_400000_NS6detail17trampoline_kernelINS0_14default_configENS1_29binary_search_config_selectorIiiEEZNS1_14transform_implILb0ES3_S5_N6thrust23THRUST_200600_302600_NS6detail15normal_iteratorINS8_7pointerIiNS8_11hip_rocprim5par_tENS8_11use_defaultESE_EEEESG_ZNS1_13binary_searchIS3_S5_PiSG_SG_NS1_16binary_search_opENS9_16wrapped_functionINS8_6system6detail7generic6detail18binary_search_lessEbEEEE10hipError_tPvRmT1_T2_T3_mmT4_T5_P12ihipStream_tbEUlRKiE_EESR_SV_SW_mSX_S10_bEUlT_E_NS1_11comp_targetILNS1_3genE0ELNS1_11target_archE4294967295ELNS1_3gpuE0ELNS1_3repE0EEENS1_30default_config_static_selectorELNS0_4arch9wavefront6targetE1EEEvSU_
; %bb.0:
	.section	.rodata,"a",@progbits
	.p2align	6, 0x0
	.amdhsa_kernel _ZN7rocprim17ROCPRIM_400000_NS6detail17trampoline_kernelINS0_14default_configENS1_29binary_search_config_selectorIiiEEZNS1_14transform_implILb0ES3_S5_N6thrust23THRUST_200600_302600_NS6detail15normal_iteratorINS8_7pointerIiNS8_11hip_rocprim5par_tENS8_11use_defaultESE_EEEESG_ZNS1_13binary_searchIS3_S5_PiSG_SG_NS1_16binary_search_opENS9_16wrapped_functionINS8_6system6detail7generic6detail18binary_search_lessEbEEEE10hipError_tPvRmT1_T2_T3_mmT4_T5_P12ihipStream_tbEUlRKiE_EESR_SV_SW_mSX_S10_bEUlT_E_NS1_11comp_targetILNS1_3genE0ELNS1_11target_archE4294967295ELNS1_3gpuE0ELNS1_3repE0EEENS1_30default_config_static_selectorELNS0_4arch9wavefront6targetE1EEEvSU_
		.amdhsa_group_segment_fixed_size 0
		.amdhsa_private_segment_fixed_size 0
		.amdhsa_kernarg_size 56
		.amdhsa_user_sgpr_count 6
		.amdhsa_user_sgpr_private_segment_buffer 1
		.amdhsa_user_sgpr_dispatch_ptr 0
		.amdhsa_user_sgpr_queue_ptr 0
		.amdhsa_user_sgpr_kernarg_segment_ptr 1
		.amdhsa_user_sgpr_dispatch_id 0
		.amdhsa_user_sgpr_flat_scratch_init 0
		.amdhsa_user_sgpr_private_segment_size 0
		.amdhsa_uses_dynamic_stack 0
		.amdhsa_system_sgpr_private_segment_wavefront_offset 0
		.amdhsa_system_sgpr_workgroup_id_x 1
		.amdhsa_system_sgpr_workgroup_id_y 0
		.amdhsa_system_sgpr_workgroup_id_z 0
		.amdhsa_system_sgpr_workgroup_info 0
		.amdhsa_system_vgpr_workitem_id 0
		.amdhsa_next_free_vgpr 1
		.amdhsa_next_free_sgpr 0
		.amdhsa_reserve_vcc 0
		.amdhsa_reserve_flat_scratch 0
		.amdhsa_float_round_mode_32 0
		.amdhsa_float_round_mode_16_64 0
		.amdhsa_float_denorm_mode_32 3
		.amdhsa_float_denorm_mode_16_64 3
		.amdhsa_dx10_clamp 1
		.amdhsa_ieee_mode 1
		.amdhsa_fp16_overflow 0
		.amdhsa_exception_fp_ieee_invalid_op 0
		.amdhsa_exception_fp_denorm_src 0
		.amdhsa_exception_fp_ieee_div_zero 0
		.amdhsa_exception_fp_ieee_overflow 0
		.amdhsa_exception_fp_ieee_underflow 0
		.amdhsa_exception_fp_ieee_inexact 0
		.amdhsa_exception_int_div_zero 0
	.end_amdhsa_kernel
	.section	.text._ZN7rocprim17ROCPRIM_400000_NS6detail17trampoline_kernelINS0_14default_configENS1_29binary_search_config_selectorIiiEEZNS1_14transform_implILb0ES3_S5_N6thrust23THRUST_200600_302600_NS6detail15normal_iteratorINS8_7pointerIiNS8_11hip_rocprim5par_tENS8_11use_defaultESE_EEEESG_ZNS1_13binary_searchIS3_S5_PiSG_SG_NS1_16binary_search_opENS9_16wrapped_functionINS8_6system6detail7generic6detail18binary_search_lessEbEEEE10hipError_tPvRmT1_T2_T3_mmT4_T5_P12ihipStream_tbEUlRKiE_EESR_SV_SW_mSX_S10_bEUlT_E_NS1_11comp_targetILNS1_3genE0ELNS1_11target_archE4294967295ELNS1_3gpuE0ELNS1_3repE0EEENS1_30default_config_static_selectorELNS0_4arch9wavefront6targetE1EEEvSU_,"axG",@progbits,_ZN7rocprim17ROCPRIM_400000_NS6detail17trampoline_kernelINS0_14default_configENS1_29binary_search_config_selectorIiiEEZNS1_14transform_implILb0ES3_S5_N6thrust23THRUST_200600_302600_NS6detail15normal_iteratorINS8_7pointerIiNS8_11hip_rocprim5par_tENS8_11use_defaultESE_EEEESG_ZNS1_13binary_searchIS3_S5_PiSG_SG_NS1_16binary_search_opENS9_16wrapped_functionINS8_6system6detail7generic6detail18binary_search_lessEbEEEE10hipError_tPvRmT1_T2_T3_mmT4_T5_P12ihipStream_tbEUlRKiE_EESR_SV_SW_mSX_S10_bEUlT_E_NS1_11comp_targetILNS1_3genE0ELNS1_11target_archE4294967295ELNS1_3gpuE0ELNS1_3repE0EEENS1_30default_config_static_selectorELNS0_4arch9wavefront6targetE1EEEvSU_,comdat
.Lfunc_end303:
	.size	_ZN7rocprim17ROCPRIM_400000_NS6detail17trampoline_kernelINS0_14default_configENS1_29binary_search_config_selectorIiiEEZNS1_14transform_implILb0ES3_S5_N6thrust23THRUST_200600_302600_NS6detail15normal_iteratorINS8_7pointerIiNS8_11hip_rocprim5par_tENS8_11use_defaultESE_EEEESG_ZNS1_13binary_searchIS3_S5_PiSG_SG_NS1_16binary_search_opENS9_16wrapped_functionINS8_6system6detail7generic6detail18binary_search_lessEbEEEE10hipError_tPvRmT1_T2_T3_mmT4_T5_P12ihipStream_tbEUlRKiE_EESR_SV_SW_mSX_S10_bEUlT_E_NS1_11comp_targetILNS1_3genE0ELNS1_11target_archE4294967295ELNS1_3gpuE0ELNS1_3repE0EEENS1_30default_config_static_selectorELNS0_4arch9wavefront6targetE1EEEvSU_, .Lfunc_end303-_ZN7rocprim17ROCPRIM_400000_NS6detail17trampoline_kernelINS0_14default_configENS1_29binary_search_config_selectorIiiEEZNS1_14transform_implILb0ES3_S5_N6thrust23THRUST_200600_302600_NS6detail15normal_iteratorINS8_7pointerIiNS8_11hip_rocprim5par_tENS8_11use_defaultESE_EEEESG_ZNS1_13binary_searchIS3_S5_PiSG_SG_NS1_16binary_search_opENS9_16wrapped_functionINS8_6system6detail7generic6detail18binary_search_lessEbEEEE10hipError_tPvRmT1_T2_T3_mmT4_T5_P12ihipStream_tbEUlRKiE_EESR_SV_SW_mSX_S10_bEUlT_E_NS1_11comp_targetILNS1_3genE0ELNS1_11target_archE4294967295ELNS1_3gpuE0ELNS1_3repE0EEENS1_30default_config_static_selectorELNS0_4arch9wavefront6targetE1EEEvSU_
                                        ; -- End function
	.set _ZN7rocprim17ROCPRIM_400000_NS6detail17trampoline_kernelINS0_14default_configENS1_29binary_search_config_selectorIiiEEZNS1_14transform_implILb0ES3_S5_N6thrust23THRUST_200600_302600_NS6detail15normal_iteratorINS8_7pointerIiNS8_11hip_rocprim5par_tENS8_11use_defaultESE_EEEESG_ZNS1_13binary_searchIS3_S5_PiSG_SG_NS1_16binary_search_opENS9_16wrapped_functionINS8_6system6detail7generic6detail18binary_search_lessEbEEEE10hipError_tPvRmT1_T2_T3_mmT4_T5_P12ihipStream_tbEUlRKiE_EESR_SV_SW_mSX_S10_bEUlT_E_NS1_11comp_targetILNS1_3genE0ELNS1_11target_archE4294967295ELNS1_3gpuE0ELNS1_3repE0EEENS1_30default_config_static_selectorELNS0_4arch9wavefront6targetE1EEEvSU_.num_vgpr, 0
	.set _ZN7rocprim17ROCPRIM_400000_NS6detail17trampoline_kernelINS0_14default_configENS1_29binary_search_config_selectorIiiEEZNS1_14transform_implILb0ES3_S5_N6thrust23THRUST_200600_302600_NS6detail15normal_iteratorINS8_7pointerIiNS8_11hip_rocprim5par_tENS8_11use_defaultESE_EEEESG_ZNS1_13binary_searchIS3_S5_PiSG_SG_NS1_16binary_search_opENS9_16wrapped_functionINS8_6system6detail7generic6detail18binary_search_lessEbEEEE10hipError_tPvRmT1_T2_T3_mmT4_T5_P12ihipStream_tbEUlRKiE_EESR_SV_SW_mSX_S10_bEUlT_E_NS1_11comp_targetILNS1_3genE0ELNS1_11target_archE4294967295ELNS1_3gpuE0ELNS1_3repE0EEENS1_30default_config_static_selectorELNS0_4arch9wavefront6targetE1EEEvSU_.num_agpr, 0
	.set _ZN7rocprim17ROCPRIM_400000_NS6detail17trampoline_kernelINS0_14default_configENS1_29binary_search_config_selectorIiiEEZNS1_14transform_implILb0ES3_S5_N6thrust23THRUST_200600_302600_NS6detail15normal_iteratorINS8_7pointerIiNS8_11hip_rocprim5par_tENS8_11use_defaultESE_EEEESG_ZNS1_13binary_searchIS3_S5_PiSG_SG_NS1_16binary_search_opENS9_16wrapped_functionINS8_6system6detail7generic6detail18binary_search_lessEbEEEE10hipError_tPvRmT1_T2_T3_mmT4_T5_P12ihipStream_tbEUlRKiE_EESR_SV_SW_mSX_S10_bEUlT_E_NS1_11comp_targetILNS1_3genE0ELNS1_11target_archE4294967295ELNS1_3gpuE0ELNS1_3repE0EEENS1_30default_config_static_selectorELNS0_4arch9wavefront6targetE1EEEvSU_.numbered_sgpr, 0
	.set _ZN7rocprim17ROCPRIM_400000_NS6detail17trampoline_kernelINS0_14default_configENS1_29binary_search_config_selectorIiiEEZNS1_14transform_implILb0ES3_S5_N6thrust23THRUST_200600_302600_NS6detail15normal_iteratorINS8_7pointerIiNS8_11hip_rocprim5par_tENS8_11use_defaultESE_EEEESG_ZNS1_13binary_searchIS3_S5_PiSG_SG_NS1_16binary_search_opENS9_16wrapped_functionINS8_6system6detail7generic6detail18binary_search_lessEbEEEE10hipError_tPvRmT1_T2_T3_mmT4_T5_P12ihipStream_tbEUlRKiE_EESR_SV_SW_mSX_S10_bEUlT_E_NS1_11comp_targetILNS1_3genE0ELNS1_11target_archE4294967295ELNS1_3gpuE0ELNS1_3repE0EEENS1_30default_config_static_selectorELNS0_4arch9wavefront6targetE1EEEvSU_.num_named_barrier, 0
	.set _ZN7rocprim17ROCPRIM_400000_NS6detail17trampoline_kernelINS0_14default_configENS1_29binary_search_config_selectorIiiEEZNS1_14transform_implILb0ES3_S5_N6thrust23THRUST_200600_302600_NS6detail15normal_iteratorINS8_7pointerIiNS8_11hip_rocprim5par_tENS8_11use_defaultESE_EEEESG_ZNS1_13binary_searchIS3_S5_PiSG_SG_NS1_16binary_search_opENS9_16wrapped_functionINS8_6system6detail7generic6detail18binary_search_lessEbEEEE10hipError_tPvRmT1_T2_T3_mmT4_T5_P12ihipStream_tbEUlRKiE_EESR_SV_SW_mSX_S10_bEUlT_E_NS1_11comp_targetILNS1_3genE0ELNS1_11target_archE4294967295ELNS1_3gpuE0ELNS1_3repE0EEENS1_30default_config_static_selectorELNS0_4arch9wavefront6targetE1EEEvSU_.private_seg_size, 0
	.set _ZN7rocprim17ROCPRIM_400000_NS6detail17trampoline_kernelINS0_14default_configENS1_29binary_search_config_selectorIiiEEZNS1_14transform_implILb0ES3_S5_N6thrust23THRUST_200600_302600_NS6detail15normal_iteratorINS8_7pointerIiNS8_11hip_rocprim5par_tENS8_11use_defaultESE_EEEESG_ZNS1_13binary_searchIS3_S5_PiSG_SG_NS1_16binary_search_opENS9_16wrapped_functionINS8_6system6detail7generic6detail18binary_search_lessEbEEEE10hipError_tPvRmT1_T2_T3_mmT4_T5_P12ihipStream_tbEUlRKiE_EESR_SV_SW_mSX_S10_bEUlT_E_NS1_11comp_targetILNS1_3genE0ELNS1_11target_archE4294967295ELNS1_3gpuE0ELNS1_3repE0EEENS1_30default_config_static_selectorELNS0_4arch9wavefront6targetE1EEEvSU_.uses_vcc, 0
	.set _ZN7rocprim17ROCPRIM_400000_NS6detail17trampoline_kernelINS0_14default_configENS1_29binary_search_config_selectorIiiEEZNS1_14transform_implILb0ES3_S5_N6thrust23THRUST_200600_302600_NS6detail15normal_iteratorINS8_7pointerIiNS8_11hip_rocprim5par_tENS8_11use_defaultESE_EEEESG_ZNS1_13binary_searchIS3_S5_PiSG_SG_NS1_16binary_search_opENS9_16wrapped_functionINS8_6system6detail7generic6detail18binary_search_lessEbEEEE10hipError_tPvRmT1_T2_T3_mmT4_T5_P12ihipStream_tbEUlRKiE_EESR_SV_SW_mSX_S10_bEUlT_E_NS1_11comp_targetILNS1_3genE0ELNS1_11target_archE4294967295ELNS1_3gpuE0ELNS1_3repE0EEENS1_30default_config_static_selectorELNS0_4arch9wavefront6targetE1EEEvSU_.uses_flat_scratch, 0
	.set _ZN7rocprim17ROCPRIM_400000_NS6detail17trampoline_kernelINS0_14default_configENS1_29binary_search_config_selectorIiiEEZNS1_14transform_implILb0ES3_S5_N6thrust23THRUST_200600_302600_NS6detail15normal_iteratorINS8_7pointerIiNS8_11hip_rocprim5par_tENS8_11use_defaultESE_EEEESG_ZNS1_13binary_searchIS3_S5_PiSG_SG_NS1_16binary_search_opENS9_16wrapped_functionINS8_6system6detail7generic6detail18binary_search_lessEbEEEE10hipError_tPvRmT1_T2_T3_mmT4_T5_P12ihipStream_tbEUlRKiE_EESR_SV_SW_mSX_S10_bEUlT_E_NS1_11comp_targetILNS1_3genE0ELNS1_11target_archE4294967295ELNS1_3gpuE0ELNS1_3repE0EEENS1_30default_config_static_selectorELNS0_4arch9wavefront6targetE1EEEvSU_.has_dyn_sized_stack, 0
	.set _ZN7rocprim17ROCPRIM_400000_NS6detail17trampoline_kernelINS0_14default_configENS1_29binary_search_config_selectorIiiEEZNS1_14transform_implILb0ES3_S5_N6thrust23THRUST_200600_302600_NS6detail15normal_iteratorINS8_7pointerIiNS8_11hip_rocprim5par_tENS8_11use_defaultESE_EEEESG_ZNS1_13binary_searchIS3_S5_PiSG_SG_NS1_16binary_search_opENS9_16wrapped_functionINS8_6system6detail7generic6detail18binary_search_lessEbEEEE10hipError_tPvRmT1_T2_T3_mmT4_T5_P12ihipStream_tbEUlRKiE_EESR_SV_SW_mSX_S10_bEUlT_E_NS1_11comp_targetILNS1_3genE0ELNS1_11target_archE4294967295ELNS1_3gpuE0ELNS1_3repE0EEENS1_30default_config_static_selectorELNS0_4arch9wavefront6targetE1EEEvSU_.has_recursion, 0
	.set _ZN7rocprim17ROCPRIM_400000_NS6detail17trampoline_kernelINS0_14default_configENS1_29binary_search_config_selectorIiiEEZNS1_14transform_implILb0ES3_S5_N6thrust23THRUST_200600_302600_NS6detail15normal_iteratorINS8_7pointerIiNS8_11hip_rocprim5par_tENS8_11use_defaultESE_EEEESG_ZNS1_13binary_searchIS3_S5_PiSG_SG_NS1_16binary_search_opENS9_16wrapped_functionINS8_6system6detail7generic6detail18binary_search_lessEbEEEE10hipError_tPvRmT1_T2_T3_mmT4_T5_P12ihipStream_tbEUlRKiE_EESR_SV_SW_mSX_S10_bEUlT_E_NS1_11comp_targetILNS1_3genE0ELNS1_11target_archE4294967295ELNS1_3gpuE0ELNS1_3repE0EEENS1_30default_config_static_selectorELNS0_4arch9wavefront6targetE1EEEvSU_.has_indirect_call, 0
	.section	.AMDGPU.csdata,"",@progbits
; Kernel info:
; codeLenInByte = 0
; TotalNumSgprs: 4
; NumVgprs: 0
; ScratchSize: 0
; MemoryBound: 0
; FloatMode: 240
; IeeeMode: 1
; LDSByteSize: 0 bytes/workgroup (compile time only)
; SGPRBlocks: 0
; VGPRBlocks: 0
; NumSGPRsForWavesPerEU: 4
; NumVGPRsForWavesPerEU: 1
; Occupancy: 10
; WaveLimiterHint : 0
; COMPUTE_PGM_RSRC2:SCRATCH_EN: 0
; COMPUTE_PGM_RSRC2:USER_SGPR: 6
; COMPUTE_PGM_RSRC2:TRAP_HANDLER: 0
; COMPUTE_PGM_RSRC2:TGID_X_EN: 1
; COMPUTE_PGM_RSRC2:TGID_Y_EN: 0
; COMPUTE_PGM_RSRC2:TGID_Z_EN: 0
; COMPUTE_PGM_RSRC2:TIDIG_COMP_CNT: 0
	.section	.text._ZN7rocprim17ROCPRIM_400000_NS6detail17trampoline_kernelINS0_14default_configENS1_29binary_search_config_selectorIiiEEZNS1_14transform_implILb0ES3_S5_N6thrust23THRUST_200600_302600_NS6detail15normal_iteratorINS8_7pointerIiNS8_11hip_rocprim5par_tENS8_11use_defaultESE_EEEESG_ZNS1_13binary_searchIS3_S5_PiSG_SG_NS1_16binary_search_opENS9_16wrapped_functionINS8_6system6detail7generic6detail18binary_search_lessEbEEEE10hipError_tPvRmT1_T2_T3_mmT4_T5_P12ihipStream_tbEUlRKiE_EESR_SV_SW_mSX_S10_bEUlT_E_NS1_11comp_targetILNS1_3genE5ELNS1_11target_archE942ELNS1_3gpuE9ELNS1_3repE0EEENS1_30default_config_static_selectorELNS0_4arch9wavefront6targetE1EEEvSU_,"axG",@progbits,_ZN7rocprim17ROCPRIM_400000_NS6detail17trampoline_kernelINS0_14default_configENS1_29binary_search_config_selectorIiiEEZNS1_14transform_implILb0ES3_S5_N6thrust23THRUST_200600_302600_NS6detail15normal_iteratorINS8_7pointerIiNS8_11hip_rocprim5par_tENS8_11use_defaultESE_EEEESG_ZNS1_13binary_searchIS3_S5_PiSG_SG_NS1_16binary_search_opENS9_16wrapped_functionINS8_6system6detail7generic6detail18binary_search_lessEbEEEE10hipError_tPvRmT1_T2_T3_mmT4_T5_P12ihipStream_tbEUlRKiE_EESR_SV_SW_mSX_S10_bEUlT_E_NS1_11comp_targetILNS1_3genE5ELNS1_11target_archE942ELNS1_3gpuE9ELNS1_3repE0EEENS1_30default_config_static_selectorELNS0_4arch9wavefront6targetE1EEEvSU_,comdat
	.protected	_ZN7rocprim17ROCPRIM_400000_NS6detail17trampoline_kernelINS0_14default_configENS1_29binary_search_config_selectorIiiEEZNS1_14transform_implILb0ES3_S5_N6thrust23THRUST_200600_302600_NS6detail15normal_iteratorINS8_7pointerIiNS8_11hip_rocprim5par_tENS8_11use_defaultESE_EEEESG_ZNS1_13binary_searchIS3_S5_PiSG_SG_NS1_16binary_search_opENS9_16wrapped_functionINS8_6system6detail7generic6detail18binary_search_lessEbEEEE10hipError_tPvRmT1_T2_T3_mmT4_T5_P12ihipStream_tbEUlRKiE_EESR_SV_SW_mSX_S10_bEUlT_E_NS1_11comp_targetILNS1_3genE5ELNS1_11target_archE942ELNS1_3gpuE9ELNS1_3repE0EEENS1_30default_config_static_selectorELNS0_4arch9wavefront6targetE1EEEvSU_ ; -- Begin function _ZN7rocprim17ROCPRIM_400000_NS6detail17trampoline_kernelINS0_14default_configENS1_29binary_search_config_selectorIiiEEZNS1_14transform_implILb0ES3_S5_N6thrust23THRUST_200600_302600_NS6detail15normal_iteratorINS8_7pointerIiNS8_11hip_rocprim5par_tENS8_11use_defaultESE_EEEESG_ZNS1_13binary_searchIS3_S5_PiSG_SG_NS1_16binary_search_opENS9_16wrapped_functionINS8_6system6detail7generic6detail18binary_search_lessEbEEEE10hipError_tPvRmT1_T2_T3_mmT4_T5_P12ihipStream_tbEUlRKiE_EESR_SV_SW_mSX_S10_bEUlT_E_NS1_11comp_targetILNS1_3genE5ELNS1_11target_archE942ELNS1_3gpuE9ELNS1_3repE0EEENS1_30default_config_static_selectorELNS0_4arch9wavefront6targetE1EEEvSU_
	.globl	_ZN7rocprim17ROCPRIM_400000_NS6detail17trampoline_kernelINS0_14default_configENS1_29binary_search_config_selectorIiiEEZNS1_14transform_implILb0ES3_S5_N6thrust23THRUST_200600_302600_NS6detail15normal_iteratorINS8_7pointerIiNS8_11hip_rocprim5par_tENS8_11use_defaultESE_EEEESG_ZNS1_13binary_searchIS3_S5_PiSG_SG_NS1_16binary_search_opENS9_16wrapped_functionINS8_6system6detail7generic6detail18binary_search_lessEbEEEE10hipError_tPvRmT1_T2_T3_mmT4_T5_P12ihipStream_tbEUlRKiE_EESR_SV_SW_mSX_S10_bEUlT_E_NS1_11comp_targetILNS1_3genE5ELNS1_11target_archE942ELNS1_3gpuE9ELNS1_3repE0EEENS1_30default_config_static_selectorELNS0_4arch9wavefront6targetE1EEEvSU_
	.p2align	8
	.type	_ZN7rocprim17ROCPRIM_400000_NS6detail17trampoline_kernelINS0_14default_configENS1_29binary_search_config_selectorIiiEEZNS1_14transform_implILb0ES3_S5_N6thrust23THRUST_200600_302600_NS6detail15normal_iteratorINS8_7pointerIiNS8_11hip_rocprim5par_tENS8_11use_defaultESE_EEEESG_ZNS1_13binary_searchIS3_S5_PiSG_SG_NS1_16binary_search_opENS9_16wrapped_functionINS8_6system6detail7generic6detail18binary_search_lessEbEEEE10hipError_tPvRmT1_T2_T3_mmT4_T5_P12ihipStream_tbEUlRKiE_EESR_SV_SW_mSX_S10_bEUlT_E_NS1_11comp_targetILNS1_3genE5ELNS1_11target_archE942ELNS1_3gpuE9ELNS1_3repE0EEENS1_30default_config_static_selectorELNS0_4arch9wavefront6targetE1EEEvSU_,@function
_ZN7rocprim17ROCPRIM_400000_NS6detail17trampoline_kernelINS0_14default_configENS1_29binary_search_config_selectorIiiEEZNS1_14transform_implILb0ES3_S5_N6thrust23THRUST_200600_302600_NS6detail15normal_iteratorINS8_7pointerIiNS8_11hip_rocprim5par_tENS8_11use_defaultESE_EEEESG_ZNS1_13binary_searchIS3_S5_PiSG_SG_NS1_16binary_search_opENS9_16wrapped_functionINS8_6system6detail7generic6detail18binary_search_lessEbEEEE10hipError_tPvRmT1_T2_T3_mmT4_T5_P12ihipStream_tbEUlRKiE_EESR_SV_SW_mSX_S10_bEUlT_E_NS1_11comp_targetILNS1_3genE5ELNS1_11target_archE942ELNS1_3gpuE9ELNS1_3repE0EEENS1_30default_config_static_selectorELNS0_4arch9wavefront6targetE1EEEvSU_: ; @_ZN7rocprim17ROCPRIM_400000_NS6detail17trampoline_kernelINS0_14default_configENS1_29binary_search_config_selectorIiiEEZNS1_14transform_implILb0ES3_S5_N6thrust23THRUST_200600_302600_NS6detail15normal_iteratorINS8_7pointerIiNS8_11hip_rocprim5par_tENS8_11use_defaultESE_EEEESG_ZNS1_13binary_searchIS3_S5_PiSG_SG_NS1_16binary_search_opENS9_16wrapped_functionINS8_6system6detail7generic6detail18binary_search_lessEbEEEE10hipError_tPvRmT1_T2_T3_mmT4_T5_P12ihipStream_tbEUlRKiE_EESR_SV_SW_mSX_S10_bEUlT_E_NS1_11comp_targetILNS1_3genE5ELNS1_11target_archE942ELNS1_3gpuE9ELNS1_3repE0EEENS1_30default_config_static_selectorELNS0_4arch9wavefront6targetE1EEEvSU_
; %bb.0:
	.section	.rodata,"a",@progbits
	.p2align	6, 0x0
	.amdhsa_kernel _ZN7rocprim17ROCPRIM_400000_NS6detail17trampoline_kernelINS0_14default_configENS1_29binary_search_config_selectorIiiEEZNS1_14transform_implILb0ES3_S5_N6thrust23THRUST_200600_302600_NS6detail15normal_iteratorINS8_7pointerIiNS8_11hip_rocprim5par_tENS8_11use_defaultESE_EEEESG_ZNS1_13binary_searchIS3_S5_PiSG_SG_NS1_16binary_search_opENS9_16wrapped_functionINS8_6system6detail7generic6detail18binary_search_lessEbEEEE10hipError_tPvRmT1_T2_T3_mmT4_T5_P12ihipStream_tbEUlRKiE_EESR_SV_SW_mSX_S10_bEUlT_E_NS1_11comp_targetILNS1_3genE5ELNS1_11target_archE942ELNS1_3gpuE9ELNS1_3repE0EEENS1_30default_config_static_selectorELNS0_4arch9wavefront6targetE1EEEvSU_
		.amdhsa_group_segment_fixed_size 0
		.amdhsa_private_segment_fixed_size 0
		.amdhsa_kernarg_size 56
		.amdhsa_user_sgpr_count 6
		.amdhsa_user_sgpr_private_segment_buffer 1
		.amdhsa_user_sgpr_dispatch_ptr 0
		.amdhsa_user_sgpr_queue_ptr 0
		.amdhsa_user_sgpr_kernarg_segment_ptr 1
		.amdhsa_user_sgpr_dispatch_id 0
		.amdhsa_user_sgpr_flat_scratch_init 0
		.amdhsa_user_sgpr_private_segment_size 0
		.amdhsa_uses_dynamic_stack 0
		.amdhsa_system_sgpr_private_segment_wavefront_offset 0
		.amdhsa_system_sgpr_workgroup_id_x 1
		.amdhsa_system_sgpr_workgroup_id_y 0
		.amdhsa_system_sgpr_workgroup_id_z 0
		.amdhsa_system_sgpr_workgroup_info 0
		.amdhsa_system_vgpr_workitem_id 0
		.amdhsa_next_free_vgpr 1
		.amdhsa_next_free_sgpr 0
		.amdhsa_reserve_vcc 0
		.amdhsa_reserve_flat_scratch 0
		.amdhsa_float_round_mode_32 0
		.amdhsa_float_round_mode_16_64 0
		.amdhsa_float_denorm_mode_32 3
		.amdhsa_float_denorm_mode_16_64 3
		.amdhsa_dx10_clamp 1
		.amdhsa_ieee_mode 1
		.amdhsa_fp16_overflow 0
		.amdhsa_exception_fp_ieee_invalid_op 0
		.amdhsa_exception_fp_denorm_src 0
		.amdhsa_exception_fp_ieee_div_zero 0
		.amdhsa_exception_fp_ieee_overflow 0
		.amdhsa_exception_fp_ieee_underflow 0
		.amdhsa_exception_fp_ieee_inexact 0
		.amdhsa_exception_int_div_zero 0
	.end_amdhsa_kernel
	.section	.text._ZN7rocprim17ROCPRIM_400000_NS6detail17trampoline_kernelINS0_14default_configENS1_29binary_search_config_selectorIiiEEZNS1_14transform_implILb0ES3_S5_N6thrust23THRUST_200600_302600_NS6detail15normal_iteratorINS8_7pointerIiNS8_11hip_rocprim5par_tENS8_11use_defaultESE_EEEESG_ZNS1_13binary_searchIS3_S5_PiSG_SG_NS1_16binary_search_opENS9_16wrapped_functionINS8_6system6detail7generic6detail18binary_search_lessEbEEEE10hipError_tPvRmT1_T2_T3_mmT4_T5_P12ihipStream_tbEUlRKiE_EESR_SV_SW_mSX_S10_bEUlT_E_NS1_11comp_targetILNS1_3genE5ELNS1_11target_archE942ELNS1_3gpuE9ELNS1_3repE0EEENS1_30default_config_static_selectorELNS0_4arch9wavefront6targetE1EEEvSU_,"axG",@progbits,_ZN7rocprim17ROCPRIM_400000_NS6detail17trampoline_kernelINS0_14default_configENS1_29binary_search_config_selectorIiiEEZNS1_14transform_implILb0ES3_S5_N6thrust23THRUST_200600_302600_NS6detail15normal_iteratorINS8_7pointerIiNS8_11hip_rocprim5par_tENS8_11use_defaultESE_EEEESG_ZNS1_13binary_searchIS3_S5_PiSG_SG_NS1_16binary_search_opENS9_16wrapped_functionINS8_6system6detail7generic6detail18binary_search_lessEbEEEE10hipError_tPvRmT1_T2_T3_mmT4_T5_P12ihipStream_tbEUlRKiE_EESR_SV_SW_mSX_S10_bEUlT_E_NS1_11comp_targetILNS1_3genE5ELNS1_11target_archE942ELNS1_3gpuE9ELNS1_3repE0EEENS1_30default_config_static_selectorELNS0_4arch9wavefront6targetE1EEEvSU_,comdat
.Lfunc_end304:
	.size	_ZN7rocprim17ROCPRIM_400000_NS6detail17trampoline_kernelINS0_14default_configENS1_29binary_search_config_selectorIiiEEZNS1_14transform_implILb0ES3_S5_N6thrust23THRUST_200600_302600_NS6detail15normal_iteratorINS8_7pointerIiNS8_11hip_rocprim5par_tENS8_11use_defaultESE_EEEESG_ZNS1_13binary_searchIS3_S5_PiSG_SG_NS1_16binary_search_opENS9_16wrapped_functionINS8_6system6detail7generic6detail18binary_search_lessEbEEEE10hipError_tPvRmT1_T2_T3_mmT4_T5_P12ihipStream_tbEUlRKiE_EESR_SV_SW_mSX_S10_bEUlT_E_NS1_11comp_targetILNS1_3genE5ELNS1_11target_archE942ELNS1_3gpuE9ELNS1_3repE0EEENS1_30default_config_static_selectorELNS0_4arch9wavefront6targetE1EEEvSU_, .Lfunc_end304-_ZN7rocprim17ROCPRIM_400000_NS6detail17trampoline_kernelINS0_14default_configENS1_29binary_search_config_selectorIiiEEZNS1_14transform_implILb0ES3_S5_N6thrust23THRUST_200600_302600_NS6detail15normal_iteratorINS8_7pointerIiNS8_11hip_rocprim5par_tENS8_11use_defaultESE_EEEESG_ZNS1_13binary_searchIS3_S5_PiSG_SG_NS1_16binary_search_opENS9_16wrapped_functionINS8_6system6detail7generic6detail18binary_search_lessEbEEEE10hipError_tPvRmT1_T2_T3_mmT4_T5_P12ihipStream_tbEUlRKiE_EESR_SV_SW_mSX_S10_bEUlT_E_NS1_11comp_targetILNS1_3genE5ELNS1_11target_archE942ELNS1_3gpuE9ELNS1_3repE0EEENS1_30default_config_static_selectorELNS0_4arch9wavefront6targetE1EEEvSU_
                                        ; -- End function
	.set _ZN7rocprim17ROCPRIM_400000_NS6detail17trampoline_kernelINS0_14default_configENS1_29binary_search_config_selectorIiiEEZNS1_14transform_implILb0ES3_S5_N6thrust23THRUST_200600_302600_NS6detail15normal_iteratorINS8_7pointerIiNS8_11hip_rocprim5par_tENS8_11use_defaultESE_EEEESG_ZNS1_13binary_searchIS3_S5_PiSG_SG_NS1_16binary_search_opENS9_16wrapped_functionINS8_6system6detail7generic6detail18binary_search_lessEbEEEE10hipError_tPvRmT1_T2_T3_mmT4_T5_P12ihipStream_tbEUlRKiE_EESR_SV_SW_mSX_S10_bEUlT_E_NS1_11comp_targetILNS1_3genE5ELNS1_11target_archE942ELNS1_3gpuE9ELNS1_3repE0EEENS1_30default_config_static_selectorELNS0_4arch9wavefront6targetE1EEEvSU_.num_vgpr, 0
	.set _ZN7rocprim17ROCPRIM_400000_NS6detail17trampoline_kernelINS0_14default_configENS1_29binary_search_config_selectorIiiEEZNS1_14transform_implILb0ES3_S5_N6thrust23THRUST_200600_302600_NS6detail15normal_iteratorINS8_7pointerIiNS8_11hip_rocprim5par_tENS8_11use_defaultESE_EEEESG_ZNS1_13binary_searchIS3_S5_PiSG_SG_NS1_16binary_search_opENS9_16wrapped_functionINS8_6system6detail7generic6detail18binary_search_lessEbEEEE10hipError_tPvRmT1_T2_T3_mmT4_T5_P12ihipStream_tbEUlRKiE_EESR_SV_SW_mSX_S10_bEUlT_E_NS1_11comp_targetILNS1_3genE5ELNS1_11target_archE942ELNS1_3gpuE9ELNS1_3repE0EEENS1_30default_config_static_selectorELNS0_4arch9wavefront6targetE1EEEvSU_.num_agpr, 0
	.set _ZN7rocprim17ROCPRIM_400000_NS6detail17trampoline_kernelINS0_14default_configENS1_29binary_search_config_selectorIiiEEZNS1_14transform_implILb0ES3_S5_N6thrust23THRUST_200600_302600_NS6detail15normal_iteratorINS8_7pointerIiNS8_11hip_rocprim5par_tENS8_11use_defaultESE_EEEESG_ZNS1_13binary_searchIS3_S5_PiSG_SG_NS1_16binary_search_opENS9_16wrapped_functionINS8_6system6detail7generic6detail18binary_search_lessEbEEEE10hipError_tPvRmT1_T2_T3_mmT4_T5_P12ihipStream_tbEUlRKiE_EESR_SV_SW_mSX_S10_bEUlT_E_NS1_11comp_targetILNS1_3genE5ELNS1_11target_archE942ELNS1_3gpuE9ELNS1_3repE0EEENS1_30default_config_static_selectorELNS0_4arch9wavefront6targetE1EEEvSU_.numbered_sgpr, 0
	.set _ZN7rocprim17ROCPRIM_400000_NS6detail17trampoline_kernelINS0_14default_configENS1_29binary_search_config_selectorIiiEEZNS1_14transform_implILb0ES3_S5_N6thrust23THRUST_200600_302600_NS6detail15normal_iteratorINS8_7pointerIiNS8_11hip_rocprim5par_tENS8_11use_defaultESE_EEEESG_ZNS1_13binary_searchIS3_S5_PiSG_SG_NS1_16binary_search_opENS9_16wrapped_functionINS8_6system6detail7generic6detail18binary_search_lessEbEEEE10hipError_tPvRmT1_T2_T3_mmT4_T5_P12ihipStream_tbEUlRKiE_EESR_SV_SW_mSX_S10_bEUlT_E_NS1_11comp_targetILNS1_3genE5ELNS1_11target_archE942ELNS1_3gpuE9ELNS1_3repE0EEENS1_30default_config_static_selectorELNS0_4arch9wavefront6targetE1EEEvSU_.num_named_barrier, 0
	.set _ZN7rocprim17ROCPRIM_400000_NS6detail17trampoline_kernelINS0_14default_configENS1_29binary_search_config_selectorIiiEEZNS1_14transform_implILb0ES3_S5_N6thrust23THRUST_200600_302600_NS6detail15normal_iteratorINS8_7pointerIiNS8_11hip_rocprim5par_tENS8_11use_defaultESE_EEEESG_ZNS1_13binary_searchIS3_S5_PiSG_SG_NS1_16binary_search_opENS9_16wrapped_functionINS8_6system6detail7generic6detail18binary_search_lessEbEEEE10hipError_tPvRmT1_T2_T3_mmT4_T5_P12ihipStream_tbEUlRKiE_EESR_SV_SW_mSX_S10_bEUlT_E_NS1_11comp_targetILNS1_3genE5ELNS1_11target_archE942ELNS1_3gpuE9ELNS1_3repE0EEENS1_30default_config_static_selectorELNS0_4arch9wavefront6targetE1EEEvSU_.private_seg_size, 0
	.set _ZN7rocprim17ROCPRIM_400000_NS6detail17trampoline_kernelINS0_14default_configENS1_29binary_search_config_selectorIiiEEZNS1_14transform_implILb0ES3_S5_N6thrust23THRUST_200600_302600_NS6detail15normal_iteratorINS8_7pointerIiNS8_11hip_rocprim5par_tENS8_11use_defaultESE_EEEESG_ZNS1_13binary_searchIS3_S5_PiSG_SG_NS1_16binary_search_opENS9_16wrapped_functionINS8_6system6detail7generic6detail18binary_search_lessEbEEEE10hipError_tPvRmT1_T2_T3_mmT4_T5_P12ihipStream_tbEUlRKiE_EESR_SV_SW_mSX_S10_bEUlT_E_NS1_11comp_targetILNS1_3genE5ELNS1_11target_archE942ELNS1_3gpuE9ELNS1_3repE0EEENS1_30default_config_static_selectorELNS0_4arch9wavefront6targetE1EEEvSU_.uses_vcc, 0
	.set _ZN7rocprim17ROCPRIM_400000_NS6detail17trampoline_kernelINS0_14default_configENS1_29binary_search_config_selectorIiiEEZNS1_14transform_implILb0ES3_S5_N6thrust23THRUST_200600_302600_NS6detail15normal_iteratorINS8_7pointerIiNS8_11hip_rocprim5par_tENS8_11use_defaultESE_EEEESG_ZNS1_13binary_searchIS3_S5_PiSG_SG_NS1_16binary_search_opENS9_16wrapped_functionINS8_6system6detail7generic6detail18binary_search_lessEbEEEE10hipError_tPvRmT1_T2_T3_mmT4_T5_P12ihipStream_tbEUlRKiE_EESR_SV_SW_mSX_S10_bEUlT_E_NS1_11comp_targetILNS1_3genE5ELNS1_11target_archE942ELNS1_3gpuE9ELNS1_3repE0EEENS1_30default_config_static_selectorELNS0_4arch9wavefront6targetE1EEEvSU_.uses_flat_scratch, 0
	.set _ZN7rocprim17ROCPRIM_400000_NS6detail17trampoline_kernelINS0_14default_configENS1_29binary_search_config_selectorIiiEEZNS1_14transform_implILb0ES3_S5_N6thrust23THRUST_200600_302600_NS6detail15normal_iteratorINS8_7pointerIiNS8_11hip_rocprim5par_tENS8_11use_defaultESE_EEEESG_ZNS1_13binary_searchIS3_S5_PiSG_SG_NS1_16binary_search_opENS9_16wrapped_functionINS8_6system6detail7generic6detail18binary_search_lessEbEEEE10hipError_tPvRmT1_T2_T3_mmT4_T5_P12ihipStream_tbEUlRKiE_EESR_SV_SW_mSX_S10_bEUlT_E_NS1_11comp_targetILNS1_3genE5ELNS1_11target_archE942ELNS1_3gpuE9ELNS1_3repE0EEENS1_30default_config_static_selectorELNS0_4arch9wavefront6targetE1EEEvSU_.has_dyn_sized_stack, 0
	.set _ZN7rocprim17ROCPRIM_400000_NS6detail17trampoline_kernelINS0_14default_configENS1_29binary_search_config_selectorIiiEEZNS1_14transform_implILb0ES3_S5_N6thrust23THRUST_200600_302600_NS6detail15normal_iteratorINS8_7pointerIiNS8_11hip_rocprim5par_tENS8_11use_defaultESE_EEEESG_ZNS1_13binary_searchIS3_S5_PiSG_SG_NS1_16binary_search_opENS9_16wrapped_functionINS8_6system6detail7generic6detail18binary_search_lessEbEEEE10hipError_tPvRmT1_T2_T3_mmT4_T5_P12ihipStream_tbEUlRKiE_EESR_SV_SW_mSX_S10_bEUlT_E_NS1_11comp_targetILNS1_3genE5ELNS1_11target_archE942ELNS1_3gpuE9ELNS1_3repE0EEENS1_30default_config_static_selectorELNS0_4arch9wavefront6targetE1EEEvSU_.has_recursion, 0
	.set _ZN7rocprim17ROCPRIM_400000_NS6detail17trampoline_kernelINS0_14default_configENS1_29binary_search_config_selectorIiiEEZNS1_14transform_implILb0ES3_S5_N6thrust23THRUST_200600_302600_NS6detail15normal_iteratorINS8_7pointerIiNS8_11hip_rocprim5par_tENS8_11use_defaultESE_EEEESG_ZNS1_13binary_searchIS3_S5_PiSG_SG_NS1_16binary_search_opENS9_16wrapped_functionINS8_6system6detail7generic6detail18binary_search_lessEbEEEE10hipError_tPvRmT1_T2_T3_mmT4_T5_P12ihipStream_tbEUlRKiE_EESR_SV_SW_mSX_S10_bEUlT_E_NS1_11comp_targetILNS1_3genE5ELNS1_11target_archE942ELNS1_3gpuE9ELNS1_3repE0EEENS1_30default_config_static_selectorELNS0_4arch9wavefront6targetE1EEEvSU_.has_indirect_call, 0
	.section	.AMDGPU.csdata,"",@progbits
; Kernel info:
; codeLenInByte = 0
; TotalNumSgprs: 4
; NumVgprs: 0
; ScratchSize: 0
; MemoryBound: 0
; FloatMode: 240
; IeeeMode: 1
; LDSByteSize: 0 bytes/workgroup (compile time only)
; SGPRBlocks: 0
; VGPRBlocks: 0
; NumSGPRsForWavesPerEU: 4
; NumVGPRsForWavesPerEU: 1
; Occupancy: 10
; WaveLimiterHint : 0
; COMPUTE_PGM_RSRC2:SCRATCH_EN: 0
; COMPUTE_PGM_RSRC2:USER_SGPR: 6
; COMPUTE_PGM_RSRC2:TRAP_HANDLER: 0
; COMPUTE_PGM_RSRC2:TGID_X_EN: 1
; COMPUTE_PGM_RSRC2:TGID_Y_EN: 0
; COMPUTE_PGM_RSRC2:TGID_Z_EN: 0
; COMPUTE_PGM_RSRC2:TIDIG_COMP_CNT: 0
	.section	.text._ZN7rocprim17ROCPRIM_400000_NS6detail17trampoline_kernelINS0_14default_configENS1_29binary_search_config_selectorIiiEEZNS1_14transform_implILb0ES3_S5_N6thrust23THRUST_200600_302600_NS6detail15normal_iteratorINS8_7pointerIiNS8_11hip_rocprim5par_tENS8_11use_defaultESE_EEEESG_ZNS1_13binary_searchIS3_S5_PiSG_SG_NS1_16binary_search_opENS9_16wrapped_functionINS8_6system6detail7generic6detail18binary_search_lessEbEEEE10hipError_tPvRmT1_T2_T3_mmT4_T5_P12ihipStream_tbEUlRKiE_EESR_SV_SW_mSX_S10_bEUlT_E_NS1_11comp_targetILNS1_3genE4ELNS1_11target_archE910ELNS1_3gpuE8ELNS1_3repE0EEENS1_30default_config_static_selectorELNS0_4arch9wavefront6targetE1EEEvSU_,"axG",@progbits,_ZN7rocprim17ROCPRIM_400000_NS6detail17trampoline_kernelINS0_14default_configENS1_29binary_search_config_selectorIiiEEZNS1_14transform_implILb0ES3_S5_N6thrust23THRUST_200600_302600_NS6detail15normal_iteratorINS8_7pointerIiNS8_11hip_rocprim5par_tENS8_11use_defaultESE_EEEESG_ZNS1_13binary_searchIS3_S5_PiSG_SG_NS1_16binary_search_opENS9_16wrapped_functionINS8_6system6detail7generic6detail18binary_search_lessEbEEEE10hipError_tPvRmT1_T2_T3_mmT4_T5_P12ihipStream_tbEUlRKiE_EESR_SV_SW_mSX_S10_bEUlT_E_NS1_11comp_targetILNS1_3genE4ELNS1_11target_archE910ELNS1_3gpuE8ELNS1_3repE0EEENS1_30default_config_static_selectorELNS0_4arch9wavefront6targetE1EEEvSU_,comdat
	.protected	_ZN7rocprim17ROCPRIM_400000_NS6detail17trampoline_kernelINS0_14default_configENS1_29binary_search_config_selectorIiiEEZNS1_14transform_implILb0ES3_S5_N6thrust23THRUST_200600_302600_NS6detail15normal_iteratorINS8_7pointerIiNS8_11hip_rocprim5par_tENS8_11use_defaultESE_EEEESG_ZNS1_13binary_searchIS3_S5_PiSG_SG_NS1_16binary_search_opENS9_16wrapped_functionINS8_6system6detail7generic6detail18binary_search_lessEbEEEE10hipError_tPvRmT1_T2_T3_mmT4_T5_P12ihipStream_tbEUlRKiE_EESR_SV_SW_mSX_S10_bEUlT_E_NS1_11comp_targetILNS1_3genE4ELNS1_11target_archE910ELNS1_3gpuE8ELNS1_3repE0EEENS1_30default_config_static_selectorELNS0_4arch9wavefront6targetE1EEEvSU_ ; -- Begin function _ZN7rocprim17ROCPRIM_400000_NS6detail17trampoline_kernelINS0_14default_configENS1_29binary_search_config_selectorIiiEEZNS1_14transform_implILb0ES3_S5_N6thrust23THRUST_200600_302600_NS6detail15normal_iteratorINS8_7pointerIiNS8_11hip_rocprim5par_tENS8_11use_defaultESE_EEEESG_ZNS1_13binary_searchIS3_S5_PiSG_SG_NS1_16binary_search_opENS9_16wrapped_functionINS8_6system6detail7generic6detail18binary_search_lessEbEEEE10hipError_tPvRmT1_T2_T3_mmT4_T5_P12ihipStream_tbEUlRKiE_EESR_SV_SW_mSX_S10_bEUlT_E_NS1_11comp_targetILNS1_3genE4ELNS1_11target_archE910ELNS1_3gpuE8ELNS1_3repE0EEENS1_30default_config_static_selectorELNS0_4arch9wavefront6targetE1EEEvSU_
	.globl	_ZN7rocprim17ROCPRIM_400000_NS6detail17trampoline_kernelINS0_14default_configENS1_29binary_search_config_selectorIiiEEZNS1_14transform_implILb0ES3_S5_N6thrust23THRUST_200600_302600_NS6detail15normal_iteratorINS8_7pointerIiNS8_11hip_rocprim5par_tENS8_11use_defaultESE_EEEESG_ZNS1_13binary_searchIS3_S5_PiSG_SG_NS1_16binary_search_opENS9_16wrapped_functionINS8_6system6detail7generic6detail18binary_search_lessEbEEEE10hipError_tPvRmT1_T2_T3_mmT4_T5_P12ihipStream_tbEUlRKiE_EESR_SV_SW_mSX_S10_bEUlT_E_NS1_11comp_targetILNS1_3genE4ELNS1_11target_archE910ELNS1_3gpuE8ELNS1_3repE0EEENS1_30default_config_static_selectorELNS0_4arch9wavefront6targetE1EEEvSU_
	.p2align	8
	.type	_ZN7rocprim17ROCPRIM_400000_NS6detail17trampoline_kernelINS0_14default_configENS1_29binary_search_config_selectorIiiEEZNS1_14transform_implILb0ES3_S5_N6thrust23THRUST_200600_302600_NS6detail15normal_iteratorINS8_7pointerIiNS8_11hip_rocprim5par_tENS8_11use_defaultESE_EEEESG_ZNS1_13binary_searchIS3_S5_PiSG_SG_NS1_16binary_search_opENS9_16wrapped_functionINS8_6system6detail7generic6detail18binary_search_lessEbEEEE10hipError_tPvRmT1_T2_T3_mmT4_T5_P12ihipStream_tbEUlRKiE_EESR_SV_SW_mSX_S10_bEUlT_E_NS1_11comp_targetILNS1_3genE4ELNS1_11target_archE910ELNS1_3gpuE8ELNS1_3repE0EEENS1_30default_config_static_selectorELNS0_4arch9wavefront6targetE1EEEvSU_,@function
_ZN7rocprim17ROCPRIM_400000_NS6detail17trampoline_kernelINS0_14default_configENS1_29binary_search_config_selectorIiiEEZNS1_14transform_implILb0ES3_S5_N6thrust23THRUST_200600_302600_NS6detail15normal_iteratorINS8_7pointerIiNS8_11hip_rocprim5par_tENS8_11use_defaultESE_EEEESG_ZNS1_13binary_searchIS3_S5_PiSG_SG_NS1_16binary_search_opENS9_16wrapped_functionINS8_6system6detail7generic6detail18binary_search_lessEbEEEE10hipError_tPvRmT1_T2_T3_mmT4_T5_P12ihipStream_tbEUlRKiE_EESR_SV_SW_mSX_S10_bEUlT_E_NS1_11comp_targetILNS1_3genE4ELNS1_11target_archE910ELNS1_3gpuE8ELNS1_3repE0EEENS1_30default_config_static_selectorELNS0_4arch9wavefront6targetE1EEEvSU_: ; @_ZN7rocprim17ROCPRIM_400000_NS6detail17trampoline_kernelINS0_14default_configENS1_29binary_search_config_selectorIiiEEZNS1_14transform_implILb0ES3_S5_N6thrust23THRUST_200600_302600_NS6detail15normal_iteratorINS8_7pointerIiNS8_11hip_rocprim5par_tENS8_11use_defaultESE_EEEESG_ZNS1_13binary_searchIS3_S5_PiSG_SG_NS1_16binary_search_opENS9_16wrapped_functionINS8_6system6detail7generic6detail18binary_search_lessEbEEEE10hipError_tPvRmT1_T2_T3_mmT4_T5_P12ihipStream_tbEUlRKiE_EESR_SV_SW_mSX_S10_bEUlT_E_NS1_11comp_targetILNS1_3genE4ELNS1_11target_archE910ELNS1_3gpuE8ELNS1_3repE0EEENS1_30default_config_static_selectorELNS0_4arch9wavefront6targetE1EEEvSU_
; %bb.0:
	.section	.rodata,"a",@progbits
	.p2align	6, 0x0
	.amdhsa_kernel _ZN7rocprim17ROCPRIM_400000_NS6detail17trampoline_kernelINS0_14default_configENS1_29binary_search_config_selectorIiiEEZNS1_14transform_implILb0ES3_S5_N6thrust23THRUST_200600_302600_NS6detail15normal_iteratorINS8_7pointerIiNS8_11hip_rocprim5par_tENS8_11use_defaultESE_EEEESG_ZNS1_13binary_searchIS3_S5_PiSG_SG_NS1_16binary_search_opENS9_16wrapped_functionINS8_6system6detail7generic6detail18binary_search_lessEbEEEE10hipError_tPvRmT1_T2_T3_mmT4_T5_P12ihipStream_tbEUlRKiE_EESR_SV_SW_mSX_S10_bEUlT_E_NS1_11comp_targetILNS1_3genE4ELNS1_11target_archE910ELNS1_3gpuE8ELNS1_3repE0EEENS1_30default_config_static_selectorELNS0_4arch9wavefront6targetE1EEEvSU_
		.amdhsa_group_segment_fixed_size 0
		.amdhsa_private_segment_fixed_size 0
		.amdhsa_kernarg_size 56
		.amdhsa_user_sgpr_count 6
		.amdhsa_user_sgpr_private_segment_buffer 1
		.amdhsa_user_sgpr_dispatch_ptr 0
		.amdhsa_user_sgpr_queue_ptr 0
		.amdhsa_user_sgpr_kernarg_segment_ptr 1
		.amdhsa_user_sgpr_dispatch_id 0
		.amdhsa_user_sgpr_flat_scratch_init 0
		.amdhsa_user_sgpr_private_segment_size 0
		.amdhsa_uses_dynamic_stack 0
		.amdhsa_system_sgpr_private_segment_wavefront_offset 0
		.amdhsa_system_sgpr_workgroup_id_x 1
		.amdhsa_system_sgpr_workgroup_id_y 0
		.amdhsa_system_sgpr_workgroup_id_z 0
		.amdhsa_system_sgpr_workgroup_info 0
		.amdhsa_system_vgpr_workitem_id 0
		.amdhsa_next_free_vgpr 1
		.amdhsa_next_free_sgpr 0
		.amdhsa_reserve_vcc 0
		.amdhsa_reserve_flat_scratch 0
		.amdhsa_float_round_mode_32 0
		.amdhsa_float_round_mode_16_64 0
		.amdhsa_float_denorm_mode_32 3
		.amdhsa_float_denorm_mode_16_64 3
		.amdhsa_dx10_clamp 1
		.amdhsa_ieee_mode 1
		.amdhsa_fp16_overflow 0
		.amdhsa_exception_fp_ieee_invalid_op 0
		.amdhsa_exception_fp_denorm_src 0
		.amdhsa_exception_fp_ieee_div_zero 0
		.amdhsa_exception_fp_ieee_overflow 0
		.amdhsa_exception_fp_ieee_underflow 0
		.amdhsa_exception_fp_ieee_inexact 0
		.amdhsa_exception_int_div_zero 0
	.end_amdhsa_kernel
	.section	.text._ZN7rocprim17ROCPRIM_400000_NS6detail17trampoline_kernelINS0_14default_configENS1_29binary_search_config_selectorIiiEEZNS1_14transform_implILb0ES3_S5_N6thrust23THRUST_200600_302600_NS6detail15normal_iteratorINS8_7pointerIiNS8_11hip_rocprim5par_tENS8_11use_defaultESE_EEEESG_ZNS1_13binary_searchIS3_S5_PiSG_SG_NS1_16binary_search_opENS9_16wrapped_functionINS8_6system6detail7generic6detail18binary_search_lessEbEEEE10hipError_tPvRmT1_T2_T3_mmT4_T5_P12ihipStream_tbEUlRKiE_EESR_SV_SW_mSX_S10_bEUlT_E_NS1_11comp_targetILNS1_3genE4ELNS1_11target_archE910ELNS1_3gpuE8ELNS1_3repE0EEENS1_30default_config_static_selectorELNS0_4arch9wavefront6targetE1EEEvSU_,"axG",@progbits,_ZN7rocprim17ROCPRIM_400000_NS6detail17trampoline_kernelINS0_14default_configENS1_29binary_search_config_selectorIiiEEZNS1_14transform_implILb0ES3_S5_N6thrust23THRUST_200600_302600_NS6detail15normal_iteratorINS8_7pointerIiNS8_11hip_rocprim5par_tENS8_11use_defaultESE_EEEESG_ZNS1_13binary_searchIS3_S5_PiSG_SG_NS1_16binary_search_opENS9_16wrapped_functionINS8_6system6detail7generic6detail18binary_search_lessEbEEEE10hipError_tPvRmT1_T2_T3_mmT4_T5_P12ihipStream_tbEUlRKiE_EESR_SV_SW_mSX_S10_bEUlT_E_NS1_11comp_targetILNS1_3genE4ELNS1_11target_archE910ELNS1_3gpuE8ELNS1_3repE0EEENS1_30default_config_static_selectorELNS0_4arch9wavefront6targetE1EEEvSU_,comdat
.Lfunc_end305:
	.size	_ZN7rocprim17ROCPRIM_400000_NS6detail17trampoline_kernelINS0_14default_configENS1_29binary_search_config_selectorIiiEEZNS1_14transform_implILb0ES3_S5_N6thrust23THRUST_200600_302600_NS6detail15normal_iteratorINS8_7pointerIiNS8_11hip_rocprim5par_tENS8_11use_defaultESE_EEEESG_ZNS1_13binary_searchIS3_S5_PiSG_SG_NS1_16binary_search_opENS9_16wrapped_functionINS8_6system6detail7generic6detail18binary_search_lessEbEEEE10hipError_tPvRmT1_T2_T3_mmT4_T5_P12ihipStream_tbEUlRKiE_EESR_SV_SW_mSX_S10_bEUlT_E_NS1_11comp_targetILNS1_3genE4ELNS1_11target_archE910ELNS1_3gpuE8ELNS1_3repE0EEENS1_30default_config_static_selectorELNS0_4arch9wavefront6targetE1EEEvSU_, .Lfunc_end305-_ZN7rocprim17ROCPRIM_400000_NS6detail17trampoline_kernelINS0_14default_configENS1_29binary_search_config_selectorIiiEEZNS1_14transform_implILb0ES3_S5_N6thrust23THRUST_200600_302600_NS6detail15normal_iteratorINS8_7pointerIiNS8_11hip_rocprim5par_tENS8_11use_defaultESE_EEEESG_ZNS1_13binary_searchIS3_S5_PiSG_SG_NS1_16binary_search_opENS9_16wrapped_functionINS8_6system6detail7generic6detail18binary_search_lessEbEEEE10hipError_tPvRmT1_T2_T3_mmT4_T5_P12ihipStream_tbEUlRKiE_EESR_SV_SW_mSX_S10_bEUlT_E_NS1_11comp_targetILNS1_3genE4ELNS1_11target_archE910ELNS1_3gpuE8ELNS1_3repE0EEENS1_30default_config_static_selectorELNS0_4arch9wavefront6targetE1EEEvSU_
                                        ; -- End function
	.set _ZN7rocprim17ROCPRIM_400000_NS6detail17trampoline_kernelINS0_14default_configENS1_29binary_search_config_selectorIiiEEZNS1_14transform_implILb0ES3_S5_N6thrust23THRUST_200600_302600_NS6detail15normal_iteratorINS8_7pointerIiNS8_11hip_rocprim5par_tENS8_11use_defaultESE_EEEESG_ZNS1_13binary_searchIS3_S5_PiSG_SG_NS1_16binary_search_opENS9_16wrapped_functionINS8_6system6detail7generic6detail18binary_search_lessEbEEEE10hipError_tPvRmT1_T2_T3_mmT4_T5_P12ihipStream_tbEUlRKiE_EESR_SV_SW_mSX_S10_bEUlT_E_NS1_11comp_targetILNS1_3genE4ELNS1_11target_archE910ELNS1_3gpuE8ELNS1_3repE0EEENS1_30default_config_static_selectorELNS0_4arch9wavefront6targetE1EEEvSU_.num_vgpr, 0
	.set _ZN7rocprim17ROCPRIM_400000_NS6detail17trampoline_kernelINS0_14default_configENS1_29binary_search_config_selectorIiiEEZNS1_14transform_implILb0ES3_S5_N6thrust23THRUST_200600_302600_NS6detail15normal_iteratorINS8_7pointerIiNS8_11hip_rocprim5par_tENS8_11use_defaultESE_EEEESG_ZNS1_13binary_searchIS3_S5_PiSG_SG_NS1_16binary_search_opENS9_16wrapped_functionINS8_6system6detail7generic6detail18binary_search_lessEbEEEE10hipError_tPvRmT1_T2_T3_mmT4_T5_P12ihipStream_tbEUlRKiE_EESR_SV_SW_mSX_S10_bEUlT_E_NS1_11comp_targetILNS1_3genE4ELNS1_11target_archE910ELNS1_3gpuE8ELNS1_3repE0EEENS1_30default_config_static_selectorELNS0_4arch9wavefront6targetE1EEEvSU_.num_agpr, 0
	.set _ZN7rocprim17ROCPRIM_400000_NS6detail17trampoline_kernelINS0_14default_configENS1_29binary_search_config_selectorIiiEEZNS1_14transform_implILb0ES3_S5_N6thrust23THRUST_200600_302600_NS6detail15normal_iteratorINS8_7pointerIiNS8_11hip_rocprim5par_tENS8_11use_defaultESE_EEEESG_ZNS1_13binary_searchIS3_S5_PiSG_SG_NS1_16binary_search_opENS9_16wrapped_functionINS8_6system6detail7generic6detail18binary_search_lessEbEEEE10hipError_tPvRmT1_T2_T3_mmT4_T5_P12ihipStream_tbEUlRKiE_EESR_SV_SW_mSX_S10_bEUlT_E_NS1_11comp_targetILNS1_3genE4ELNS1_11target_archE910ELNS1_3gpuE8ELNS1_3repE0EEENS1_30default_config_static_selectorELNS0_4arch9wavefront6targetE1EEEvSU_.numbered_sgpr, 0
	.set _ZN7rocprim17ROCPRIM_400000_NS6detail17trampoline_kernelINS0_14default_configENS1_29binary_search_config_selectorIiiEEZNS1_14transform_implILb0ES3_S5_N6thrust23THRUST_200600_302600_NS6detail15normal_iteratorINS8_7pointerIiNS8_11hip_rocprim5par_tENS8_11use_defaultESE_EEEESG_ZNS1_13binary_searchIS3_S5_PiSG_SG_NS1_16binary_search_opENS9_16wrapped_functionINS8_6system6detail7generic6detail18binary_search_lessEbEEEE10hipError_tPvRmT1_T2_T3_mmT4_T5_P12ihipStream_tbEUlRKiE_EESR_SV_SW_mSX_S10_bEUlT_E_NS1_11comp_targetILNS1_3genE4ELNS1_11target_archE910ELNS1_3gpuE8ELNS1_3repE0EEENS1_30default_config_static_selectorELNS0_4arch9wavefront6targetE1EEEvSU_.num_named_barrier, 0
	.set _ZN7rocprim17ROCPRIM_400000_NS6detail17trampoline_kernelINS0_14default_configENS1_29binary_search_config_selectorIiiEEZNS1_14transform_implILb0ES3_S5_N6thrust23THRUST_200600_302600_NS6detail15normal_iteratorINS8_7pointerIiNS8_11hip_rocprim5par_tENS8_11use_defaultESE_EEEESG_ZNS1_13binary_searchIS3_S5_PiSG_SG_NS1_16binary_search_opENS9_16wrapped_functionINS8_6system6detail7generic6detail18binary_search_lessEbEEEE10hipError_tPvRmT1_T2_T3_mmT4_T5_P12ihipStream_tbEUlRKiE_EESR_SV_SW_mSX_S10_bEUlT_E_NS1_11comp_targetILNS1_3genE4ELNS1_11target_archE910ELNS1_3gpuE8ELNS1_3repE0EEENS1_30default_config_static_selectorELNS0_4arch9wavefront6targetE1EEEvSU_.private_seg_size, 0
	.set _ZN7rocprim17ROCPRIM_400000_NS6detail17trampoline_kernelINS0_14default_configENS1_29binary_search_config_selectorIiiEEZNS1_14transform_implILb0ES3_S5_N6thrust23THRUST_200600_302600_NS6detail15normal_iteratorINS8_7pointerIiNS8_11hip_rocprim5par_tENS8_11use_defaultESE_EEEESG_ZNS1_13binary_searchIS3_S5_PiSG_SG_NS1_16binary_search_opENS9_16wrapped_functionINS8_6system6detail7generic6detail18binary_search_lessEbEEEE10hipError_tPvRmT1_T2_T3_mmT4_T5_P12ihipStream_tbEUlRKiE_EESR_SV_SW_mSX_S10_bEUlT_E_NS1_11comp_targetILNS1_3genE4ELNS1_11target_archE910ELNS1_3gpuE8ELNS1_3repE0EEENS1_30default_config_static_selectorELNS0_4arch9wavefront6targetE1EEEvSU_.uses_vcc, 0
	.set _ZN7rocprim17ROCPRIM_400000_NS6detail17trampoline_kernelINS0_14default_configENS1_29binary_search_config_selectorIiiEEZNS1_14transform_implILb0ES3_S5_N6thrust23THRUST_200600_302600_NS6detail15normal_iteratorINS8_7pointerIiNS8_11hip_rocprim5par_tENS8_11use_defaultESE_EEEESG_ZNS1_13binary_searchIS3_S5_PiSG_SG_NS1_16binary_search_opENS9_16wrapped_functionINS8_6system6detail7generic6detail18binary_search_lessEbEEEE10hipError_tPvRmT1_T2_T3_mmT4_T5_P12ihipStream_tbEUlRKiE_EESR_SV_SW_mSX_S10_bEUlT_E_NS1_11comp_targetILNS1_3genE4ELNS1_11target_archE910ELNS1_3gpuE8ELNS1_3repE0EEENS1_30default_config_static_selectorELNS0_4arch9wavefront6targetE1EEEvSU_.uses_flat_scratch, 0
	.set _ZN7rocprim17ROCPRIM_400000_NS6detail17trampoline_kernelINS0_14default_configENS1_29binary_search_config_selectorIiiEEZNS1_14transform_implILb0ES3_S5_N6thrust23THRUST_200600_302600_NS6detail15normal_iteratorINS8_7pointerIiNS8_11hip_rocprim5par_tENS8_11use_defaultESE_EEEESG_ZNS1_13binary_searchIS3_S5_PiSG_SG_NS1_16binary_search_opENS9_16wrapped_functionINS8_6system6detail7generic6detail18binary_search_lessEbEEEE10hipError_tPvRmT1_T2_T3_mmT4_T5_P12ihipStream_tbEUlRKiE_EESR_SV_SW_mSX_S10_bEUlT_E_NS1_11comp_targetILNS1_3genE4ELNS1_11target_archE910ELNS1_3gpuE8ELNS1_3repE0EEENS1_30default_config_static_selectorELNS0_4arch9wavefront6targetE1EEEvSU_.has_dyn_sized_stack, 0
	.set _ZN7rocprim17ROCPRIM_400000_NS6detail17trampoline_kernelINS0_14default_configENS1_29binary_search_config_selectorIiiEEZNS1_14transform_implILb0ES3_S5_N6thrust23THRUST_200600_302600_NS6detail15normal_iteratorINS8_7pointerIiNS8_11hip_rocprim5par_tENS8_11use_defaultESE_EEEESG_ZNS1_13binary_searchIS3_S5_PiSG_SG_NS1_16binary_search_opENS9_16wrapped_functionINS8_6system6detail7generic6detail18binary_search_lessEbEEEE10hipError_tPvRmT1_T2_T3_mmT4_T5_P12ihipStream_tbEUlRKiE_EESR_SV_SW_mSX_S10_bEUlT_E_NS1_11comp_targetILNS1_3genE4ELNS1_11target_archE910ELNS1_3gpuE8ELNS1_3repE0EEENS1_30default_config_static_selectorELNS0_4arch9wavefront6targetE1EEEvSU_.has_recursion, 0
	.set _ZN7rocprim17ROCPRIM_400000_NS6detail17trampoline_kernelINS0_14default_configENS1_29binary_search_config_selectorIiiEEZNS1_14transform_implILb0ES3_S5_N6thrust23THRUST_200600_302600_NS6detail15normal_iteratorINS8_7pointerIiNS8_11hip_rocprim5par_tENS8_11use_defaultESE_EEEESG_ZNS1_13binary_searchIS3_S5_PiSG_SG_NS1_16binary_search_opENS9_16wrapped_functionINS8_6system6detail7generic6detail18binary_search_lessEbEEEE10hipError_tPvRmT1_T2_T3_mmT4_T5_P12ihipStream_tbEUlRKiE_EESR_SV_SW_mSX_S10_bEUlT_E_NS1_11comp_targetILNS1_3genE4ELNS1_11target_archE910ELNS1_3gpuE8ELNS1_3repE0EEENS1_30default_config_static_selectorELNS0_4arch9wavefront6targetE1EEEvSU_.has_indirect_call, 0
	.section	.AMDGPU.csdata,"",@progbits
; Kernel info:
; codeLenInByte = 0
; TotalNumSgprs: 4
; NumVgprs: 0
; ScratchSize: 0
; MemoryBound: 0
; FloatMode: 240
; IeeeMode: 1
; LDSByteSize: 0 bytes/workgroup (compile time only)
; SGPRBlocks: 0
; VGPRBlocks: 0
; NumSGPRsForWavesPerEU: 4
; NumVGPRsForWavesPerEU: 1
; Occupancy: 10
; WaveLimiterHint : 0
; COMPUTE_PGM_RSRC2:SCRATCH_EN: 0
; COMPUTE_PGM_RSRC2:USER_SGPR: 6
; COMPUTE_PGM_RSRC2:TRAP_HANDLER: 0
; COMPUTE_PGM_RSRC2:TGID_X_EN: 1
; COMPUTE_PGM_RSRC2:TGID_Y_EN: 0
; COMPUTE_PGM_RSRC2:TGID_Z_EN: 0
; COMPUTE_PGM_RSRC2:TIDIG_COMP_CNT: 0
	.section	.text._ZN7rocprim17ROCPRIM_400000_NS6detail17trampoline_kernelINS0_14default_configENS1_29binary_search_config_selectorIiiEEZNS1_14transform_implILb0ES3_S5_N6thrust23THRUST_200600_302600_NS6detail15normal_iteratorINS8_7pointerIiNS8_11hip_rocprim5par_tENS8_11use_defaultESE_EEEESG_ZNS1_13binary_searchIS3_S5_PiSG_SG_NS1_16binary_search_opENS9_16wrapped_functionINS8_6system6detail7generic6detail18binary_search_lessEbEEEE10hipError_tPvRmT1_T2_T3_mmT4_T5_P12ihipStream_tbEUlRKiE_EESR_SV_SW_mSX_S10_bEUlT_E_NS1_11comp_targetILNS1_3genE3ELNS1_11target_archE908ELNS1_3gpuE7ELNS1_3repE0EEENS1_30default_config_static_selectorELNS0_4arch9wavefront6targetE1EEEvSU_,"axG",@progbits,_ZN7rocprim17ROCPRIM_400000_NS6detail17trampoline_kernelINS0_14default_configENS1_29binary_search_config_selectorIiiEEZNS1_14transform_implILb0ES3_S5_N6thrust23THRUST_200600_302600_NS6detail15normal_iteratorINS8_7pointerIiNS8_11hip_rocprim5par_tENS8_11use_defaultESE_EEEESG_ZNS1_13binary_searchIS3_S5_PiSG_SG_NS1_16binary_search_opENS9_16wrapped_functionINS8_6system6detail7generic6detail18binary_search_lessEbEEEE10hipError_tPvRmT1_T2_T3_mmT4_T5_P12ihipStream_tbEUlRKiE_EESR_SV_SW_mSX_S10_bEUlT_E_NS1_11comp_targetILNS1_3genE3ELNS1_11target_archE908ELNS1_3gpuE7ELNS1_3repE0EEENS1_30default_config_static_selectorELNS0_4arch9wavefront6targetE1EEEvSU_,comdat
	.protected	_ZN7rocprim17ROCPRIM_400000_NS6detail17trampoline_kernelINS0_14default_configENS1_29binary_search_config_selectorIiiEEZNS1_14transform_implILb0ES3_S5_N6thrust23THRUST_200600_302600_NS6detail15normal_iteratorINS8_7pointerIiNS8_11hip_rocprim5par_tENS8_11use_defaultESE_EEEESG_ZNS1_13binary_searchIS3_S5_PiSG_SG_NS1_16binary_search_opENS9_16wrapped_functionINS8_6system6detail7generic6detail18binary_search_lessEbEEEE10hipError_tPvRmT1_T2_T3_mmT4_T5_P12ihipStream_tbEUlRKiE_EESR_SV_SW_mSX_S10_bEUlT_E_NS1_11comp_targetILNS1_3genE3ELNS1_11target_archE908ELNS1_3gpuE7ELNS1_3repE0EEENS1_30default_config_static_selectorELNS0_4arch9wavefront6targetE1EEEvSU_ ; -- Begin function _ZN7rocprim17ROCPRIM_400000_NS6detail17trampoline_kernelINS0_14default_configENS1_29binary_search_config_selectorIiiEEZNS1_14transform_implILb0ES3_S5_N6thrust23THRUST_200600_302600_NS6detail15normal_iteratorINS8_7pointerIiNS8_11hip_rocprim5par_tENS8_11use_defaultESE_EEEESG_ZNS1_13binary_searchIS3_S5_PiSG_SG_NS1_16binary_search_opENS9_16wrapped_functionINS8_6system6detail7generic6detail18binary_search_lessEbEEEE10hipError_tPvRmT1_T2_T3_mmT4_T5_P12ihipStream_tbEUlRKiE_EESR_SV_SW_mSX_S10_bEUlT_E_NS1_11comp_targetILNS1_3genE3ELNS1_11target_archE908ELNS1_3gpuE7ELNS1_3repE0EEENS1_30default_config_static_selectorELNS0_4arch9wavefront6targetE1EEEvSU_
	.globl	_ZN7rocprim17ROCPRIM_400000_NS6detail17trampoline_kernelINS0_14default_configENS1_29binary_search_config_selectorIiiEEZNS1_14transform_implILb0ES3_S5_N6thrust23THRUST_200600_302600_NS6detail15normal_iteratorINS8_7pointerIiNS8_11hip_rocprim5par_tENS8_11use_defaultESE_EEEESG_ZNS1_13binary_searchIS3_S5_PiSG_SG_NS1_16binary_search_opENS9_16wrapped_functionINS8_6system6detail7generic6detail18binary_search_lessEbEEEE10hipError_tPvRmT1_T2_T3_mmT4_T5_P12ihipStream_tbEUlRKiE_EESR_SV_SW_mSX_S10_bEUlT_E_NS1_11comp_targetILNS1_3genE3ELNS1_11target_archE908ELNS1_3gpuE7ELNS1_3repE0EEENS1_30default_config_static_selectorELNS0_4arch9wavefront6targetE1EEEvSU_
	.p2align	8
	.type	_ZN7rocprim17ROCPRIM_400000_NS6detail17trampoline_kernelINS0_14default_configENS1_29binary_search_config_selectorIiiEEZNS1_14transform_implILb0ES3_S5_N6thrust23THRUST_200600_302600_NS6detail15normal_iteratorINS8_7pointerIiNS8_11hip_rocprim5par_tENS8_11use_defaultESE_EEEESG_ZNS1_13binary_searchIS3_S5_PiSG_SG_NS1_16binary_search_opENS9_16wrapped_functionINS8_6system6detail7generic6detail18binary_search_lessEbEEEE10hipError_tPvRmT1_T2_T3_mmT4_T5_P12ihipStream_tbEUlRKiE_EESR_SV_SW_mSX_S10_bEUlT_E_NS1_11comp_targetILNS1_3genE3ELNS1_11target_archE908ELNS1_3gpuE7ELNS1_3repE0EEENS1_30default_config_static_selectorELNS0_4arch9wavefront6targetE1EEEvSU_,@function
_ZN7rocprim17ROCPRIM_400000_NS6detail17trampoline_kernelINS0_14default_configENS1_29binary_search_config_selectorIiiEEZNS1_14transform_implILb0ES3_S5_N6thrust23THRUST_200600_302600_NS6detail15normal_iteratorINS8_7pointerIiNS8_11hip_rocprim5par_tENS8_11use_defaultESE_EEEESG_ZNS1_13binary_searchIS3_S5_PiSG_SG_NS1_16binary_search_opENS9_16wrapped_functionINS8_6system6detail7generic6detail18binary_search_lessEbEEEE10hipError_tPvRmT1_T2_T3_mmT4_T5_P12ihipStream_tbEUlRKiE_EESR_SV_SW_mSX_S10_bEUlT_E_NS1_11comp_targetILNS1_3genE3ELNS1_11target_archE908ELNS1_3gpuE7ELNS1_3repE0EEENS1_30default_config_static_selectorELNS0_4arch9wavefront6targetE1EEEvSU_: ; @_ZN7rocprim17ROCPRIM_400000_NS6detail17trampoline_kernelINS0_14default_configENS1_29binary_search_config_selectorIiiEEZNS1_14transform_implILb0ES3_S5_N6thrust23THRUST_200600_302600_NS6detail15normal_iteratorINS8_7pointerIiNS8_11hip_rocprim5par_tENS8_11use_defaultESE_EEEESG_ZNS1_13binary_searchIS3_S5_PiSG_SG_NS1_16binary_search_opENS9_16wrapped_functionINS8_6system6detail7generic6detail18binary_search_lessEbEEEE10hipError_tPvRmT1_T2_T3_mmT4_T5_P12ihipStream_tbEUlRKiE_EESR_SV_SW_mSX_S10_bEUlT_E_NS1_11comp_targetILNS1_3genE3ELNS1_11target_archE908ELNS1_3gpuE7ELNS1_3repE0EEENS1_30default_config_static_selectorELNS0_4arch9wavefront6targetE1EEEvSU_
; %bb.0:
	.section	.rodata,"a",@progbits
	.p2align	6, 0x0
	.amdhsa_kernel _ZN7rocprim17ROCPRIM_400000_NS6detail17trampoline_kernelINS0_14default_configENS1_29binary_search_config_selectorIiiEEZNS1_14transform_implILb0ES3_S5_N6thrust23THRUST_200600_302600_NS6detail15normal_iteratorINS8_7pointerIiNS8_11hip_rocprim5par_tENS8_11use_defaultESE_EEEESG_ZNS1_13binary_searchIS3_S5_PiSG_SG_NS1_16binary_search_opENS9_16wrapped_functionINS8_6system6detail7generic6detail18binary_search_lessEbEEEE10hipError_tPvRmT1_T2_T3_mmT4_T5_P12ihipStream_tbEUlRKiE_EESR_SV_SW_mSX_S10_bEUlT_E_NS1_11comp_targetILNS1_3genE3ELNS1_11target_archE908ELNS1_3gpuE7ELNS1_3repE0EEENS1_30default_config_static_selectorELNS0_4arch9wavefront6targetE1EEEvSU_
		.amdhsa_group_segment_fixed_size 0
		.amdhsa_private_segment_fixed_size 0
		.amdhsa_kernarg_size 56
		.amdhsa_user_sgpr_count 6
		.amdhsa_user_sgpr_private_segment_buffer 1
		.amdhsa_user_sgpr_dispatch_ptr 0
		.amdhsa_user_sgpr_queue_ptr 0
		.amdhsa_user_sgpr_kernarg_segment_ptr 1
		.amdhsa_user_sgpr_dispatch_id 0
		.amdhsa_user_sgpr_flat_scratch_init 0
		.amdhsa_user_sgpr_private_segment_size 0
		.amdhsa_uses_dynamic_stack 0
		.amdhsa_system_sgpr_private_segment_wavefront_offset 0
		.amdhsa_system_sgpr_workgroup_id_x 1
		.amdhsa_system_sgpr_workgroup_id_y 0
		.amdhsa_system_sgpr_workgroup_id_z 0
		.amdhsa_system_sgpr_workgroup_info 0
		.amdhsa_system_vgpr_workitem_id 0
		.amdhsa_next_free_vgpr 1
		.amdhsa_next_free_sgpr 0
		.amdhsa_reserve_vcc 0
		.amdhsa_reserve_flat_scratch 0
		.amdhsa_float_round_mode_32 0
		.amdhsa_float_round_mode_16_64 0
		.amdhsa_float_denorm_mode_32 3
		.amdhsa_float_denorm_mode_16_64 3
		.amdhsa_dx10_clamp 1
		.amdhsa_ieee_mode 1
		.amdhsa_fp16_overflow 0
		.amdhsa_exception_fp_ieee_invalid_op 0
		.amdhsa_exception_fp_denorm_src 0
		.amdhsa_exception_fp_ieee_div_zero 0
		.amdhsa_exception_fp_ieee_overflow 0
		.amdhsa_exception_fp_ieee_underflow 0
		.amdhsa_exception_fp_ieee_inexact 0
		.amdhsa_exception_int_div_zero 0
	.end_amdhsa_kernel
	.section	.text._ZN7rocprim17ROCPRIM_400000_NS6detail17trampoline_kernelINS0_14default_configENS1_29binary_search_config_selectorIiiEEZNS1_14transform_implILb0ES3_S5_N6thrust23THRUST_200600_302600_NS6detail15normal_iteratorINS8_7pointerIiNS8_11hip_rocprim5par_tENS8_11use_defaultESE_EEEESG_ZNS1_13binary_searchIS3_S5_PiSG_SG_NS1_16binary_search_opENS9_16wrapped_functionINS8_6system6detail7generic6detail18binary_search_lessEbEEEE10hipError_tPvRmT1_T2_T3_mmT4_T5_P12ihipStream_tbEUlRKiE_EESR_SV_SW_mSX_S10_bEUlT_E_NS1_11comp_targetILNS1_3genE3ELNS1_11target_archE908ELNS1_3gpuE7ELNS1_3repE0EEENS1_30default_config_static_selectorELNS0_4arch9wavefront6targetE1EEEvSU_,"axG",@progbits,_ZN7rocprim17ROCPRIM_400000_NS6detail17trampoline_kernelINS0_14default_configENS1_29binary_search_config_selectorIiiEEZNS1_14transform_implILb0ES3_S5_N6thrust23THRUST_200600_302600_NS6detail15normal_iteratorINS8_7pointerIiNS8_11hip_rocprim5par_tENS8_11use_defaultESE_EEEESG_ZNS1_13binary_searchIS3_S5_PiSG_SG_NS1_16binary_search_opENS9_16wrapped_functionINS8_6system6detail7generic6detail18binary_search_lessEbEEEE10hipError_tPvRmT1_T2_T3_mmT4_T5_P12ihipStream_tbEUlRKiE_EESR_SV_SW_mSX_S10_bEUlT_E_NS1_11comp_targetILNS1_3genE3ELNS1_11target_archE908ELNS1_3gpuE7ELNS1_3repE0EEENS1_30default_config_static_selectorELNS0_4arch9wavefront6targetE1EEEvSU_,comdat
.Lfunc_end306:
	.size	_ZN7rocprim17ROCPRIM_400000_NS6detail17trampoline_kernelINS0_14default_configENS1_29binary_search_config_selectorIiiEEZNS1_14transform_implILb0ES3_S5_N6thrust23THRUST_200600_302600_NS6detail15normal_iteratorINS8_7pointerIiNS8_11hip_rocprim5par_tENS8_11use_defaultESE_EEEESG_ZNS1_13binary_searchIS3_S5_PiSG_SG_NS1_16binary_search_opENS9_16wrapped_functionINS8_6system6detail7generic6detail18binary_search_lessEbEEEE10hipError_tPvRmT1_T2_T3_mmT4_T5_P12ihipStream_tbEUlRKiE_EESR_SV_SW_mSX_S10_bEUlT_E_NS1_11comp_targetILNS1_3genE3ELNS1_11target_archE908ELNS1_3gpuE7ELNS1_3repE0EEENS1_30default_config_static_selectorELNS0_4arch9wavefront6targetE1EEEvSU_, .Lfunc_end306-_ZN7rocprim17ROCPRIM_400000_NS6detail17trampoline_kernelINS0_14default_configENS1_29binary_search_config_selectorIiiEEZNS1_14transform_implILb0ES3_S5_N6thrust23THRUST_200600_302600_NS6detail15normal_iteratorINS8_7pointerIiNS8_11hip_rocprim5par_tENS8_11use_defaultESE_EEEESG_ZNS1_13binary_searchIS3_S5_PiSG_SG_NS1_16binary_search_opENS9_16wrapped_functionINS8_6system6detail7generic6detail18binary_search_lessEbEEEE10hipError_tPvRmT1_T2_T3_mmT4_T5_P12ihipStream_tbEUlRKiE_EESR_SV_SW_mSX_S10_bEUlT_E_NS1_11comp_targetILNS1_3genE3ELNS1_11target_archE908ELNS1_3gpuE7ELNS1_3repE0EEENS1_30default_config_static_selectorELNS0_4arch9wavefront6targetE1EEEvSU_
                                        ; -- End function
	.set _ZN7rocprim17ROCPRIM_400000_NS6detail17trampoline_kernelINS0_14default_configENS1_29binary_search_config_selectorIiiEEZNS1_14transform_implILb0ES3_S5_N6thrust23THRUST_200600_302600_NS6detail15normal_iteratorINS8_7pointerIiNS8_11hip_rocprim5par_tENS8_11use_defaultESE_EEEESG_ZNS1_13binary_searchIS3_S5_PiSG_SG_NS1_16binary_search_opENS9_16wrapped_functionINS8_6system6detail7generic6detail18binary_search_lessEbEEEE10hipError_tPvRmT1_T2_T3_mmT4_T5_P12ihipStream_tbEUlRKiE_EESR_SV_SW_mSX_S10_bEUlT_E_NS1_11comp_targetILNS1_3genE3ELNS1_11target_archE908ELNS1_3gpuE7ELNS1_3repE0EEENS1_30default_config_static_selectorELNS0_4arch9wavefront6targetE1EEEvSU_.num_vgpr, 0
	.set _ZN7rocprim17ROCPRIM_400000_NS6detail17trampoline_kernelINS0_14default_configENS1_29binary_search_config_selectorIiiEEZNS1_14transform_implILb0ES3_S5_N6thrust23THRUST_200600_302600_NS6detail15normal_iteratorINS8_7pointerIiNS8_11hip_rocprim5par_tENS8_11use_defaultESE_EEEESG_ZNS1_13binary_searchIS3_S5_PiSG_SG_NS1_16binary_search_opENS9_16wrapped_functionINS8_6system6detail7generic6detail18binary_search_lessEbEEEE10hipError_tPvRmT1_T2_T3_mmT4_T5_P12ihipStream_tbEUlRKiE_EESR_SV_SW_mSX_S10_bEUlT_E_NS1_11comp_targetILNS1_3genE3ELNS1_11target_archE908ELNS1_3gpuE7ELNS1_3repE0EEENS1_30default_config_static_selectorELNS0_4arch9wavefront6targetE1EEEvSU_.num_agpr, 0
	.set _ZN7rocprim17ROCPRIM_400000_NS6detail17trampoline_kernelINS0_14default_configENS1_29binary_search_config_selectorIiiEEZNS1_14transform_implILb0ES3_S5_N6thrust23THRUST_200600_302600_NS6detail15normal_iteratorINS8_7pointerIiNS8_11hip_rocprim5par_tENS8_11use_defaultESE_EEEESG_ZNS1_13binary_searchIS3_S5_PiSG_SG_NS1_16binary_search_opENS9_16wrapped_functionINS8_6system6detail7generic6detail18binary_search_lessEbEEEE10hipError_tPvRmT1_T2_T3_mmT4_T5_P12ihipStream_tbEUlRKiE_EESR_SV_SW_mSX_S10_bEUlT_E_NS1_11comp_targetILNS1_3genE3ELNS1_11target_archE908ELNS1_3gpuE7ELNS1_3repE0EEENS1_30default_config_static_selectorELNS0_4arch9wavefront6targetE1EEEvSU_.numbered_sgpr, 0
	.set _ZN7rocprim17ROCPRIM_400000_NS6detail17trampoline_kernelINS0_14default_configENS1_29binary_search_config_selectorIiiEEZNS1_14transform_implILb0ES3_S5_N6thrust23THRUST_200600_302600_NS6detail15normal_iteratorINS8_7pointerIiNS8_11hip_rocprim5par_tENS8_11use_defaultESE_EEEESG_ZNS1_13binary_searchIS3_S5_PiSG_SG_NS1_16binary_search_opENS9_16wrapped_functionINS8_6system6detail7generic6detail18binary_search_lessEbEEEE10hipError_tPvRmT1_T2_T3_mmT4_T5_P12ihipStream_tbEUlRKiE_EESR_SV_SW_mSX_S10_bEUlT_E_NS1_11comp_targetILNS1_3genE3ELNS1_11target_archE908ELNS1_3gpuE7ELNS1_3repE0EEENS1_30default_config_static_selectorELNS0_4arch9wavefront6targetE1EEEvSU_.num_named_barrier, 0
	.set _ZN7rocprim17ROCPRIM_400000_NS6detail17trampoline_kernelINS0_14default_configENS1_29binary_search_config_selectorIiiEEZNS1_14transform_implILb0ES3_S5_N6thrust23THRUST_200600_302600_NS6detail15normal_iteratorINS8_7pointerIiNS8_11hip_rocprim5par_tENS8_11use_defaultESE_EEEESG_ZNS1_13binary_searchIS3_S5_PiSG_SG_NS1_16binary_search_opENS9_16wrapped_functionINS8_6system6detail7generic6detail18binary_search_lessEbEEEE10hipError_tPvRmT1_T2_T3_mmT4_T5_P12ihipStream_tbEUlRKiE_EESR_SV_SW_mSX_S10_bEUlT_E_NS1_11comp_targetILNS1_3genE3ELNS1_11target_archE908ELNS1_3gpuE7ELNS1_3repE0EEENS1_30default_config_static_selectorELNS0_4arch9wavefront6targetE1EEEvSU_.private_seg_size, 0
	.set _ZN7rocprim17ROCPRIM_400000_NS6detail17trampoline_kernelINS0_14default_configENS1_29binary_search_config_selectorIiiEEZNS1_14transform_implILb0ES3_S5_N6thrust23THRUST_200600_302600_NS6detail15normal_iteratorINS8_7pointerIiNS8_11hip_rocprim5par_tENS8_11use_defaultESE_EEEESG_ZNS1_13binary_searchIS3_S5_PiSG_SG_NS1_16binary_search_opENS9_16wrapped_functionINS8_6system6detail7generic6detail18binary_search_lessEbEEEE10hipError_tPvRmT1_T2_T3_mmT4_T5_P12ihipStream_tbEUlRKiE_EESR_SV_SW_mSX_S10_bEUlT_E_NS1_11comp_targetILNS1_3genE3ELNS1_11target_archE908ELNS1_3gpuE7ELNS1_3repE0EEENS1_30default_config_static_selectorELNS0_4arch9wavefront6targetE1EEEvSU_.uses_vcc, 0
	.set _ZN7rocprim17ROCPRIM_400000_NS6detail17trampoline_kernelINS0_14default_configENS1_29binary_search_config_selectorIiiEEZNS1_14transform_implILb0ES3_S5_N6thrust23THRUST_200600_302600_NS6detail15normal_iteratorINS8_7pointerIiNS8_11hip_rocprim5par_tENS8_11use_defaultESE_EEEESG_ZNS1_13binary_searchIS3_S5_PiSG_SG_NS1_16binary_search_opENS9_16wrapped_functionINS8_6system6detail7generic6detail18binary_search_lessEbEEEE10hipError_tPvRmT1_T2_T3_mmT4_T5_P12ihipStream_tbEUlRKiE_EESR_SV_SW_mSX_S10_bEUlT_E_NS1_11comp_targetILNS1_3genE3ELNS1_11target_archE908ELNS1_3gpuE7ELNS1_3repE0EEENS1_30default_config_static_selectorELNS0_4arch9wavefront6targetE1EEEvSU_.uses_flat_scratch, 0
	.set _ZN7rocprim17ROCPRIM_400000_NS6detail17trampoline_kernelINS0_14default_configENS1_29binary_search_config_selectorIiiEEZNS1_14transform_implILb0ES3_S5_N6thrust23THRUST_200600_302600_NS6detail15normal_iteratorINS8_7pointerIiNS8_11hip_rocprim5par_tENS8_11use_defaultESE_EEEESG_ZNS1_13binary_searchIS3_S5_PiSG_SG_NS1_16binary_search_opENS9_16wrapped_functionINS8_6system6detail7generic6detail18binary_search_lessEbEEEE10hipError_tPvRmT1_T2_T3_mmT4_T5_P12ihipStream_tbEUlRKiE_EESR_SV_SW_mSX_S10_bEUlT_E_NS1_11comp_targetILNS1_3genE3ELNS1_11target_archE908ELNS1_3gpuE7ELNS1_3repE0EEENS1_30default_config_static_selectorELNS0_4arch9wavefront6targetE1EEEvSU_.has_dyn_sized_stack, 0
	.set _ZN7rocprim17ROCPRIM_400000_NS6detail17trampoline_kernelINS0_14default_configENS1_29binary_search_config_selectorIiiEEZNS1_14transform_implILb0ES3_S5_N6thrust23THRUST_200600_302600_NS6detail15normal_iteratorINS8_7pointerIiNS8_11hip_rocprim5par_tENS8_11use_defaultESE_EEEESG_ZNS1_13binary_searchIS3_S5_PiSG_SG_NS1_16binary_search_opENS9_16wrapped_functionINS8_6system6detail7generic6detail18binary_search_lessEbEEEE10hipError_tPvRmT1_T2_T3_mmT4_T5_P12ihipStream_tbEUlRKiE_EESR_SV_SW_mSX_S10_bEUlT_E_NS1_11comp_targetILNS1_3genE3ELNS1_11target_archE908ELNS1_3gpuE7ELNS1_3repE0EEENS1_30default_config_static_selectorELNS0_4arch9wavefront6targetE1EEEvSU_.has_recursion, 0
	.set _ZN7rocprim17ROCPRIM_400000_NS6detail17trampoline_kernelINS0_14default_configENS1_29binary_search_config_selectorIiiEEZNS1_14transform_implILb0ES3_S5_N6thrust23THRUST_200600_302600_NS6detail15normal_iteratorINS8_7pointerIiNS8_11hip_rocprim5par_tENS8_11use_defaultESE_EEEESG_ZNS1_13binary_searchIS3_S5_PiSG_SG_NS1_16binary_search_opENS9_16wrapped_functionINS8_6system6detail7generic6detail18binary_search_lessEbEEEE10hipError_tPvRmT1_T2_T3_mmT4_T5_P12ihipStream_tbEUlRKiE_EESR_SV_SW_mSX_S10_bEUlT_E_NS1_11comp_targetILNS1_3genE3ELNS1_11target_archE908ELNS1_3gpuE7ELNS1_3repE0EEENS1_30default_config_static_selectorELNS0_4arch9wavefront6targetE1EEEvSU_.has_indirect_call, 0
	.section	.AMDGPU.csdata,"",@progbits
; Kernel info:
; codeLenInByte = 0
; TotalNumSgprs: 4
; NumVgprs: 0
; ScratchSize: 0
; MemoryBound: 0
; FloatMode: 240
; IeeeMode: 1
; LDSByteSize: 0 bytes/workgroup (compile time only)
; SGPRBlocks: 0
; VGPRBlocks: 0
; NumSGPRsForWavesPerEU: 4
; NumVGPRsForWavesPerEU: 1
; Occupancy: 10
; WaveLimiterHint : 0
; COMPUTE_PGM_RSRC2:SCRATCH_EN: 0
; COMPUTE_PGM_RSRC2:USER_SGPR: 6
; COMPUTE_PGM_RSRC2:TRAP_HANDLER: 0
; COMPUTE_PGM_RSRC2:TGID_X_EN: 1
; COMPUTE_PGM_RSRC2:TGID_Y_EN: 0
; COMPUTE_PGM_RSRC2:TGID_Z_EN: 0
; COMPUTE_PGM_RSRC2:TIDIG_COMP_CNT: 0
	.section	.text._ZN7rocprim17ROCPRIM_400000_NS6detail17trampoline_kernelINS0_14default_configENS1_29binary_search_config_selectorIiiEEZNS1_14transform_implILb0ES3_S5_N6thrust23THRUST_200600_302600_NS6detail15normal_iteratorINS8_7pointerIiNS8_11hip_rocprim5par_tENS8_11use_defaultESE_EEEESG_ZNS1_13binary_searchIS3_S5_PiSG_SG_NS1_16binary_search_opENS9_16wrapped_functionINS8_6system6detail7generic6detail18binary_search_lessEbEEEE10hipError_tPvRmT1_T2_T3_mmT4_T5_P12ihipStream_tbEUlRKiE_EESR_SV_SW_mSX_S10_bEUlT_E_NS1_11comp_targetILNS1_3genE2ELNS1_11target_archE906ELNS1_3gpuE6ELNS1_3repE0EEENS1_30default_config_static_selectorELNS0_4arch9wavefront6targetE1EEEvSU_,"axG",@progbits,_ZN7rocprim17ROCPRIM_400000_NS6detail17trampoline_kernelINS0_14default_configENS1_29binary_search_config_selectorIiiEEZNS1_14transform_implILb0ES3_S5_N6thrust23THRUST_200600_302600_NS6detail15normal_iteratorINS8_7pointerIiNS8_11hip_rocprim5par_tENS8_11use_defaultESE_EEEESG_ZNS1_13binary_searchIS3_S5_PiSG_SG_NS1_16binary_search_opENS9_16wrapped_functionINS8_6system6detail7generic6detail18binary_search_lessEbEEEE10hipError_tPvRmT1_T2_T3_mmT4_T5_P12ihipStream_tbEUlRKiE_EESR_SV_SW_mSX_S10_bEUlT_E_NS1_11comp_targetILNS1_3genE2ELNS1_11target_archE906ELNS1_3gpuE6ELNS1_3repE0EEENS1_30default_config_static_selectorELNS0_4arch9wavefront6targetE1EEEvSU_,comdat
	.protected	_ZN7rocprim17ROCPRIM_400000_NS6detail17trampoline_kernelINS0_14default_configENS1_29binary_search_config_selectorIiiEEZNS1_14transform_implILb0ES3_S5_N6thrust23THRUST_200600_302600_NS6detail15normal_iteratorINS8_7pointerIiNS8_11hip_rocprim5par_tENS8_11use_defaultESE_EEEESG_ZNS1_13binary_searchIS3_S5_PiSG_SG_NS1_16binary_search_opENS9_16wrapped_functionINS8_6system6detail7generic6detail18binary_search_lessEbEEEE10hipError_tPvRmT1_T2_T3_mmT4_T5_P12ihipStream_tbEUlRKiE_EESR_SV_SW_mSX_S10_bEUlT_E_NS1_11comp_targetILNS1_3genE2ELNS1_11target_archE906ELNS1_3gpuE6ELNS1_3repE0EEENS1_30default_config_static_selectorELNS0_4arch9wavefront6targetE1EEEvSU_ ; -- Begin function _ZN7rocprim17ROCPRIM_400000_NS6detail17trampoline_kernelINS0_14default_configENS1_29binary_search_config_selectorIiiEEZNS1_14transform_implILb0ES3_S5_N6thrust23THRUST_200600_302600_NS6detail15normal_iteratorINS8_7pointerIiNS8_11hip_rocprim5par_tENS8_11use_defaultESE_EEEESG_ZNS1_13binary_searchIS3_S5_PiSG_SG_NS1_16binary_search_opENS9_16wrapped_functionINS8_6system6detail7generic6detail18binary_search_lessEbEEEE10hipError_tPvRmT1_T2_T3_mmT4_T5_P12ihipStream_tbEUlRKiE_EESR_SV_SW_mSX_S10_bEUlT_E_NS1_11comp_targetILNS1_3genE2ELNS1_11target_archE906ELNS1_3gpuE6ELNS1_3repE0EEENS1_30default_config_static_selectorELNS0_4arch9wavefront6targetE1EEEvSU_
	.globl	_ZN7rocprim17ROCPRIM_400000_NS6detail17trampoline_kernelINS0_14default_configENS1_29binary_search_config_selectorIiiEEZNS1_14transform_implILb0ES3_S5_N6thrust23THRUST_200600_302600_NS6detail15normal_iteratorINS8_7pointerIiNS8_11hip_rocprim5par_tENS8_11use_defaultESE_EEEESG_ZNS1_13binary_searchIS3_S5_PiSG_SG_NS1_16binary_search_opENS9_16wrapped_functionINS8_6system6detail7generic6detail18binary_search_lessEbEEEE10hipError_tPvRmT1_T2_T3_mmT4_T5_P12ihipStream_tbEUlRKiE_EESR_SV_SW_mSX_S10_bEUlT_E_NS1_11comp_targetILNS1_3genE2ELNS1_11target_archE906ELNS1_3gpuE6ELNS1_3repE0EEENS1_30default_config_static_selectorELNS0_4arch9wavefront6targetE1EEEvSU_
	.p2align	8
	.type	_ZN7rocprim17ROCPRIM_400000_NS6detail17trampoline_kernelINS0_14default_configENS1_29binary_search_config_selectorIiiEEZNS1_14transform_implILb0ES3_S5_N6thrust23THRUST_200600_302600_NS6detail15normal_iteratorINS8_7pointerIiNS8_11hip_rocprim5par_tENS8_11use_defaultESE_EEEESG_ZNS1_13binary_searchIS3_S5_PiSG_SG_NS1_16binary_search_opENS9_16wrapped_functionINS8_6system6detail7generic6detail18binary_search_lessEbEEEE10hipError_tPvRmT1_T2_T3_mmT4_T5_P12ihipStream_tbEUlRKiE_EESR_SV_SW_mSX_S10_bEUlT_E_NS1_11comp_targetILNS1_3genE2ELNS1_11target_archE906ELNS1_3gpuE6ELNS1_3repE0EEENS1_30default_config_static_selectorELNS0_4arch9wavefront6targetE1EEEvSU_,@function
_ZN7rocprim17ROCPRIM_400000_NS6detail17trampoline_kernelINS0_14default_configENS1_29binary_search_config_selectorIiiEEZNS1_14transform_implILb0ES3_S5_N6thrust23THRUST_200600_302600_NS6detail15normal_iteratorINS8_7pointerIiNS8_11hip_rocprim5par_tENS8_11use_defaultESE_EEEESG_ZNS1_13binary_searchIS3_S5_PiSG_SG_NS1_16binary_search_opENS9_16wrapped_functionINS8_6system6detail7generic6detail18binary_search_lessEbEEEE10hipError_tPvRmT1_T2_T3_mmT4_T5_P12ihipStream_tbEUlRKiE_EESR_SV_SW_mSX_S10_bEUlT_E_NS1_11comp_targetILNS1_3genE2ELNS1_11target_archE906ELNS1_3gpuE6ELNS1_3repE0EEENS1_30default_config_static_selectorELNS0_4arch9wavefront6targetE1EEEvSU_: ; @_ZN7rocprim17ROCPRIM_400000_NS6detail17trampoline_kernelINS0_14default_configENS1_29binary_search_config_selectorIiiEEZNS1_14transform_implILb0ES3_S5_N6thrust23THRUST_200600_302600_NS6detail15normal_iteratorINS8_7pointerIiNS8_11hip_rocprim5par_tENS8_11use_defaultESE_EEEESG_ZNS1_13binary_searchIS3_S5_PiSG_SG_NS1_16binary_search_opENS9_16wrapped_functionINS8_6system6detail7generic6detail18binary_search_lessEbEEEE10hipError_tPvRmT1_T2_T3_mmT4_T5_P12ihipStream_tbEUlRKiE_EESR_SV_SW_mSX_S10_bEUlT_E_NS1_11comp_targetILNS1_3genE2ELNS1_11target_archE906ELNS1_3gpuE6ELNS1_3repE0EEENS1_30default_config_static_selectorELNS0_4arch9wavefront6targetE1EEEvSU_
; %bb.0:
	s_load_dwordx4 s[12:15], s[4:5], 0x0
	s_load_dwordx4 s[8:11], s[4:5], 0x18
	s_load_dwordx2 s[0:1], s[4:5], 0x28
	s_load_dword s7, s[4:5], 0x38
	s_waitcnt lgkmcnt(0)
	s_lshl_b64 s[2:3], s[14:15], 2
	s_add_u32 s18, s12, s2
	s_addc_u32 s19, s13, s3
	s_lshl_b32 s12, s6, 8
	s_add_i32 s7, s7, -1
	s_cmp_lg_u32 s6, s7
	s_mov_b32 s13, 0
	s_cbranch_scc0 .LBB307_6
; %bb.1:
	s_lshl_b64 s[6:7], s[12:13], 2
	s_add_u32 s6, s18, s6
	s_addc_u32 s7, s19, s7
	v_lshlrev_b32_e32 v1, 2, v0
	v_mov_b32_e32 v2, s7
	v_add_co_u32_e32 v1, vcc, s6, v1
	v_addc_co_u32_e32 v2, vcc, 0, v2, vcc
	flat_load_dword v6, v[1:2]
	v_mov_b32_e32 v2, 0
	v_mov_b32_e32 v1, 0
	s_cmp_eq_u64 s[0:1], 0
	s_mov_b64 s[6:7], 0
	v_mov_b32_e32 v3, 0
	s_cbranch_scc1 .LBB307_5
; %bb.2:
	v_mov_b32_e32 v5, s1
	v_mov_b32_e32 v4, s0
	;; [unrolled: 1-line block ×3, first 2 shown]
.LBB307_3:                              ; =>This Inner Loop Header: Depth=1
	v_sub_co_u32_e32 v8, vcc, v4, v2
	v_subb_co_u32_e32 v9, vcc, v5, v3, vcc
	v_lshrrev_b64 v[10:11], 1, v[8:9]
	v_lshrrev_b64 v[8:9], 6, v[8:9]
	v_add_co_u32_e32 v10, vcc, v10, v2
	v_addc_co_u32_e32 v11, vcc, v11, v3, vcc
	v_add_co_u32_e32 v8, vcc, v10, v8
	v_addc_co_u32_e32 v9, vcc, v11, v9, vcc
	v_lshlrev_b64 v[10:11], 2, v[8:9]
	v_add_co_u32_e32 v10, vcc, s10, v10
	v_addc_co_u32_e32 v11, vcc, v7, v11, vcc
	global_load_dword v10, v[10:11], off
	v_add_co_u32_e32 v11, vcc, 1, v8
	v_addc_co_u32_e32 v12, vcc, 0, v9, vcc
	s_waitcnt vmcnt(0) lgkmcnt(0)
	v_cmp_lt_i32_e32 vcc, v10, v6
	v_cndmask_b32_e32 v5, v9, v5, vcc
	v_cndmask_b32_e32 v4, v8, v4, vcc
	;; [unrolled: 1-line block ×4, first 2 shown]
	v_cmp_ge_u64_e32 vcc, v[2:3], v[4:5]
	s_or_b64 s[6:7], vcc, s[6:7]
	s_andn2_b64 exec, exec, s[6:7]
	s_cbranch_execnz .LBB307_3
; %bb.4:
	s_or_b64 exec, exec, s[6:7]
.LBB307_5:
	v_cmp_eq_u64_e64 s[6:7], s[0:1], v[2:3]
	v_cmp_ne_u64_e64 s[14:15], s[0:1], v[2:3]
	s_branch .LBB307_14
.LBB307_6:
	s_mov_b64 s[14:15], 0
	s_mov_b64 s[6:7], 0
                                        ; implicit-def: $vgpr6
                                        ; implicit-def: $vgpr2_vgpr3
	s_cbranch_execz .LBB307_14
; %bb.7:
	s_load_dword s4, s[4:5], 0x10
                                        ; implicit-def: $vgpr6
                                        ; implicit-def: $vgpr2_vgpr3
	s_waitcnt lgkmcnt(0)
	s_sub_i32 s4, s4, s12
	v_cmp_gt_u32_e32 vcc, s4, v0
	s_and_saveexec_b64 s[4:5], vcc
	s_cbranch_execz .LBB307_13
; %bb.8:
	s_lshl_b64 s[16:17], s[12:13], 2
	s_add_u32 s16, s18, s16
	s_addc_u32 s17, s19, s17
	v_lshlrev_b32_e32 v1, 2, v0
	v_mov_b32_e32 v2, s17
	v_add_co_u32_e32 v1, vcc, s16, v1
	v_addc_co_u32_e32 v2, vcc, 0, v2, vcc
	s_waitcnt vmcnt(0)
	flat_load_dword v6, v[1:2]
	v_mov_b32_e32 v2, 0
	v_mov_b32_e32 v1, 0
	s_cmp_eq_u64 s[0:1], 0
	s_mov_b64 s[16:17], 0
	v_mov_b32_e32 v3, 0
	s_cbranch_scc1 .LBB307_12
; %bb.9:
	v_mov_b32_e32 v5, s1
	v_mov_b32_e32 v4, s0
	;; [unrolled: 1-line block ×3, first 2 shown]
.LBB307_10:                             ; =>This Inner Loop Header: Depth=1
	v_sub_co_u32_e32 v8, vcc, v4, v2
	v_subb_co_u32_e32 v9, vcc, v5, v3, vcc
	v_lshrrev_b64 v[10:11], 1, v[8:9]
	v_lshrrev_b64 v[8:9], 6, v[8:9]
	v_add_co_u32_e32 v10, vcc, v10, v2
	v_addc_co_u32_e32 v11, vcc, v11, v3, vcc
	v_add_co_u32_e32 v8, vcc, v10, v8
	v_addc_co_u32_e32 v9, vcc, v11, v9, vcc
	v_lshlrev_b64 v[10:11], 2, v[8:9]
	v_add_co_u32_e32 v10, vcc, s10, v10
	v_addc_co_u32_e32 v11, vcc, v7, v11, vcc
	global_load_dword v10, v[10:11], off
	v_add_co_u32_e32 v11, vcc, 1, v8
	v_addc_co_u32_e32 v12, vcc, 0, v9, vcc
	s_waitcnt vmcnt(0) lgkmcnt(0)
	v_cmp_lt_i32_e32 vcc, v10, v6
	v_cndmask_b32_e32 v5, v9, v5, vcc
	v_cndmask_b32_e32 v4, v8, v4, vcc
	;; [unrolled: 1-line block ×4, first 2 shown]
	v_cmp_ge_u64_e32 vcc, v[2:3], v[4:5]
	s_or_b64 s[16:17], vcc, s[16:17]
	s_andn2_b64 exec, exec, s[16:17]
	s_cbranch_execnz .LBB307_10
; %bb.11:
	s_or_b64 exec, exec, s[16:17]
.LBB307_12:
	v_cmp_eq_u64_e32 vcc, s[0:1], v[2:3]
	v_cmp_ne_u64_e64 s[0:1], s[0:1], v[2:3]
	s_andn2_b64 s[6:7], s[6:7], exec
	s_and_b64 s[16:17], vcc, exec
	s_andn2_b64 s[14:15], s[14:15], exec
	s_and_b64 s[0:1], s[0:1], exec
	s_or_b64 s[6:7], s[6:7], s[16:17]
	s_or_b64 s[14:15], s[14:15], s[0:1]
.LBB307_13:
	s_or_b64 exec, exec, s[4:5]
.LBB307_14:
	v_mov_b32_e32 v4, 0
	s_and_saveexec_b64 s[0:1], s[14:15]
	s_cbranch_execnz .LBB307_17
; %bb.15:
	s_or_b64 exec, exec, s[0:1]
	s_and_saveexec_b64 s[0:1], s[6:7]
	s_cbranch_execnz .LBB307_18
.LBB307_16:
	s_endpgm
.LBB307_17:
	v_lshlrev_b64 v[2:3], 2, v[2:3]
	v_mov_b32_e32 v4, s11
	v_add_co_u32_e32 v2, vcc, s10, v2
	v_addc_co_u32_e32 v3, vcc, v4, v3, vcc
	global_load_dword v2, v[2:3], off
	s_or_b64 s[6:7], s[6:7], exec
	s_waitcnt vmcnt(0) lgkmcnt(0)
	v_cmp_ge_i32_e32 vcc, v6, v2
	v_cndmask_b32_e64 v4, 0, 1, vcc
	s_or_b64 exec, exec, s[0:1]
	s_and_saveexec_b64 s[0:1], s[6:7]
	s_cbranch_execz .LBB307_16
.LBB307_18:
	s_add_u32 s2, s8, s2
	s_addc_u32 s3, s9, s3
	s_lshl_b64 s[0:1], s[12:13], 2
	s_add_u32 s0, s2, s0
	v_lshlrev_b64 v[0:1], 2, v[0:1]
	s_addc_u32 s1, s3, s1
	v_mov_b32_e32 v2, s1
	v_add_co_u32_e32 v0, vcc, s0, v0
	v_addc_co_u32_e32 v1, vcc, v2, v1, vcc
	flat_store_dword v[0:1], v4
	s_endpgm
	.section	.rodata,"a",@progbits
	.p2align	6, 0x0
	.amdhsa_kernel _ZN7rocprim17ROCPRIM_400000_NS6detail17trampoline_kernelINS0_14default_configENS1_29binary_search_config_selectorIiiEEZNS1_14transform_implILb0ES3_S5_N6thrust23THRUST_200600_302600_NS6detail15normal_iteratorINS8_7pointerIiNS8_11hip_rocprim5par_tENS8_11use_defaultESE_EEEESG_ZNS1_13binary_searchIS3_S5_PiSG_SG_NS1_16binary_search_opENS9_16wrapped_functionINS8_6system6detail7generic6detail18binary_search_lessEbEEEE10hipError_tPvRmT1_T2_T3_mmT4_T5_P12ihipStream_tbEUlRKiE_EESR_SV_SW_mSX_S10_bEUlT_E_NS1_11comp_targetILNS1_3genE2ELNS1_11target_archE906ELNS1_3gpuE6ELNS1_3repE0EEENS1_30default_config_static_selectorELNS0_4arch9wavefront6targetE1EEEvSU_
		.amdhsa_group_segment_fixed_size 0
		.amdhsa_private_segment_fixed_size 0
		.amdhsa_kernarg_size 312
		.amdhsa_user_sgpr_count 6
		.amdhsa_user_sgpr_private_segment_buffer 1
		.amdhsa_user_sgpr_dispatch_ptr 0
		.amdhsa_user_sgpr_queue_ptr 0
		.amdhsa_user_sgpr_kernarg_segment_ptr 1
		.amdhsa_user_sgpr_dispatch_id 0
		.amdhsa_user_sgpr_flat_scratch_init 0
		.amdhsa_user_sgpr_private_segment_size 0
		.amdhsa_uses_dynamic_stack 0
		.amdhsa_system_sgpr_private_segment_wavefront_offset 0
		.amdhsa_system_sgpr_workgroup_id_x 1
		.amdhsa_system_sgpr_workgroup_id_y 0
		.amdhsa_system_sgpr_workgroup_id_z 0
		.amdhsa_system_sgpr_workgroup_info 0
		.amdhsa_system_vgpr_workitem_id 0
		.amdhsa_next_free_vgpr 13
		.amdhsa_next_free_sgpr 20
		.amdhsa_reserve_vcc 1
		.amdhsa_reserve_flat_scratch 0
		.amdhsa_float_round_mode_32 0
		.amdhsa_float_round_mode_16_64 0
		.amdhsa_float_denorm_mode_32 3
		.amdhsa_float_denorm_mode_16_64 3
		.amdhsa_dx10_clamp 1
		.amdhsa_ieee_mode 1
		.amdhsa_fp16_overflow 0
		.amdhsa_exception_fp_ieee_invalid_op 0
		.amdhsa_exception_fp_denorm_src 0
		.amdhsa_exception_fp_ieee_div_zero 0
		.amdhsa_exception_fp_ieee_overflow 0
		.amdhsa_exception_fp_ieee_underflow 0
		.amdhsa_exception_fp_ieee_inexact 0
		.amdhsa_exception_int_div_zero 0
	.end_amdhsa_kernel
	.section	.text._ZN7rocprim17ROCPRIM_400000_NS6detail17trampoline_kernelINS0_14default_configENS1_29binary_search_config_selectorIiiEEZNS1_14transform_implILb0ES3_S5_N6thrust23THRUST_200600_302600_NS6detail15normal_iteratorINS8_7pointerIiNS8_11hip_rocprim5par_tENS8_11use_defaultESE_EEEESG_ZNS1_13binary_searchIS3_S5_PiSG_SG_NS1_16binary_search_opENS9_16wrapped_functionINS8_6system6detail7generic6detail18binary_search_lessEbEEEE10hipError_tPvRmT1_T2_T3_mmT4_T5_P12ihipStream_tbEUlRKiE_EESR_SV_SW_mSX_S10_bEUlT_E_NS1_11comp_targetILNS1_3genE2ELNS1_11target_archE906ELNS1_3gpuE6ELNS1_3repE0EEENS1_30default_config_static_selectorELNS0_4arch9wavefront6targetE1EEEvSU_,"axG",@progbits,_ZN7rocprim17ROCPRIM_400000_NS6detail17trampoline_kernelINS0_14default_configENS1_29binary_search_config_selectorIiiEEZNS1_14transform_implILb0ES3_S5_N6thrust23THRUST_200600_302600_NS6detail15normal_iteratorINS8_7pointerIiNS8_11hip_rocprim5par_tENS8_11use_defaultESE_EEEESG_ZNS1_13binary_searchIS3_S5_PiSG_SG_NS1_16binary_search_opENS9_16wrapped_functionINS8_6system6detail7generic6detail18binary_search_lessEbEEEE10hipError_tPvRmT1_T2_T3_mmT4_T5_P12ihipStream_tbEUlRKiE_EESR_SV_SW_mSX_S10_bEUlT_E_NS1_11comp_targetILNS1_3genE2ELNS1_11target_archE906ELNS1_3gpuE6ELNS1_3repE0EEENS1_30default_config_static_selectorELNS0_4arch9wavefront6targetE1EEEvSU_,comdat
.Lfunc_end307:
	.size	_ZN7rocprim17ROCPRIM_400000_NS6detail17trampoline_kernelINS0_14default_configENS1_29binary_search_config_selectorIiiEEZNS1_14transform_implILb0ES3_S5_N6thrust23THRUST_200600_302600_NS6detail15normal_iteratorINS8_7pointerIiNS8_11hip_rocprim5par_tENS8_11use_defaultESE_EEEESG_ZNS1_13binary_searchIS3_S5_PiSG_SG_NS1_16binary_search_opENS9_16wrapped_functionINS8_6system6detail7generic6detail18binary_search_lessEbEEEE10hipError_tPvRmT1_T2_T3_mmT4_T5_P12ihipStream_tbEUlRKiE_EESR_SV_SW_mSX_S10_bEUlT_E_NS1_11comp_targetILNS1_3genE2ELNS1_11target_archE906ELNS1_3gpuE6ELNS1_3repE0EEENS1_30default_config_static_selectorELNS0_4arch9wavefront6targetE1EEEvSU_, .Lfunc_end307-_ZN7rocprim17ROCPRIM_400000_NS6detail17trampoline_kernelINS0_14default_configENS1_29binary_search_config_selectorIiiEEZNS1_14transform_implILb0ES3_S5_N6thrust23THRUST_200600_302600_NS6detail15normal_iteratorINS8_7pointerIiNS8_11hip_rocprim5par_tENS8_11use_defaultESE_EEEESG_ZNS1_13binary_searchIS3_S5_PiSG_SG_NS1_16binary_search_opENS9_16wrapped_functionINS8_6system6detail7generic6detail18binary_search_lessEbEEEE10hipError_tPvRmT1_T2_T3_mmT4_T5_P12ihipStream_tbEUlRKiE_EESR_SV_SW_mSX_S10_bEUlT_E_NS1_11comp_targetILNS1_3genE2ELNS1_11target_archE906ELNS1_3gpuE6ELNS1_3repE0EEENS1_30default_config_static_selectorELNS0_4arch9wavefront6targetE1EEEvSU_
                                        ; -- End function
	.set _ZN7rocprim17ROCPRIM_400000_NS6detail17trampoline_kernelINS0_14default_configENS1_29binary_search_config_selectorIiiEEZNS1_14transform_implILb0ES3_S5_N6thrust23THRUST_200600_302600_NS6detail15normal_iteratorINS8_7pointerIiNS8_11hip_rocprim5par_tENS8_11use_defaultESE_EEEESG_ZNS1_13binary_searchIS3_S5_PiSG_SG_NS1_16binary_search_opENS9_16wrapped_functionINS8_6system6detail7generic6detail18binary_search_lessEbEEEE10hipError_tPvRmT1_T2_T3_mmT4_T5_P12ihipStream_tbEUlRKiE_EESR_SV_SW_mSX_S10_bEUlT_E_NS1_11comp_targetILNS1_3genE2ELNS1_11target_archE906ELNS1_3gpuE6ELNS1_3repE0EEENS1_30default_config_static_selectorELNS0_4arch9wavefront6targetE1EEEvSU_.num_vgpr, 13
	.set _ZN7rocprim17ROCPRIM_400000_NS6detail17trampoline_kernelINS0_14default_configENS1_29binary_search_config_selectorIiiEEZNS1_14transform_implILb0ES3_S5_N6thrust23THRUST_200600_302600_NS6detail15normal_iteratorINS8_7pointerIiNS8_11hip_rocprim5par_tENS8_11use_defaultESE_EEEESG_ZNS1_13binary_searchIS3_S5_PiSG_SG_NS1_16binary_search_opENS9_16wrapped_functionINS8_6system6detail7generic6detail18binary_search_lessEbEEEE10hipError_tPvRmT1_T2_T3_mmT4_T5_P12ihipStream_tbEUlRKiE_EESR_SV_SW_mSX_S10_bEUlT_E_NS1_11comp_targetILNS1_3genE2ELNS1_11target_archE906ELNS1_3gpuE6ELNS1_3repE0EEENS1_30default_config_static_selectorELNS0_4arch9wavefront6targetE1EEEvSU_.num_agpr, 0
	.set _ZN7rocprim17ROCPRIM_400000_NS6detail17trampoline_kernelINS0_14default_configENS1_29binary_search_config_selectorIiiEEZNS1_14transform_implILb0ES3_S5_N6thrust23THRUST_200600_302600_NS6detail15normal_iteratorINS8_7pointerIiNS8_11hip_rocprim5par_tENS8_11use_defaultESE_EEEESG_ZNS1_13binary_searchIS3_S5_PiSG_SG_NS1_16binary_search_opENS9_16wrapped_functionINS8_6system6detail7generic6detail18binary_search_lessEbEEEE10hipError_tPvRmT1_T2_T3_mmT4_T5_P12ihipStream_tbEUlRKiE_EESR_SV_SW_mSX_S10_bEUlT_E_NS1_11comp_targetILNS1_3genE2ELNS1_11target_archE906ELNS1_3gpuE6ELNS1_3repE0EEENS1_30default_config_static_selectorELNS0_4arch9wavefront6targetE1EEEvSU_.numbered_sgpr, 20
	.set _ZN7rocprim17ROCPRIM_400000_NS6detail17trampoline_kernelINS0_14default_configENS1_29binary_search_config_selectorIiiEEZNS1_14transform_implILb0ES3_S5_N6thrust23THRUST_200600_302600_NS6detail15normal_iteratorINS8_7pointerIiNS8_11hip_rocprim5par_tENS8_11use_defaultESE_EEEESG_ZNS1_13binary_searchIS3_S5_PiSG_SG_NS1_16binary_search_opENS9_16wrapped_functionINS8_6system6detail7generic6detail18binary_search_lessEbEEEE10hipError_tPvRmT1_T2_T3_mmT4_T5_P12ihipStream_tbEUlRKiE_EESR_SV_SW_mSX_S10_bEUlT_E_NS1_11comp_targetILNS1_3genE2ELNS1_11target_archE906ELNS1_3gpuE6ELNS1_3repE0EEENS1_30default_config_static_selectorELNS0_4arch9wavefront6targetE1EEEvSU_.num_named_barrier, 0
	.set _ZN7rocprim17ROCPRIM_400000_NS6detail17trampoline_kernelINS0_14default_configENS1_29binary_search_config_selectorIiiEEZNS1_14transform_implILb0ES3_S5_N6thrust23THRUST_200600_302600_NS6detail15normal_iteratorINS8_7pointerIiNS8_11hip_rocprim5par_tENS8_11use_defaultESE_EEEESG_ZNS1_13binary_searchIS3_S5_PiSG_SG_NS1_16binary_search_opENS9_16wrapped_functionINS8_6system6detail7generic6detail18binary_search_lessEbEEEE10hipError_tPvRmT1_T2_T3_mmT4_T5_P12ihipStream_tbEUlRKiE_EESR_SV_SW_mSX_S10_bEUlT_E_NS1_11comp_targetILNS1_3genE2ELNS1_11target_archE906ELNS1_3gpuE6ELNS1_3repE0EEENS1_30default_config_static_selectorELNS0_4arch9wavefront6targetE1EEEvSU_.private_seg_size, 0
	.set _ZN7rocprim17ROCPRIM_400000_NS6detail17trampoline_kernelINS0_14default_configENS1_29binary_search_config_selectorIiiEEZNS1_14transform_implILb0ES3_S5_N6thrust23THRUST_200600_302600_NS6detail15normal_iteratorINS8_7pointerIiNS8_11hip_rocprim5par_tENS8_11use_defaultESE_EEEESG_ZNS1_13binary_searchIS3_S5_PiSG_SG_NS1_16binary_search_opENS9_16wrapped_functionINS8_6system6detail7generic6detail18binary_search_lessEbEEEE10hipError_tPvRmT1_T2_T3_mmT4_T5_P12ihipStream_tbEUlRKiE_EESR_SV_SW_mSX_S10_bEUlT_E_NS1_11comp_targetILNS1_3genE2ELNS1_11target_archE906ELNS1_3gpuE6ELNS1_3repE0EEENS1_30default_config_static_selectorELNS0_4arch9wavefront6targetE1EEEvSU_.uses_vcc, 1
	.set _ZN7rocprim17ROCPRIM_400000_NS6detail17trampoline_kernelINS0_14default_configENS1_29binary_search_config_selectorIiiEEZNS1_14transform_implILb0ES3_S5_N6thrust23THRUST_200600_302600_NS6detail15normal_iteratorINS8_7pointerIiNS8_11hip_rocprim5par_tENS8_11use_defaultESE_EEEESG_ZNS1_13binary_searchIS3_S5_PiSG_SG_NS1_16binary_search_opENS9_16wrapped_functionINS8_6system6detail7generic6detail18binary_search_lessEbEEEE10hipError_tPvRmT1_T2_T3_mmT4_T5_P12ihipStream_tbEUlRKiE_EESR_SV_SW_mSX_S10_bEUlT_E_NS1_11comp_targetILNS1_3genE2ELNS1_11target_archE906ELNS1_3gpuE6ELNS1_3repE0EEENS1_30default_config_static_selectorELNS0_4arch9wavefront6targetE1EEEvSU_.uses_flat_scratch, 0
	.set _ZN7rocprim17ROCPRIM_400000_NS6detail17trampoline_kernelINS0_14default_configENS1_29binary_search_config_selectorIiiEEZNS1_14transform_implILb0ES3_S5_N6thrust23THRUST_200600_302600_NS6detail15normal_iteratorINS8_7pointerIiNS8_11hip_rocprim5par_tENS8_11use_defaultESE_EEEESG_ZNS1_13binary_searchIS3_S5_PiSG_SG_NS1_16binary_search_opENS9_16wrapped_functionINS8_6system6detail7generic6detail18binary_search_lessEbEEEE10hipError_tPvRmT1_T2_T3_mmT4_T5_P12ihipStream_tbEUlRKiE_EESR_SV_SW_mSX_S10_bEUlT_E_NS1_11comp_targetILNS1_3genE2ELNS1_11target_archE906ELNS1_3gpuE6ELNS1_3repE0EEENS1_30default_config_static_selectorELNS0_4arch9wavefront6targetE1EEEvSU_.has_dyn_sized_stack, 0
	.set _ZN7rocprim17ROCPRIM_400000_NS6detail17trampoline_kernelINS0_14default_configENS1_29binary_search_config_selectorIiiEEZNS1_14transform_implILb0ES3_S5_N6thrust23THRUST_200600_302600_NS6detail15normal_iteratorINS8_7pointerIiNS8_11hip_rocprim5par_tENS8_11use_defaultESE_EEEESG_ZNS1_13binary_searchIS3_S5_PiSG_SG_NS1_16binary_search_opENS9_16wrapped_functionINS8_6system6detail7generic6detail18binary_search_lessEbEEEE10hipError_tPvRmT1_T2_T3_mmT4_T5_P12ihipStream_tbEUlRKiE_EESR_SV_SW_mSX_S10_bEUlT_E_NS1_11comp_targetILNS1_3genE2ELNS1_11target_archE906ELNS1_3gpuE6ELNS1_3repE0EEENS1_30default_config_static_selectorELNS0_4arch9wavefront6targetE1EEEvSU_.has_recursion, 0
	.set _ZN7rocprim17ROCPRIM_400000_NS6detail17trampoline_kernelINS0_14default_configENS1_29binary_search_config_selectorIiiEEZNS1_14transform_implILb0ES3_S5_N6thrust23THRUST_200600_302600_NS6detail15normal_iteratorINS8_7pointerIiNS8_11hip_rocprim5par_tENS8_11use_defaultESE_EEEESG_ZNS1_13binary_searchIS3_S5_PiSG_SG_NS1_16binary_search_opENS9_16wrapped_functionINS8_6system6detail7generic6detail18binary_search_lessEbEEEE10hipError_tPvRmT1_T2_T3_mmT4_T5_P12ihipStream_tbEUlRKiE_EESR_SV_SW_mSX_S10_bEUlT_E_NS1_11comp_targetILNS1_3genE2ELNS1_11target_archE906ELNS1_3gpuE6ELNS1_3repE0EEENS1_30default_config_static_selectorELNS0_4arch9wavefront6targetE1EEEvSU_.has_indirect_call, 0
	.section	.AMDGPU.csdata,"",@progbits
; Kernel info:
; codeLenInByte = 688
; TotalNumSgprs: 24
; NumVgprs: 13
; ScratchSize: 0
; MemoryBound: 0
; FloatMode: 240
; IeeeMode: 1
; LDSByteSize: 0 bytes/workgroup (compile time only)
; SGPRBlocks: 2
; VGPRBlocks: 3
; NumSGPRsForWavesPerEU: 24
; NumVGPRsForWavesPerEU: 13
; Occupancy: 10
; WaveLimiterHint : 0
; COMPUTE_PGM_RSRC2:SCRATCH_EN: 0
; COMPUTE_PGM_RSRC2:USER_SGPR: 6
; COMPUTE_PGM_RSRC2:TRAP_HANDLER: 0
; COMPUTE_PGM_RSRC2:TGID_X_EN: 1
; COMPUTE_PGM_RSRC2:TGID_Y_EN: 0
; COMPUTE_PGM_RSRC2:TGID_Z_EN: 0
; COMPUTE_PGM_RSRC2:TIDIG_COMP_CNT: 0
	.section	.text._ZN7rocprim17ROCPRIM_400000_NS6detail17trampoline_kernelINS0_14default_configENS1_29binary_search_config_selectorIiiEEZNS1_14transform_implILb0ES3_S5_N6thrust23THRUST_200600_302600_NS6detail15normal_iteratorINS8_7pointerIiNS8_11hip_rocprim5par_tENS8_11use_defaultESE_EEEESG_ZNS1_13binary_searchIS3_S5_PiSG_SG_NS1_16binary_search_opENS9_16wrapped_functionINS8_6system6detail7generic6detail18binary_search_lessEbEEEE10hipError_tPvRmT1_T2_T3_mmT4_T5_P12ihipStream_tbEUlRKiE_EESR_SV_SW_mSX_S10_bEUlT_E_NS1_11comp_targetILNS1_3genE10ELNS1_11target_archE1201ELNS1_3gpuE5ELNS1_3repE0EEENS1_30default_config_static_selectorELNS0_4arch9wavefront6targetE1EEEvSU_,"axG",@progbits,_ZN7rocprim17ROCPRIM_400000_NS6detail17trampoline_kernelINS0_14default_configENS1_29binary_search_config_selectorIiiEEZNS1_14transform_implILb0ES3_S5_N6thrust23THRUST_200600_302600_NS6detail15normal_iteratorINS8_7pointerIiNS8_11hip_rocprim5par_tENS8_11use_defaultESE_EEEESG_ZNS1_13binary_searchIS3_S5_PiSG_SG_NS1_16binary_search_opENS9_16wrapped_functionINS8_6system6detail7generic6detail18binary_search_lessEbEEEE10hipError_tPvRmT1_T2_T3_mmT4_T5_P12ihipStream_tbEUlRKiE_EESR_SV_SW_mSX_S10_bEUlT_E_NS1_11comp_targetILNS1_3genE10ELNS1_11target_archE1201ELNS1_3gpuE5ELNS1_3repE0EEENS1_30default_config_static_selectorELNS0_4arch9wavefront6targetE1EEEvSU_,comdat
	.protected	_ZN7rocprim17ROCPRIM_400000_NS6detail17trampoline_kernelINS0_14default_configENS1_29binary_search_config_selectorIiiEEZNS1_14transform_implILb0ES3_S5_N6thrust23THRUST_200600_302600_NS6detail15normal_iteratorINS8_7pointerIiNS8_11hip_rocprim5par_tENS8_11use_defaultESE_EEEESG_ZNS1_13binary_searchIS3_S5_PiSG_SG_NS1_16binary_search_opENS9_16wrapped_functionINS8_6system6detail7generic6detail18binary_search_lessEbEEEE10hipError_tPvRmT1_T2_T3_mmT4_T5_P12ihipStream_tbEUlRKiE_EESR_SV_SW_mSX_S10_bEUlT_E_NS1_11comp_targetILNS1_3genE10ELNS1_11target_archE1201ELNS1_3gpuE5ELNS1_3repE0EEENS1_30default_config_static_selectorELNS0_4arch9wavefront6targetE1EEEvSU_ ; -- Begin function _ZN7rocprim17ROCPRIM_400000_NS6detail17trampoline_kernelINS0_14default_configENS1_29binary_search_config_selectorIiiEEZNS1_14transform_implILb0ES3_S5_N6thrust23THRUST_200600_302600_NS6detail15normal_iteratorINS8_7pointerIiNS8_11hip_rocprim5par_tENS8_11use_defaultESE_EEEESG_ZNS1_13binary_searchIS3_S5_PiSG_SG_NS1_16binary_search_opENS9_16wrapped_functionINS8_6system6detail7generic6detail18binary_search_lessEbEEEE10hipError_tPvRmT1_T2_T3_mmT4_T5_P12ihipStream_tbEUlRKiE_EESR_SV_SW_mSX_S10_bEUlT_E_NS1_11comp_targetILNS1_3genE10ELNS1_11target_archE1201ELNS1_3gpuE5ELNS1_3repE0EEENS1_30default_config_static_selectorELNS0_4arch9wavefront6targetE1EEEvSU_
	.globl	_ZN7rocprim17ROCPRIM_400000_NS6detail17trampoline_kernelINS0_14default_configENS1_29binary_search_config_selectorIiiEEZNS1_14transform_implILb0ES3_S5_N6thrust23THRUST_200600_302600_NS6detail15normal_iteratorINS8_7pointerIiNS8_11hip_rocprim5par_tENS8_11use_defaultESE_EEEESG_ZNS1_13binary_searchIS3_S5_PiSG_SG_NS1_16binary_search_opENS9_16wrapped_functionINS8_6system6detail7generic6detail18binary_search_lessEbEEEE10hipError_tPvRmT1_T2_T3_mmT4_T5_P12ihipStream_tbEUlRKiE_EESR_SV_SW_mSX_S10_bEUlT_E_NS1_11comp_targetILNS1_3genE10ELNS1_11target_archE1201ELNS1_3gpuE5ELNS1_3repE0EEENS1_30default_config_static_selectorELNS0_4arch9wavefront6targetE1EEEvSU_
	.p2align	8
	.type	_ZN7rocprim17ROCPRIM_400000_NS6detail17trampoline_kernelINS0_14default_configENS1_29binary_search_config_selectorIiiEEZNS1_14transform_implILb0ES3_S5_N6thrust23THRUST_200600_302600_NS6detail15normal_iteratorINS8_7pointerIiNS8_11hip_rocprim5par_tENS8_11use_defaultESE_EEEESG_ZNS1_13binary_searchIS3_S5_PiSG_SG_NS1_16binary_search_opENS9_16wrapped_functionINS8_6system6detail7generic6detail18binary_search_lessEbEEEE10hipError_tPvRmT1_T2_T3_mmT4_T5_P12ihipStream_tbEUlRKiE_EESR_SV_SW_mSX_S10_bEUlT_E_NS1_11comp_targetILNS1_3genE10ELNS1_11target_archE1201ELNS1_3gpuE5ELNS1_3repE0EEENS1_30default_config_static_selectorELNS0_4arch9wavefront6targetE1EEEvSU_,@function
_ZN7rocprim17ROCPRIM_400000_NS6detail17trampoline_kernelINS0_14default_configENS1_29binary_search_config_selectorIiiEEZNS1_14transform_implILb0ES3_S5_N6thrust23THRUST_200600_302600_NS6detail15normal_iteratorINS8_7pointerIiNS8_11hip_rocprim5par_tENS8_11use_defaultESE_EEEESG_ZNS1_13binary_searchIS3_S5_PiSG_SG_NS1_16binary_search_opENS9_16wrapped_functionINS8_6system6detail7generic6detail18binary_search_lessEbEEEE10hipError_tPvRmT1_T2_T3_mmT4_T5_P12ihipStream_tbEUlRKiE_EESR_SV_SW_mSX_S10_bEUlT_E_NS1_11comp_targetILNS1_3genE10ELNS1_11target_archE1201ELNS1_3gpuE5ELNS1_3repE0EEENS1_30default_config_static_selectorELNS0_4arch9wavefront6targetE1EEEvSU_: ; @_ZN7rocprim17ROCPRIM_400000_NS6detail17trampoline_kernelINS0_14default_configENS1_29binary_search_config_selectorIiiEEZNS1_14transform_implILb0ES3_S5_N6thrust23THRUST_200600_302600_NS6detail15normal_iteratorINS8_7pointerIiNS8_11hip_rocprim5par_tENS8_11use_defaultESE_EEEESG_ZNS1_13binary_searchIS3_S5_PiSG_SG_NS1_16binary_search_opENS9_16wrapped_functionINS8_6system6detail7generic6detail18binary_search_lessEbEEEE10hipError_tPvRmT1_T2_T3_mmT4_T5_P12ihipStream_tbEUlRKiE_EESR_SV_SW_mSX_S10_bEUlT_E_NS1_11comp_targetILNS1_3genE10ELNS1_11target_archE1201ELNS1_3gpuE5ELNS1_3repE0EEENS1_30default_config_static_selectorELNS0_4arch9wavefront6targetE1EEEvSU_
; %bb.0:
	.section	.rodata,"a",@progbits
	.p2align	6, 0x0
	.amdhsa_kernel _ZN7rocprim17ROCPRIM_400000_NS6detail17trampoline_kernelINS0_14default_configENS1_29binary_search_config_selectorIiiEEZNS1_14transform_implILb0ES3_S5_N6thrust23THRUST_200600_302600_NS6detail15normal_iteratorINS8_7pointerIiNS8_11hip_rocprim5par_tENS8_11use_defaultESE_EEEESG_ZNS1_13binary_searchIS3_S5_PiSG_SG_NS1_16binary_search_opENS9_16wrapped_functionINS8_6system6detail7generic6detail18binary_search_lessEbEEEE10hipError_tPvRmT1_T2_T3_mmT4_T5_P12ihipStream_tbEUlRKiE_EESR_SV_SW_mSX_S10_bEUlT_E_NS1_11comp_targetILNS1_3genE10ELNS1_11target_archE1201ELNS1_3gpuE5ELNS1_3repE0EEENS1_30default_config_static_selectorELNS0_4arch9wavefront6targetE1EEEvSU_
		.amdhsa_group_segment_fixed_size 0
		.amdhsa_private_segment_fixed_size 0
		.amdhsa_kernarg_size 56
		.amdhsa_user_sgpr_count 6
		.amdhsa_user_sgpr_private_segment_buffer 1
		.amdhsa_user_sgpr_dispatch_ptr 0
		.amdhsa_user_sgpr_queue_ptr 0
		.amdhsa_user_sgpr_kernarg_segment_ptr 1
		.amdhsa_user_sgpr_dispatch_id 0
		.amdhsa_user_sgpr_flat_scratch_init 0
		.amdhsa_user_sgpr_private_segment_size 0
		.amdhsa_uses_dynamic_stack 0
		.amdhsa_system_sgpr_private_segment_wavefront_offset 0
		.amdhsa_system_sgpr_workgroup_id_x 1
		.amdhsa_system_sgpr_workgroup_id_y 0
		.amdhsa_system_sgpr_workgroup_id_z 0
		.amdhsa_system_sgpr_workgroup_info 0
		.amdhsa_system_vgpr_workitem_id 0
		.amdhsa_next_free_vgpr 1
		.amdhsa_next_free_sgpr 0
		.amdhsa_reserve_vcc 0
		.amdhsa_reserve_flat_scratch 0
		.amdhsa_float_round_mode_32 0
		.amdhsa_float_round_mode_16_64 0
		.amdhsa_float_denorm_mode_32 3
		.amdhsa_float_denorm_mode_16_64 3
		.amdhsa_dx10_clamp 1
		.amdhsa_ieee_mode 1
		.amdhsa_fp16_overflow 0
		.amdhsa_exception_fp_ieee_invalid_op 0
		.amdhsa_exception_fp_denorm_src 0
		.amdhsa_exception_fp_ieee_div_zero 0
		.amdhsa_exception_fp_ieee_overflow 0
		.amdhsa_exception_fp_ieee_underflow 0
		.amdhsa_exception_fp_ieee_inexact 0
		.amdhsa_exception_int_div_zero 0
	.end_amdhsa_kernel
	.section	.text._ZN7rocprim17ROCPRIM_400000_NS6detail17trampoline_kernelINS0_14default_configENS1_29binary_search_config_selectorIiiEEZNS1_14transform_implILb0ES3_S5_N6thrust23THRUST_200600_302600_NS6detail15normal_iteratorINS8_7pointerIiNS8_11hip_rocprim5par_tENS8_11use_defaultESE_EEEESG_ZNS1_13binary_searchIS3_S5_PiSG_SG_NS1_16binary_search_opENS9_16wrapped_functionINS8_6system6detail7generic6detail18binary_search_lessEbEEEE10hipError_tPvRmT1_T2_T3_mmT4_T5_P12ihipStream_tbEUlRKiE_EESR_SV_SW_mSX_S10_bEUlT_E_NS1_11comp_targetILNS1_3genE10ELNS1_11target_archE1201ELNS1_3gpuE5ELNS1_3repE0EEENS1_30default_config_static_selectorELNS0_4arch9wavefront6targetE1EEEvSU_,"axG",@progbits,_ZN7rocprim17ROCPRIM_400000_NS6detail17trampoline_kernelINS0_14default_configENS1_29binary_search_config_selectorIiiEEZNS1_14transform_implILb0ES3_S5_N6thrust23THRUST_200600_302600_NS6detail15normal_iteratorINS8_7pointerIiNS8_11hip_rocprim5par_tENS8_11use_defaultESE_EEEESG_ZNS1_13binary_searchIS3_S5_PiSG_SG_NS1_16binary_search_opENS9_16wrapped_functionINS8_6system6detail7generic6detail18binary_search_lessEbEEEE10hipError_tPvRmT1_T2_T3_mmT4_T5_P12ihipStream_tbEUlRKiE_EESR_SV_SW_mSX_S10_bEUlT_E_NS1_11comp_targetILNS1_3genE10ELNS1_11target_archE1201ELNS1_3gpuE5ELNS1_3repE0EEENS1_30default_config_static_selectorELNS0_4arch9wavefront6targetE1EEEvSU_,comdat
.Lfunc_end308:
	.size	_ZN7rocprim17ROCPRIM_400000_NS6detail17trampoline_kernelINS0_14default_configENS1_29binary_search_config_selectorIiiEEZNS1_14transform_implILb0ES3_S5_N6thrust23THRUST_200600_302600_NS6detail15normal_iteratorINS8_7pointerIiNS8_11hip_rocprim5par_tENS8_11use_defaultESE_EEEESG_ZNS1_13binary_searchIS3_S5_PiSG_SG_NS1_16binary_search_opENS9_16wrapped_functionINS8_6system6detail7generic6detail18binary_search_lessEbEEEE10hipError_tPvRmT1_T2_T3_mmT4_T5_P12ihipStream_tbEUlRKiE_EESR_SV_SW_mSX_S10_bEUlT_E_NS1_11comp_targetILNS1_3genE10ELNS1_11target_archE1201ELNS1_3gpuE5ELNS1_3repE0EEENS1_30default_config_static_selectorELNS0_4arch9wavefront6targetE1EEEvSU_, .Lfunc_end308-_ZN7rocprim17ROCPRIM_400000_NS6detail17trampoline_kernelINS0_14default_configENS1_29binary_search_config_selectorIiiEEZNS1_14transform_implILb0ES3_S5_N6thrust23THRUST_200600_302600_NS6detail15normal_iteratorINS8_7pointerIiNS8_11hip_rocprim5par_tENS8_11use_defaultESE_EEEESG_ZNS1_13binary_searchIS3_S5_PiSG_SG_NS1_16binary_search_opENS9_16wrapped_functionINS8_6system6detail7generic6detail18binary_search_lessEbEEEE10hipError_tPvRmT1_T2_T3_mmT4_T5_P12ihipStream_tbEUlRKiE_EESR_SV_SW_mSX_S10_bEUlT_E_NS1_11comp_targetILNS1_3genE10ELNS1_11target_archE1201ELNS1_3gpuE5ELNS1_3repE0EEENS1_30default_config_static_selectorELNS0_4arch9wavefront6targetE1EEEvSU_
                                        ; -- End function
	.set _ZN7rocprim17ROCPRIM_400000_NS6detail17trampoline_kernelINS0_14default_configENS1_29binary_search_config_selectorIiiEEZNS1_14transform_implILb0ES3_S5_N6thrust23THRUST_200600_302600_NS6detail15normal_iteratorINS8_7pointerIiNS8_11hip_rocprim5par_tENS8_11use_defaultESE_EEEESG_ZNS1_13binary_searchIS3_S5_PiSG_SG_NS1_16binary_search_opENS9_16wrapped_functionINS8_6system6detail7generic6detail18binary_search_lessEbEEEE10hipError_tPvRmT1_T2_T3_mmT4_T5_P12ihipStream_tbEUlRKiE_EESR_SV_SW_mSX_S10_bEUlT_E_NS1_11comp_targetILNS1_3genE10ELNS1_11target_archE1201ELNS1_3gpuE5ELNS1_3repE0EEENS1_30default_config_static_selectorELNS0_4arch9wavefront6targetE1EEEvSU_.num_vgpr, 0
	.set _ZN7rocprim17ROCPRIM_400000_NS6detail17trampoline_kernelINS0_14default_configENS1_29binary_search_config_selectorIiiEEZNS1_14transform_implILb0ES3_S5_N6thrust23THRUST_200600_302600_NS6detail15normal_iteratorINS8_7pointerIiNS8_11hip_rocprim5par_tENS8_11use_defaultESE_EEEESG_ZNS1_13binary_searchIS3_S5_PiSG_SG_NS1_16binary_search_opENS9_16wrapped_functionINS8_6system6detail7generic6detail18binary_search_lessEbEEEE10hipError_tPvRmT1_T2_T3_mmT4_T5_P12ihipStream_tbEUlRKiE_EESR_SV_SW_mSX_S10_bEUlT_E_NS1_11comp_targetILNS1_3genE10ELNS1_11target_archE1201ELNS1_3gpuE5ELNS1_3repE0EEENS1_30default_config_static_selectorELNS0_4arch9wavefront6targetE1EEEvSU_.num_agpr, 0
	.set _ZN7rocprim17ROCPRIM_400000_NS6detail17trampoline_kernelINS0_14default_configENS1_29binary_search_config_selectorIiiEEZNS1_14transform_implILb0ES3_S5_N6thrust23THRUST_200600_302600_NS6detail15normal_iteratorINS8_7pointerIiNS8_11hip_rocprim5par_tENS8_11use_defaultESE_EEEESG_ZNS1_13binary_searchIS3_S5_PiSG_SG_NS1_16binary_search_opENS9_16wrapped_functionINS8_6system6detail7generic6detail18binary_search_lessEbEEEE10hipError_tPvRmT1_T2_T3_mmT4_T5_P12ihipStream_tbEUlRKiE_EESR_SV_SW_mSX_S10_bEUlT_E_NS1_11comp_targetILNS1_3genE10ELNS1_11target_archE1201ELNS1_3gpuE5ELNS1_3repE0EEENS1_30default_config_static_selectorELNS0_4arch9wavefront6targetE1EEEvSU_.numbered_sgpr, 0
	.set _ZN7rocprim17ROCPRIM_400000_NS6detail17trampoline_kernelINS0_14default_configENS1_29binary_search_config_selectorIiiEEZNS1_14transform_implILb0ES3_S5_N6thrust23THRUST_200600_302600_NS6detail15normal_iteratorINS8_7pointerIiNS8_11hip_rocprim5par_tENS8_11use_defaultESE_EEEESG_ZNS1_13binary_searchIS3_S5_PiSG_SG_NS1_16binary_search_opENS9_16wrapped_functionINS8_6system6detail7generic6detail18binary_search_lessEbEEEE10hipError_tPvRmT1_T2_T3_mmT4_T5_P12ihipStream_tbEUlRKiE_EESR_SV_SW_mSX_S10_bEUlT_E_NS1_11comp_targetILNS1_3genE10ELNS1_11target_archE1201ELNS1_3gpuE5ELNS1_3repE0EEENS1_30default_config_static_selectorELNS0_4arch9wavefront6targetE1EEEvSU_.num_named_barrier, 0
	.set _ZN7rocprim17ROCPRIM_400000_NS6detail17trampoline_kernelINS0_14default_configENS1_29binary_search_config_selectorIiiEEZNS1_14transform_implILb0ES3_S5_N6thrust23THRUST_200600_302600_NS6detail15normal_iteratorINS8_7pointerIiNS8_11hip_rocprim5par_tENS8_11use_defaultESE_EEEESG_ZNS1_13binary_searchIS3_S5_PiSG_SG_NS1_16binary_search_opENS9_16wrapped_functionINS8_6system6detail7generic6detail18binary_search_lessEbEEEE10hipError_tPvRmT1_T2_T3_mmT4_T5_P12ihipStream_tbEUlRKiE_EESR_SV_SW_mSX_S10_bEUlT_E_NS1_11comp_targetILNS1_3genE10ELNS1_11target_archE1201ELNS1_3gpuE5ELNS1_3repE0EEENS1_30default_config_static_selectorELNS0_4arch9wavefront6targetE1EEEvSU_.private_seg_size, 0
	.set _ZN7rocprim17ROCPRIM_400000_NS6detail17trampoline_kernelINS0_14default_configENS1_29binary_search_config_selectorIiiEEZNS1_14transform_implILb0ES3_S5_N6thrust23THRUST_200600_302600_NS6detail15normal_iteratorINS8_7pointerIiNS8_11hip_rocprim5par_tENS8_11use_defaultESE_EEEESG_ZNS1_13binary_searchIS3_S5_PiSG_SG_NS1_16binary_search_opENS9_16wrapped_functionINS8_6system6detail7generic6detail18binary_search_lessEbEEEE10hipError_tPvRmT1_T2_T3_mmT4_T5_P12ihipStream_tbEUlRKiE_EESR_SV_SW_mSX_S10_bEUlT_E_NS1_11comp_targetILNS1_3genE10ELNS1_11target_archE1201ELNS1_3gpuE5ELNS1_3repE0EEENS1_30default_config_static_selectorELNS0_4arch9wavefront6targetE1EEEvSU_.uses_vcc, 0
	.set _ZN7rocprim17ROCPRIM_400000_NS6detail17trampoline_kernelINS0_14default_configENS1_29binary_search_config_selectorIiiEEZNS1_14transform_implILb0ES3_S5_N6thrust23THRUST_200600_302600_NS6detail15normal_iteratorINS8_7pointerIiNS8_11hip_rocprim5par_tENS8_11use_defaultESE_EEEESG_ZNS1_13binary_searchIS3_S5_PiSG_SG_NS1_16binary_search_opENS9_16wrapped_functionINS8_6system6detail7generic6detail18binary_search_lessEbEEEE10hipError_tPvRmT1_T2_T3_mmT4_T5_P12ihipStream_tbEUlRKiE_EESR_SV_SW_mSX_S10_bEUlT_E_NS1_11comp_targetILNS1_3genE10ELNS1_11target_archE1201ELNS1_3gpuE5ELNS1_3repE0EEENS1_30default_config_static_selectorELNS0_4arch9wavefront6targetE1EEEvSU_.uses_flat_scratch, 0
	.set _ZN7rocprim17ROCPRIM_400000_NS6detail17trampoline_kernelINS0_14default_configENS1_29binary_search_config_selectorIiiEEZNS1_14transform_implILb0ES3_S5_N6thrust23THRUST_200600_302600_NS6detail15normal_iteratorINS8_7pointerIiNS8_11hip_rocprim5par_tENS8_11use_defaultESE_EEEESG_ZNS1_13binary_searchIS3_S5_PiSG_SG_NS1_16binary_search_opENS9_16wrapped_functionINS8_6system6detail7generic6detail18binary_search_lessEbEEEE10hipError_tPvRmT1_T2_T3_mmT4_T5_P12ihipStream_tbEUlRKiE_EESR_SV_SW_mSX_S10_bEUlT_E_NS1_11comp_targetILNS1_3genE10ELNS1_11target_archE1201ELNS1_3gpuE5ELNS1_3repE0EEENS1_30default_config_static_selectorELNS0_4arch9wavefront6targetE1EEEvSU_.has_dyn_sized_stack, 0
	.set _ZN7rocprim17ROCPRIM_400000_NS6detail17trampoline_kernelINS0_14default_configENS1_29binary_search_config_selectorIiiEEZNS1_14transform_implILb0ES3_S5_N6thrust23THRUST_200600_302600_NS6detail15normal_iteratorINS8_7pointerIiNS8_11hip_rocprim5par_tENS8_11use_defaultESE_EEEESG_ZNS1_13binary_searchIS3_S5_PiSG_SG_NS1_16binary_search_opENS9_16wrapped_functionINS8_6system6detail7generic6detail18binary_search_lessEbEEEE10hipError_tPvRmT1_T2_T3_mmT4_T5_P12ihipStream_tbEUlRKiE_EESR_SV_SW_mSX_S10_bEUlT_E_NS1_11comp_targetILNS1_3genE10ELNS1_11target_archE1201ELNS1_3gpuE5ELNS1_3repE0EEENS1_30default_config_static_selectorELNS0_4arch9wavefront6targetE1EEEvSU_.has_recursion, 0
	.set _ZN7rocprim17ROCPRIM_400000_NS6detail17trampoline_kernelINS0_14default_configENS1_29binary_search_config_selectorIiiEEZNS1_14transform_implILb0ES3_S5_N6thrust23THRUST_200600_302600_NS6detail15normal_iteratorINS8_7pointerIiNS8_11hip_rocprim5par_tENS8_11use_defaultESE_EEEESG_ZNS1_13binary_searchIS3_S5_PiSG_SG_NS1_16binary_search_opENS9_16wrapped_functionINS8_6system6detail7generic6detail18binary_search_lessEbEEEE10hipError_tPvRmT1_T2_T3_mmT4_T5_P12ihipStream_tbEUlRKiE_EESR_SV_SW_mSX_S10_bEUlT_E_NS1_11comp_targetILNS1_3genE10ELNS1_11target_archE1201ELNS1_3gpuE5ELNS1_3repE0EEENS1_30default_config_static_selectorELNS0_4arch9wavefront6targetE1EEEvSU_.has_indirect_call, 0
	.section	.AMDGPU.csdata,"",@progbits
; Kernel info:
; codeLenInByte = 0
; TotalNumSgprs: 4
; NumVgprs: 0
; ScratchSize: 0
; MemoryBound: 0
; FloatMode: 240
; IeeeMode: 1
; LDSByteSize: 0 bytes/workgroup (compile time only)
; SGPRBlocks: 0
; VGPRBlocks: 0
; NumSGPRsForWavesPerEU: 4
; NumVGPRsForWavesPerEU: 1
; Occupancy: 10
; WaveLimiterHint : 0
; COMPUTE_PGM_RSRC2:SCRATCH_EN: 0
; COMPUTE_PGM_RSRC2:USER_SGPR: 6
; COMPUTE_PGM_RSRC2:TRAP_HANDLER: 0
; COMPUTE_PGM_RSRC2:TGID_X_EN: 1
; COMPUTE_PGM_RSRC2:TGID_Y_EN: 0
; COMPUTE_PGM_RSRC2:TGID_Z_EN: 0
; COMPUTE_PGM_RSRC2:TIDIG_COMP_CNT: 0
	.section	.text._ZN7rocprim17ROCPRIM_400000_NS6detail17trampoline_kernelINS0_14default_configENS1_29binary_search_config_selectorIiiEEZNS1_14transform_implILb0ES3_S5_N6thrust23THRUST_200600_302600_NS6detail15normal_iteratorINS8_7pointerIiNS8_11hip_rocprim5par_tENS8_11use_defaultESE_EEEESG_ZNS1_13binary_searchIS3_S5_PiSG_SG_NS1_16binary_search_opENS9_16wrapped_functionINS8_6system6detail7generic6detail18binary_search_lessEbEEEE10hipError_tPvRmT1_T2_T3_mmT4_T5_P12ihipStream_tbEUlRKiE_EESR_SV_SW_mSX_S10_bEUlT_E_NS1_11comp_targetILNS1_3genE10ELNS1_11target_archE1200ELNS1_3gpuE4ELNS1_3repE0EEENS1_30default_config_static_selectorELNS0_4arch9wavefront6targetE1EEEvSU_,"axG",@progbits,_ZN7rocprim17ROCPRIM_400000_NS6detail17trampoline_kernelINS0_14default_configENS1_29binary_search_config_selectorIiiEEZNS1_14transform_implILb0ES3_S5_N6thrust23THRUST_200600_302600_NS6detail15normal_iteratorINS8_7pointerIiNS8_11hip_rocprim5par_tENS8_11use_defaultESE_EEEESG_ZNS1_13binary_searchIS3_S5_PiSG_SG_NS1_16binary_search_opENS9_16wrapped_functionINS8_6system6detail7generic6detail18binary_search_lessEbEEEE10hipError_tPvRmT1_T2_T3_mmT4_T5_P12ihipStream_tbEUlRKiE_EESR_SV_SW_mSX_S10_bEUlT_E_NS1_11comp_targetILNS1_3genE10ELNS1_11target_archE1200ELNS1_3gpuE4ELNS1_3repE0EEENS1_30default_config_static_selectorELNS0_4arch9wavefront6targetE1EEEvSU_,comdat
	.protected	_ZN7rocprim17ROCPRIM_400000_NS6detail17trampoline_kernelINS0_14default_configENS1_29binary_search_config_selectorIiiEEZNS1_14transform_implILb0ES3_S5_N6thrust23THRUST_200600_302600_NS6detail15normal_iteratorINS8_7pointerIiNS8_11hip_rocprim5par_tENS8_11use_defaultESE_EEEESG_ZNS1_13binary_searchIS3_S5_PiSG_SG_NS1_16binary_search_opENS9_16wrapped_functionINS8_6system6detail7generic6detail18binary_search_lessEbEEEE10hipError_tPvRmT1_T2_T3_mmT4_T5_P12ihipStream_tbEUlRKiE_EESR_SV_SW_mSX_S10_bEUlT_E_NS1_11comp_targetILNS1_3genE10ELNS1_11target_archE1200ELNS1_3gpuE4ELNS1_3repE0EEENS1_30default_config_static_selectorELNS0_4arch9wavefront6targetE1EEEvSU_ ; -- Begin function _ZN7rocprim17ROCPRIM_400000_NS6detail17trampoline_kernelINS0_14default_configENS1_29binary_search_config_selectorIiiEEZNS1_14transform_implILb0ES3_S5_N6thrust23THRUST_200600_302600_NS6detail15normal_iteratorINS8_7pointerIiNS8_11hip_rocprim5par_tENS8_11use_defaultESE_EEEESG_ZNS1_13binary_searchIS3_S5_PiSG_SG_NS1_16binary_search_opENS9_16wrapped_functionINS8_6system6detail7generic6detail18binary_search_lessEbEEEE10hipError_tPvRmT1_T2_T3_mmT4_T5_P12ihipStream_tbEUlRKiE_EESR_SV_SW_mSX_S10_bEUlT_E_NS1_11comp_targetILNS1_3genE10ELNS1_11target_archE1200ELNS1_3gpuE4ELNS1_3repE0EEENS1_30default_config_static_selectorELNS0_4arch9wavefront6targetE1EEEvSU_
	.globl	_ZN7rocprim17ROCPRIM_400000_NS6detail17trampoline_kernelINS0_14default_configENS1_29binary_search_config_selectorIiiEEZNS1_14transform_implILb0ES3_S5_N6thrust23THRUST_200600_302600_NS6detail15normal_iteratorINS8_7pointerIiNS8_11hip_rocprim5par_tENS8_11use_defaultESE_EEEESG_ZNS1_13binary_searchIS3_S5_PiSG_SG_NS1_16binary_search_opENS9_16wrapped_functionINS8_6system6detail7generic6detail18binary_search_lessEbEEEE10hipError_tPvRmT1_T2_T3_mmT4_T5_P12ihipStream_tbEUlRKiE_EESR_SV_SW_mSX_S10_bEUlT_E_NS1_11comp_targetILNS1_3genE10ELNS1_11target_archE1200ELNS1_3gpuE4ELNS1_3repE0EEENS1_30default_config_static_selectorELNS0_4arch9wavefront6targetE1EEEvSU_
	.p2align	8
	.type	_ZN7rocprim17ROCPRIM_400000_NS6detail17trampoline_kernelINS0_14default_configENS1_29binary_search_config_selectorIiiEEZNS1_14transform_implILb0ES3_S5_N6thrust23THRUST_200600_302600_NS6detail15normal_iteratorINS8_7pointerIiNS8_11hip_rocprim5par_tENS8_11use_defaultESE_EEEESG_ZNS1_13binary_searchIS3_S5_PiSG_SG_NS1_16binary_search_opENS9_16wrapped_functionINS8_6system6detail7generic6detail18binary_search_lessEbEEEE10hipError_tPvRmT1_T2_T3_mmT4_T5_P12ihipStream_tbEUlRKiE_EESR_SV_SW_mSX_S10_bEUlT_E_NS1_11comp_targetILNS1_3genE10ELNS1_11target_archE1200ELNS1_3gpuE4ELNS1_3repE0EEENS1_30default_config_static_selectorELNS0_4arch9wavefront6targetE1EEEvSU_,@function
_ZN7rocprim17ROCPRIM_400000_NS6detail17trampoline_kernelINS0_14default_configENS1_29binary_search_config_selectorIiiEEZNS1_14transform_implILb0ES3_S5_N6thrust23THRUST_200600_302600_NS6detail15normal_iteratorINS8_7pointerIiNS8_11hip_rocprim5par_tENS8_11use_defaultESE_EEEESG_ZNS1_13binary_searchIS3_S5_PiSG_SG_NS1_16binary_search_opENS9_16wrapped_functionINS8_6system6detail7generic6detail18binary_search_lessEbEEEE10hipError_tPvRmT1_T2_T3_mmT4_T5_P12ihipStream_tbEUlRKiE_EESR_SV_SW_mSX_S10_bEUlT_E_NS1_11comp_targetILNS1_3genE10ELNS1_11target_archE1200ELNS1_3gpuE4ELNS1_3repE0EEENS1_30default_config_static_selectorELNS0_4arch9wavefront6targetE1EEEvSU_: ; @_ZN7rocprim17ROCPRIM_400000_NS6detail17trampoline_kernelINS0_14default_configENS1_29binary_search_config_selectorIiiEEZNS1_14transform_implILb0ES3_S5_N6thrust23THRUST_200600_302600_NS6detail15normal_iteratorINS8_7pointerIiNS8_11hip_rocprim5par_tENS8_11use_defaultESE_EEEESG_ZNS1_13binary_searchIS3_S5_PiSG_SG_NS1_16binary_search_opENS9_16wrapped_functionINS8_6system6detail7generic6detail18binary_search_lessEbEEEE10hipError_tPvRmT1_T2_T3_mmT4_T5_P12ihipStream_tbEUlRKiE_EESR_SV_SW_mSX_S10_bEUlT_E_NS1_11comp_targetILNS1_3genE10ELNS1_11target_archE1200ELNS1_3gpuE4ELNS1_3repE0EEENS1_30default_config_static_selectorELNS0_4arch9wavefront6targetE1EEEvSU_
; %bb.0:
	.section	.rodata,"a",@progbits
	.p2align	6, 0x0
	.amdhsa_kernel _ZN7rocprim17ROCPRIM_400000_NS6detail17trampoline_kernelINS0_14default_configENS1_29binary_search_config_selectorIiiEEZNS1_14transform_implILb0ES3_S5_N6thrust23THRUST_200600_302600_NS6detail15normal_iteratorINS8_7pointerIiNS8_11hip_rocprim5par_tENS8_11use_defaultESE_EEEESG_ZNS1_13binary_searchIS3_S5_PiSG_SG_NS1_16binary_search_opENS9_16wrapped_functionINS8_6system6detail7generic6detail18binary_search_lessEbEEEE10hipError_tPvRmT1_T2_T3_mmT4_T5_P12ihipStream_tbEUlRKiE_EESR_SV_SW_mSX_S10_bEUlT_E_NS1_11comp_targetILNS1_3genE10ELNS1_11target_archE1200ELNS1_3gpuE4ELNS1_3repE0EEENS1_30default_config_static_selectorELNS0_4arch9wavefront6targetE1EEEvSU_
		.amdhsa_group_segment_fixed_size 0
		.amdhsa_private_segment_fixed_size 0
		.amdhsa_kernarg_size 56
		.amdhsa_user_sgpr_count 6
		.amdhsa_user_sgpr_private_segment_buffer 1
		.amdhsa_user_sgpr_dispatch_ptr 0
		.amdhsa_user_sgpr_queue_ptr 0
		.amdhsa_user_sgpr_kernarg_segment_ptr 1
		.amdhsa_user_sgpr_dispatch_id 0
		.amdhsa_user_sgpr_flat_scratch_init 0
		.amdhsa_user_sgpr_private_segment_size 0
		.amdhsa_uses_dynamic_stack 0
		.amdhsa_system_sgpr_private_segment_wavefront_offset 0
		.amdhsa_system_sgpr_workgroup_id_x 1
		.amdhsa_system_sgpr_workgroup_id_y 0
		.amdhsa_system_sgpr_workgroup_id_z 0
		.amdhsa_system_sgpr_workgroup_info 0
		.amdhsa_system_vgpr_workitem_id 0
		.amdhsa_next_free_vgpr 1
		.amdhsa_next_free_sgpr 0
		.amdhsa_reserve_vcc 0
		.amdhsa_reserve_flat_scratch 0
		.amdhsa_float_round_mode_32 0
		.amdhsa_float_round_mode_16_64 0
		.amdhsa_float_denorm_mode_32 3
		.amdhsa_float_denorm_mode_16_64 3
		.amdhsa_dx10_clamp 1
		.amdhsa_ieee_mode 1
		.amdhsa_fp16_overflow 0
		.amdhsa_exception_fp_ieee_invalid_op 0
		.amdhsa_exception_fp_denorm_src 0
		.amdhsa_exception_fp_ieee_div_zero 0
		.amdhsa_exception_fp_ieee_overflow 0
		.amdhsa_exception_fp_ieee_underflow 0
		.amdhsa_exception_fp_ieee_inexact 0
		.amdhsa_exception_int_div_zero 0
	.end_amdhsa_kernel
	.section	.text._ZN7rocprim17ROCPRIM_400000_NS6detail17trampoline_kernelINS0_14default_configENS1_29binary_search_config_selectorIiiEEZNS1_14transform_implILb0ES3_S5_N6thrust23THRUST_200600_302600_NS6detail15normal_iteratorINS8_7pointerIiNS8_11hip_rocprim5par_tENS8_11use_defaultESE_EEEESG_ZNS1_13binary_searchIS3_S5_PiSG_SG_NS1_16binary_search_opENS9_16wrapped_functionINS8_6system6detail7generic6detail18binary_search_lessEbEEEE10hipError_tPvRmT1_T2_T3_mmT4_T5_P12ihipStream_tbEUlRKiE_EESR_SV_SW_mSX_S10_bEUlT_E_NS1_11comp_targetILNS1_3genE10ELNS1_11target_archE1200ELNS1_3gpuE4ELNS1_3repE0EEENS1_30default_config_static_selectorELNS0_4arch9wavefront6targetE1EEEvSU_,"axG",@progbits,_ZN7rocprim17ROCPRIM_400000_NS6detail17trampoline_kernelINS0_14default_configENS1_29binary_search_config_selectorIiiEEZNS1_14transform_implILb0ES3_S5_N6thrust23THRUST_200600_302600_NS6detail15normal_iteratorINS8_7pointerIiNS8_11hip_rocprim5par_tENS8_11use_defaultESE_EEEESG_ZNS1_13binary_searchIS3_S5_PiSG_SG_NS1_16binary_search_opENS9_16wrapped_functionINS8_6system6detail7generic6detail18binary_search_lessEbEEEE10hipError_tPvRmT1_T2_T3_mmT4_T5_P12ihipStream_tbEUlRKiE_EESR_SV_SW_mSX_S10_bEUlT_E_NS1_11comp_targetILNS1_3genE10ELNS1_11target_archE1200ELNS1_3gpuE4ELNS1_3repE0EEENS1_30default_config_static_selectorELNS0_4arch9wavefront6targetE1EEEvSU_,comdat
.Lfunc_end309:
	.size	_ZN7rocprim17ROCPRIM_400000_NS6detail17trampoline_kernelINS0_14default_configENS1_29binary_search_config_selectorIiiEEZNS1_14transform_implILb0ES3_S5_N6thrust23THRUST_200600_302600_NS6detail15normal_iteratorINS8_7pointerIiNS8_11hip_rocprim5par_tENS8_11use_defaultESE_EEEESG_ZNS1_13binary_searchIS3_S5_PiSG_SG_NS1_16binary_search_opENS9_16wrapped_functionINS8_6system6detail7generic6detail18binary_search_lessEbEEEE10hipError_tPvRmT1_T2_T3_mmT4_T5_P12ihipStream_tbEUlRKiE_EESR_SV_SW_mSX_S10_bEUlT_E_NS1_11comp_targetILNS1_3genE10ELNS1_11target_archE1200ELNS1_3gpuE4ELNS1_3repE0EEENS1_30default_config_static_selectorELNS0_4arch9wavefront6targetE1EEEvSU_, .Lfunc_end309-_ZN7rocprim17ROCPRIM_400000_NS6detail17trampoline_kernelINS0_14default_configENS1_29binary_search_config_selectorIiiEEZNS1_14transform_implILb0ES3_S5_N6thrust23THRUST_200600_302600_NS6detail15normal_iteratorINS8_7pointerIiNS8_11hip_rocprim5par_tENS8_11use_defaultESE_EEEESG_ZNS1_13binary_searchIS3_S5_PiSG_SG_NS1_16binary_search_opENS9_16wrapped_functionINS8_6system6detail7generic6detail18binary_search_lessEbEEEE10hipError_tPvRmT1_T2_T3_mmT4_T5_P12ihipStream_tbEUlRKiE_EESR_SV_SW_mSX_S10_bEUlT_E_NS1_11comp_targetILNS1_3genE10ELNS1_11target_archE1200ELNS1_3gpuE4ELNS1_3repE0EEENS1_30default_config_static_selectorELNS0_4arch9wavefront6targetE1EEEvSU_
                                        ; -- End function
	.set _ZN7rocprim17ROCPRIM_400000_NS6detail17trampoline_kernelINS0_14default_configENS1_29binary_search_config_selectorIiiEEZNS1_14transform_implILb0ES3_S5_N6thrust23THRUST_200600_302600_NS6detail15normal_iteratorINS8_7pointerIiNS8_11hip_rocprim5par_tENS8_11use_defaultESE_EEEESG_ZNS1_13binary_searchIS3_S5_PiSG_SG_NS1_16binary_search_opENS9_16wrapped_functionINS8_6system6detail7generic6detail18binary_search_lessEbEEEE10hipError_tPvRmT1_T2_T3_mmT4_T5_P12ihipStream_tbEUlRKiE_EESR_SV_SW_mSX_S10_bEUlT_E_NS1_11comp_targetILNS1_3genE10ELNS1_11target_archE1200ELNS1_3gpuE4ELNS1_3repE0EEENS1_30default_config_static_selectorELNS0_4arch9wavefront6targetE1EEEvSU_.num_vgpr, 0
	.set _ZN7rocprim17ROCPRIM_400000_NS6detail17trampoline_kernelINS0_14default_configENS1_29binary_search_config_selectorIiiEEZNS1_14transform_implILb0ES3_S5_N6thrust23THRUST_200600_302600_NS6detail15normal_iteratorINS8_7pointerIiNS8_11hip_rocprim5par_tENS8_11use_defaultESE_EEEESG_ZNS1_13binary_searchIS3_S5_PiSG_SG_NS1_16binary_search_opENS9_16wrapped_functionINS8_6system6detail7generic6detail18binary_search_lessEbEEEE10hipError_tPvRmT1_T2_T3_mmT4_T5_P12ihipStream_tbEUlRKiE_EESR_SV_SW_mSX_S10_bEUlT_E_NS1_11comp_targetILNS1_3genE10ELNS1_11target_archE1200ELNS1_3gpuE4ELNS1_3repE0EEENS1_30default_config_static_selectorELNS0_4arch9wavefront6targetE1EEEvSU_.num_agpr, 0
	.set _ZN7rocprim17ROCPRIM_400000_NS6detail17trampoline_kernelINS0_14default_configENS1_29binary_search_config_selectorIiiEEZNS1_14transform_implILb0ES3_S5_N6thrust23THRUST_200600_302600_NS6detail15normal_iteratorINS8_7pointerIiNS8_11hip_rocprim5par_tENS8_11use_defaultESE_EEEESG_ZNS1_13binary_searchIS3_S5_PiSG_SG_NS1_16binary_search_opENS9_16wrapped_functionINS8_6system6detail7generic6detail18binary_search_lessEbEEEE10hipError_tPvRmT1_T2_T3_mmT4_T5_P12ihipStream_tbEUlRKiE_EESR_SV_SW_mSX_S10_bEUlT_E_NS1_11comp_targetILNS1_3genE10ELNS1_11target_archE1200ELNS1_3gpuE4ELNS1_3repE0EEENS1_30default_config_static_selectorELNS0_4arch9wavefront6targetE1EEEvSU_.numbered_sgpr, 0
	.set _ZN7rocprim17ROCPRIM_400000_NS6detail17trampoline_kernelINS0_14default_configENS1_29binary_search_config_selectorIiiEEZNS1_14transform_implILb0ES3_S5_N6thrust23THRUST_200600_302600_NS6detail15normal_iteratorINS8_7pointerIiNS8_11hip_rocprim5par_tENS8_11use_defaultESE_EEEESG_ZNS1_13binary_searchIS3_S5_PiSG_SG_NS1_16binary_search_opENS9_16wrapped_functionINS8_6system6detail7generic6detail18binary_search_lessEbEEEE10hipError_tPvRmT1_T2_T3_mmT4_T5_P12ihipStream_tbEUlRKiE_EESR_SV_SW_mSX_S10_bEUlT_E_NS1_11comp_targetILNS1_3genE10ELNS1_11target_archE1200ELNS1_3gpuE4ELNS1_3repE0EEENS1_30default_config_static_selectorELNS0_4arch9wavefront6targetE1EEEvSU_.num_named_barrier, 0
	.set _ZN7rocprim17ROCPRIM_400000_NS6detail17trampoline_kernelINS0_14default_configENS1_29binary_search_config_selectorIiiEEZNS1_14transform_implILb0ES3_S5_N6thrust23THRUST_200600_302600_NS6detail15normal_iteratorINS8_7pointerIiNS8_11hip_rocprim5par_tENS8_11use_defaultESE_EEEESG_ZNS1_13binary_searchIS3_S5_PiSG_SG_NS1_16binary_search_opENS9_16wrapped_functionINS8_6system6detail7generic6detail18binary_search_lessEbEEEE10hipError_tPvRmT1_T2_T3_mmT4_T5_P12ihipStream_tbEUlRKiE_EESR_SV_SW_mSX_S10_bEUlT_E_NS1_11comp_targetILNS1_3genE10ELNS1_11target_archE1200ELNS1_3gpuE4ELNS1_3repE0EEENS1_30default_config_static_selectorELNS0_4arch9wavefront6targetE1EEEvSU_.private_seg_size, 0
	.set _ZN7rocprim17ROCPRIM_400000_NS6detail17trampoline_kernelINS0_14default_configENS1_29binary_search_config_selectorIiiEEZNS1_14transform_implILb0ES3_S5_N6thrust23THRUST_200600_302600_NS6detail15normal_iteratorINS8_7pointerIiNS8_11hip_rocprim5par_tENS8_11use_defaultESE_EEEESG_ZNS1_13binary_searchIS3_S5_PiSG_SG_NS1_16binary_search_opENS9_16wrapped_functionINS8_6system6detail7generic6detail18binary_search_lessEbEEEE10hipError_tPvRmT1_T2_T3_mmT4_T5_P12ihipStream_tbEUlRKiE_EESR_SV_SW_mSX_S10_bEUlT_E_NS1_11comp_targetILNS1_3genE10ELNS1_11target_archE1200ELNS1_3gpuE4ELNS1_3repE0EEENS1_30default_config_static_selectorELNS0_4arch9wavefront6targetE1EEEvSU_.uses_vcc, 0
	.set _ZN7rocprim17ROCPRIM_400000_NS6detail17trampoline_kernelINS0_14default_configENS1_29binary_search_config_selectorIiiEEZNS1_14transform_implILb0ES3_S5_N6thrust23THRUST_200600_302600_NS6detail15normal_iteratorINS8_7pointerIiNS8_11hip_rocprim5par_tENS8_11use_defaultESE_EEEESG_ZNS1_13binary_searchIS3_S5_PiSG_SG_NS1_16binary_search_opENS9_16wrapped_functionINS8_6system6detail7generic6detail18binary_search_lessEbEEEE10hipError_tPvRmT1_T2_T3_mmT4_T5_P12ihipStream_tbEUlRKiE_EESR_SV_SW_mSX_S10_bEUlT_E_NS1_11comp_targetILNS1_3genE10ELNS1_11target_archE1200ELNS1_3gpuE4ELNS1_3repE0EEENS1_30default_config_static_selectorELNS0_4arch9wavefront6targetE1EEEvSU_.uses_flat_scratch, 0
	.set _ZN7rocprim17ROCPRIM_400000_NS6detail17trampoline_kernelINS0_14default_configENS1_29binary_search_config_selectorIiiEEZNS1_14transform_implILb0ES3_S5_N6thrust23THRUST_200600_302600_NS6detail15normal_iteratorINS8_7pointerIiNS8_11hip_rocprim5par_tENS8_11use_defaultESE_EEEESG_ZNS1_13binary_searchIS3_S5_PiSG_SG_NS1_16binary_search_opENS9_16wrapped_functionINS8_6system6detail7generic6detail18binary_search_lessEbEEEE10hipError_tPvRmT1_T2_T3_mmT4_T5_P12ihipStream_tbEUlRKiE_EESR_SV_SW_mSX_S10_bEUlT_E_NS1_11comp_targetILNS1_3genE10ELNS1_11target_archE1200ELNS1_3gpuE4ELNS1_3repE0EEENS1_30default_config_static_selectorELNS0_4arch9wavefront6targetE1EEEvSU_.has_dyn_sized_stack, 0
	.set _ZN7rocprim17ROCPRIM_400000_NS6detail17trampoline_kernelINS0_14default_configENS1_29binary_search_config_selectorIiiEEZNS1_14transform_implILb0ES3_S5_N6thrust23THRUST_200600_302600_NS6detail15normal_iteratorINS8_7pointerIiNS8_11hip_rocprim5par_tENS8_11use_defaultESE_EEEESG_ZNS1_13binary_searchIS3_S5_PiSG_SG_NS1_16binary_search_opENS9_16wrapped_functionINS8_6system6detail7generic6detail18binary_search_lessEbEEEE10hipError_tPvRmT1_T2_T3_mmT4_T5_P12ihipStream_tbEUlRKiE_EESR_SV_SW_mSX_S10_bEUlT_E_NS1_11comp_targetILNS1_3genE10ELNS1_11target_archE1200ELNS1_3gpuE4ELNS1_3repE0EEENS1_30default_config_static_selectorELNS0_4arch9wavefront6targetE1EEEvSU_.has_recursion, 0
	.set _ZN7rocprim17ROCPRIM_400000_NS6detail17trampoline_kernelINS0_14default_configENS1_29binary_search_config_selectorIiiEEZNS1_14transform_implILb0ES3_S5_N6thrust23THRUST_200600_302600_NS6detail15normal_iteratorINS8_7pointerIiNS8_11hip_rocprim5par_tENS8_11use_defaultESE_EEEESG_ZNS1_13binary_searchIS3_S5_PiSG_SG_NS1_16binary_search_opENS9_16wrapped_functionINS8_6system6detail7generic6detail18binary_search_lessEbEEEE10hipError_tPvRmT1_T2_T3_mmT4_T5_P12ihipStream_tbEUlRKiE_EESR_SV_SW_mSX_S10_bEUlT_E_NS1_11comp_targetILNS1_3genE10ELNS1_11target_archE1200ELNS1_3gpuE4ELNS1_3repE0EEENS1_30default_config_static_selectorELNS0_4arch9wavefront6targetE1EEEvSU_.has_indirect_call, 0
	.section	.AMDGPU.csdata,"",@progbits
; Kernel info:
; codeLenInByte = 0
; TotalNumSgprs: 4
; NumVgprs: 0
; ScratchSize: 0
; MemoryBound: 0
; FloatMode: 240
; IeeeMode: 1
; LDSByteSize: 0 bytes/workgroup (compile time only)
; SGPRBlocks: 0
; VGPRBlocks: 0
; NumSGPRsForWavesPerEU: 4
; NumVGPRsForWavesPerEU: 1
; Occupancy: 10
; WaveLimiterHint : 0
; COMPUTE_PGM_RSRC2:SCRATCH_EN: 0
; COMPUTE_PGM_RSRC2:USER_SGPR: 6
; COMPUTE_PGM_RSRC2:TRAP_HANDLER: 0
; COMPUTE_PGM_RSRC2:TGID_X_EN: 1
; COMPUTE_PGM_RSRC2:TGID_Y_EN: 0
; COMPUTE_PGM_RSRC2:TGID_Z_EN: 0
; COMPUTE_PGM_RSRC2:TIDIG_COMP_CNT: 0
	.section	.text._ZN7rocprim17ROCPRIM_400000_NS6detail17trampoline_kernelINS0_14default_configENS1_29binary_search_config_selectorIiiEEZNS1_14transform_implILb0ES3_S5_N6thrust23THRUST_200600_302600_NS6detail15normal_iteratorINS8_7pointerIiNS8_11hip_rocprim5par_tENS8_11use_defaultESE_EEEESG_ZNS1_13binary_searchIS3_S5_PiSG_SG_NS1_16binary_search_opENS9_16wrapped_functionINS8_6system6detail7generic6detail18binary_search_lessEbEEEE10hipError_tPvRmT1_T2_T3_mmT4_T5_P12ihipStream_tbEUlRKiE_EESR_SV_SW_mSX_S10_bEUlT_E_NS1_11comp_targetILNS1_3genE9ELNS1_11target_archE1100ELNS1_3gpuE3ELNS1_3repE0EEENS1_30default_config_static_selectorELNS0_4arch9wavefront6targetE1EEEvSU_,"axG",@progbits,_ZN7rocprim17ROCPRIM_400000_NS6detail17trampoline_kernelINS0_14default_configENS1_29binary_search_config_selectorIiiEEZNS1_14transform_implILb0ES3_S5_N6thrust23THRUST_200600_302600_NS6detail15normal_iteratorINS8_7pointerIiNS8_11hip_rocprim5par_tENS8_11use_defaultESE_EEEESG_ZNS1_13binary_searchIS3_S5_PiSG_SG_NS1_16binary_search_opENS9_16wrapped_functionINS8_6system6detail7generic6detail18binary_search_lessEbEEEE10hipError_tPvRmT1_T2_T3_mmT4_T5_P12ihipStream_tbEUlRKiE_EESR_SV_SW_mSX_S10_bEUlT_E_NS1_11comp_targetILNS1_3genE9ELNS1_11target_archE1100ELNS1_3gpuE3ELNS1_3repE0EEENS1_30default_config_static_selectorELNS0_4arch9wavefront6targetE1EEEvSU_,comdat
	.protected	_ZN7rocprim17ROCPRIM_400000_NS6detail17trampoline_kernelINS0_14default_configENS1_29binary_search_config_selectorIiiEEZNS1_14transform_implILb0ES3_S5_N6thrust23THRUST_200600_302600_NS6detail15normal_iteratorINS8_7pointerIiNS8_11hip_rocprim5par_tENS8_11use_defaultESE_EEEESG_ZNS1_13binary_searchIS3_S5_PiSG_SG_NS1_16binary_search_opENS9_16wrapped_functionINS8_6system6detail7generic6detail18binary_search_lessEbEEEE10hipError_tPvRmT1_T2_T3_mmT4_T5_P12ihipStream_tbEUlRKiE_EESR_SV_SW_mSX_S10_bEUlT_E_NS1_11comp_targetILNS1_3genE9ELNS1_11target_archE1100ELNS1_3gpuE3ELNS1_3repE0EEENS1_30default_config_static_selectorELNS0_4arch9wavefront6targetE1EEEvSU_ ; -- Begin function _ZN7rocprim17ROCPRIM_400000_NS6detail17trampoline_kernelINS0_14default_configENS1_29binary_search_config_selectorIiiEEZNS1_14transform_implILb0ES3_S5_N6thrust23THRUST_200600_302600_NS6detail15normal_iteratorINS8_7pointerIiNS8_11hip_rocprim5par_tENS8_11use_defaultESE_EEEESG_ZNS1_13binary_searchIS3_S5_PiSG_SG_NS1_16binary_search_opENS9_16wrapped_functionINS8_6system6detail7generic6detail18binary_search_lessEbEEEE10hipError_tPvRmT1_T2_T3_mmT4_T5_P12ihipStream_tbEUlRKiE_EESR_SV_SW_mSX_S10_bEUlT_E_NS1_11comp_targetILNS1_3genE9ELNS1_11target_archE1100ELNS1_3gpuE3ELNS1_3repE0EEENS1_30default_config_static_selectorELNS0_4arch9wavefront6targetE1EEEvSU_
	.globl	_ZN7rocprim17ROCPRIM_400000_NS6detail17trampoline_kernelINS0_14default_configENS1_29binary_search_config_selectorIiiEEZNS1_14transform_implILb0ES3_S5_N6thrust23THRUST_200600_302600_NS6detail15normal_iteratorINS8_7pointerIiNS8_11hip_rocprim5par_tENS8_11use_defaultESE_EEEESG_ZNS1_13binary_searchIS3_S5_PiSG_SG_NS1_16binary_search_opENS9_16wrapped_functionINS8_6system6detail7generic6detail18binary_search_lessEbEEEE10hipError_tPvRmT1_T2_T3_mmT4_T5_P12ihipStream_tbEUlRKiE_EESR_SV_SW_mSX_S10_bEUlT_E_NS1_11comp_targetILNS1_3genE9ELNS1_11target_archE1100ELNS1_3gpuE3ELNS1_3repE0EEENS1_30default_config_static_selectorELNS0_4arch9wavefront6targetE1EEEvSU_
	.p2align	8
	.type	_ZN7rocprim17ROCPRIM_400000_NS6detail17trampoline_kernelINS0_14default_configENS1_29binary_search_config_selectorIiiEEZNS1_14transform_implILb0ES3_S5_N6thrust23THRUST_200600_302600_NS6detail15normal_iteratorINS8_7pointerIiNS8_11hip_rocprim5par_tENS8_11use_defaultESE_EEEESG_ZNS1_13binary_searchIS3_S5_PiSG_SG_NS1_16binary_search_opENS9_16wrapped_functionINS8_6system6detail7generic6detail18binary_search_lessEbEEEE10hipError_tPvRmT1_T2_T3_mmT4_T5_P12ihipStream_tbEUlRKiE_EESR_SV_SW_mSX_S10_bEUlT_E_NS1_11comp_targetILNS1_3genE9ELNS1_11target_archE1100ELNS1_3gpuE3ELNS1_3repE0EEENS1_30default_config_static_selectorELNS0_4arch9wavefront6targetE1EEEvSU_,@function
_ZN7rocprim17ROCPRIM_400000_NS6detail17trampoline_kernelINS0_14default_configENS1_29binary_search_config_selectorIiiEEZNS1_14transform_implILb0ES3_S5_N6thrust23THRUST_200600_302600_NS6detail15normal_iteratorINS8_7pointerIiNS8_11hip_rocprim5par_tENS8_11use_defaultESE_EEEESG_ZNS1_13binary_searchIS3_S5_PiSG_SG_NS1_16binary_search_opENS9_16wrapped_functionINS8_6system6detail7generic6detail18binary_search_lessEbEEEE10hipError_tPvRmT1_T2_T3_mmT4_T5_P12ihipStream_tbEUlRKiE_EESR_SV_SW_mSX_S10_bEUlT_E_NS1_11comp_targetILNS1_3genE9ELNS1_11target_archE1100ELNS1_3gpuE3ELNS1_3repE0EEENS1_30default_config_static_selectorELNS0_4arch9wavefront6targetE1EEEvSU_: ; @_ZN7rocprim17ROCPRIM_400000_NS6detail17trampoline_kernelINS0_14default_configENS1_29binary_search_config_selectorIiiEEZNS1_14transform_implILb0ES3_S5_N6thrust23THRUST_200600_302600_NS6detail15normal_iteratorINS8_7pointerIiNS8_11hip_rocprim5par_tENS8_11use_defaultESE_EEEESG_ZNS1_13binary_searchIS3_S5_PiSG_SG_NS1_16binary_search_opENS9_16wrapped_functionINS8_6system6detail7generic6detail18binary_search_lessEbEEEE10hipError_tPvRmT1_T2_T3_mmT4_T5_P12ihipStream_tbEUlRKiE_EESR_SV_SW_mSX_S10_bEUlT_E_NS1_11comp_targetILNS1_3genE9ELNS1_11target_archE1100ELNS1_3gpuE3ELNS1_3repE0EEENS1_30default_config_static_selectorELNS0_4arch9wavefront6targetE1EEEvSU_
; %bb.0:
	.section	.rodata,"a",@progbits
	.p2align	6, 0x0
	.amdhsa_kernel _ZN7rocprim17ROCPRIM_400000_NS6detail17trampoline_kernelINS0_14default_configENS1_29binary_search_config_selectorIiiEEZNS1_14transform_implILb0ES3_S5_N6thrust23THRUST_200600_302600_NS6detail15normal_iteratorINS8_7pointerIiNS8_11hip_rocprim5par_tENS8_11use_defaultESE_EEEESG_ZNS1_13binary_searchIS3_S5_PiSG_SG_NS1_16binary_search_opENS9_16wrapped_functionINS8_6system6detail7generic6detail18binary_search_lessEbEEEE10hipError_tPvRmT1_T2_T3_mmT4_T5_P12ihipStream_tbEUlRKiE_EESR_SV_SW_mSX_S10_bEUlT_E_NS1_11comp_targetILNS1_3genE9ELNS1_11target_archE1100ELNS1_3gpuE3ELNS1_3repE0EEENS1_30default_config_static_selectorELNS0_4arch9wavefront6targetE1EEEvSU_
		.amdhsa_group_segment_fixed_size 0
		.amdhsa_private_segment_fixed_size 0
		.amdhsa_kernarg_size 56
		.amdhsa_user_sgpr_count 6
		.amdhsa_user_sgpr_private_segment_buffer 1
		.amdhsa_user_sgpr_dispatch_ptr 0
		.amdhsa_user_sgpr_queue_ptr 0
		.amdhsa_user_sgpr_kernarg_segment_ptr 1
		.amdhsa_user_sgpr_dispatch_id 0
		.amdhsa_user_sgpr_flat_scratch_init 0
		.amdhsa_user_sgpr_private_segment_size 0
		.amdhsa_uses_dynamic_stack 0
		.amdhsa_system_sgpr_private_segment_wavefront_offset 0
		.amdhsa_system_sgpr_workgroup_id_x 1
		.amdhsa_system_sgpr_workgroup_id_y 0
		.amdhsa_system_sgpr_workgroup_id_z 0
		.amdhsa_system_sgpr_workgroup_info 0
		.amdhsa_system_vgpr_workitem_id 0
		.amdhsa_next_free_vgpr 1
		.amdhsa_next_free_sgpr 0
		.amdhsa_reserve_vcc 0
		.amdhsa_reserve_flat_scratch 0
		.amdhsa_float_round_mode_32 0
		.amdhsa_float_round_mode_16_64 0
		.amdhsa_float_denorm_mode_32 3
		.amdhsa_float_denorm_mode_16_64 3
		.amdhsa_dx10_clamp 1
		.amdhsa_ieee_mode 1
		.amdhsa_fp16_overflow 0
		.amdhsa_exception_fp_ieee_invalid_op 0
		.amdhsa_exception_fp_denorm_src 0
		.amdhsa_exception_fp_ieee_div_zero 0
		.amdhsa_exception_fp_ieee_overflow 0
		.amdhsa_exception_fp_ieee_underflow 0
		.amdhsa_exception_fp_ieee_inexact 0
		.amdhsa_exception_int_div_zero 0
	.end_amdhsa_kernel
	.section	.text._ZN7rocprim17ROCPRIM_400000_NS6detail17trampoline_kernelINS0_14default_configENS1_29binary_search_config_selectorIiiEEZNS1_14transform_implILb0ES3_S5_N6thrust23THRUST_200600_302600_NS6detail15normal_iteratorINS8_7pointerIiNS8_11hip_rocprim5par_tENS8_11use_defaultESE_EEEESG_ZNS1_13binary_searchIS3_S5_PiSG_SG_NS1_16binary_search_opENS9_16wrapped_functionINS8_6system6detail7generic6detail18binary_search_lessEbEEEE10hipError_tPvRmT1_T2_T3_mmT4_T5_P12ihipStream_tbEUlRKiE_EESR_SV_SW_mSX_S10_bEUlT_E_NS1_11comp_targetILNS1_3genE9ELNS1_11target_archE1100ELNS1_3gpuE3ELNS1_3repE0EEENS1_30default_config_static_selectorELNS0_4arch9wavefront6targetE1EEEvSU_,"axG",@progbits,_ZN7rocprim17ROCPRIM_400000_NS6detail17trampoline_kernelINS0_14default_configENS1_29binary_search_config_selectorIiiEEZNS1_14transform_implILb0ES3_S5_N6thrust23THRUST_200600_302600_NS6detail15normal_iteratorINS8_7pointerIiNS8_11hip_rocprim5par_tENS8_11use_defaultESE_EEEESG_ZNS1_13binary_searchIS3_S5_PiSG_SG_NS1_16binary_search_opENS9_16wrapped_functionINS8_6system6detail7generic6detail18binary_search_lessEbEEEE10hipError_tPvRmT1_T2_T3_mmT4_T5_P12ihipStream_tbEUlRKiE_EESR_SV_SW_mSX_S10_bEUlT_E_NS1_11comp_targetILNS1_3genE9ELNS1_11target_archE1100ELNS1_3gpuE3ELNS1_3repE0EEENS1_30default_config_static_selectorELNS0_4arch9wavefront6targetE1EEEvSU_,comdat
.Lfunc_end310:
	.size	_ZN7rocprim17ROCPRIM_400000_NS6detail17trampoline_kernelINS0_14default_configENS1_29binary_search_config_selectorIiiEEZNS1_14transform_implILb0ES3_S5_N6thrust23THRUST_200600_302600_NS6detail15normal_iteratorINS8_7pointerIiNS8_11hip_rocprim5par_tENS8_11use_defaultESE_EEEESG_ZNS1_13binary_searchIS3_S5_PiSG_SG_NS1_16binary_search_opENS9_16wrapped_functionINS8_6system6detail7generic6detail18binary_search_lessEbEEEE10hipError_tPvRmT1_T2_T3_mmT4_T5_P12ihipStream_tbEUlRKiE_EESR_SV_SW_mSX_S10_bEUlT_E_NS1_11comp_targetILNS1_3genE9ELNS1_11target_archE1100ELNS1_3gpuE3ELNS1_3repE0EEENS1_30default_config_static_selectorELNS0_4arch9wavefront6targetE1EEEvSU_, .Lfunc_end310-_ZN7rocprim17ROCPRIM_400000_NS6detail17trampoline_kernelINS0_14default_configENS1_29binary_search_config_selectorIiiEEZNS1_14transform_implILb0ES3_S5_N6thrust23THRUST_200600_302600_NS6detail15normal_iteratorINS8_7pointerIiNS8_11hip_rocprim5par_tENS8_11use_defaultESE_EEEESG_ZNS1_13binary_searchIS3_S5_PiSG_SG_NS1_16binary_search_opENS9_16wrapped_functionINS8_6system6detail7generic6detail18binary_search_lessEbEEEE10hipError_tPvRmT1_T2_T3_mmT4_T5_P12ihipStream_tbEUlRKiE_EESR_SV_SW_mSX_S10_bEUlT_E_NS1_11comp_targetILNS1_3genE9ELNS1_11target_archE1100ELNS1_3gpuE3ELNS1_3repE0EEENS1_30default_config_static_selectorELNS0_4arch9wavefront6targetE1EEEvSU_
                                        ; -- End function
	.set _ZN7rocprim17ROCPRIM_400000_NS6detail17trampoline_kernelINS0_14default_configENS1_29binary_search_config_selectorIiiEEZNS1_14transform_implILb0ES3_S5_N6thrust23THRUST_200600_302600_NS6detail15normal_iteratorINS8_7pointerIiNS8_11hip_rocprim5par_tENS8_11use_defaultESE_EEEESG_ZNS1_13binary_searchIS3_S5_PiSG_SG_NS1_16binary_search_opENS9_16wrapped_functionINS8_6system6detail7generic6detail18binary_search_lessEbEEEE10hipError_tPvRmT1_T2_T3_mmT4_T5_P12ihipStream_tbEUlRKiE_EESR_SV_SW_mSX_S10_bEUlT_E_NS1_11comp_targetILNS1_3genE9ELNS1_11target_archE1100ELNS1_3gpuE3ELNS1_3repE0EEENS1_30default_config_static_selectorELNS0_4arch9wavefront6targetE1EEEvSU_.num_vgpr, 0
	.set _ZN7rocprim17ROCPRIM_400000_NS6detail17trampoline_kernelINS0_14default_configENS1_29binary_search_config_selectorIiiEEZNS1_14transform_implILb0ES3_S5_N6thrust23THRUST_200600_302600_NS6detail15normal_iteratorINS8_7pointerIiNS8_11hip_rocprim5par_tENS8_11use_defaultESE_EEEESG_ZNS1_13binary_searchIS3_S5_PiSG_SG_NS1_16binary_search_opENS9_16wrapped_functionINS8_6system6detail7generic6detail18binary_search_lessEbEEEE10hipError_tPvRmT1_T2_T3_mmT4_T5_P12ihipStream_tbEUlRKiE_EESR_SV_SW_mSX_S10_bEUlT_E_NS1_11comp_targetILNS1_3genE9ELNS1_11target_archE1100ELNS1_3gpuE3ELNS1_3repE0EEENS1_30default_config_static_selectorELNS0_4arch9wavefront6targetE1EEEvSU_.num_agpr, 0
	.set _ZN7rocprim17ROCPRIM_400000_NS6detail17trampoline_kernelINS0_14default_configENS1_29binary_search_config_selectorIiiEEZNS1_14transform_implILb0ES3_S5_N6thrust23THRUST_200600_302600_NS6detail15normal_iteratorINS8_7pointerIiNS8_11hip_rocprim5par_tENS8_11use_defaultESE_EEEESG_ZNS1_13binary_searchIS3_S5_PiSG_SG_NS1_16binary_search_opENS9_16wrapped_functionINS8_6system6detail7generic6detail18binary_search_lessEbEEEE10hipError_tPvRmT1_T2_T3_mmT4_T5_P12ihipStream_tbEUlRKiE_EESR_SV_SW_mSX_S10_bEUlT_E_NS1_11comp_targetILNS1_3genE9ELNS1_11target_archE1100ELNS1_3gpuE3ELNS1_3repE0EEENS1_30default_config_static_selectorELNS0_4arch9wavefront6targetE1EEEvSU_.numbered_sgpr, 0
	.set _ZN7rocprim17ROCPRIM_400000_NS6detail17trampoline_kernelINS0_14default_configENS1_29binary_search_config_selectorIiiEEZNS1_14transform_implILb0ES3_S5_N6thrust23THRUST_200600_302600_NS6detail15normal_iteratorINS8_7pointerIiNS8_11hip_rocprim5par_tENS8_11use_defaultESE_EEEESG_ZNS1_13binary_searchIS3_S5_PiSG_SG_NS1_16binary_search_opENS9_16wrapped_functionINS8_6system6detail7generic6detail18binary_search_lessEbEEEE10hipError_tPvRmT1_T2_T3_mmT4_T5_P12ihipStream_tbEUlRKiE_EESR_SV_SW_mSX_S10_bEUlT_E_NS1_11comp_targetILNS1_3genE9ELNS1_11target_archE1100ELNS1_3gpuE3ELNS1_3repE0EEENS1_30default_config_static_selectorELNS0_4arch9wavefront6targetE1EEEvSU_.num_named_barrier, 0
	.set _ZN7rocprim17ROCPRIM_400000_NS6detail17trampoline_kernelINS0_14default_configENS1_29binary_search_config_selectorIiiEEZNS1_14transform_implILb0ES3_S5_N6thrust23THRUST_200600_302600_NS6detail15normal_iteratorINS8_7pointerIiNS8_11hip_rocprim5par_tENS8_11use_defaultESE_EEEESG_ZNS1_13binary_searchIS3_S5_PiSG_SG_NS1_16binary_search_opENS9_16wrapped_functionINS8_6system6detail7generic6detail18binary_search_lessEbEEEE10hipError_tPvRmT1_T2_T3_mmT4_T5_P12ihipStream_tbEUlRKiE_EESR_SV_SW_mSX_S10_bEUlT_E_NS1_11comp_targetILNS1_3genE9ELNS1_11target_archE1100ELNS1_3gpuE3ELNS1_3repE0EEENS1_30default_config_static_selectorELNS0_4arch9wavefront6targetE1EEEvSU_.private_seg_size, 0
	.set _ZN7rocprim17ROCPRIM_400000_NS6detail17trampoline_kernelINS0_14default_configENS1_29binary_search_config_selectorIiiEEZNS1_14transform_implILb0ES3_S5_N6thrust23THRUST_200600_302600_NS6detail15normal_iteratorINS8_7pointerIiNS8_11hip_rocprim5par_tENS8_11use_defaultESE_EEEESG_ZNS1_13binary_searchIS3_S5_PiSG_SG_NS1_16binary_search_opENS9_16wrapped_functionINS8_6system6detail7generic6detail18binary_search_lessEbEEEE10hipError_tPvRmT1_T2_T3_mmT4_T5_P12ihipStream_tbEUlRKiE_EESR_SV_SW_mSX_S10_bEUlT_E_NS1_11comp_targetILNS1_3genE9ELNS1_11target_archE1100ELNS1_3gpuE3ELNS1_3repE0EEENS1_30default_config_static_selectorELNS0_4arch9wavefront6targetE1EEEvSU_.uses_vcc, 0
	.set _ZN7rocprim17ROCPRIM_400000_NS6detail17trampoline_kernelINS0_14default_configENS1_29binary_search_config_selectorIiiEEZNS1_14transform_implILb0ES3_S5_N6thrust23THRUST_200600_302600_NS6detail15normal_iteratorINS8_7pointerIiNS8_11hip_rocprim5par_tENS8_11use_defaultESE_EEEESG_ZNS1_13binary_searchIS3_S5_PiSG_SG_NS1_16binary_search_opENS9_16wrapped_functionINS8_6system6detail7generic6detail18binary_search_lessEbEEEE10hipError_tPvRmT1_T2_T3_mmT4_T5_P12ihipStream_tbEUlRKiE_EESR_SV_SW_mSX_S10_bEUlT_E_NS1_11comp_targetILNS1_3genE9ELNS1_11target_archE1100ELNS1_3gpuE3ELNS1_3repE0EEENS1_30default_config_static_selectorELNS0_4arch9wavefront6targetE1EEEvSU_.uses_flat_scratch, 0
	.set _ZN7rocprim17ROCPRIM_400000_NS6detail17trampoline_kernelINS0_14default_configENS1_29binary_search_config_selectorIiiEEZNS1_14transform_implILb0ES3_S5_N6thrust23THRUST_200600_302600_NS6detail15normal_iteratorINS8_7pointerIiNS8_11hip_rocprim5par_tENS8_11use_defaultESE_EEEESG_ZNS1_13binary_searchIS3_S5_PiSG_SG_NS1_16binary_search_opENS9_16wrapped_functionINS8_6system6detail7generic6detail18binary_search_lessEbEEEE10hipError_tPvRmT1_T2_T3_mmT4_T5_P12ihipStream_tbEUlRKiE_EESR_SV_SW_mSX_S10_bEUlT_E_NS1_11comp_targetILNS1_3genE9ELNS1_11target_archE1100ELNS1_3gpuE3ELNS1_3repE0EEENS1_30default_config_static_selectorELNS0_4arch9wavefront6targetE1EEEvSU_.has_dyn_sized_stack, 0
	.set _ZN7rocprim17ROCPRIM_400000_NS6detail17trampoline_kernelINS0_14default_configENS1_29binary_search_config_selectorIiiEEZNS1_14transform_implILb0ES3_S5_N6thrust23THRUST_200600_302600_NS6detail15normal_iteratorINS8_7pointerIiNS8_11hip_rocprim5par_tENS8_11use_defaultESE_EEEESG_ZNS1_13binary_searchIS3_S5_PiSG_SG_NS1_16binary_search_opENS9_16wrapped_functionINS8_6system6detail7generic6detail18binary_search_lessEbEEEE10hipError_tPvRmT1_T2_T3_mmT4_T5_P12ihipStream_tbEUlRKiE_EESR_SV_SW_mSX_S10_bEUlT_E_NS1_11comp_targetILNS1_3genE9ELNS1_11target_archE1100ELNS1_3gpuE3ELNS1_3repE0EEENS1_30default_config_static_selectorELNS0_4arch9wavefront6targetE1EEEvSU_.has_recursion, 0
	.set _ZN7rocprim17ROCPRIM_400000_NS6detail17trampoline_kernelINS0_14default_configENS1_29binary_search_config_selectorIiiEEZNS1_14transform_implILb0ES3_S5_N6thrust23THRUST_200600_302600_NS6detail15normal_iteratorINS8_7pointerIiNS8_11hip_rocprim5par_tENS8_11use_defaultESE_EEEESG_ZNS1_13binary_searchIS3_S5_PiSG_SG_NS1_16binary_search_opENS9_16wrapped_functionINS8_6system6detail7generic6detail18binary_search_lessEbEEEE10hipError_tPvRmT1_T2_T3_mmT4_T5_P12ihipStream_tbEUlRKiE_EESR_SV_SW_mSX_S10_bEUlT_E_NS1_11comp_targetILNS1_3genE9ELNS1_11target_archE1100ELNS1_3gpuE3ELNS1_3repE0EEENS1_30default_config_static_selectorELNS0_4arch9wavefront6targetE1EEEvSU_.has_indirect_call, 0
	.section	.AMDGPU.csdata,"",@progbits
; Kernel info:
; codeLenInByte = 0
; TotalNumSgprs: 4
; NumVgprs: 0
; ScratchSize: 0
; MemoryBound: 0
; FloatMode: 240
; IeeeMode: 1
; LDSByteSize: 0 bytes/workgroup (compile time only)
; SGPRBlocks: 0
; VGPRBlocks: 0
; NumSGPRsForWavesPerEU: 4
; NumVGPRsForWavesPerEU: 1
; Occupancy: 10
; WaveLimiterHint : 0
; COMPUTE_PGM_RSRC2:SCRATCH_EN: 0
; COMPUTE_PGM_RSRC2:USER_SGPR: 6
; COMPUTE_PGM_RSRC2:TRAP_HANDLER: 0
; COMPUTE_PGM_RSRC2:TGID_X_EN: 1
; COMPUTE_PGM_RSRC2:TGID_Y_EN: 0
; COMPUTE_PGM_RSRC2:TGID_Z_EN: 0
; COMPUTE_PGM_RSRC2:TIDIG_COMP_CNT: 0
	.section	.text._ZN7rocprim17ROCPRIM_400000_NS6detail17trampoline_kernelINS0_14default_configENS1_29binary_search_config_selectorIiiEEZNS1_14transform_implILb0ES3_S5_N6thrust23THRUST_200600_302600_NS6detail15normal_iteratorINS8_7pointerIiNS8_11hip_rocprim5par_tENS8_11use_defaultESE_EEEESG_ZNS1_13binary_searchIS3_S5_PiSG_SG_NS1_16binary_search_opENS9_16wrapped_functionINS8_6system6detail7generic6detail18binary_search_lessEbEEEE10hipError_tPvRmT1_T2_T3_mmT4_T5_P12ihipStream_tbEUlRKiE_EESR_SV_SW_mSX_S10_bEUlT_E_NS1_11comp_targetILNS1_3genE8ELNS1_11target_archE1030ELNS1_3gpuE2ELNS1_3repE0EEENS1_30default_config_static_selectorELNS0_4arch9wavefront6targetE1EEEvSU_,"axG",@progbits,_ZN7rocprim17ROCPRIM_400000_NS6detail17trampoline_kernelINS0_14default_configENS1_29binary_search_config_selectorIiiEEZNS1_14transform_implILb0ES3_S5_N6thrust23THRUST_200600_302600_NS6detail15normal_iteratorINS8_7pointerIiNS8_11hip_rocprim5par_tENS8_11use_defaultESE_EEEESG_ZNS1_13binary_searchIS3_S5_PiSG_SG_NS1_16binary_search_opENS9_16wrapped_functionINS8_6system6detail7generic6detail18binary_search_lessEbEEEE10hipError_tPvRmT1_T2_T3_mmT4_T5_P12ihipStream_tbEUlRKiE_EESR_SV_SW_mSX_S10_bEUlT_E_NS1_11comp_targetILNS1_3genE8ELNS1_11target_archE1030ELNS1_3gpuE2ELNS1_3repE0EEENS1_30default_config_static_selectorELNS0_4arch9wavefront6targetE1EEEvSU_,comdat
	.protected	_ZN7rocprim17ROCPRIM_400000_NS6detail17trampoline_kernelINS0_14default_configENS1_29binary_search_config_selectorIiiEEZNS1_14transform_implILb0ES3_S5_N6thrust23THRUST_200600_302600_NS6detail15normal_iteratorINS8_7pointerIiNS8_11hip_rocprim5par_tENS8_11use_defaultESE_EEEESG_ZNS1_13binary_searchIS3_S5_PiSG_SG_NS1_16binary_search_opENS9_16wrapped_functionINS8_6system6detail7generic6detail18binary_search_lessEbEEEE10hipError_tPvRmT1_T2_T3_mmT4_T5_P12ihipStream_tbEUlRKiE_EESR_SV_SW_mSX_S10_bEUlT_E_NS1_11comp_targetILNS1_3genE8ELNS1_11target_archE1030ELNS1_3gpuE2ELNS1_3repE0EEENS1_30default_config_static_selectorELNS0_4arch9wavefront6targetE1EEEvSU_ ; -- Begin function _ZN7rocprim17ROCPRIM_400000_NS6detail17trampoline_kernelINS0_14default_configENS1_29binary_search_config_selectorIiiEEZNS1_14transform_implILb0ES3_S5_N6thrust23THRUST_200600_302600_NS6detail15normal_iteratorINS8_7pointerIiNS8_11hip_rocprim5par_tENS8_11use_defaultESE_EEEESG_ZNS1_13binary_searchIS3_S5_PiSG_SG_NS1_16binary_search_opENS9_16wrapped_functionINS8_6system6detail7generic6detail18binary_search_lessEbEEEE10hipError_tPvRmT1_T2_T3_mmT4_T5_P12ihipStream_tbEUlRKiE_EESR_SV_SW_mSX_S10_bEUlT_E_NS1_11comp_targetILNS1_3genE8ELNS1_11target_archE1030ELNS1_3gpuE2ELNS1_3repE0EEENS1_30default_config_static_selectorELNS0_4arch9wavefront6targetE1EEEvSU_
	.globl	_ZN7rocprim17ROCPRIM_400000_NS6detail17trampoline_kernelINS0_14default_configENS1_29binary_search_config_selectorIiiEEZNS1_14transform_implILb0ES3_S5_N6thrust23THRUST_200600_302600_NS6detail15normal_iteratorINS8_7pointerIiNS8_11hip_rocprim5par_tENS8_11use_defaultESE_EEEESG_ZNS1_13binary_searchIS3_S5_PiSG_SG_NS1_16binary_search_opENS9_16wrapped_functionINS8_6system6detail7generic6detail18binary_search_lessEbEEEE10hipError_tPvRmT1_T2_T3_mmT4_T5_P12ihipStream_tbEUlRKiE_EESR_SV_SW_mSX_S10_bEUlT_E_NS1_11comp_targetILNS1_3genE8ELNS1_11target_archE1030ELNS1_3gpuE2ELNS1_3repE0EEENS1_30default_config_static_selectorELNS0_4arch9wavefront6targetE1EEEvSU_
	.p2align	8
	.type	_ZN7rocprim17ROCPRIM_400000_NS6detail17trampoline_kernelINS0_14default_configENS1_29binary_search_config_selectorIiiEEZNS1_14transform_implILb0ES3_S5_N6thrust23THRUST_200600_302600_NS6detail15normal_iteratorINS8_7pointerIiNS8_11hip_rocprim5par_tENS8_11use_defaultESE_EEEESG_ZNS1_13binary_searchIS3_S5_PiSG_SG_NS1_16binary_search_opENS9_16wrapped_functionINS8_6system6detail7generic6detail18binary_search_lessEbEEEE10hipError_tPvRmT1_T2_T3_mmT4_T5_P12ihipStream_tbEUlRKiE_EESR_SV_SW_mSX_S10_bEUlT_E_NS1_11comp_targetILNS1_3genE8ELNS1_11target_archE1030ELNS1_3gpuE2ELNS1_3repE0EEENS1_30default_config_static_selectorELNS0_4arch9wavefront6targetE1EEEvSU_,@function
_ZN7rocprim17ROCPRIM_400000_NS6detail17trampoline_kernelINS0_14default_configENS1_29binary_search_config_selectorIiiEEZNS1_14transform_implILb0ES3_S5_N6thrust23THRUST_200600_302600_NS6detail15normal_iteratorINS8_7pointerIiNS8_11hip_rocprim5par_tENS8_11use_defaultESE_EEEESG_ZNS1_13binary_searchIS3_S5_PiSG_SG_NS1_16binary_search_opENS9_16wrapped_functionINS8_6system6detail7generic6detail18binary_search_lessEbEEEE10hipError_tPvRmT1_T2_T3_mmT4_T5_P12ihipStream_tbEUlRKiE_EESR_SV_SW_mSX_S10_bEUlT_E_NS1_11comp_targetILNS1_3genE8ELNS1_11target_archE1030ELNS1_3gpuE2ELNS1_3repE0EEENS1_30default_config_static_selectorELNS0_4arch9wavefront6targetE1EEEvSU_: ; @_ZN7rocprim17ROCPRIM_400000_NS6detail17trampoline_kernelINS0_14default_configENS1_29binary_search_config_selectorIiiEEZNS1_14transform_implILb0ES3_S5_N6thrust23THRUST_200600_302600_NS6detail15normal_iteratorINS8_7pointerIiNS8_11hip_rocprim5par_tENS8_11use_defaultESE_EEEESG_ZNS1_13binary_searchIS3_S5_PiSG_SG_NS1_16binary_search_opENS9_16wrapped_functionINS8_6system6detail7generic6detail18binary_search_lessEbEEEE10hipError_tPvRmT1_T2_T3_mmT4_T5_P12ihipStream_tbEUlRKiE_EESR_SV_SW_mSX_S10_bEUlT_E_NS1_11comp_targetILNS1_3genE8ELNS1_11target_archE1030ELNS1_3gpuE2ELNS1_3repE0EEENS1_30default_config_static_selectorELNS0_4arch9wavefront6targetE1EEEvSU_
; %bb.0:
	.section	.rodata,"a",@progbits
	.p2align	6, 0x0
	.amdhsa_kernel _ZN7rocprim17ROCPRIM_400000_NS6detail17trampoline_kernelINS0_14default_configENS1_29binary_search_config_selectorIiiEEZNS1_14transform_implILb0ES3_S5_N6thrust23THRUST_200600_302600_NS6detail15normal_iteratorINS8_7pointerIiNS8_11hip_rocprim5par_tENS8_11use_defaultESE_EEEESG_ZNS1_13binary_searchIS3_S5_PiSG_SG_NS1_16binary_search_opENS9_16wrapped_functionINS8_6system6detail7generic6detail18binary_search_lessEbEEEE10hipError_tPvRmT1_T2_T3_mmT4_T5_P12ihipStream_tbEUlRKiE_EESR_SV_SW_mSX_S10_bEUlT_E_NS1_11comp_targetILNS1_3genE8ELNS1_11target_archE1030ELNS1_3gpuE2ELNS1_3repE0EEENS1_30default_config_static_selectorELNS0_4arch9wavefront6targetE1EEEvSU_
		.amdhsa_group_segment_fixed_size 0
		.amdhsa_private_segment_fixed_size 0
		.amdhsa_kernarg_size 56
		.amdhsa_user_sgpr_count 6
		.amdhsa_user_sgpr_private_segment_buffer 1
		.amdhsa_user_sgpr_dispatch_ptr 0
		.amdhsa_user_sgpr_queue_ptr 0
		.amdhsa_user_sgpr_kernarg_segment_ptr 1
		.amdhsa_user_sgpr_dispatch_id 0
		.amdhsa_user_sgpr_flat_scratch_init 0
		.amdhsa_user_sgpr_private_segment_size 0
		.amdhsa_uses_dynamic_stack 0
		.amdhsa_system_sgpr_private_segment_wavefront_offset 0
		.amdhsa_system_sgpr_workgroup_id_x 1
		.amdhsa_system_sgpr_workgroup_id_y 0
		.amdhsa_system_sgpr_workgroup_id_z 0
		.amdhsa_system_sgpr_workgroup_info 0
		.amdhsa_system_vgpr_workitem_id 0
		.amdhsa_next_free_vgpr 1
		.amdhsa_next_free_sgpr 0
		.amdhsa_reserve_vcc 0
		.amdhsa_reserve_flat_scratch 0
		.amdhsa_float_round_mode_32 0
		.amdhsa_float_round_mode_16_64 0
		.amdhsa_float_denorm_mode_32 3
		.amdhsa_float_denorm_mode_16_64 3
		.amdhsa_dx10_clamp 1
		.amdhsa_ieee_mode 1
		.amdhsa_fp16_overflow 0
		.amdhsa_exception_fp_ieee_invalid_op 0
		.amdhsa_exception_fp_denorm_src 0
		.amdhsa_exception_fp_ieee_div_zero 0
		.amdhsa_exception_fp_ieee_overflow 0
		.amdhsa_exception_fp_ieee_underflow 0
		.amdhsa_exception_fp_ieee_inexact 0
		.amdhsa_exception_int_div_zero 0
	.end_amdhsa_kernel
	.section	.text._ZN7rocprim17ROCPRIM_400000_NS6detail17trampoline_kernelINS0_14default_configENS1_29binary_search_config_selectorIiiEEZNS1_14transform_implILb0ES3_S5_N6thrust23THRUST_200600_302600_NS6detail15normal_iteratorINS8_7pointerIiNS8_11hip_rocprim5par_tENS8_11use_defaultESE_EEEESG_ZNS1_13binary_searchIS3_S5_PiSG_SG_NS1_16binary_search_opENS9_16wrapped_functionINS8_6system6detail7generic6detail18binary_search_lessEbEEEE10hipError_tPvRmT1_T2_T3_mmT4_T5_P12ihipStream_tbEUlRKiE_EESR_SV_SW_mSX_S10_bEUlT_E_NS1_11comp_targetILNS1_3genE8ELNS1_11target_archE1030ELNS1_3gpuE2ELNS1_3repE0EEENS1_30default_config_static_selectorELNS0_4arch9wavefront6targetE1EEEvSU_,"axG",@progbits,_ZN7rocprim17ROCPRIM_400000_NS6detail17trampoline_kernelINS0_14default_configENS1_29binary_search_config_selectorIiiEEZNS1_14transform_implILb0ES3_S5_N6thrust23THRUST_200600_302600_NS6detail15normal_iteratorINS8_7pointerIiNS8_11hip_rocprim5par_tENS8_11use_defaultESE_EEEESG_ZNS1_13binary_searchIS3_S5_PiSG_SG_NS1_16binary_search_opENS9_16wrapped_functionINS8_6system6detail7generic6detail18binary_search_lessEbEEEE10hipError_tPvRmT1_T2_T3_mmT4_T5_P12ihipStream_tbEUlRKiE_EESR_SV_SW_mSX_S10_bEUlT_E_NS1_11comp_targetILNS1_3genE8ELNS1_11target_archE1030ELNS1_3gpuE2ELNS1_3repE0EEENS1_30default_config_static_selectorELNS0_4arch9wavefront6targetE1EEEvSU_,comdat
.Lfunc_end311:
	.size	_ZN7rocprim17ROCPRIM_400000_NS6detail17trampoline_kernelINS0_14default_configENS1_29binary_search_config_selectorIiiEEZNS1_14transform_implILb0ES3_S5_N6thrust23THRUST_200600_302600_NS6detail15normal_iteratorINS8_7pointerIiNS8_11hip_rocprim5par_tENS8_11use_defaultESE_EEEESG_ZNS1_13binary_searchIS3_S5_PiSG_SG_NS1_16binary_search_opENS9_16wrapped_functionINS8_6system6detail7generic6detail18binary_search_lessEbEEEE10hipError_tPvRmT1_T2_T3_mmT4_T5_P12ihipStream_tbEUlRKiE_EESR_SV_SW_mSX_S10_bEUlT_E_NS1_11comp_targetILNS1_3genE8ELNS1_11target_archE1030ELNS1_3gpuE2ELNS1_3repE0EEENS1_30default_config_static_selectorELNS0_4arch9wavefront6targetE1EEEvSU_, .Lfunc_end311-_ZN7rocprim17ROCPRIM_400000_NS6detail17trampoline_kernelINS0_14default_configENS1_29binary_search_config_selectorIiiEEZNS1_14transform_implILb0ES3_S5_N6thrust23THRUST_200600_302600_NS6detail15normal_iteratorINS8_7pointerIiNS8_11hip_rocprim5par_tENS8_11use_defaultESE_EEEESG_ZNS1_13binary_searchIS3_S5_PiSG_SG_NS1_16binary_search_opENS9_16wrapped_functionINS8_6system6detail7generic6detail18binary_search_lessEbEEEE10hipError_tPvRmT1_T2_T3_mmT4_T5_P12ihipStream_tbEUlRKiE_EESR_SV_SW_mSX_S10_bEUlT_E_NS1_11comp_targetILNS1_3genE8ELNS1_11target_archE1030ELNS1_3gpuE2ELNS1_3repE0EEENS1_30default_config_static_selectorELNS0_4arch9wavefront6targetE1EEEvSU_
                                        ; -- End function
	.set _ZN7rocprim17ROCPRIM_400000_NS6detail17trampoline_kernelINS0_14default_configENS1_29binary_search_config_selectorIiiEEZNS1_14transform_implILb0ES3_S5_N6thrust23THRUST_200600_302600_NS6detail15normal_iteratorINS8_7pointerIiNS8_11hip_rocprim5par_tENS8_11use_defaultESE_EEEESG_ZNS1_13binary_searchIS3_S5_PiSG_SG_NS1_16binary_search_opENS9_16wrapped_functionINS8_6system6detail7generic6detail18binary_search_lessEbEEEE10hipError_tPvRmT1_T2_T3_mmT4_T5_P12ihipStream_tbEUlRKiE_EESR_SV_SW_mSX_S10_bEUlT_E_NS1_11comp_targetILNS1_3genE8ELNS1_11target_archE1030ELNS1_3gpuE2ELNS1_3repE0EEENS1_30default_config_static_selectorELNS0_4arch9wavefront6targetE1EEEvSU_.num_vgpr, 0
	.set _ZN7rocprim17ROCPRIM_400000_NS6detail17trampoline_kernelINS0_14default_configENS1_29binary_search_config_selectorIiiEEZNS1_14transform_implILb0ES3_S5_N6thrust23THRUST_200600_302600_NS6detail15normal_iteratorINS8_7pointerIiNS8_11hip_rocprim5par_tENS8_11use_defaultESE_EEEESG_ZNS1_13binary_searchIS3_S5_PiSG_SG_NS1_16binary_search_opENS9_16wrapped_functionINS8_6system6detail7generic6detail18binary_search_lessEbEEEE10hipError_tPvRmT1_T2_T3_mmT4_T5_P12ihipStream_tbEUlRKiE_EESR_SV_SW_mSX_S10_bEUlT_E_NS1_11comp_targetILNS1_3genE8ELNS1_11target_archE1030ELNS1_3gpuE2ELNS1_3repE0EEENS1_30default_config_static_selectorELNS0_4arch9wavefront6targetE1EEEvSU_.num_agpr, 0
	.set _ZN7rocprim17ROCPRIM_400000_NS6detail17trampoline_kernelINS0_14default_configENS1_29binary_search_config_selectorIiiEEZNS1_14transform_implILb0ES3_S5_N6thrust23THRUST_200600_302600_NS6detail15normal_iteratorINS8_7pointerIiNS8_11hip_rocprim5par_tENS8_11use_defaultESE_EEEESG_ZNS1_13binary_searchIS3_S5_PiSG_SG_NS1_16binary_search_opENS9_16wrapped_functionINS8_6system6detail7generic6detail18binary_search_lessEbEEEE10hipError_tPvRmT1_T2_T3_mmT4_T5_P12ihipStream_tbEUlRKiE_EESR_SV_SW_mSX_S10_bEUlT_E_NS1_11comp_targetILNS1_3genE8ELNS1_11target_archE1030ELNS1_3gpuE2ELNS1_3repE0EEENS1_30default_config_static_selectorELNS0_4arch9wavefront6targetE1EEEvSU_.numbered_sgpr, 0
	.set _ZN7rocprim17ROCPRIM_400000_NS6detail17trampoline_kernelINS0_14default_configENS1_29binary_search_config_selectorIiiEEZNS1_14transform_implILb0ES3_S5_N6thrust23THRUST_200600_302600_NS6detail15normal_iteratorINS8_7pointerIiNS8_11hip_rocprim5par_tENS8_11use_defaultESE_EEEESG_ZNS1_13binary_searchIS3_S5_PiSG_SG_NS1_16binary_search_opENS9_16wrapped_functionINS8_6system6detail7generic6detail18binary_search_lessEbEEEE10hipError_tPvRmT1_T2_T3_mmT4_T5_P12ihipStream_tbEUlRKiE_EESR_SV_SW_mSX_S10_bEUlT_E_NS1_11comp_targetILNS1_3genE8ELNS1_11target_archE1030ELNS1_3gpuE2ELNS1_3repE0EEENS1_30default_config_static_selectorELNS0_4arch9wavefront6targetE1EEEvSU_.num_named_barrier, 0
	.set _ZN7rocprim17ROCPRIM_400000_NS6detail17trampoline_kernelINS0_14default_configENS1_29binary_search_config_selectorIiiEEZNS1_14transform_implILb0ES3_S5_N6thrust23THRUST_200600_302600_NS6detail15normal_iteratorINS8_7pointerIiNS8_11hip_rocprim5par_tENS8_11use_defaultESE_EEEESG_ZNS1_13binary_searchIS3_S5_PiSG_SG_NS1_16binary_search_opENS9_16wrapped_functionINS8_6system6detail7generic6detail18binary_search_lessEbEEEE10hipError_tPvRmT1_T2_T3_mmT4_T5_P12ihipStream_tbEUlRKiE_EESR_SV_SW_mSX_S10_bEUlT_E_NS1_11comp_targetILNS1_3genE8ELNS1_11target_archE1030ELNS1_3gpuE2ELNS1_3repE0EEENS1_30default_config_static_selectorELNS0_4arch9wavefront6targetE1EEEvSU_.private_seg_size, 0
	.set _ZN7rocprim17ROCPRIM_400000_NS6detail17trampoline_kernelINS0_14default_configENS1_29binary_search_config_selectorIiiEEZNS1_14transform_implILb0ES3_S5_N6thrust23THRUST_200600_302600_NS6detail15normal_iteratorINS8_7pointerIiNS8_11hip_rocprim5par_tENS8_11use_defaultESE_EEEESG_ZNS1_13binary_searchIS3_S5_PiSG_SG_NS1_16binary_search_opENS9_16wrapped_functionINS8_6system6detail7generic6detail18binary_search_lessEbEEEE10hipError_tPvRmT1_T2_T3_mmT4_T5_P12ihipStream_tbEUlRKiE_EESR_SV_SW_mSX_S10_bEUlT_E_NS1_11comp_targetILNS1_3genE8ELNS1_11target_archE1030ELNS1_3gpuE2ELNS1_3repE0EEENS1_30default_config_static_selectorELNS0_4arch9wavefront6targetE1EEEvSU_.uses_vcc, 0
	.set _ZN7rocprim17ROCPRIM_400000_NS6detail17trampoline_kernelINS0_14default_configENS1_29binary_search_config_selectorIiiEEZNS1_14transform_implILb0ES3_S5_N6thrust23THRUST_200600_302600_NS6detail15normal_iteratorINS8_7pointerIiNS8_11hip_rocprim5par_tENS8_11use_defaultESE_EEEESG_ZNS1_13binary_searchIS3_S5_PiSG_SG_NS1_16binary_search_opENS9_16wrapped_functionINS8_6system6detail7generic6detail18binary_search_lessEbEEEE10hipError_tPvRmT1_T2_T3_mmT4_T5_P12ihipStream_tbEUlRKiE_EESR_SV_SW_mSX_S10_bEUlT_E_NS1_11comp_targetILNS1_3genE8ELNS1_11target_archE1030ELNS1_3gpuE2ELNS1_3repE0EEENS1_30default_config_static_selectorELNS0_4arch9wavefront6targetE1EEEvSU_.uses_flat_scratch, 0
	.set _ZN7rocprim17ROCPRIM_400000_NS6detail17trampoline_kernelINS0_14default_configENS1_29binary_search_config_selectorIiiEEZNS1_14transform_implILb0ES3_S5_N6thrust23THRUST_200600_302600_NS6detail15normal_iteratorINS8_7pointerIiNS8_11hip_rocprim5par_tENS8_11use_defaultESE_EEEESG_ZNS1_13binary_searchIS3_S5_PiSG_SG_NS1_16binary_search_opENS9_16wrapped_functionINS8_6system6detail7generic6detail18binary_search_lessEbEEEE10hipError_tPvRmT1_T2_T3_mmT4_T5_P12ihipStream_tbEUlRKiE_EESR_SV_SW_mSX_S10_bEUlT_E_NS1_11comp_targetILNS1_3genE8ELNS1_11target_archE1030ELNS1_3gpuE2ELNS1_3repE0EEENS1_30default_config_static_selectorELNS0_4arch9wavefront6targetE1EEEvSU_.has_dyn_sized_stack, 0
	.set _ZN7rocprim17ROCPRIM_400000_NS6detail17trampoline_kernelINS0_14default_configENS1_29binary_search_config_selectorIiiEEZNS1_14transform_implILb0ES3_S5_N6thrust23THRUST_200600_302600_NS6detail15normal_iteratorINS8_7pointerIiNS8_11hip_rocprim5par_tENS8_11use_defaultESE_EEEESG_ZNS1_13binary_searchIS3_S5_PiSG_SG_NS1_16binary_search_opENS9_16wrapped_functionINS8_6system6detail7generic6detail18binary_search_lessEbEEEE10hipError_tPvRmT1_T2_T3_mmT4_T5_P12ihipStream_tbEUlRKiE_EESR_SV_SW_mSX_S10_bEUlT_E_NS1_11comp_targetILNS1_3genE8ELNS1_11target_archE1030ELNS1_3gpuE2ELNS1_3repE0EEENS1_30default_config_static_selectorELNS0_4arch9wavefront6targetE1EEEvSU_.has_recursion, 0
	.set _ZN7rocprim17ROCPRIM_400000_NS6detail17trampoline_kernelINS0_14default_configENS1_29binary_search_config_selectorIiiEEZNS1_14transform_implILb0ES3_S5_N6thrust23THRUST_200600_302600_NS6detail15normal_iteratorINS8_7pointerIiNS8_11hip_rocprim5par_tENS8_11use_defaultESE_EEEESG_ZNS1_13binary_searchIS3_S5_PiSG_SG_NS1_16binary_search_opENS9_16wrapped_functionINS8_6system6detail7generic6detail18binary_search_lessEbEEEE10hipError_tPvRmT1_T2_T3_mmT4_T5_P12ihipStream_tbEUlRKiE_EESR_SV_SW_mSX_S10_bEUlT_E_NS1_11comp_targetILNS1_3genE8ELNS1_11target_archE1030ELNS1_3gpuE2ELNS1_3repE0EEENS1_30default_config_static_selectorELNS0_4arch9wavefront6targetE1EEEvSU_.has_indirect_call, 0
	.section	.AMDGPU.csdata,"",@progbits
; Kernel info:
; codeLenInByte = 0
; TotalNumSgprs: 4
; NumVgprs: 0
; ScratchSize: 0
; MemoryBound: 0
; FloatMode: 240
; IeeeMode: 1
; LDSByteSize: 0 bytes/workgroup (compile time only)
; SGPRBlocks: 0
; VGPRBlocks: 0
; NumSGPRsForWavesPerEU: 4
; NumVGPRsForWavesPerEU: 1
; Occupancy: 10
; WaveLimiterHint : 0
; COMPUTE_PGM_RSRC2:SCRATCH_EN: 0
; COMPUTE_PGM_RSRC2:USER_SGPR: 6
; COMPUTE_PGM_RSRC2:TRAP_HANDLER: 0
; COMPUTE_PGM_RSRC2:TGID_X_EN: 1
; COMPUTE_PGM_RSRC2:TGID_Y_EN: 0
; COMPUTE_PGM_RSRC2:TGID_Z_EN: 0
; COMPUTE_PGM_RSRC2:TIDIG_COMP_CNT: 0
	.section	.text._Z20binary_search_kernelIsEvmPT_Pb,"axG",@progbits,_Z20binary_search_kernelIsEvmPT_Pb,comdat
	.protected	_Z20binary_search_kernelIsEvmPT_Pb ; -- Begin function _Z20binary_search_kernelIsEvmPT_Pb
	.globl	_Z20binary_search_kernelIsEvmPT_Pb
	.p2align	8
	.type	_Z20binary_search_kernelIsEvmPT_Pb,@function
_Z20binary_search_kernelIsEvmPT_Pb:     ; @_Z20binary_search_kernelIsEvmPT_Pb
; %bb.0:
	s_load_dwordx4 s[8:11], s[4:5], 0x0
	s_load_dwordx2 s[2:3], s[4:5], 0x10
	s_waitcnt lgkmcnt(0)
	s_lshl_b64 s[0:1], s[8:9], 1
	s_add_u32 s0, s10, s0
	s_addc_u32 s1, s11, s1
	s_sub_u32 s0, s0, s10
	s_subb_u32 s1, s1, s11
	s_ashr_i64 s[4:5], s[0:1], 1
	v_cmp_lt_i64_e64 s[6:7], s[4:5], 1
	s_mov_b64 s[0:1], 0
	s_and_b64 vcc, exec, s[6:7]
	s_cbranch_vccnz .LBB312_3
; %bb.1:
	v_mov_b32_e32 v0, 0
	s_mov_b64 s[6:7], s[4:5]
.LBB312_2:                              ; =>This Inner Loop Header: Depth=1
	s_sub_u32 s12, s6, s0
	s_subb_u32 s13, s7, s1
	s_lshr_b64 s[12:13], s[12:13], 1
	s_add_u32 s12, s12, s0
	s_addc_u32 s13, s13, s1
	s_lshl_b64 s[14:15], s[12:13], 1
	s_add_u32 s14, s10, s14
	s_addc_u32 s15, s11, s15
	global_load_ushort v1, v0, s[14:15]
	s_add_u32 s14, s12, 1
	s_addc_u32 s15, s13, 0
	s_waitcnt vmcnt(0)
	v_readfirstlane_b32 s16, v1
	s_sext_i32_i16 s16, s16
	s_cmp_lt_i32 s16, 0
	s_cselect_b32 s6, s6, s12
	s_cselect_b32 s7, s7, s13
	v_mov_b32_e32 v1, s6
	s_cselect_b32 s1, s15, s1
	s_cselect_b32 s0, s14, s0
	v_mov_b32_e32 v2, s7
	v_cmp_lt_i64_e32 vcc, s[0:1], v[1:2]
	s_cbranch_vccnz .LBB312_2
.LBB312_3:
	v_cmp_gt_i64_e64 s[12:13], s[4:5], 0
	s_mov_b64 s[6:7], 0
	s_cmp_eq_u64 s[0:1], s[8:9]
	s_mov_b64 s[14:15], 0
	s_cbranch_scc1 .LBB312_5
; %bb.4:
	s_lshl_b64 s[0:1], s[0:1], 1
	s_add_u32 s0, s10, s0
	s_addc_u32 s1, s11, s1
	v_mov_b32_e32 v0, 0
	global_load_sshort v0, v0, s[0:1]
	s_waitcnt vmcnt(0)
	v_cmp_gt_i32_e64 s[14:15], 1, v0
.LBB312_5:
	v_cndmask_b32_e64 v2, 0, 1, s[12:13]
	v_mov_b32_e32 v0, 0
	v_cndmask_b32_e64 v1, 0, 1, s[14:15]
	v_cmp_ne_u32_e64 s[0:1], 1, v2
	s_andn2_b64 vcc, exec, s[12:13]
	global_store_byte v0, v1, s[2:3]
	s_cbranch_vccnz .LBB312_8
; %bb.6:
	s_mov_b64 s[12:13], s[4:5]
.LBB312_7:                              ; =>This Inner Loop Header: Depth=1
	s_sub_u32 s14, s12, s6
	s_subb_u32 s15, s13, s7
	s_lshr_b64 s[14:15], s[14:15], 1
	s_add_u32 s14, s14, s6
	s_addc_u32 s15, s15, s7
	s_lshl_b64 s[16:17], s[14:15], 1
	s_add_u32 s16, s10, s16
	s_addc_u32 s17, s11, s17
	global_load_ushort v1, v0, s[16:17]
	s_add_u32 s16, s14, 1
	s_addc_u32 s17, s15, 0
	s_waitcnt vmcnt(0)
	v_readfirstlane_b32 s18, v1
	s_sext_i32_i16 s18, s18
	s_cmp_lt_i32 s18, 1
	s_cselect_b32 s12, s12, s14
	s_cselect_b32 s13, s13, s15
	v_mov_b32_e32 v1, s12
	s_cselect_b32 s7, s17, s7
	s_cselect_b32 s6, s16, s6
	v_mov_b32_e32 v2, s13
	v_cmp_lt_i64_e32 vcc, s[6:7], v[1:2]
	s_cbranch_vccnz .LBB312_7
.LBB312_8:
	s_mov_b64 s[12:13], 0
	s_cmp_eq_u64 s[6:7], s[8:9]
	s_mov_b64 s[14:15], 0
	s_cbranch_scc1 .LBB312_10
; %bb.9:
	s_lshl_b64 s[6:7], s[6:7], 1
	s_add_u32 s6, s10, s6
	s_addc_u32 s7, s11, s7
	v_mov_b32_e32 v0, 0
	global_load_sshort v0, v0, s[6:7]
	s_waitcnt vmcnt(0)
	v_cmp_gt_i32_e64 s[14:15], 2, v0
.LBB312_10:
	v_mov_b32_e32 v0, 0
	v_cndmask_b32_e64 v1, 0, 1, s[14:15]
	s_and_b64 vcc, exec, s[0:1]
	global_store_byte v0, v1, s[2:3] offset:1
	s_cbranch_vccnz .LBB312_13
; %bb.11:
	s_mov_b64 s[6:7], s[4:5]
.LBB312_12:                             ; =>This Inner Loop Header: Depth=1
	s_sub_u32 s14, s6, s12
	s_subb_u32 s15, s7, s13
	s_lshr_b64 s[14:15], s[14:15], 1
	s_add_u32 s14, s14, s12
	s_addc_u32 s15, s15, s13
	s_lshl_b64 s[16:17], s[14:15], 1
	s_add_u32 s16, s10, s16
	s_addc_u32 s17, s11, s17
	global_load_ushort v1, v0, s[16:17]
	s_add_u32 s16, s14, 1
	s_addc_u32 s17, s15, 0
	s_waitcnt vmcnt(0)
	v_readfirstlane_b32 s18, v1
	s_sext_i32_i16 s18, s18
	s_cmp_lt_i32 s18, 2
	s_cselect_b32 s6, s6, s14
	s_cselect_b32 s7, s7, s15
	v_mov_b32_e32 v1, s6
	s_cselect_b32 s13, s17, s13
	s_cselect_b32 s12, s16, s12
	v_mov_b32_e32 v2, s7
	v_cmp_lt_i64_e32 vcc, s[12:13], v[1:2]
	s_cbranch_vccnz .LBB312_12
.LBB312_13:
	s_mov_b64 s[6:7], 0
	s_cmp_eq_u64 s[12:13], s[8:9]
	s_mov_b64 s[14:15], 0
	s_cbranch_scc1 .LBB312_15
; %bb.14:
	s_lshl_b64 s[12:13], s[12:13], 1
	s_add_u32 s12, s10, s12
	s_addc_u32 s13, s11, s13
	v_mov_b32_e32 v0, 0
	global_load_sshort v0, v0, s[12:13]
	s_waitcnt vmcnt(0)
	v_cmp_gt_i32_e64 s[14:15], 3, v0
.LBB312_15:
	v_mov_b32_e32 v0, 0
	v_cndmask_b32_e64 v1, 0, 1, s[14:15]
	s_and_b64 vcc, exec, s[0:1]
	global_store_byte v0, v1, s[2:3] offset:2
	s_cbranch_vccnz .LBB312_18
; %bb.16:
	s_mov_b64 s[12:13], s[4:5]
.LBB312_17:                             ; =>This Inner Loop Header: Depth=1
	s_sub_u32 s14, s12, s6
	s_subb_u32 s15, s13, s7
	s_lshr_b64 s[14:15], s[14:15], 1
	s_add_u32 s14, s14, s6
	s_addc_u32 s15, s15, s7
	s_lshl_b64 s[16:17], s[14:15], 1
	s_add_u32 s16, s10, s16
	s_addc_u32 s17, s11, s17
	global_load_ushort v1, v0, s[16:17]
	s_add_u32 s16, s14, 1
	s_addc_u32 s17, s15, 0
	s_waitcnt vmcnt(0)
	v_readfirstlane_b32 s18, v1
	s_sext_i32_i16 s18, s18
	s_cmp_lt_i32 s18, 3
	s_cselect_b32 s12, s12, s14
	s_cselect_b32 s13, s13, s15
	v_mov_b32_e32 v1, s12
	s_cselect_b32 s7, s17, s7
	s_cselect_b32 s6, s16, s6
	v_mov_b32_e32 v2, s13
	v_cmp_lt_i64_e32 vcc, s[6:7], v[1:2]
	s_cbranch_vccnz .LBB312_17
.LBB312_18:
	s_mov_b64 s[12:13], 0
	s_cmp_eq_u64 s[6:7], s[8:9]
	s_mov_b64 s[14:15], 0
	s_cbranch_scc1 .LBB312_20
; %bb.19:
	s_lshl_b64 s[6:7], s[6:7], 1
	s_add_u32 s6, s10, s6
	s_addc_u32 s7, s11, s7
	v_mov_b32_e32 v0, 0
	global_load_sshort v0, v0, s[6:7]
	s_waitcnt vmcnt(0)
	v_cmp_gt_i32_e64 s[14:15], 4, v0
.LBB312_20:
	v_mov_b32_e32 v0, 0
	v_cndmask_b32_e64 v1, 0, 1, s[14:15]
	s_and_b64 vcc, exec, s[0:1]
	global_store_byte v0, v1, s[2:3] offset:3
	s_cbranch_vccnz .LBB312_23
; %bb.21:
	s_mov_b64 s[6:7], s[4:5]
.LBB312_22:                             ; =>This Inner Loop Header: Depth=1
	s_sub_u32 s14, s6, s12
	s_subb_u32 s15, s7, s13
	s_lshr_b64 s[14:15], s[14:15], 1
	s_add_u32 s14, s14, s12
	s_addc_u32 s15, s15, s13
	s_lshl_b64 s[16:17], s[14:15], 1
	s_add_u32 s16, s10, s16
	s_addc_u32 s17, s11, s17
	global_load_ushort v1, v0, s[16:17]
	s_add_u32 s16, s14, 1
	s_addc_u32 s17, s15, 0
	s_waitcnt vmcnt(0)
	v_readfirstlane_b32 s18, v1
	s_sext_i32_i16 s18, s18
	s_cmp_lt_i32 s18, 4
	s_cselect_b32 s6, s6, s14
	s_cselect_b32 s7, s7, s15
	v_mov_b32_e32 v1, s6
	s_cselect_b32 s13, s17, s13
	s_cselect_b32 s12, s16, s12
	v_mov_b32_e32 v2, s7
	v_cmp_lt_i64_e32 vcc, s[12:13], v[1:2]
	s_cbranch_vccnz .LBB312_22
.LBB312_23:
	s_mov_b64 s[6:7], 0
	s_cmp_eq_u64 s[12:13], s[8:9]
	s_mov_b64 s[14:15], 0
	s_cbranch_scc1 .LBB312_25
; %bb.24:
	s_lshl_b64 s[12:13], s[12:13], 1
	s_add_u32 s12, s10, s12
	s_addc_u32 s13, s11, s13
	v_mov_b32_e32 v0, 0
	global_load_sshort v0, v0, s[12:13]
	s_waitcnt vmcnt(0)
	v_cmp_gt_i32_e64 s[14:15], 5, v0
.LBB312_25:
	v_mov_b32_e32 v0, 0
	v_cndmask_b32_e64 v1, 0, 1, s[14:15]
	s_and_b64 vcc, exec, s[0:1]
	global_store_byte v0, v1, s[2:3] offset:4
	s_cbranch_vccnz .LBB312_28
; %bb.26:
	s_mov_b64 s[12:13], s[4:5]
.LBB312_27:                             ; =>This Inner Loop Header: Depth=1
	s_sub_u32 s14, s12, s6
	s_subb_u32 s15, s13, s7
	s_lshr_b64 s[14:15], s[14:15], 1
	s_add_u32 s14, s14, s6
	s_addc_u32 s15, s15, s7
	s_lshl_b64 s[16:17], s[14:15], 1
	s_add_u32 s16, s10, s16
	s_addc_u32 s17, s11, s17
	global_load_ushort v1, v0, s[16:17]
	s_add_u32 s16, s14, 1
	s_addc_u32 s17, s15, 0
	s_waitcnt vmcnt(0)
	v_readfirstlane_b32 s18, v1
	s_sext_i32_i16 s18, s18
	s_cmp_lt_i32 s18, 5
	s_cselect_b32 s12, s12, s14
	s_cselect_b32 s13, s13, s15
	v_mov_b32_e32 v1, s12
	s_cselect_b32 s7, s17, s7
	s_cselect_b32 s6, s16, s6
	v_mov_b32_e32 v2, s13
	v_cmp_lt_i64_e32 vcc, s[6:7], v[1:2]
	s_cbranch_vccnz .LBB312_27
.LBB312_28:
	s_mov_b64 s[12:13], 0
	s_cmp_eq_u64 s[6:7], s[8:9]
	s_mov_b64 s[14:15], 0
	s_cbranch_scc1 .LBB312_30
; %bb.29:
	s_lshl_b64 s[6:7], s[6:7], 1
	s_add_u32 s6, s10, s6
	s_addc_u32 s7, s11, s7
	v_mov_b32_e32 v0, 0
	global_load_sshort v0, v0, s[6:7]
	s_waitcnt vmcnt(0)
	v_cmp_gt_i32_e64 s[14:15], 6, v0
.LBB312_30:
	v_mov_b32_e32 v0, 0
	v_cndmask_b32_e64 v1, 0, 1, s[14:15]
	s_and_b64 vcc, exec, s[0:1]
	global_store_byte v0, v1, s[2:3] offset:5
	s_cbranch_vccnz .LBB312_33
; %bb.31:
	s_mov_b64 s[6:7], s[4:5]
.LBB312_32:                             ; =>This Inner Loop Header: Depth=1
	s_sub_u32 s14, s6, s12
	s_subb_u32 s15, s7, s13
	s_lshr_b64 s[14:15], s[14:15], 1
	s_add_u32 s14, s14, s12
	s_addc_u32 s15, s15, s13
	s_lshl_b64 s[16:17], s[14:15], 1
	s_add_u32 s16, s10, s16
	s_addc_u32 s17, s11, s17
	global_load_ushort v1, v0, s[16:17]
	s_add_u32 s16, s14, 1
	s_addc_u32 s17, s15, 0
	s_waitcnt vmcnt(0)
	v_readfirstlane_b32 s18, v1
	s_sext_i32_i16 s18, s18
	s_cmp_lt_i32 s18, 6
	s_cselect_b32 s6, s6, s14
	s_cselect_b32 s7, s7, s15
	v_mov_b32_e32 v1, s6
	s_cselect_b32 s13, s17, s13
	s_cselect_b32 s12, s16, s12
	v_mov_b32_e32 v2, s7
	v_cmp_lt_i64_e32 vcc, s[12:13], v[1:2]
	s_cbranch_vccnz .LBB312_32
.LBB312_33:
	s_mov_b64 s[6:7], 0
	s_cmp_eq_u64 s[12:13], s[8:9]
	s_mov_b64 s[14:15], 0
	s_cbranch_scc1 .LBB312_35
; %bb.34:
	s_lshl_b64 s[12:13], s[12:13], 1
	s_add_u32 s12, s10, s12
	s_addc_u32 s13, s11, s13
	v_mov_b32_e32 v0, 0
	global_load_sshort v0, v0, s[12:13]
	s_waitcnt vmcnt(0)
	v_cmp_gt_i32_e64 s[14:15], 7, v0
.LBB312_35:
	v_mov_b32_e32 v0, 0
	v_cndmask_b32_e64 v1, 0, 1, s[14:15]
	s_and_b64 vcc, exec, s[0:1]
	global_store_byte v0, v1, s[2:3] offset:6
	s_cbranch_vccnz .LBB312_38
; %bb.36:
	s_mov_b64 s[12:13], s[4:5]
.LBB312_37:                             ; =>This Inner Loop Header: Depth=1
	s_sub_u32 s14, s12, s6
	s_subb_u32 s15, s13, s7
	s_lshr_b64 s[14:15], s[14:15], 1
	s_add_u32 s14, s14, s6
	s_addc_u32 s15, s15, s7
	s_lshl_b64 s[16:17], s[14:15], 1
	s_add_u32 s16, s10, s16
	s_addc_u32 s17, s11, s17
	global_load_ushort v1, v0, s[16:17]
	s_add_u32 s16, s14, 1
	s_addc_u32 s17, s15, 0
	s_waitcnt vmcnt(0)
	v_readfirstlane_b32 s18, v1
	s_sext_i32_i16 s18, s18
	s_cmp_lt_i32 s18, 7
	s_cselect_b32 s12, s12, s14
	s_cselect_b32 s13, s13, s15
	v_mov_b32_e32 v1, s12
	s_cselect_b32 s7, s17, s7
	s_cselect_b32 s6, s16, s6
	v_mov_b32_e32 v2, s13
	v_cmp_lt_i64_e32 vcc, s[6:7], v[1:2]
	s_cbranch_vccnz .LBB312_37
.LBB312_38:
	s_mov_b64 s[12:13], 0
	s_cmp_eq_u64 s[6:7], s[8:9]
	s_mov_b64 s[14:15], 0
	s_cbranch_scc1 .LBB312_40
; %bb.39:
	s_lshl_b64 s[6:7], s[6:7], 1
	s_add_u32 s6, s10, s6
	s_addc_u32 s7, s11, s7
	v_mov_b32_e32 v0, 0
	global_load_sshort v0, v0, s[6:7]
	s_waitcnt vmcnt(0)
	v_cmp_gt_i32_e64 s[14:15], 8, v0
.LBB312_40:
	v_mov_b32_e32 v0, 0
	v_cndmask_b32_e64 v1, 0, 1, s[14:15]
	s_and_b64 vcc, exec, s[0:1]
	global_store_byte v0, v1, s[2:3] offset:7
	s_cbranch_vccnz .LBB312_43
; %bb.41:
	s_mov_b64 s[6:7], s[4:5]
.LBB312_42:                             ; =>This Inner Loop Header: Depth=1
	s_sub_u32 s14, s6, s12
	s_subb_u32 s15, s7, s13
	s_lshr_b64 s[14:15], s[14:15], 1
	s_add_u32 s14, s14, s12
	s_addc_u32 s15, s15, s13
	s_lshl_b64 s[16:17], s[14:15], 1
	s_add_u32 s16, s10, s16
	s_addc_u32 s17, s11, s17
	global_load_ushort v1, v0, s[16:17]
	s_add_u32 s16, s14, 1
	s_addc_u32 s17, s15, 0
	s_waitcnt vmcnt(0)
	v_readfirstlane_b32 s18, v1
	s_sext_i32_i16 s18, s18
	s_cmp_lt_i32 s18, 8
	s_cselect_b32 s6, s6, s14
	s_cselect_b32 s7, s7, s15
	v_mov_b32_e32 v1, s6
	s_cselect_b32 s13, s17, s13
	s_cselect_b32 s12, s16, s12
	v_mov_b32_e32 v2, s7
	v_cmp_lt_i64_e32 vcc, s[12:13], v[1:2]
	s_cbranch_vccnz .LBB312_42
.LBB312_43:
	s_mov_b64 s[6:7], 0
	s_cmp_eq_u64 s[12:13], s[8:9]
	s_mov_b64 s[14:15], 0
	s_cbranch_scc1 .LBB312_45
; %bb.44:
	s_lshl_b64 s[12:13], s[12:13], 1
	s_add_u32 s12, s10, s12
	s_addc_u32 s13, s11, s13
	v_mov_b32_e32 v0, 0
	global_load_sshort v0, v0, s[12:13]
	s_waitcnt vmcnt(0)
	v_cmp_gt_i32_e64 s[14:15], 9, v0
.LBB312_45:
	v_mov_b32_e32 v0, 0
	v_cndmask_b32_e64 v1, 0, 1, s[14:15]
	s_and_b64 vcc, exec, s[0:1]
	global_store_byte v0, v1, s[2:3] offset:8
	s_cbranch_vccnz .LBB312_47
.LBB312_46:                             ; =>This Inner Loop Header: Depth=1
	s_sub_u32 s0, s4, s6
	s_subb_u32 s1, s5, s7
	s_lshr_b64 s[0:1], s[0:1], 1
	s_add_u32 s0, s0, s6
	s_addc_u32 s1, s1, s7
	s_lshl_b64 s[12:13], s[0:1], 1
	s_add_u32 s12, s10, s12
	s_addc_u32 s13, s11, s13
	global_load_ushort v1, v0, s[12:13]
	s_add_u32 s12, s0, 1
	s_addc_u32 s13, s1, 0
	s_waitcnt vmcnt(0)
	v_readfirstlane_b32 s14, v1
	s_sext_i32_i16 s14, s14
	s_cmp_lt_i32 s14, 9
	s_cselect_b32 s4, s4, s0
	s_cselect_b32 s5, s5, s1
	v_mov_b32_e32 v1, s4
	s_cselect_b32 s7, s13, s7
	s_cselect_b32 s6, s12, s6
	v_mov_b32_e32 v2, s5
	v_cmp_lt_i64_e32 vcc, s[6:7], v[1:2]
	s_cbranch_vccnz .LBB312_46
.LBB312_47:
	s_cmp_eq_u64 s[6:7], s[8:9]
	s_mov_b64 s[0:1], 0
	s_cbranch_scc1 .LBB312_49
; %bb.48:
	s_lshl_b64 s[0:1], s[6:7], 1
	s_add_u32 s0, s10, s0
	s_addc_u32 s1, s11, s1
	v_mov_b32_e32 v0, 0
	global_load_sshort v0, v0, s[0:1]
	s_waitcnt vmcnt(0)
	v_cmp_gt_i32_e64 s[0:1], 10, v0
.LBB312_49:
	v_mov_b32_e32 v0, 0
	v_cndmask_b32_e64 v1, 0, 1, s[0:1]
	global_store_byte v0, v1, s[2:3] offset:9
	s_endpgm
	.section	.rodata,"a",@progbits
	.p2align	6, 0x0
	.amdhsa_kernel _Z20binary_search_kernelIsEvmPT_Pb
		.amdhsa_group_segment_fixed_size 0
		.amdhsa_private_segment_fixed_size 0
		.amdhsa_kernarg_size 24
		.amdhsa_user_sgpr_count 6
		.amdhsa_user_sgpr_private_segment_buffer 1
		.amdhsa_user_sgpr_dispatch_ptr 0
		.amdhsa_user_sgpr_queue_ptr 0
		.amdhsa_user_sgpr_kernarg_segment_ptr 1
		.amdhsa_user_sgpr_dispatch_id 0
		.amdhsa_user_sgpr_flat_scratch_init 0
		.amdhsa_user_sgpr_private_segment_size 0
		.amdhsa_uses_dynamic_stack 0
		.amdhsa_system_sgpr_private_segment_wavefront_offset 0
		.amdhsa_system_sgpr_workgroup_id_x 1
		.amdhsa_system_sgpr_workgroup_id_y 0
		.amdhsa_system_sgpr_workgroup_id_z 0
		.amdhsa_system_sgpr_workgroup_info 0
		.amdhsa_system_vgpr_workitem_id 0
		.amdhsa_next_free_vgpr 3
		.amdhsa_next_free_sgpr 19
		.amdhsa_reserve_vcc 1
		.amdhsa_reserve_flat_scratch 0
		.amdhsa_float_round_mode_32 0
		.amdhsa_float_round_mode_16_64 0
		.amdhsa_float_denorm_mode_32 3
		.amdhsa_float_denorm_mode_16_64 3
		.amdhsa_dx10_clamp 1
		.amdhsa_ieee_mode 1
		.amdhsa_fp16_overflow 0
		.amdhsa_exception_fp_ieee_invalid_op 0
		.amdhsa_exception_fp_denorm_src 0
		.amdhsa_exception_fp_ieee_div_zero 0
		.amdhsa_exception_fp_ieee_overflow 0
		.amdhsa_exception_fp_ieee_underflow 0
		.amdhsa_exception_fp_ieee_inexact 0
		.amdhsa_exception_int_div_zero 0
	.end_amdhsa_kernel
	.section	.text._Z20binary_search_kernelIsEvmPT_Pb,"axG",@progbits,_Z20binary_search_kernelIsEvmPT_Pb,comdat
.Lfunc_end312:
	.size	_Z20binary_search_kernelIsEvmPT_Pb, .Lfunc_end312-_Z20binary_search_kernelIsEvmPT_Pb
                                        ; -- End function
	.set _Z20binary_search_kernelIsEvmPT_Pb.num_vgpr, 3
	.set _Z20binary_search_kernelIsEvmPT_Pb.num_agpr, 0
	.set _Z20binary_search_kernelIsEvmPT_Pb.numbered_sgpr, 19
	.set _Z20binary_search_kernelIsEvmPT_Pb.num_named_barrier, 0
	.set _Z20binary_search_kernelIsEvmPT_Pb.private_seg_size, 0
	.set _Z20binary_search_kernelIsEvmPT_Pb.uses_vcc, 1
	.set _Z20binary_search_kernelIsEvmPT_Pb.uses_flat_scratch, 0
	.set _Z20binary_search_kernelIsEvmPT_Pb.has_dyn_sized_stack, 0
	.set _Z20binary_search_kernelIsEvmPT_Pb.has_recursion, 0
	.set _Z20binary_search_kernelIsEvmPT_Pb.has_indirect_call, 0
	.section	.AMDGPU.csdata,"",@progbits
; Kernel info:
; codeLenInByte = 1880
; TotalNumSgprs: 23
; NumVgprs: 3
; ScratchSize: 0
; MemoryBound: 0
; FloatMode: 240
; IeeeMode: 1
; LDSByteSize: 0 bytes/workgroup (compile time only)
; SGPRBlocks: 2
; VGPRBlocks: 0
; NumSGPRsForWavesPerEU: 23
; NumVGPRsForWavesPerEU: 3
; Occupancy: 10
; WaveLimiterHint : 0
; COMPUTE_PGM_RSRC2:SCRATCH_EN: 0
; COMPUTE_PGM_RSRC2:USER_SGPR: 6
; COMPUTE_PGM_RSRC2:TRAP_HANDLER: 0
; COMPUTE_PGM_RSRC2:TGID_X_EN: 1
; COMPUTE_PGM_RSRC2:TGID_Y_EN: 0
; COMPUTE_PGM_RSRC2:TGID_Z_EN: 0
; COMPUTE_PGM_RSRC2:TIDIG_COMP_CNT: 0
	.section	.text._ZN7rocprim17ROCPRIM_400000_NS6detail17trampoline_kernelINS0_14default_configENS1_29binary_search_config_selectorIsiEEZNS1_14transform_implILb0ES3_S5_N6thrust23THRUST_200600_302600_NS6detail15normal_iteratorINS8_7pointerIsNS8_11hip_rocprim5par_tENS8_11use_defaultESE_EEEENSA_INSB_IiSD_SE_SE_EEEEZNS1_13binary_searchIS3_S5_PsSG_SI_NS1_16binary_search_opENS9_16wrapped_functionINS8_6system6detail7generic6detail18binary_search_lessEbEEEE10hipError_tPvRmT1_T2_T3_mmT4_T5_P12ihipStream_tbEUlRKsE_EEST_SX_SY_mSZ_S12_bEUlT_E_NS1_11comp_targetILNS1_3genE0ELNS1_11target_archE4294967295ELNS1_3gpuE0ELNS1_3repE0EEENS1_30default_config_static_selectorELNS0_4arch9wavefront6targetE1EEEvSW_,"axG",@progbits,_ZN7rocprim17ROCPRIM_400000_NS6detail17trampoline_kernelINS0_14default_configENS1_29binary_search_config_selectorIsiEEZNS1_14transform_implILb0ES3_S5_N6thrust23THRUST_200600_302600_NS6detail15normal_iteratorINS8_7pointerIsNS8_11hip_rocprim5par_tENS8_11use_defaultESE_EEEENSA_INSB_IiSD_SE_SE_EEEEZNS1_13binary_searchIS3_S5_PsSG_SI_NS1_16binary_search_opENS9_16wrapped_functionINS8_6system6detail7generic6detail18binary_search_lessEbEEEE10hipError_tPvRmT1_T2_T3_mmT4_T5_P12ihipStream_tbEUlRKsE_EEST_SX_SY_mSZ_S12_bEUlT_E_NS1_11comp_targetILNS1_3genE0ELNS1_11target_archE4294967295ELNS1_3gpuE0ELNS1_3repE0EEENS1_30default_config_static_selectorELNS0_4arch9wavefront6targetE1EEEvSW_,comdat
	.protected	_ZN7rocprim17ROCPRIM_400000_NS6detail17trampoline_kernelINS0_14default_configENS1_29binary_search_config_selectorIsiEEZNS1_14transform_implILb0ES3_S5_N6thrust23THRUST_200600_302600_NS6detail15normal_iteratorINS8_7pointerIsNS8_11hip_rocprim5par_tENS8_11use_defaultESE_EEEENSA_INSB_IiSD_SE_SE_EEEEZNS1_13binary_searchIS3_S5_PsSG_SI_NS1_16binary_search_opENS9_16wrapped_functionINS8_6system6detail7generic6detail18binary_search_lessEbEEEE10hipError_tPvRmT1_T2_T3_mmT4_T5_P12ihipStream_tbEUlRKsE_EEST_SX_SY_mSZ_S12_bEUlT_E_NS1_11comp_targetILNS1_3genE0ELNS1_11target_archE4294967295ELNS1_3gpuE0ELNS1_3repE0EEENS1_30default_config_static_selectorELNS0_4arch9wavefront6targetE1EEEvSW_ ; -- Begin function _ZN7rocprim17ROCPRIM_400000_NS6detail17trampoline_kernelINS0_14default_configENS1_29binary_search_config_selectorIsiEEZNS1_14transform_implILb0ES3_S5_N6thrust23THRUST_200600_302600_NS6detail15normal_iteratorINS8_7pointerIsNS8_11hip_rocprim5par_tENS8_11use_defaultESE_EEEENSA_INSB_IiSD_SE_SE_EEEEZNS1_13binary_searchIS3_S5_PsSG_SI_NS1_16binary_search_opENS9_16wrapped_functionINS8_6system6detail7generic6detail18binary_search_lessEbEEEE10hipError_tPvRmT1_T2_T3_mmT4_T5_P12ihipStream_tbEUlRKsE_EEST_SX_SY_mSZ_S12_bEUlT_E_NS1_11comp_targetILNS1_3genE0ELNS1_11target_archE4294967295ELNS1_3gpuE0ELNS1_3repE0EEENS1_30default_config_static_selectorELNS0_4arch9wavefront6targetE1EEEvSW_
	.globl	_ZN7rocprim17ROCPRIM_400000_NS6detail17trampoline_kernelINS0_14default_configENS1_29binary_search_config_selectorIsiEEZNS1_14transform_implILb0ES3_S5_N6thrust23THRUST_200600_302600_NS6detail15normal_iteratorINS8_7pointerIsNS8_11hip_rocprim5par_tENS8_11use_defaultESE_EEEENSA_INSB_IiSD_SE_SE_EEEEZNS1_13binary_searchIS3_S5_PsSG_SI_NS1_16binary_search_opENS9_16wrapped_functionINS8_6system6detail7generic6detail18binary_search_lessEbEEEE10hipError_tPvRmT1_T2_T3_mmT4_T5_P12ihipStream_tbEUlRKsE_EEST_SX_SY_mSZ_S12_bEUlT_E_NS1_11comp_targetILNS1_3genE0ELNS1_11target_archE4294967295ELNS1_3gpuE0ELNS1_3repE0EEENS1_30default_config_static_selectorELNS0_4arch9wavefront6targetE1EEEvSW_
	.p2align	8
	.type	_ZN7rocprim17ROCPRIM_400000_NS6detail17trampoline_kernelINS0_14default_configENS1_29binary_search_config_selectorIsiEEZNS1_14transform_implILb0ES3_S5_N6thrust23THRUST_200600_302600_NS6detail15normal_iteratorINS8_7pointerIsNS8_11hip_rocprim5par_tENS8_11use_defaultESE_EEEENSA_INSB_IiSD_SE_SE_EEEEZNS1_13binary_searchIS3_S5_PsSG_SI_NS1_16binary_search_opENS9_16wrapped_functionINS8_6system6detail7generic6detail18binary_search_lessEbEEEE10hipError_tPvRmT1_T2_T3_mmT4_T5_P12ihipStream_tbEUlRKsE_EEST_SX_SY_mSZ_S12_bEUlT_E_NS1_11comp_targetILNS1_3genE0ELNS1_11target_archE4294967295ELNS1_3gpuE0ELNS1_3repE0EEENS1_30default_config_static_selectorELNS0_4arch9wavefront6targetE1EEEvSW_,@function
_ZN7rocprim17ROCPRIM_400000_NS6detail17trampoline_kernelINS0_14default_configENS1_29binary_search_config_selectorIsiEEZNS1_14transform_implILb0ES3_S5_N6thrust23THRUST_200600_302600_NS6detail15normal_iteratorINS8_7pointerIsNS8_11hip_rocprim5par_tENS8_11use_defaultESE_EEEENSA_INSB_IiSD_SE_SE_EEEEZNS1_13binary_searchIS3_S5_PsSG_SI_NS1_16binary_search_opENS9_16wrapped_functionINS8_6system6detail7generic6detail18binary_search_lessEbEEEE10hipError_tPvRmT1_T2_T3_mmT4_T5_P12ihipStream_tbEUlRKsE_EEST_SX_SY_mSZ_S12_bEUlT_E_NS1_11comp_targetILNS1_3genE0ELNS1_11target_archE4294967295ELNS1_3gpuE0ELNS1_3repE0EEENS1_30default_config_static_selectorELNS0_4arch9wavefront6targetE1EEEvSW_: ; @_ZN7rocprim17ROCPRIM_400000_NS6detail17trampoline_kernelINS0_14default_configENS1_29binary_search_config_selectorIsiEEZNS1_14transform_implILb0ES3_S5_N6thrust23THRUST_200600_302600_NS6detail15normal_iteratorINS8_7pointerIsNS8_11hip_rocprim5par_tENS8_11use_defaultESE_EEEENSA_INSB_IiSD_SE_SE_EEEEZNS1_13binary_searchIS3_S5_PsSG_SI_NS1_16binary_search_opENS9_16wrapped_functionINS8_6system6detail7generic6detail18binary_search_lessEbEEEE10hipError_tPvRmT1_T2_T3_mmT4_T5_P12ihipStream_tbEUlRKsE_EEST_SX_SY_mSZ_S12_bEUlT_E_NS1_11comp_targetILNS1_3genE0ELNS1_11target_archE4294967295ELNS1_3gpuE0ELNS1_3repE0EEENS1_30default_config_static_selectorELNS0_4arch9wavefront6targetE1EEEvSW_
; %bb.0:
	.section	.rodata,"a",@progbits
	.p2align	6, 0x0
	.amdhsa_kernel _ZN7rocprim17ROCPRIM_400000_NS6detail17trampoline_kernelINS0_14default_configENS1_29binary_search_config_selectorIsiEEZNS1_14transform_implILb0ES3_S5_N6thrust23THRUST_200600_302600_NS6detail15normal_iteratorINS8_7pointerIsNS8_11hip_rocprim5par_tENS8_11use_defaultESE_EEEENSA_INSB_IiSD_SE_SE_EEEEZNS1_13binary_searchIS3_S5_PsSG_SI_NS1_16binary_search_opENS9_16wrapped_functionINS8_6system6detail7generic6detail18binary_search_lessEbEEEE10hipError_tPvRmT1_T2_T3_mmT4_T5_P12ihipStream_tbEUlRKsE_EEST_SX_SY_mSZ_S12_bEUlT_E_NS1_11comp_targetILNS1_3genE0ELNS1_11target_archE4294967295ELNS1_3gpuE0ELNS1_3repE0EEENS1_30default_config_static_selectorELNS0_4arch9wavefront6targetE1EEEvSW_
		.amdhsa_group_segment_fixed_size 0
		.amdhsa_private_segment_fixed_size 0
		.amdhsa_kernarg_size 56
		.amdhsa_user_sgpr_count 6
		.amdhsa_user_sgpr_private_segment_buffer 1
		.amdhsa_user_sgpr_dispatch_ptr 0
		.amdhsa_user_sgpr_queue_ptr 0
		.amdhsa_user_sgpr_kernarg_segment_ptr 1
		.amdhsa_user_sgpr_dispatch_id 0
		.amdhsa_user_sgpr_flat_scratch_init 0
		.amdhsa_user_sgpr_private_segment_size 0
		.amdhsa_uses_dynamic_stack 0
		.amdhsa_system_sgpr_private_segment_wavefront_offset 0
		.amdhsa_system_sgpr_workgroup_id_x 1
		.amdhsa_system_sgpr_workgroup_id_y 0
		.amdhsa_system_sgpr_workgroup_id_z 0
		.amdhsa_system_sgpr_workgroup_info 0
		.amdhsa_system_vgpr_workitem_id 0
		.amdhsa_next_free_vgpr 1
		.amdhsa_next_free_sgpr 0
		.amdhsa_reserve_vcc 0
		.amdhsa_reserve_flat_scratch 0
		.amdhsa_float_round_mode_32 0
		.amdhsa_float_round_mode_16_64 0
		.amdhsa_float_denorm_mode_32 3
		.amdhsa_float_denorm_mode_16_64 3
		.amdhsa_dx10_clamp 1
		.amdhsa_ieee_mode 1
		.amdhsa_fp16_overflow 0
		.amdhsa_exception_fp_ieee_invalid_op 0
		.amdhsa_exception_fp_denorm_src 0
		.amdhsa_exception_fp_ieee_div_zero 0
		.amdhsa_exception_fp_ieee_overflow 0
		.amdhsa_exception_fp_ieee_underflow 0
		.amdhsa_exception_fp_ieee_inexact 0
		.amdhsa_exception_int_div_zero 0
	.end_amdhsa_kernel
	.section	.text._ZN7rocprim17ROCPRIM_400000_NS6detail17trampoline_kernelINS0_14default_configENS1_29binary_search_config_selectorIsiEEZNS1_14transform_implILb0ES3_S5_N6thrust23THRUST_200600_302600_NS6detail15normal_iteratorINS8_7pointerIsNS8_11hip_rocprim5par_tENS8_11use_defaultESE_EEEENSA_INSB_IiSD_SE_SE_EEEEZNS1_13binary_searchIS3_S5_PsSG_SI_NS1_16binary_search_opENS9_16wrapped_functionINS8_6system6detail7generic6detail18binary_search_lessEbEEEE10hipError_tPvRmT1_T2_T3_mmT4_T5_P12ihipStream_tbEUlRKsE_EEST_SX_SY_mSZ_S12_bEUlT_E_NS1_11comp_targetILNS1_3genE0ELNS1_11target_archE4294967295ELNS1_3gpuE0ELNS1_3repE0EEENS1_30default_config_static_selectorELNS0_4arch9wavefront6targetE1EEEvSW_,"axG",@progbits,_ZN7rocprim17ROCPRIM_400000_NS6detail17trampoline_kernelINS0_14default_configENS1_29binary_search_config_selectorIsiEEZNS1_14transform_implILb0ES3_S5_N6thrust23THRUST_200600_302600_NS6detail15normal_iteratorINS8_7pointerIsNS8_11hip_rocprim5par_tENS8_11use_defaultESE_EEEENSA_INSB_IiSD_SE_SE_EEEEZNS1_13binary_searchIS3_S5_PsSG_SI_NS1_16binary_search_opENS9_16wrapped_functionINS8_6system6detail7generic6detail18binary_search_lessEbEEEE10hipError_tPvRmT1_T2_T3_mmT4_T5_P12ihipStream_tbEUlRKsE_EEST_SX_SY_mSZ_S12_bEUlT_E_NS1_11comp_targetILNS1_3genE0ELNS1_11target_archE4294967295ELNS1_3gpuE0ELNS1_3repE0EEENS1_30default_config_static_selectorELNS0_4arch9wavefront6targetE1EEEvSW_,comdat
.Lfunc_end313:
	.size	_ZN7rocprim17ROCPRIM_400000_NS6detail17trampoline_kernelINS0_14default_configENS1_29binary_search_config_selectorIsiEEZNS1_14transform_implILb0ES3_S5_N6thrust23THRUST_200600_302600_NS6detail15normal_iteratorINS8_7pointerIsNS8_11hip_rocprim5par_tENS8_11use_defaultESE_EEEENSA_INSB_IiSD_SE_SE_EEEEZNS1_13binary_searchIS3_S5_PsSG_SI_NS1_16binary_search_opENS9_16wrapped_functionINS8_6system6detail7generic6detail18binary_search_lessEbEEEE10hipError_tPvRmT1_T2_T3_mmT4_T5_P12ihipStream_tbEUlRKsE_EEST_SX_SY_mSZ_S12_bEUlT_E_NS1_11comp_targetILNS1_3genE0ELNS1_11target_archE4294967295ELNS1_3gpuE0ELNS1_3repE0EEENS1_30default_config_static_selectorELNS0_4arch9wavefront6targetE1EEEvSW_, .Lfunc_end313-_ZN7rocprim17ROCPRIM_400000_NS6detail17trampoline_kernelINS0_14default_configENS1_29binary_search_config_selectorIsiEEZNS1_14transform_implILb0ES3_S5_N6thrust23THRUST_200600_302600_NS6detail15normal_iteratorINS8_7pointerIsNS8_11hip_rocprim5par_tENS8_11use_defaultESE_EEEENSA_INSB_IiSD_SE_SE_EEEEZNS1_13binary_searchIS3_S5_PsSG_SI_NS1_16binary_search_opENS9_16wrapped_functionINS8_6system6detail7generic6detail18binary_search_lessEbEEEE10hipError_tPvRmT1_T2_T3_mmT4_T5_P12ihipStream_tbEUlRKsE_EEST_SX_SY_mSZ_S12_bEUlT_E_NS1_11comp_targetILNS1_3genE0ELNS1_11target_archE4294967295ELNS1_3gpuE0ELNS1_3repE0EEENS1_30default_config_static_selectorELNS0_4arch9wavefront6targetE1EEEvSW_
                                        ; -- End function
	.set _ZN7rocprim17ROCPRIM_400000_NS6detail17trampoline_kernelINS0_14default_configENS1_29binary_search_config_selectorIsiEEZNS1_14transform_implILb0ES3_S5_N6thrust23THRUST_200600_302600_NS6detail15normal_iteratorINS8_7pointerIsNS8_11hip_rocprim5par_tENS8_11use_defaultESE_EEEENSA_INSB_IiSD_SE_SE_EEEEZNS1_13binary_searchIS3_S5_PsSG_SI_NS1_16binary_search_opENS9_16wrapped_functionINS8_6system6detail7generic6detail18binary_search_lessEbEEEE10hipError_tPvRmT1_T2_T3_mmT4_T5_P12ihipStream_tbEUlRKsE_EEST_SX_SY_mSZ_S12_bEUlT_E_NS1_11comp_targetILNS1_3genE0ELNS1_11target_archE4294967295ELNS1_3gpuE0ELNS1_3repE0EEENS1_30default_config_static_selectorELNS0_4arch9wavefront6targetE1EEEvSW_.num_vgpr, 0
	.set _ZN7rocprim17ROCPRIM_400000_NS6detail17trampoline_kernelINS0_14default_configENS1_29binary_search_config_selectorIsiEEZNS1_14transform_implILb0ES3_S5_N6thrust23THRUST_200600_302600_NS6detail15normal_iteratorINS8_7pointerIsNS8_11hip_rocprim5par_tENS8_11use_defaultESE_EEEENSA_INSB_IiSD_SE_SE_EEEEZNS1_13binary_searchIS3_S5_PsSG_SI_NS1_16binary_search_opENS9_16wrapped_functionINS8_6system6detail7generic6detail18binary_search_lessEbEEEE10hipError_tPvRmT1_T2_T3_mmT4_T5_P12ihipStream_tbEUlRKsE_EEST_SX_SY_mSZ_S12_bEUlT_E_NS1_11comp_targetILNS1_3genE0ELNS1_11target_archE4294967295ELNS1_3gpuE0ELNS1_3repE0EEENS1_30default_config_static_selectorELNS0_4arch9wavefront6targetE1EEEvSW_.num_agpr, 0
	.set _ZN7rocprim17ROCPRIM_400000_NS6detail17trampoline_kernelINS0_14default_configENS1_29binary_search_config_selectorIsiEEZNS1_14transform_implILb0ES3_S5_N6thrust23THRUST_200600_302600_NS6detail15normal_iteratorINS8_7pointerIsNS8_11hip_rocprim5par_tENS8_11use_defaultESE_EEEENSA_INSB_IiSD_SE_SE_EEEEZNS1_13binary_searchIS3_S5_PsSG_SI_NS1_16binary_search_opENS9_16wrapped_functionINS8_6system6detail7generic6detail18binary_search_lessEbEEEE10hipError_tPvRmT1_T2_T3_mmT4_T5_P12ihipStream_tbEUlRKsE_EEST_SX_SY_mSZ_S12_bEUlT_E_NS1_11comp_targetILNS1_3genE0ELNS1_11target_archE4294967295ELNS1_3gpuE0ELNS1_3repE0EEENS1_30default_config_static_selectorELNS0_4arch9wavefront6targetE1EEEvSW_.numbered_sgpr, 0
	.set _ZN7rocprim17ROCPRIM_400000_NS6detail17trampoline_kernelINS0_14default_configENS1_29binary_search_config_selectorIsiEEZNS1_14transform_implILb0ES3_S5_N6thrust23THRUST_200600_302600_NS6detail15normal_iteratorINS8_7pointerIsNS8_11hip_rocprim5par_tENS8_11use_defaultESE_EEEENSA_INSB_IiSD_SE_SE_EEEEZNS1_13binary_searchIS3_S5_PsSG_SI_NS1_16binary_search_opENS9_16wrapped_functionINS8_6system6detail7generic6detail18binary_search_lessEbEEEE10hipError_tPvRmT1_T2_T3_mmT4_T5_P12ihipStream_tbEUlRKsE_EEST_SX_SY_mSZ_S12_bEUlT_E_NS1_11comp_targetILNS1_3genE0ELNS1_11target_archE4294967295ELNS1_3gpuE0ELNS1_3repE0EEENS1_30default_config_static_selectorELNS0_4arch9wavefront6targetE1EEEvSW_.num_named_barrier, 0
	.set _ZN7rocprim17ROCPRIM_400000_NS6detail17trampoline_kernelINS0_14default_configENS1_29binary_search_config_selectorIsiEEZNS1_14transform_implILb0ES3_S5_N6thrust23THRUST_200600_302600_NS6detail15normal_iteratorINS8_7pointerIsNS8_11hip_rocprim5par_tENS8_11use_defaultESE_EEEENSA_INSB_IiSD_SE_SE_EEEEZNS1_13binary_searchIS3_S5_PsSG_SI_NS1_16binary_search_opENS9_16wrapped_functionINS8_6system6detail7generic6detail18binary_search_lessEbEEEE10hipError_tPvRmT1_T2_T3_mmT4_T5_P12ihipStream_tbEUlRKsE_EEST_SX_SY_mSZ_S12_bEUlT_E_NS1_11comp_targetILNS1_3genE0ELNS1_11target_archE4294967295ELNS1_3gpuE0ELNS1_3repE0EEENS1_30default_config_static_selectorELNS0_4arch9wavefront6targetE1EEEvSW_.private_seg_size, 0
	.set _ZN7rocprim17ROCPRIM_400000_NS6detail17trampoline_kernelINS0_14default_configENS1_29binary_search_config_selectorIsiEEZNS1_14transform_implILb0ES3_S5_N6thrust23THRUST_200600_302600_NS6detail15normal_iteratorINS8_7pointerIsNS8_11hip_rocprim5par_tENS8_11use_defaultESE_EEEENSA_INSB_IiSD_SE_SE_EEEEZNS1_13binary_searchIS3_S5_PsSG_SI_NS1_16binary_search_opENS9_16wrapped_functionINS8_6system6detail7generic6detail18binary_search_lessEbEEEE10hipError_tPvRmT1_T2_T3_mmT4_T5_P12ihipStream_tbEUlRKsE_EEST_SX_SY_mSZ_S12_bEUlT_E_NS1_11comp_targetILNS1_3genE0ELNS1_11target_archE4294967295ELNS1_3gpuE0ELNS1_3repE0EEENS1_30default_config_static_selectorELNS0_4arch9wavefront6targetE1EEEvSW_.uses_vcc, 0
	.set _ZN7rocprim17ROCPRIM_400000_NS6detail17trampoline_kernelINS0_14default_configENS1_29binary_search_config_selectorIsiEEZNS1_14transform_implILb0ES3_S5_N6thrust23THRUST_200600_302600_NS6detail15normal_iteratorINS8_7pointerIsNS8_11hip_rocprim5par_tENS8_11use_defaultESE_EEEENSA_INSB_IiSD_SE_SE_EEEEZNS1_13binary_searchIS3_S5_PsSG_SI_NS1_16binary_search_opENS9_16wrapped_functionINS8_6system6detail7generic6detail18binary_search_lessEbEEEE10hipError_tPvRmT1_T2_T3_mmT4_T5_P12ihipStream_tbEUlRKsE_EEST_SX_SY_mSZ_S12_bEUlT_E_NS1_11comp_targetILNS1_3genE0ELNS1_11target_archE4294967295ELNS1_3gpuE0ELNS1_3repE0EEENS1_30default_config_static_selectorELNS0_4arch9wavefront6targetE1EEEvSW_.uses_flat_scratch, 0
	.set _ZN7rocprim17ROCPRIM_400000_NS6detail17trampoline_kernelINS0_14default_configENS1_29binary_search_config_selectorIsiEEZNS1_14transform_implILb0ES3_S5_N6thrust23THRUST_200600_302600_NS6detail15normal_iteratorINS8_7pointerIsNS8_11hip_rocprim5par_tENS8_11use_defaultESE_EEEENSA_INSB_IiSD_SE_SE_EEEEZNS1_13binary_searchIS3_S5_PsSG_SI_NS1_16binary_search_opENS9_16wrapped_functionINS8_6system6detail7generic6detail18binary_search_lessEbEEEE10hipError_tPvRmT1_T2_T3_mmT4_T5_P12ihipStream_tbEUlRKsE_EEST_SX_SY_mSZ_S12_bEUlT_E_NS1_11comp_targetILNS1_3genE0ELNS1_11target_archE4294967295ELNS1_3gpuE0ELNS1_3repE0EEENS1_30default_config_static_selectorELNS0_4arch9wavefront6targetE1EEEvSW_.has_dyn_sized_stack, 0
	.set _ZN7rocprim17ROCPRIM_400000_NS6detail17trampoline_kernelINS0_14default_configENS1_29binary_search_config_selectorIsiEEZNS1_14transform_implILb0ES3_S5_N6thrust23THRUST_200600_302600_NS6detail15normal_iteratorINS8_7pointerIsNS8_11hip_rocprim5par_tENS8_11use_defaultESE_EEEENSA_INSB_IiSD_SE_SE_EEEEZNS1_13binary_searchIS3_S5_PsSG_SI_NS1_16binary_search_opENS9_16wrapped_functionINS8_6system6detail7generic6detail18binary_search_lessEbEEEE10hipError_tPvRmT1_T2_T3_mmT4_T5_P12ihipStream_tbEUlRKsE_EEST_SX_SY_mSZ_S12_bEUlT_E_NS1_11comp_targetILNS1_3genE0ELNS1_11target_archE4294967295ELNS1_3gpuE0ELNS1_3repE0EEENS1_30default_config_static_selectorELNS0_4arch9wavefront6targetE1EEEvSW_.has_recursion, 0
	.set _ZN7rocprim17ROCPRIM_400000_NS6detail17trampoline_kernelINS0_14default_configENS1_29binary_search_config_selectorIsiEEZNS1_14transform_implILb0ES3_S5_N6thrust23THRUST_200600_302600_NS6detail15normal_iteratorINS8_7pointerIsNS8_11hip_rocprim5par_tENS8_11use_defaultESE_EEEENSA_INSB_IiSD_SE_SE_EEEEZNS1_13binary_searchIS3_S5_PsSG_SI_NS1_16binary_search_opENS9_16wrapped_functionINS8_6system6detail7generic6detail18binary_search_lessEbEEEE10hipError_tPvRmT1_T2_T3_mmT4_T5_P12ihipStream_tbEUlRKsE_EEST_SX_SY_mSZ_S12_bEUlT_E_NS1_11comp_targetILNS1_3genE0ELNS1_11target_archE4294967295ELNS1_3gpuE0ELNS1_3repE0EEENS1_30default_config_static_selectorELNS0_4arch9wavefront6targetE1EEEvSW_.has_indirect_call, 0
	.section	.AMDGPU.csdata,"",@progbits
; Kernel info:
; codeLenInByte = 0
; TotalNumSgprs: 4
; NumVgprs: 0
; ScratchSize: 0
; MemoryBound: 0
; FloatMode: 240
; IeeeMode: 1
; LDSByteSize: 0 bytes/workgroup (compile time only)
; SGPRBlocks: 0
; VGPRBlocks: 0
; NumSGPRsForWavesPerEU: 4
; NumVGPRsForWavesPerEU: 1
; Occupancy: 10
; WaveLimiterHint : 0
; COMPUTE_PGM_RSRC2:SCRATCH_EN: 0
; COMPUTE_PGM_RSRC2:USER_SGPR: 6
; COMPUTE_PGM_RSRC2:TRAP_HANDLER: 0
; COMPUTE_PGM_RSRC2:TGID_X_EN: 1
; COMPUTE_PGM_RSRC2:TGID_Y_EN: 0
; COMPUTE_PGM_RSRC2:TGID_Z_EN: 0
; COMPUTE_PGM_RSRC2:TIDIG_COMP_CNT: 0
	.section	.text._ZN7rocprim17ROCPRIM_400000_NS6detail17trampoline_kernelINS0_14default_configENS1_29binary_search_config_selectorIsiEEZNS1_14transform_implILb0ES3_S5_N6thrust23THRUST_200600_302600_NS6detail15normal_iteratorINS8_7pointerIsNS8_11hip_rocprim5par_tENS8_11use_defaultESE_EEEENSA_INSB_IiSD_SE_SE_EEEEZNS1_13binary_searchIS3_S5_PsSG_SI_NS1_16binary_search_opENS9_16wrapped_functionINS8_6system6detail7generic6detail18binary_search_lessEbEEEE10hipError_tPvRmT1_T2_T3_mmT4_T5_P12ihipStream_tbEUlRKsE_EEST_SX_SY_mSZ_S12_bEUlT_E_NS1_11comp_targetILNS1_3genE5ELNS1_11target_archE942ELNS1_3gpuE9ELNS1_3repE0EEENS1_30default_config_static_selectorELNS0_4arch9wavefront6targetE1EEEvSW_,"axG",@progbits,_ZN7rocprim17ROCPRIM_400000_NS6detail17trampoline_kernelINS0_14default_configENS1_29binary_search_config_selectorIsiEEZNS1_14transform_implILb0ES3_S5_N6thrust23THRUST_200600_302600_NS6detail15normal_iteratorINS8_7pointerIsNS8_11hip_rocprim5par_tENS8_11use_defaultESE_EEEENSA_INSB_IiSD_SE_SE_EEEEZNS1_13binary_searchIS3_S5_PsSG_SI_NS1_16binary_search_opENS9_16wrapped_functionINS8_6system6detail7generic6detail18binary_search_lessEbEEEE10hipError_tPvRmT1_T2_T3_mmT4_T5_P12ihipStream_tbEUlRKsE_EEST_SX_SY_mSZ_S12_bEUlT_E_NS1_11comp_targetILNS1_3genE5ELNS1_11target_archE942ELNS1_3gpuE9ELNS1_3repE0EEENS1_30default_config_static_selectorELNS0_4arch9wavefront6targetE1EEEvSW_,comdat
	.protected	_ZN7rocprim17ROCPRIM_400000_NS6detail17trampoline_kernelINS0_14default_configENS1_29binary_search_config_selectorIsiEEZNS1_14transform_implILb0ES3_S5_N6thrust23THRUST_200600_302600_NS6detail15normal_iteratorINS8_7pointerIsNS8_11hip_rocprim5par_tENS8_11use_defaultESE_EEEENSA_INSB_IiSD_SE_SE_EEEEZNS1_13binary_searchIS3_S5_PsSG_SI_NS1_16binary_search_opENS9_16wrapped_functionINS8_6system6detail7generic6detail18binary_search_lessEbEEEE10hipError_tPvRmT1_T2_T3_mmT4_T5_P12ihipStream_tbEUlRKsE_EEST_SX_SY_mSZ_S12_bEUlT_E_NS1_11comp_targetILNS1_3genE5ELNS1_11target_archE942ELNS1_3gpuE9ELNS1_3repE0EEENS1_30default_config_static_selectorELNS0_4arch9wavefront6targetE1EEEvSW_ ; -- Begin function _ZN7rocprim17ROCPRIM_400000_NS6detail17trampoline_kernelINS0_14default_configENS1_29binary_search_config_selectorIsiEEZNS1_14transform_implILb0ES3_S5_N6thrust23THRUST_200600_302600_NS6detail15normal_iteratorINS8_7pointerIsNS8_11hip_rocprim5par_tENS8_11use_defaultESE_EEEENSA_INSB_IiSD_SE_SE_EEEEZNS1_13binary_searchIS3_S5_PsSG_SI_NS1_16binary_search_opENS9_16wrapped_functionINS8_6system6detail7generic6detail18binary_search_lessEbEEEE10hipError_tPvRmT1_T2_T3_mmT4_T5_P12ihipStream_tbEUlRKsE_EEST_SX_SY_mSZ_S12_bEUlT_E_NS1_11comp_targetILNS1_3genE5ELNS1_11target_archE942ELNS1_3gpuE9ELNS1_3repE0EEENS1_30default_config_static_selectorELNS0_4arch9wavefront6targetE1EEEvSW_
	.globl	_ZN7rocprim17ROCPRIM_400000_NS6detail17trampoline_kernelINS0_14default_configENS1_29binary_search_config_selectorIsiEEZNS1_14transform_implILb0ES3_S5_N6thrust23THRUST_200600_302600_NS6detail15normal_iteratorINS8_7pointerIsNS8_11hip_rocprim5par_tENS8_11use_defaultESE_EEEENSA_INSB_IiSD_SE_SE_EEEEZNS1_13binary_searchIS3_S5_PsSG_SI_NS1_16binary_search_opENS9_16wrapped_functionINS8_6system6detail7generic6detail18binary_search_lessEbEEEE10hipError_tPvRmT1_T2_T3_mmT4_T5_P12ihipStream_tbEUlRKsE_EEST_SX_SY_mSZ_S12_bEUlT_E_NS1_11comp_targetILNS1_3genE5ELNS1_11target_archE942ELNS1_3gpuE9ELNS1_3repE0EEENS1_30default_config_static_selectorELNS0_4arch9wavefront6targetE1EEEvSW_
	.p2align	8
	.type	_ZN7rocprim17ROCPRIM_400000_NS6detail17trampoline_kernelINS0_14default_configENS1_29binary_search_config_selectorIsiEEZNS1_14transform_implILb0ES3_S5_N6thrust23THRUST_200600_302600_NS6detail15normal_iteratorINS8_7pointerIsNS8_11hip_rocprim5par_tENS8_11use_defaultESE_EEEENSA_INSB_IiSD_SE_SE_EEEEZNS1_13binary_searchIS3_S5_PsSG_SI_NS1_16binary_search_opENS9_16wrapped_functionINS8_6system6detail7generic6detail18binary_search_lessEbEEEE10hipError_tPvRmT1_T2_T3_mmT4_T5_P12ihipStream_tbEUlRKsE_EEST_SX_SY_mSZ_S12_bEUlT_E_NS1_11comp_targetILNS1_3genE5ELNS1_11target_archE942ELNS1_3gpuE9ELNS1_3repE0EEENS1_30default_config_static_selectorELNS0_4arch9wavefront6targetE1EEEvSW_,@function
_ZN7rocprim17ROCPRIM_400000_NS6detail17trampoline_kernelINS0_14default_configENS1_29binary_search_config_selectorIsiEEZNS1_14transform_implILb0ES3_S5_N6thrust23THRUST_200600_302600_NS6detail15normal_iteratorINS8_7pointerIsNS8_11hip_rocprim5par_tENS8_11use_defaultESE_EEEENSA_INSB_IiSD_SE_SE_EEEEZNS1_13binary_searchIS3_S5_PsSG_SI_NS1_16binary_search_opENS9_16wrapped_functionINS8_6system6detail7generic6detail18binary_search_lessEbEEEE10hipError_tPvRmT1_T2_T3_mmT4_T5_P12ihipStream_tbEUlRKsE_EEST_SX_SY_mSZ_S12_bEUlT_E_NS1_11comp_targetILNS1_3genE5ELNS1_11target_archE942ELNS1_3gpuE9ELNS1_3repE0EEENS1_30default_config_static_selectorELNS0_4arch9wavefront6targetE1EEEvSW_: ; @_ZN7rocprim17ROCPRIM_400000_NS6detail17trampoline_kernelINS0_14default_configENS1_29binary_search_config_selectorIsiEEZNS1_14transform_implILb0ES3_S5_N6thrust23THRUST_200600_302600_NS6detail15normal_iteratorINS8_7pointerIsNS8_11hip_rocprim5par_tENS8_11use_defaultESE_EEEENSA_INSB_IiSD_SE_SE_EEEEZNS1_13binary_searchIS3_S5_PsSG_SI_NS1_16binary_search_opENS9_16wrapped_functionINS8_6system6detail7generic6detail18binary_search_lessEbEEEE10hipError_tPvRmT1_T2_T3_mmT4_T5_P12ihipStream_tbEUlRKsE_EEST_SX_SY_mSZ_S12_bEUlT_E_NS1_11comp_targetILNS1_3genE5ELNS1_11target_archE942ELNS1_3gpuE9ELNS1_3repE0EEENS1_30default_config_static_selectorELNS0_4arch9wavefront6targetE1EEEvSW_
; %bb.0:
	.section	.rodata,"a",@progbits
	.p2align	6, 0x0
	.amdhsa_kernel _ZN7rocprim17ROCPRIM_400000_NS6detail17trampoline_kernelINS0_14default_configENS1_29binary_search_config_selectorIsiEEZNS1_14transform_implILb0ES3_S5_N6thrust23THRUST_200600_302600_NS6detail15normal_iteratorINS8_7pointerIsNS8_11hip_rocprim5par_tENS8_11use_defaultESE_EEEENSA_INSB_IiSD_SE_SE_EEEEZNS1_13binary_searchIS3_S5_PsSG_SI_NS1_16binary_search_opENS9_16wrapped_functionINS8_6system6detail7generic6detail18binary_search_lessEbEEEE10hipError_tPvRmT1_T2_T3_mmT4_T5_P12ihipStream_tbEUlRKsE_EEST_SX_SY_mSZ_S12_bEUlT_E_NS1_11comp_targetILNS1_3genE5ELNS1_11target_archE942ELNS1_3gpuE9ELNS1_3repE0EEENS1_30default_config_static_selectorELNS0_4arch9wavefront6targetE1EEEvSW_
		.amdhsa_group_segment_fixed_size 0
		.amdhsa_private_segment_fixed_size 0
		.amdhsa_kernarg_size 56
		.amdhsa_user_sgpr_count 6
		.amdhsa_user_sgpr_private_segment_buffer 1
		.amdhsa_user_sgpr_dispatch_ptr 0
		.amdhsa_user_sgpr_queue_ptr 0
		.amdhsa_user_sgpr_kernarg_segment_ptr 1
		.amdhsa_user_sgpr_dispatch_id 0
		.amdhsa_user_sgpr_flat_scratch_init 0
		.amdhsa_user_sgpr_private_segment_size 0
		.amdhsa_uses_dynamic_stack 0
		.amdhsa_system_sgpr_private_segment_wavefront_offset 0
		.amdhsa_system_sgpr_workgroup_id_x 1
		.amdhsa_system_sgpr_workgroup_id_y 0
		.amdhsa_system_sgpr_workgroup_id_z 0
		.amdhsa_system_sgpr_workgroup_info 0
		.amdhsa_system_vgpr_workitem_id 0
		.amdhsa_next_free_vgpr 1
		.amdhsa_next_free_sgpr 0
		.amdhsa_reserve_vcc 0
		.amdhsa_reserve_flat_scratch 0
		.amdhsa_float_round_mode_32 0
		.amdhsa_float_round_mode_16_64 0
		.amdhsa_float_denorm_mode_32 3
		.amdhsa_float_denorm_mode_16_64 3
		.amdhsa_dx10_clamp 1
		.amdhsa_ieee_mode 1
		.amdhsa_fp16_overflow 0
		.amdhsa_exception_fp_ieee_invalid_op 0
		.amdhsa_exception_fp_denorm_src 0
		.amdhsa_exception_fp_ieee_div_zero 0
		.amdhsa_exception_fp_ieee_overflow 0
		.amdhsa_exception_fp_ieee_underflow 0
		.amdhsa_exception_fp_ieee_inexact 0
		.amdhsa_exception_int_div_zero 0
	.end_amdhsa_kernel
	.section	.text._ZN7rocprim17ROCPRIM_400000_NS6detail17trampoline_kernelINS0_14default_configENS1_29binary_search_config_selectorIsiEEZNS1_14transform_implILb0ES3_S5_N6thrust23THRUST_200600_302600_NS6detail15normal_iteratorINS8_7pointerIsNS8_11hip_rocprim5par_tENS8_11use_defaultESE_EEEENSA_INSB_IiSD_SE_SE_EEEEZNS1_13binary_searchIS3_S5_PsSG_SI_NS1_16binary_search_opENS9_16wrapped_functionINS8_6system6detail7generic6detail18binary_search_lessEbEEEE10hipError_tPvRmT1_T2_T3_mmT4_T5_P12ihipStream_tbEUlRKsE_EEST_SX_SY_mSZ_S12_bEUlT_E_NS1_11comp_targetILNS1_3genE5ELNS1_11target_archE942ELNS1_3gpuE9ELNS1_3repE0EEENS1_30default_config_static_selectorELNS0_4arch9wavefront6targetE1EEEvSW_,"axG",@progbits,_ZN7rocprim17ROCPRIM_400000_NS6detail17trampoline_kernelINS0_14default_configENS1_29binary_search_config_selectorIsiEEZNS1_14transform_implILb0ES3_S5_N6thrust23THRUST_200600_302600_NS6detail15normal_iteratorINS8_7pointerIsNS8_11hip_rocprim5par_tENS8_11use_defaultESE_EEEENSA_INSB_IiSD_SE_SE_EEEEZNS1_13binary_searchIS3_S5_PsSG_SI_NS1_16binary_search_opENS9_16wrapped_functionINS8_6system6detail7generic6detail18binary_search_lessEbEEEE10hipError_tPvRmT1_T2_T3_mmT4_T5_P12ihipStream_tbEUlRKsE_EEST_SX_SY_mSZ_S12_bEUlT_E_NS1_11comp_targetILNS1_3genE5ELNS1_11target_archE942ELNS1_3gpuE9ELNS1_3repE0EEENS1_30default_config_static_selectorELNS0_4arch9wavefront6targetE1EEEvSW_,comdat
.Lfunc_end314:
	.size	_ZN7rocprim17ROCPRIM_400000_NS6detail17trampoline_kernelINS0_14default_configENS1_29binary_search_config_selectorIsiEEZNS1_14transform_implILb0ES3_S5_N6thrust23THRUST_200600_302600_NS6detail15normal_iteratorINS8_7pointerIsNS8_11hip_rocprim5par_tENS8_11use_defaultESE_EEEENSA_INSB_IiSD_SE_SE_EEEEZNS1_13binary_searchIS3_S5_PsSG_SI_NS1_16binary_search_opENS9_16wrapped_functionINS8_6system6detail7generic6detail18binary_search_lessEbEEEE10hipError_tPvRmT1_T2_T3_mmT4_T5_P12ihipStream_tbEUlRKsE_EEST_SX_SY_mSZ_S12_bEUlT_E_NS1_11comp_targetILNS1_3genE5ELNS1_11target_archE942ELNS1_3gpuE9ELNS1_3repE0EEENS1_30default_config_static_selectorELNS0_4arch9wavefront6targetE1EEEvSW_, .Lfunc_end314-_ZN7rocprim17ROCPRIM_400000_NS6detail17trampoline_kernelINS0_14default_configENS1_29binary_search_config_selectorIsiEEZNS1_14transform_implILb0ES3_S5_N6thrust23THRUST_200600_302600_NS6detail15normal_iteratorINS8_7pointerIsNS8_11hip_rocprim5par_tENS8_11use_defaultESE_EEEENSA_INSB_IiSD_SE_SE_EEEEZNS1_13binary_searchIS3_S5_PsSG_SI_NS1_16binary_search_opENS9_16wrapped_functionINS8_6system6detail7generic6detail18binary_search_lessEbEEEE10hipError_tPvRmT1_T2_T3_mmT4_T5_P12ihipStream_tbEUlRKsE_EEST_SX_SY_mSZ_S12_bEUlT_E_NS1_11comp_targetILNS1_3genE5ELNS1_11target_archE942ELNS1_3gpuE9ELNS1_3repE0EEENS1_30default_config_static_selectorELNS0_4arch9wavefront6targetE1EEEvSW_
                                        ; -- End function
	.set _ZN7rocprim17ROCPRIM_400000_NS6detail17trampoline_kernelINS0_14default_configENS1_29binary_search_config_selectorIsiEEZNS1_14transform_implILb0ES3_S5_N6thrust23THRUST_200600_302600_NS6detail15normal_iteratorINS8_7pointerIsNS8_11hip_rocprim5par_tENS8_11use_defaultESE_EEEENSA_INSB_IiSD_SE_SE_EEEEZNS1_13binary_searchIS3_S5_PsSG_SI_NS1_16binary_search_opENS9_16wrapped_functionINS8_6system6detail7generic6detail18binary_search_lessEbEEEE10hipError_tPvRmT1_T2_T3_mmT4_T5_P12ihipStream_tbEUlRKsE_EEST_SX_SY_mSZ_S12_bEUlT_E_NS1_11comp_targetILNS1_3genE5ELNS1_11target_archE942ELNS1_3gpuE9ELNS1_3repE0EEENS1_30default_config_static_selectorELNS0_4arch9wavefront6targetE1EEEvSW_.num_vgpr, 0
	.set _ZN7rocprim17ROCPRIM_400000_NS6detail17trampoline_kernelINS0_14default_configENS1_29binary_search_config_selectorIsiEEZNS1_14transform_implILb0ES3_S5_N6thrust23THRUST_200600_302600_NS6detail15normal_iteratorINS8_7pointerIsNS8_11hip_rocprim5par_tENS8_11use_defaultESE_EEEENSA_INSB_IiSD_SE_SE_EEEEZNS1_13binary_searchIS3_S5_PsSG_SI_NS1_16binary_search_opENS9_16wrapped_functionINS8_6system6detail7generic6detail18binary_search_lessEbEEEE10hipError_tPvRmT1_T2_T3_mmT4_T5_P12ihipStream_tbEUlRKsE_EEST_SX_SY_mSZ_S12_bEUlT_E_NS1_11comp_targetILNS1_3genE5ELNS1_11target_archE942ELNS1_3gpuE9ELNS1_3repE0EEENS1_30default_config_static_selectorELNS0_4arch9wavefront6targetE1EEEvSW_.num_agpr, 0
	.set _ZN7rocprim17ROCPRIM_400000_NS6detail17trampoline_kernelINS0_14default_configENS1_29binary_search_config_selectorIsiEEZNS1_14transform_implILb0ES3_S5_N6thrust23THRUST_200600_302600_NS6detail15normal_iteratorINS8_7pointerIsNS8_11hip_rocprim5par_tENS8_11use_defaultESE_EEEENSA_INSB_IiSD_SE_SE_EEEEZNS1_13binary_searchIS3_S5_PsSG_SI_NS1_16binary_search_opENS9_16wrapped_functionINS8_6system6detail7generic6detail18binary_search_lessEbEEEE10hipError_tPvRmT1_T2_T3_mmT4_T5_P12ihipStream_tbEUlRKsE_EEST_SX_SY_mSZ_S12_bEUlT_E_NS1_11comp_targetILNS1_3genE5ELNS1_11target_archE942ELNS1_3gpuE9ELNS1_3repE0EEENS1_30default_config_static_selectorELNS0_4arch9wavefront6targetE1EEEvSW_.numbered_sgpr, 0
	.set _ZN7rocprim17ROCPRIM_400000_NS6detail17trampoline_kernelINS0_14default_configENS1_29binary_search_config_selectorIsiEEZNS1_14transform_implILb0ES3_S5_N6thrust23THRUST_200600_302600_NS6detail15normal_iteratorINS8_7pointerIsNS8_11hip_rocprim5par_tENS8_11use_defaultESE_EEEENSA_INSB_IiSD_SE_SE_EEEEZNS1_13binary_searchIS3_S5_PsSG_SI_NS1_16binary_search_opENS9_16wrapped_functionINS8_6system6detail7generic6detail18binary_search_lessEbEEEE10hipError_tPvRmT1_T2_T3_mmT4_T5_P12ihipStream_tbEUlRKsE_EEST_SX_SY_mSZ_S12_bEUlT_E_NS1_11comp_targetILNS1_3genE5ELNS1_11target_archE942ELNS1_3gpuE9ELNS1_3repE0EEENS1_30default_config_static_selectorELNS0_4arch9wavefront6targetE1EEEvSW_.num_named_barrier, 0
	.set _ZN7rocprim17ROCPRIM_400000_NS6detail17trampoline_kernelINS0_14default_configENS1_29binary_search_config_selectorIsiEEZNS1_14transform_implILb0ES3_S5_N6thrust23THRUST_200600_302600_NS6detail15normal_iteratorINS8_7pointerIsNS8_11hip_rocprim5par_tENS8_11use_defaultESE_EEEENSA_INSB_IiSD_SE_SE_EEEEZNS1_13binary_searchIS3_S5_PsSG_SI_NS1_16binary_search_opENS9_16wrapped_functionINS8_6system6detail7generic6detail18binary_search_lessEbEEEE10hipError_tPvRmT1_T2_T3_mmT4_T5_P12ihipStream_tbEUlRKsE_EEST_SX_SY_mSZ_S12_bEUlT_E_NS1_11comp_targetILNS1_3genE5ELNS1_11target_archE942ELNS1_3gpuE9ELNS1_3repE0EEENS1_30default_config_static_selectorELNS0_4arch9wavefront6targetE1EEEvSW_.private_seg_size, 0
	.set _ZN7rocprim17ROCPRIM_400000_NS6detail17trampoline_kernelINS0_14default_configENS1_29binary_search_config_selectorIsiEEZNS1_14transform_implILb0ES3_S5_N6thrust23THRUST_200600_302600_NS6detail15normal_iteratorINS8_7pointerIsNS8_11hip_rocprim5par_tENS8_11use_defaultESE_EEEENSA_INSB_IiSD_SE_SE_EEEEZNS1_13binary_searchIS3_S5_PsSG_SI_NS1_16binary_search_opENS9_16wrapped_functionINS8_6system6detail7generic6detail18binary_search_lessEbEEEE10hipError_tPvRmT1_T2_T3_mmT4_T5_P12ihipStream_tbEUlRKsE_EEST_SX_SY_mSZ_S12_bEUlT_E_NS1_11comp_targetILNS1_3genE5ELNS1_11target_archE942ELNS1_3gpuE9ELNS1_3repE0EEENS1_30default_config_static_selectorELNS0_4arch9wavefront6targetE1EEEvSW_.uses_vcc, 0
	.set _ZN7rocprim17ROCPRIM_400000_NS6detail17trampoline_kernelINS0_14default_configENS1_29binary_search_config_selectorIsiEEZNS1_14transform_implILb0ES3_S5_N6thrust23THRUST_200600_302600_NS6detail15normal_iteratorINS8_7pointerIsNS8_11hip_rocprim5par_tENS8_11use_defaultESE_EEEENSA_INSB_IiSD_SE_SE_EEEEZNS1_13binary_searchIS3_S5_PsSG_SI_NS1_16binary_search_opENS9_16wrapped_functionINS8_6system6detail7generic6detail18binary_search_lessEbEEEE10hipError_tPvRmT1_T2_T3_mmT4_T5_P12ihipStream_tbEUlRKsE_EEST_SX_SY_mSZ_S12_bEUlT_E_NS1_11comp_targetILNS1_3genE5ELNS1_11target_archE942ELNS1_3gpuE9ELNS1_3repE0EEENS1_30default_config_static_selectorELNS0_4arch9wavefront6targetE1EEEvSW_.uses_flat_scratch, 0
	.set _ZN7rocprim17ROCPRIM_400000_NS6detail17trampoline_kernelINS0_14default_configENS1_29binary_search_config_selectorIsiEEZNS1_14transform_implILb0ES3_S5_N6thrust23THRUST_200600_302600_NS6detail15normal_iteratorINS8_7pointerIsNS8_11hip_rocprim5par_tENS8_11use_defaultESE_EEEENSA_INSB_IiSD_SE_SE_EEEEZNS1_13binary_searchIS3_S5_PsSG_SI_NS1_16binary_search_opENS9_16wrapped_functionINS8_6system6detail7generic6detail18binary_search_lessEbEEEE10hipError_tPvRmT1_T2_T3_mmT4_T5_P12ihipStream_tbEUlRKsE_EEST_SX_SY_mSZ_S12_bEUlT_E_NS1_11comp_targetILNS1_3genE5ELNS1_11target_archE942ELNS1_3gpuE9ELNS1_3repE0EEENS1_30default_config_static_selectorELNS0_4arch9wavefront6targetE1EEEvSW_.has_dyn_sized_stack, 0
	.set _ZN7rocprim17ROCPRIM_400000_NS6detail17trampoline_kernelINS0_14default_configENS1_29binary_search_config_selectorIsiEEZNS1_14transform_implILb0ES3_S5_N6thrust23THRUST_200600_302600_NS6detail15normal_iteratorINS8_7pointerIsNS8_11hip_rocprim5par_tENS8_11use_defaultESE_EEEENSA_INSB_IiSD_SE_SE_EEEEZNS1_13binary_searchIS3_S5_PsSG_SI_NS1_16binary_search_opENS9_16wrapped_functionINS8_6system6detail7generic6detail18binary_search_lessEbEEEE10hipError_tPvRmT1_T2_T3_mmT4_T5_P12ihipStream_tbEUlRKsE_EEST_SX_SY_mSZ_S12_bEUlT_E_NS1_11comp_targetILNS1_3genE5ELNS1_11target_archE942ELNS1_3gpuE9ELNS1_3repE0EEENS1_30default_config_static_selectorELNS0_4arch9wavefront6targetE1EEEvSW_.has_recursion, 0
	.set _ZN7rocprim17ROCPRIM_400000_NS6detail17trampoline_kernelINS0_14default_configENS1_29binary_search_config_selectorIsiEEZNS1_14transform_implILb0ES3_S5_N6thrust23THRUST_200600_302600_NS6detail15normal_iteratorINS8_7pointerIsNS8_11hip_rocprim5par_tENS8_11use_defaultESE_EEEENSA_INSB_IiSD_SE_SE_EEEEZNS1_13binary_searchIS3_S5_PsSG_SI_NS1_16binary_search_opENS9_16wrapped_functionINS8_6system6detail7generic6detail18binary_search_lessEbEEEE10hipError_tPvRmT1_T2_T3_mmT4_T5_P12ihipStream_tbEUlRKsE_EEST_SX_SY_mSZ_S12_bEUlT_E_NS1_11comp_targetILNS1_3genE5ELNS1_11target_archE942ELNS1_3gpuE9ELNS1_3repE0EEENS1_30default_config_static_selectorELNS0_4arch9wavefront6targetE1EEEvSW_.has_indirect_call, 0
	.section	.AMDGPU.csdata,"",@progbits
; Kernel info:
; codeLenInByte = 0
; TotalNumSgprs: 4
; NumVgprs: 0
; ScratchSize: 0
; MemoryBound: 0
; FloatMode: 240
; IeeeMode: 1
; LDSByteSize: 0 bytes/workgroup (compile time only)
; SGPRBlocks: 0
; VGPRBlocks: 0
; NumSGPRsForWavesPerEU: 4
; NumVGPRsForWavesPerEU: 1
; Occupancy: 10
; WaveLimiterHint : 0
; COMPUTE_PGM_RSRC2:SCRATCH_EN: 0
; COMPUTE_PGM_RSRC2:USER_SGPR: 6
; COMPUTE_PGM_RSRC2:TRAP_HANDLER: 0
; COMPUTE_PGM_RSRC2:TGID_X_EN: 1
; COMPUTE_PGM_RSRC2:TGID_Y_EN: 0
; COMPUTE_PGM_RSRC2:TGID_Z_EN: 0
; COMPUTE_PGM_RSRC2:TIDIG_COMP_CNT: 0
	.section	.text._ZN7rocprim17ROCPRIM_400000_NS6detail17trampoline_kernelINS0_14default_configENS1_29binary_search_config_selectorIsiEEZNS1_14transform_implILb0ES3_S5_N6thrust23THRUST_200600_302600_NS6detail15normal_iteratorINS8_7pointerIsNS8_11hip_rocprim5par_tENS8_11use_defaultESE_EEEENSA_INSB_IiSD_SE_SE_EEEEZNS1_13binary_searchIS3_S5_PsSG_SI_NS1_16binary_search_opENS9_16wrapped_functionINS8_6system6detail7generic6detail18binary_search_lessEbEEEE10hipError_tPvRmT1_T2_T3_mmT4_T5_P12ihipStream_tbEUlRKsE_EEST_SX_SY_mSZ_S12_bEUlT_E_NS1_11comp_targetILNS1_3genE4ELNS1_11target_archE910ELNS1_3gpuE8ELNS1_3repE0EEENS1_30default_config_static_selectorELNS0_4arch9wavefront6targetE1EEEvSW_,"axG",@progbits,_ZN7rocprim17ROCPRIM_400000_NS6detail17trampoline_kernelINS0_14default_configENS1_29binary_search_config_selectorIsiEEZNS1_14transform_implILb0ES3_S5_N6thrust23THRUST_200600_302600_NS6detail15normal_iteratorINS8_7pointerIsNS8_11hip_rocprim5par_tENS8_11use_defaultESE_EEEENSA_INSB_IiSD_SE_SE_EEEEZNS1_13binary_searchIS3_S5_PsSG_SI_NS1_16binary_search_opENS9_16wrapped_functionINS8_6system6detail7generic6detail18binary_search_lessEbEEEE10hipError_tPvRmT1_T2_T3_mmT4_T5_P12ihipStream_tbEUlRKsE_EEST_SX_SY_mSZ_S12_bEUlT_E_NS1_11comp_targetILNS1_3genE4ELNS1_11target_archE910ELNS1_3gpuE8ELNS1_3repE0EEENS1_30default_config_static_selectorELNS0_4arch9wavefront6targetE1EEEvSW_,comdat
	.protected	_ZN7rocprim17ROCPRIM_400000_NS6detail17trampoline_kernelINS0_14default_configENS1_29binary_search_config_selectorIsiEEZNS1_14transform_implILb0ES3_S5_N6thrust23THRUST_200600_302600_NS6detail15normal_iteratorINS8_7pointerIsNS8_11hip_rocprim5par_tENS8_11use_defaultESE_EEEENSA_INSB_IiSD_SE_SE_EEEEZNS1_13binary_searchIS3_S5_PsSG_SI_NS1_16binary_search_opENS9_16wrapped_functionINS8_6system6detail7generic6detail18binary_search_lessEbEEEE10hipError_tPvRmT1_T2_T3_mmT4_T5_P12ihipStream_tbEUlRKsE_EEST_SX_SY_mSZ_S12_bEUlT_E_NS1_11comp_targetILNS1_3genE4ELNS1_11target_archE910ELNS1_3gpuE8ELNS1_3repE0EEENS1_30default_config_static_selectorELNS0_4arch9wavefront6targetE1EEEvSW_ ; -- Begin function _ZN7rocprim17ROCPRIM_400000_NS6detail17trampoline_kernelINS0_14default_configENS1_29binary_search_config_selectorIsiEEZNS1_14transform_implILb0ES3_S5_N6thrust23THRUST_200600_302600_NS6detail15normal_iteratorINS8_7pointerIsNS8_11hip_rocprim5par_tENS8_11use_defaultESE_EEEENSA_INSB_IiSD_SE_SE_EEEEZNS1_13binary_searchIS3_S5_PsSG_SI_NS1_16binary_search_opENS9_16wrapped_functionINS8_6system6detail7generic6detail18binary_search_lessEbEEEE10hipError_tPvRmT1_T2_T3_mmT4_T5_P12ihipStream_tbEUlRKsE_EEST_SX_SY_mSZ_S12_bEUlT_E_NS1_11comp_targetILNS1_3genE4ELNS1_11target_archE910ELNS1_3gpuE8ELNS1_3repE0EEENS1_30default_config_static_selectorELNS0_4arch9wavefront6targetE1EEEvSW_
	.globl	_ZN7rocprim17ROCPRIM_400000_NS6detail17trampoline_kernelINS0_14default_configENS1_29binary_search_config_selectorIsiEEZNS1_14transform_implILb0ES3_S5_N6thrust23THRUST_200600_302600_NS6detail15normal_iteratorINS8_7pointerIsNS8_11hip_rocprim5par_tENS8_11use_defaultESE_EEEENSA_INSB_IiSD_SE_SE_EEEEZNS1_13binary_searchIS3_S5_PsSG_SI_NS1_16binary_search_opENS9_16wrapped_functionINS8_6system6detail7generic6detail18binary_search_lessEbEEEE10hipError_tPvRmT1_T2_T3_mmT4_T5_P12ihipStream_tbEUlRKsE_EEST_SX_SY_mSZ_S12_bEUlT_E_NS1_11comp_targetILNS1_3genE4ELNS1_11target_archE910ELNS1_3gpuE8ELNS1_3repE0EEENS1_30default_config_static_selectorELNS0_4arch9wavefront6targetE1EEEvSW_
	.p2align	8
	.type	_ZN7rocprim17ROCPRIM_400000_NS6detail17trampoline_kernelINS0_14default_configENS1_29binary_search_config_selectorIsiEEZNS1_14transform_implILb0ES3_S5_N6thrust23THRUST_200600_302600_NS6detail15normal_iteratorINS8_7pointerIsNS8_11hip_rocprim5par_tENS8_11use_defaultESE_EEEENSA_INSB_IiSD_SE_SE_EEEEZNS1_13binary_searchIS3_S5_PsSG_SI_NS1_16binary_search_opENS9_16wrapped_functionINS8_6system6detail7generic6detail18binary_search_lessEbEEEE10hipError_tPvRmT1_T2_T3_mmT4_T5_P12ihipStream_tbEUlRKsE_EEST_SX_SY_mSZ_S12_bEUlT_E_NS1_11comp_targetILNS1_3genE4ELNS1_11target_archE910ELNS1_3gpuE8ELNS1_3repE0EEENS1_30default_config_static_selectorELNS0_4arch9wavefront6targetE1EEEvSW_,@function
_ZN7rocprim17ROCPRIM_400000_NS6detail17trampoline_kernelINS0_14default_configENS1_29binary_search_config_selectorIsiEEZNS1_14transform_implILb0ES3_S5_N6thrust23THRUST_200600_302600_NS6detail15normal_iteratorINS8_7pointerIsNS8_11hip_rocprim5par_tENS8_11use_defaultESE_EEEENSA_INSB_IiSD_SE_SE_EEEEZNS1_13binary_searchIS3_S5_PsSG_SI_NS1_16binary_search_opENS9_16wrapped_functionINS8_6system6detail7generic6detail18binary_search_lessEbEEEE10hipError_tPvRmT1_T2_T3_mmT4_T5_P12ihipStream_tbEUlRKsE_EEST_SX_SY_mSZ_S12_bEUlT_E_NS1_11comp_targetILNS1_3genE4ELNS1_11target_archE910ELNS1_3gpuE8ELNS1_3repE0EEENS1_30default_config_static_selectorELNS0_4arch9wavefront6targetE1EEEvSW_: ; @_ZN7rocprim17ROCPRIM_400000_NS6detail17trampoline_kernelINS0_14default_configENS1_29binary_search_config_selectorIsiEEZNS1_14transform_implILb0ES3_S5_N6thrust23THRUST_200600_302600_NS6detail15normal_iteratorINS8_7pointerIsNS8_11hip_rocprim5par_tENS8_11use_defaultESE_EEEENSA_INSB_IiSD_SE_SE_EEEEZNS1_13binary_searchIS3_S5_PsSG_SI_NS1_16binary_search_opENS9_16wrapped_functionINS8_6system6detail7generic6detail18binary_search_lessEbEEEE10hipError_tPvRmT1_T2_T3_mmT4_T5_P12ihipStream_tbEUlRKsE_EEST_SX_SY_mSZ_S12_bEUlT_E_NS1_11comp_targetILNS1_3genE4ELNS1_11target_archE910ELNS1_3gpuE8ELNS1_3repE0EEENS1_30default_config_static_selectorELNS0_4arch9wavefront6targetE1EEEvSW_
; %bb.0:
	.section	.rodata,"a",@progbits
	.p2align	6, 0x0
	.amdhsa_kernel _ZN7rocprim17ROCPRIM_400000_NS6detail17trampoline_kernelINS0_14default_configENS1_29binary_search_config_selectorIsiEEZNS1_14transform_implILb0ES3_S5_N6thrust23THRUST_200600_302600_NS6detail15normal_iteratorINS8_7pointerIsNS8_11hip_rocprim5par_tENS8_11use_defaultESE_EEEENSA_INSB_IiSD_SE_SE_EEEEZNS1_13binary_searchIS3_S5_PsSG_SI_NS1_16binary_search_opENS9_16wrapped_functionINS8_6system6detail7generic6detail18binary_search_lessEbEEEE10hipError_tPvRmT1_T2_T3_mmT4_T5_P12ihipStream_tbEUlRKsE_EEST_SX_SY_mSZ_S12_bEUlT_E_NS1_11comp_targetILNS1_3genE4ELNS1_11target_archE910ELNS1_3gpuE8ELNS1_3repE0EEENS1_30default_config_static_selectorELNS0_4arch9wavefront6targetE1EEEvSW_
		.amdhsa_group_segment_fixed_size 0
		.amdhsa_private_segment_fixed_size 0
		.amdhsa_kernarg_size 56
		.amdhsa_user_sgpr_count 6
		.amdhsa_user_sgpr_private_segment_buffer 1
		.amdhsa_user_sgpr_dispatch_ptr 0
		.amdhsa_user_sgpr_queue_ptr 0
		.amdhsa_user_sgpr_kernarg_segment_ptr 1
		.amdhsa_user_sgpr_dispatch_id 0
		.amdhsa_user_sgpr_flat_scratch_init 0
		.amdhsa_user_sgpr_private_segment_size 0
		.amdhsa_uses_dynamic_stack 0
		.amdhsa_system_sgpr_private_segment_wavefront_offset 0
		.amdhsa_system_sgpr_workgroup_id_x 1
		.amdhsa_system_sgpr_workgroup_id_y 0
		.amdhsa_system_sgpr_workgroup_id_z 0
		.amdhsa_system_sgpr_workgroup_info 0
		.amdhsa_system_vgpr_workitem_id 0
		.amdhsa_next_free_vgpr 1
		.amdhsa_next_free_sgpr 0
		.amdhsa_reserve_vcc 0
		.amdhsa_reserve_flat_scratch 0
		.amdhsa_float_round_mode_32 0
		.amdhsa_float_round_mode_16_64 0
		.amdhsa_float_denorm_mode_32 3
		.amdhsa_float_denorm_mode_16_64 3
		.amdhsa_dx10_clamp 1
		.amdhsa_ieee_mode 1
		.amdhsa_fp16_overflow 0
		.amdhsa_exception_fp_ieee_invalid_op 0
		.amdhsa_exception_fp_denorm_src 0
		.amdhsa_exception_fp_ieee_div_zero 0
		.amdhsa_exception_fp_ieee_overflow 0
		.amdhsa_exception_fp_ieee_underflow 0
		.amdhsa_exception_fp_ieee_inexact 0
		.amdhsa_exception_int_div_zero 0
	.end_amdhsa_kernel
	.section	.text._ZN7rocprim17ROCPRIM_400000_NS6detail17trampoline_kernelINS0_14default_configENS1_29binary_search_config_selectorIsiEEZNS1_14transform_implILb0ES3_S5_N6thrust23THRUST_200600_302600_NS6detail15normal_iteratorINS8_7pointerIsNS8_11hip_rocprim5par_tENS8_11use_defaultESE_EEEENSA_INSB_IiSD_SE_SE_EEEEZNS1_13binary_searchIS3_S5_PsSG_SI_NS1_16binary_search_opENS9_16wrapped_functionINS8_6system6detail7generic6detail18binary_search_lessEbEEEE10hipError_tPvRmT1_T2_T3_mmT4_T5_P12ihipStream_tbEUlRKsE_EEST_SX_SY_mSZ_S12_bEUlT_E_NS1_11comp_targetILNS1_3genE4ELNS1_11target_archE910ELNS1_3gpuE8ELNS1_3repE0EEENS1_30default_config_static_selectorELNS0_4arch9wavefront6targetE1EEEvSW_,"axG",@progbits,_ZN7rocprim17ROCPRIM_400000_NS6detail17trampoline_kernelINS0_14default_configENS1_29binary_search_config_selectorIsiEEZNS1_14transform_implILb0ES3_S5_N6thrust23THRUST_200600_302600_NS6detail15normal_iteratorINS8_7pointerIsNS8_11hip_rocprim5par_tENS8_11use_defaultESE_EEEENSA_INSB_IiSD_SE_SE_EEEEZNS1_13binary_searchIS3_S5_PsSG_SI_NS1_16binary_search_opENS9_16wrapped_functionINS8_6system6detail7generic6detail18binary_search_lessEbEEEE10hipError_tPvRmT1_T2_T3_mmT4_T5_P12ihipStream_tbEUlRKsE_EEST_SX_SY_mSZ_S12_bEUlT_E_NS1_11comp_targetILNS1_3genE4ELNS1_11target_archE910ELNS1_3gpuE8ELNS1_3repE0EEENS1_30default_config_static_selectorELNS0_4arch9wavefront6targetE1EEEvSW_,comdat
.Lfunc_end315:
	.size	_ZN7rocprim17ROCPRIM_400000_NS6detail17trampoline_kernelINS0_14default_configENS1_29binary_search_config_selectorIsiEEZNS1_14transform_implILb0ES3_S5_N6thrust23THRUST_200600_302600_NS6detail15normal_iteratorINS8_7pointerIsNS8_11hip_rocprim5par_tENS8_11use_defaultESE_EEEENSA_INSB_IiSD_SE_SE_EEEEZNS1_13binary_searchIS3_S5_PsSG_SI_NS1_16binary_search_opENS9_16wrapped_functionINS8_6system6detail7generic6detail18binary_search_lessEbEEEE10hipError_tPvRmT1_T2_T3_mmT4_T5_P12ihipStream_tbEUlRKsE_EEST_SX_SY_mSZ_S12_bEUlT_E_NS1_11comp_targetILNS1_3genE4ELNS1_11target_archE910ELNS1_3gpuE8ELNS1_3repE0EEENS1_30default_config_static_selectorELNS0_4arch9wavefront6targetE1EEEvSW_, .Lfunc_end315-_ZN7rocprim17ROCPRIM_400000_NS6detail17trampoline_kernelINS0_14default_configENS1_29binary_search_config_selectorIsiEEZNS1_14transform_implILb0ES3_S5_N6thrust23THRUST_200600_302600_NS6detail15normal_iteratorINS8_7pointerIsNS8_11hip_rocprim5par_tENS8_11use_defaultESE_EEEENSA_INSB_IiSD_SE_SE_EEEEZNS1_13binary_searchIS3_S5_PsSG_SI_NS1_16binary_search_opENS9_16wrapped_functionINS8_6system6detail7generic6detail18binary_search_lessEbEEEE10hipError_tPvRmT1_T2_T3_mmT4_T5_P12ihipStream_tbEUlRKsE_EEST_SX_SY_mSZ_S12_bEUlT_E_NS1_11comp_targetILNS1_3genE4ELNS1_11target_archE910ELNS1_3gpuE8ELNS1_3repE0EEENS1_30default_config_static_selectorELNS0_4arch9wavefront6targetE1EEEvSW_
                                        ; -- End function
	.set _ZN7rocprim17ROCPRIM_400000_NS6detail17trampoline_kernelINS0_14default_configENS1_29binary_search_config_selectorIsiEEZNS1_14transform_implILb0ES3_S5_N6thrust23THRUST_200600_302600_NS6detail15normal_iteratorINS8_7pointerIsNS8_11hip_rocprim5par_tENS8_11use_defaultESE_EEEENSA_INSB_IiSD_SE_SE_EEEEZNS1_13binary_searchIS3_S5_PsSG_SI_NS1_16binary_search_opENS9_16wrapped_functionINS8_6system6detail7generic6detail18binary_search_lessEbEEEE10hipError_tPvRmT1_T2_T3_mmT4_T5_P12ihipStream_tbEUlRKsE_EEST_SX_SY_mSZ_S12_bEUlT_E_NS1_11comp_targetILNS1_3genE4ELNS1_11target_archE910ELNS1_3gpuE8ELNS1_3repE0EEENS1_30default_config_static_selectorELNS0_4arch9wavefront6targetE1EEEvSW_.num_vgpr, 0
	.set _ZN7rocprim17ROCPRIM_400000_NS6detail17trampoline_kernelINS0_14default_configENS1_29binary_search_config_selectorIsiEEZNS1_14transform_implILb0ES3_S5_N6thrust23THRUST_200600_302600_NS6detail15normal_iteratorINS8_7pointerIsNS8_11hip_rocprim5par_tENS8_11use_defaultESE_EEEENSA_INSB_IiSD_SE_SE_EEEEZNS1_13binary_searchIS3_S5_PsSG_SI_NS1_16binary_search_opENS9_16wrapped_functionINS8_6system6detail7generic6detail18binary_search_lessEbEEEE10hipError_tPvRmT1_T2_T3_mmT4_T5_P12ihipStream_tbEUlRKsE_EEST_SX_SY_mSZ_S12_bEUlT_E_NS1_11comp_targetILNS1_3genE4ELNS1_11target_archE910ELNS1_3gpuE8ELNS1_3repE0EEENS1_30default_config_static_selectorELNS0_4arch9wavefront6targetE1EEEvSW_.num_agpr, 0
	.set _ZN7rocprim17ROCPRIM_400000_NS6detail17trampoline_kernelINS0_14default_configENS1_29binary_search_config_selectorIsiEEZNS1_14transform_implILb0ES3_S5_N6thrust23THRUST_200600_302600_NS6detail15normal_iteratorINS8_7pointerIsNS8_11hip_rocprim5par_tENS8_11use_defaultESE_EEEENSA_INSB_IiSD_SE_SE_EEEEZNS1_13binary_searchIS3_S5_PsSG_SI_NS1_16binary_search_opENS9_16wrapped_functionINS8_6system6detail7generic6detail18binary_search_lessEbEEEE10hipError_tPvRmT1_T2_T3_mmT4_T5_P12ihipStream_tbEUlRKsE_EEST_SX_SY_mSZ_S12_bEUlT_E_NS1_11comp_targetILNS1_3genE4ELNS1_11target_archE910ELNS1_3gpuE8ELNS1_3repE0EEENS1_30default_config_static_selectorELNS0_4arch9wavefront6targetE1EEEvSW_.numbered_sgpr, 0
	.set _ZN7rocprim17ROCPRIM_400000_NS6detail17trampoline_kernelINS0_14default_configENS1_29binary_search_config_selectorIsiEEZNS1_14transform_implILb0ES3_S5_N6thrust23THRUST_200600_302600_NS6detail15normal_iteratorINS8_7pointerIsNS8_11hip_rocprim5par_tENS8_11use_defaultESE_EEEENSA_INSB_IiSD_SE_SE_EEEEZNS1_13binary_searchIS3_S5_PsSG_SI_NS1_16binary_search_opENS9_16wrapped_functionINS8_6system6detail7generic6detail18binary_search_lessEbEEEE10hipError_tPvRmT1_T2_T3_mmT4_T5_P12ihipStream_tbEUlRKsE_EEST_SX_SY_mSZ_S12_bEUlT_E_NS1_11comp_targetILNS1_3genE4ELNS1_11target_archE910ELNS1_3gpuE8ELNS1_3repE0EEENS1_30default_config_static_selectorELNS0_4arch9wavefront6targetE1EEEvSW_.num_named_barrier, 0
	.set _ZN7rocprim17ROCPRIM_400000_NS6detail17trampoline_kernelINS0_14default_configENS1_29binary_search_config_selectorIsiEEZNS1_14transform_implILb0ES3_S5_N6thrust23THRUST_200600_302600_NS6detail15normal_iteratorINS8_7pointerIsNS8_11hip_rocprim5par_tENS8_11use_defaultESE_EEEENSA_INSB_IiSD_SE_SE_EEEEZNS1_13binary_searchIS3_S5_PsSG_SI_NS1_16binary_search_opENS9_16wrapped_functionINS8_6system6detail7generic6detail18binary_search_lessEbEEEE10hipError_tPvRmT1_T2_T3_mmT4_T5_P12ihipStream_tbEUlRKsE_EEST_SX_SY_mSZ_S12_bEUlT_E_NS1_11comp_targetILNS1_3genE4ELNS1_11target_archE910ELNS1_3gpuE8ELNS1_3repE0EEENS1_30default_config_static_selectorELNS0_4arch9wavefront6targetE1EEEvSW_.private_seg_size, 0
	.set _ZN7rocprim17ROCPRIM_400000_NS6detail17trampoline_kernelINS0_14default_configENS1_29binary_search_config_selectorIsiEEZNS1_14transform_implILb0ES3_S5_N6thrust23THRUST_200600_302600_NS6detail15normal_iteratorINS8_7pointerIsNS8_11hip_rocprim5par_tENS8_11use_defaultESE_EEEENSA_INSB_IiSD_SE_SE_EEEEZNS1_13binary_searchIS3_S5_PsSG_SI_NS1_16binary_search_opENS9_16wrapped_functionINS8_6system6detail7generic6detail18binary_search_lessEbEEEE10hipError_tPvRmT1_T2_T3_mmT4_T5_P12ihipStream_tbEUlRKsE_EEST_SX_SY_mSZ_S12_bEUlT_E_NS1_11comp_targetILNS1_3genE4ELNS1_11target_archE910ELNS1_3gpuE8ELNS1_3repE0EEENS1_30default_config_static_selectorELNS0_4arch9wavefront6targetE1EEEvSW_.uses_vcc, 0
	.set _ZN7rocprim17ROCPRIM_400000_NS6detail17trampoline_kernelINS0_14default_configENS1_29binary_search_config_selectorIsiEEZNS1_14transform_implILb0ES3_S5_N6thrust23THRUST_200600_302600_NS6detail15normal_iteratorINS8_7pointerIsNS8_11hip_rocprim5par_tENS8_11use_defaultESE_EEEENSA_INSB_IiSD_SE_SE_EEEEZNS1_13binary_searchIS3_S5_PsSG_SI_NS1_16binary_search_opENS9_16wrapped_functionINS8_6system6detail7generic6detail18binary_search_lessEbEEEE10hipError_tPvRmT1_T2_T3_mmT4_T5_P12ihipStream_tbEUlRKsE_EEST_SX_SY_mSZ_S12_bEUlT_E_NS1_11comp_targetILNS1_3genE4ELNS1_11target_archE910ELNS1_3gpuE8ELNS1_3repE0EEENS1_30default_config_static_selectorELNS0_4arch9wavefront6targetE1EEEvSW_.uses_flat_scratch, 0
	.set _ZN7rocprim17ROCPRIM_400000_NS6detail17trampoline_kernelINS0_14default_configENS1_29binary_search_config_selectorIsiEEZNS1_14transform_implILb0ES3_S5_N6thrust23THRUST_200600_302600_NS6detail15normal_iteratorINS8_7pointerIsNS8_11hip_rocprim5par_tENS8_11use_defaultESE_EEEENSA_INSB_IiSD_SE_SE_EEEEZNS1_13binary_searchIS3_S5_PsSG_SI_NS1_16binary_search_opENS9_16wrapped_functionINS8_6system6detail7generic6detail18binary_search_lessEbEEEE10hipError_tPvRmT1_T2_T3_mmT4_T5_P12ihipStream_tbEUlRKsE_EEST_SX_SY_mSZ_S12_bEUlT_E_NS1_11comp_targetILNS1_3genE4ELNS1_11target_archE910ELNS1_3gpuE8ELNS1_3repE0EEENS1_30default_config_static_selectorELNS0_4arch9wavefront6targetE1EEEvSW_.has_dyn_sized_stack, 0
	.set _ZN7rocprim17ROCPRIM_400000_NS6detail17trampoline_kernelINS0_14default_configENS1_29binary_search_config_selectorIsiEEZNS1_14transform_implILb0ES3_S5_N6thrust23THRUST_200600_302600_NS6detail15normal_iteratorINS8_7pointerIsNS8_11hip_rocprim5par_tENS8_11use_defaultESE_EEEENSA_INSB_IiSD_SE_SE_EEEEZNS1_13binary_searchIS3_S5_PsSG_SI_NS1_16binary_search_opENS9_16wrapped_functionINS8_6system6detail7generic6detail18binary_search_lessEbEEEE10hipError_tPvRmT1_T2_T3_mmT4_T5_P12ihipStream_tbEUlRKsE_EEST_SX_SY_mSZ_S12_bEUlT_E_NS1_11comp_targetILNS1_3genE4ELNS1_11target_archE910ELNS1_3gpuE8ELNS1_3repE0EEENS1_30default_config_static_selectorELNS0_4arch9wavefront6targetE1EEEvSW_.has_recursion, 0
	.set _ZN7rocprim17ROCPRIM_400000_NS6detail17trampoline_kernelINS0_14default_configENS1_29binary_search_config_selectorIsiEEZNS1_14transform_implILb0ES3_S5_N6thrust23THRUST_200600_302600_NS6detail15normal_iteratorINS8_7pointerIsNS8_11hip_rocprim5par_tENS8_11use_defaultESE_EEEENSA_INSB_IiSD_SE_SE_EEEEZNS1_13binary_searchIS3_S5_PsSG_SI_NS1_16binary_search_opENS9_16wrapped_functionINS8_6system6detail7generic6detail18binary_search_lessEbEEEE10hipError_tPvRmT1_T2_T3_mmT4_T5_P12ihipStream_tbEUlRKsE_EEST_SX_SY_mSZ_S12_bEUlT_E_NS1_11comp_targetILNS1_3genE4ELNS1_11target_archE910ELNS1_3gpuE8ELNS1_3repE0EEENS1_30default_config_static_selectorELNS0_4arch9wavefront6targetE1EEEvSW_.has_indirect_call, 0
	.section	.AMDGPU.csdata,"",@progbits
; Kernel info:
; codeLenInByte = 0
; TotalNumSgprs: 4
; NumVgprs: 0
; ScratchSize: 0
; MemoryBound: 0
; FloatMode: 240
; IeeeMode: 1
; LDSByteSize: 0 bytes/workgroup (compile time only)
; SGPRBlocks: 0
; VGPRBlocks: 0
; NumSGPRsForWavesPerEU: 4
; NumVGPRsForWavesPerEU: 1
; Occupancy: 10
; WaveLimiterHint : 0
; COMPUTE_PGM_RSRC2:SCRATCH_EN: 0
; COMPUTE_PGM_RSRC2:USER_SGPR: 6
; COMPUTE_PGM_RSRC2:TRAP_HANDLER: 0
; COMPUTE_PGM_RSRC2:TGID_X_EN: 1
; COMPUTE_PGM_RSRC2:TGID_Y_EN: 0
; COMPUTE_PGM_RSRC2:TGID_Z_EN: 0
; COMPUTE_PGM_RSRC2:TIDIG_COMP_CNT: 0
	.section	.text._ZN7rocprim17ROCPRIM_400000_NS6detail17trampoline_kernelINS0_14default_configENS1_29binary_search_config_selectorIsiEEZNS1_14transform_implILb0ES3_S5_N6thrust23THRUST_200600_302600_NS6detail15normal_iteratorINS8_7pointerIsNS8_11hip_rocprim5par_tENS8_11use_defaultESE_EEEENSA_INSB_IiSD_SE_SE_EEEEZNS1_13binary_searchIS3_S5_PsSG_SI_NS1_16binary_search_opENS9_16wrapped_functionINS8_6system6detail7generic6detail18binary_search_lessEbEEEE10hipError_tPvRmT1_T2_T3_mmT4_T5_P12ihipStream_tbEUlRKsE_EEST_SX_SY_mSZ_S12_bEUlT_E_NS1_11comp_targetILNS1_3genE3ELNS1_11target_archE908ELNS1_3gpuE7ELNS1_3repE0EEENS1_30default_config_static_selectorELNS0_4arch9wavefront6targetE1EEEvSW_,"axG",@progbits,_ZN7rocprim17ROCPRIM_400000_NS6detail17trampoline_kernelINS0_14default_configENS1_29binary_search_config_selectorIsiEEZNS1_14transform_implILb0ES3_S5_N6thrust23THRUST_200600_302600_NS6detail15normal_iteratorINS8_7pointerIsNS8_11hip_rocprim5par_tENS8_11use_defaultESE_EEEENSA_INSB_IiSD_SE_SE_EEEEZNS1_13binary_searchIS3_S5_PsSG_SI_NS1_16binary_search_opENS9_16wrapped_functionINS8_6system6detail7generic6detail18binary_search_lessEbEEEE10hipError_tPvRmT1_T2_T3_mmT4_T5_P12ihipStream_tbEUlRKsE_EEST_SX_SY_mSZ_S12_bEUlT_E_NS1_11comp_targetILNS1_3genE3ELNS1_11target_archE908ELNS1_3gpuE7ELNS1_3repE0EEENS1_30default_config_static_selectorELNS0_4arch9wavefront6targetE1EEEvSW_,comdat
	.protected	_ZN7rocprim17ROCPRIM_400000_NS6detail17trampoline_kernelINS0_14default_configENS1_29binary_search_config_selectorIsiEEZNS1_14transform_implILb0ES3_S5_N6thrust23THRUST_200600_302600_NS6detail15normal_iteratorINS8_7pointerIsNS8_11hip_rocprim5par_tENS8_11use_defaultESE_EEEENSA_INSB_IiSD_SE_SE_EEEEZNS1_13binary_searchIS3_S5_PsSG_SI_NS1_16binary_search_opENS9_16wrapped_functionINS8_6system6detail7generic6detail18binary_search_lessEbEEEE10hipError_tPvRmT1_T2_T3_mmT4_T5_P12ihipStream_tbEUlRKsE_EEST_SX_SY_mSZ_S12_bEUlT_E_NS1_11comp_targetILNS1_3genE3ELNS1_11target_archE908ELNS1_3gpuE7ELNS1_3repE0EEENS1_30default_config_static_selectorELNS0_4arch9wavefront6targetE1EEEvSW_ ; -- Begin function _ZN7rocprim17ROCPRIM_400000_NS6detail17trampoline_kernelINS0_14default_configENS1_29binary_search_config_selectorIsiEEZNS1_14transform_implILb0ES3_S5_N6thrust23THRUST_200600_302600_NS6detail15normal_iteratorINS8_7pointerIsNS8_11hip_rocprim5par_tENS8_11use_defaultESE_EEEENSA_INSB_IiSD_SE_SE_EEEEZNS1_13binary_searchIS3_S5_PsSG_SI_NS1_16binary_search_opENS9_16wrapped_functionINS8_6system6detail7generic6detail18binary_search_lessEbEEEE10hipError_tPvRmT1_T2_T3_mmT4_T5_P12ihipStream_tbEUlRKsE_EEST_SX_SY_mSZ_S12_bEUlT_E_NS1_11comp_targetILNS1_3genE3ELNS1_11target_archE908ELNS1_3gpuE7ELNS1_3repE0EEENS1_30default_config_static_selectorELNS0_4arch9wavefront6targetE1EEEvSW_
	.globl	_ZN7rocprim17ROCPRIM_400000_NS6detail17trampoline_kernelINS0_14default_configENS1_29binary_search_config_selectorIsiEEZNS1_14transform_implILb0ES3_S5_N6thrust23THRUST_200600_302600_NS6detail15normal_iteratorINS8_7pointerIsNS8_11hip_rocprim5par_tENS8_11use_defaultESE_EEEENSA_INSB_IiSD_SE_SE_EEEEZNS1_13binary_searchIS3_S5_PsSG_SI_NS1_16binary_search_opENS9_16wrapped_functionINS8_6system6detail7generic6detail18binary_search_lessEbEEEE10hipError_tPvRmT1_T2_T3_mmT4_T5_P12ihipStream_tbEUlRKsE_EEST_SX_SY_mSZ_S12_bEUlT_E_NS1_11comp_targetILNS1_3genE3ELNS1_11target_archE908ELNS1_3gpuE7ELNS1_3repE0EEENS1_30default_config_static_selectorELNS0_4arch9wavefront6targetE1EEEvSW_
	.p2align	8
	.type	_ZN7rocprim17ROCPRIM_400000_NS6detail17trampoline_kernelINS0_14default_configENS1_29binary_search_config_selectorIsiEEZNS1_14transform_implILb0ES3_S5_N6thrust23THRUST_200600_302600_NS6detail15normal_iteratorINS8_7pointerIsNS8_11hip_rocprim5par_tENS8_11use_defaultESE_EEEENSA_INSB_IiSD_SE_SE_EEEEZNS1_13binary_searchIS3_S5_PsSG_SI_NS1_16binary_search_opENS9_16wrapped_functionINS8_6system6detail7generic6detail18binary_search_lessEbEEEE10hipError_tPvRmT1_T2_T3_mmT4_T5_P12ihipStream_tbEUlRKsE_EEST_SX_SY_mSZ_S12_bEUlT_E_NS1_11comp_targetILNS1_3genE3ELNS1_11target_archE908ELNS1_3gpuE7ELNS1_3repE0EEENS1_30default_config_static_selectorELNS0_4arch9wavefront6targetE1EEEvSW_,@function
_ZN7rocprim17ROCPRIM_400000_NS6detail17trampoline_kernelINS0_14default_configENS1_29binary_search_config_selectorIsiEEZNS1_14transform_implILb0ES3_S5_N6thrust23THRUST_200600_302600_NS6detail15normal_iteratorINS8_7pointerIsNS8_11hip_rocprim5par_tENS8_11use_defaultESE_EEEENSA_INSB_IiSD_SE_SE_EEEEZNS1_13binary_searchIS3_S5_PsSG_SI_NS1_16binary_search_opENS9_16wrapped_functionINS8_6system6detail7generic6detail18binary_search_lessEbEEEE10hipError_tPvRmT1_T2_T3_mmT4_T5_P12ihipStream_tbEUlRKsE_EEST_SX_SY_mSZ_S12_bEUlT_E_NS1_11comp_targetILNS1_3genE3ELNS1_11target_archE908ELNS1_3gpuE7ELNS1_3repE0EEENS1_30default_config_static_selectorELNS0_4arch9wavefront6targetE1EEEvSW_: ; @_ZN7rocprim17ROCPRIM_400000_NS6detail17trampoline_kernelINS0_14default_configENS1_29binary_search_config_selectorIsiEEZNS1_14transform_implILb0ES3_S5_N6thrust23THRUST_200600_302600_NS6detail15normal_iteratorINS8_7pointerIsNS8_11hip_rocprim5par_tENS8_11use_defaultESE_EEEENSA_INSB_IiSD_SE_SE_EEEEZNS1_13binary_searchIS3_S5_PsSG_SI_NS1_16binary_search_opENS9_16wrapped_functionINS8_6system6detail7generic6detail18binary_search_lessEbEEEE10hipError_tPvRmT1_T2_T3_mmT4_T5_P12ihipStream_tbEUlRKsE_EEST_SX_SY_mSZ_S12_bEUlT_E_NS1_11comp_targetILNS1_3genE3ELNS1_11target_archE908ELNS1_3gpuE7ELNS1_3repE0EEENS1_30default_config_static_selectorELNS0_4arch9wavefront6targetE1EEEvSW_
; %bb.0:
	.section	.rodata,"a",@progbits
	.p2align	6, 0x0
	.amdhsa_kernel _ZN7rocprim17ROCPRIM_400000_NS6detail17trampoline_kernelINS0_14default_configENS1_29binary_search_config_selectorIsiEEZNS1_14transform_implILb0ES3_S5_N6thrust23THRUST_200600_302600_NS6detail15normal_iteratorINS8_7pointerIsNS8_11hip_rocprim5par_tENS8_11use_defaultESE_EEEENSA_INSB_IiSD_SE_SE_EEEEZNS1_13binary_searchIS3_S5_PsSG_SI_NS1_16binary_search_opENS9_16wrapped_functionINS8_6system6detail7generic6detail18binary_search_lessEbEEEE10hipError_tPvRmT1_T2_T3_mmT4_T5_P12ihipStream_tbEUlRKsE_EEST_SX_SY_mSZ_S12_bEUlT_E_NS1_11comp_targetILNS1_3genE3ELNS1_11target_archE908ELNS1_3gpuE7ELNS1_3repE0EEENS1_30default_config_static_selectorELNS0_4arch9wavefront6targetE1EEEvSW_
		.amdhsa_group_segment_fixed_size 0
		.amdhsa_private_segment_fixed_size 0
		.amdhsa_kernarg_size 56
		.amdhsa_user_sgpr_count 6
		.amdhsa_user_sgpr_private_segment_buffer 1
		.amdhsa_user_sgpr_dispatch_ptr 0
		.amdhsa_user_sgpr_queue_ptr 0
		.amdhsa_user_sgpr_kernarg_segment_ptr 1
		.amdhsa_user_sgpr_dispatch_id 0
		.amdhsa_user_sgpr_flat_scratch_init 0
		.amdhsa_user_sgpr_private_segment_size 0
		.amdhsa_uses_dynamic_stack 0
		.amdhsa_system_sgpr_private_segment_wavefront_offset 0
		.amdhsa_system_sgpr_workgroup_id_x 1
		.amdhsa_system_sgpr_workgroup_id_y 0
		.amdhsa_system_sgpr_workgroup_id_z 0
		.amdhsa_system_sgpr_workgroup_info 0
		.amdhsa_system_vgpr_workitem_id 0
		.amdhsa_next_free_vgpr 1
		.amdhsa_next_free_sgpr 0
		.amdhsa_reserve_vcc 0
		.amdhsa_reserve_flat_scratch 0
		.amdhsa_float_round_mode_32 0
		.amdhsa_float_round_mode_16_64 0
		.amdhsa_float_denorm_mode_32 3
		.amdhsa_float_denorm_mode_16_64 3
		.amdhsa_dx10_clamp 1
		.amdhsa_ieee_mode 1
		.amdhsa_fp16_overflow 0
		.amdhsa_exception_fp_ieee_invalid_op 0
		.amdhsa_exception_fp_denorm_src 0
		.amdhsa_exception_fp_ieee_div_zero 0
		.amdhsa_exception_fp_ieee_overflow 0
		.amdhsa_exception_fp_ieee_underflow 0
		.amdhsa_exception_fp_ieee_inexact 0
		.amdhsa_exception_int_div_zero 0
	.end_amdhsa_kernel
	.section	.text._ZN7rocprim17ROCPRIM_400000_NS6detail17trampoline_kernelINS0_14default_configENS1_29binary_search_config_selectorIsiEEZNS1_14transform_implILb0ES3_S5_N6thrust23THRUST_200600_302600_NS6detail15normal_iteratorINS8_7pointerIsNS8_11hip_rocprim5par_tENS8_11use_defaultESE_EEEENSA_INSB_IiSD_SE_SE_EEEEZNS1_13binary_searchIS3_S5_PsSG_SI_NS1_16binary_search_opENS9_16wrapped_functionINS8_6system6detail7generic6detail18binary_search_lessEbEEEE10hipError_tPvRmT1_T2_T3_mmT4_T5_P12ihipStream_tbEUlRKsE_EEST_SX_SY_mSZ_S12_bEUlT_E_NS1_11comp_targetILNS1_3genE3ELNS1_11target_archE908ELNS1_3gpuE7ELNS1_3repE0EEENS1_30default_config_static_selectorELNS0_4arch9wavefront6targetE1EEEvSW_,"axG",@progbits,_ZN7rocprim17ROCPRIM_400000_NS6detail17trampoline_kernelINS0_14default_configENS1_29binary_search_config_selectorIsiEEZNS1_14transform_implILb0ES3_S5_N6thrust23THRUST_200600_302600_NS6detail15normal_iteratorINS8_7pointerIsNS8_11hip_rocprim5par_tENS8_11use_defaultESE_EEEENSA_INSB_IiSD_SE_SE_EEEEZNS1_13binary_searchIS3_S5_PsSG_SI_NS1_16binary_search_opENS9_16wrapped_functionINS8_6system6detail7generic6detail18binary_search_lessEbEEEE10hipError_tPvRmT1_T2_T3_mmT4_T5_P12ihipStream_tbEUlRKsE_EEST_SX_SY_mSZ_S12_bEUlT_E_NS1_11comp_targetILNS1_3genE3ELNS1_11target_archE908ELNS1_3gpuE7ELNS1_3repE0EEENS1_30default_config_static_selectorELNS0_4arch9wavefront6targetE1EEEvSW_,comdat
.Lfunc_end316:
	.size	_ZN7rocprim17ROCPRIM_400000_NS6detail17trampoline_kernelINS0_14default_configENS1_29binary_search_config_selectorIsiEEZNS1_14transform_implILb0ES3_S5_N6thrust23THRUST_200600_302600_NS6detail15normal_iteratorINS8_7pointerIsNS8_11hip_rocprim5par_tENS8_11use_defaultESE_EEEENSA_INSB_IiSD_SE_SE_EEEEZNS1_13binary_searchIS3_S5_PsSG_SI_NS1_16binary_search_opENS9_16wrapped_functionINS8_6system6detail7generic6detail18binary_search_lessEbEEEE10hipError_tPvRmT1_T2_T3_mmT4_T5_P12ihipStream_tbEUlRKsE_EEST_SX_SY_mSZ_S12_bEUlT_E_NS1_11comp_targetILNS1_3genE3ELNS1_11target_archE908ELNS1_3gpuE7ELNS1_3repE0EEENS1_30default_config_static_selectorELNS0_4arch9wavefront6targetE1EEEvSW_, .Lfunc_end316-_ZN7rocprim17ROCPRIM_400000_NS6detail17trampoline_kernelINS0_14default_configENS1_29binary_search_config_selectorIsiEEZNS1_14transform_implILb0ES3_S5_N6thrust23THRUST_200600_302600_NS6detail15normal_iteratorINS8_7pointerIsNS8_11hip_rocprim5par_tENS8_11use_defaultESE_EEEENSA_INSB_IiSD_SE_SE_EEEEZNS1_13binary_searchIS3_S5_PsSG_SI_NS1_16binary_search_opENS9_16wrapped_functionINS8_6system6detail7generic6detail18binary_search_lessEbEEEE10hipError_tPvRmT1_T2_T3_mmT4_T5_P12ihipStream_tbEUlRKsE_EEST_SX_SY_mSZ_S12_bEUlT_E_NS1_11comp_targetILNS1_3genE3ELNS1_11target_archE908ELNS1_3gpuE7ELNS1_3repE0EEENS1_30default_config_static_selectorELNS0_4arch9wavefront6targetE1EEEvSW_
                                        ; -- End function
	.set _ZN7rocprim17ROCPRIM_400000_NS6detail17trampoline_kernelINS0_14default_configENS1_29binary_search_config_selectorIsiEEZNS1_14transform_implILb0ES3_S5_N6thrust23THRUST_200600_302600_NS6detail15normal_iteratorINS8_7pointerIsNS8_11hip_rocprim5par_tENS8_11use_defaultESE_EEEENSA_INSB_IiSD_SE_SE_EEEEZNS1_13binary_searchIS3_S5_PsSG_SI_NS1_16binary_search_opENS9_16wrapped_functionINS8_6system6detail7generic6detail18binary_search_lessEbEEEE10hipError_tPvRmT1_T2_T3_mmT4_T5_P12ihipStream_tbEUlRKsE_EEST_SX_SY_mSZ_S12_bEUlT_E_NS1_11comp_targetILNS1_3genE3ELNS1_11target_archE908ELNS1_3gpuE7ELNS1_3repE0EEENS1_30default_config_static_selectorELNS0_4arch9wavefront6targetE1EEEvSW_.num_vgpr, 0
	.set _ZN7rocprim17ROCPRIM_400000_NS6detail17trampoline_kernelINS0_14default_configENS1_29binary_search_config_selectorIsiEEZNS1_14transform_implILb0ES3_S5_N6thrust23THRUST_200600_302600_NS6detail15normal_iteratorINS8_7pointerIsNS8_11hip_rocprim5par_tENS8_11use_defaultESE_EEEENSA_INSB_IiSD_SE_SE_EEEEZNS1_13binary_searchIS3_S5_PsSG_SI_NS1_16binary_search_opENS9_16wrapped_functionINS8_6system6detail7generic6detail18binary_search_lessEbEEEE10hipError_tPvRmT1_T2_T3_mmT4_T5_P12ihipStream_tbEUlRKsE_EEST_SX_SY_mSZ_S12_bEUlT_E_NS1_11comp_targetILNS1_3genE3ELNS1_11target_archE908ELNS1_3gpuE7ELNS1_3repE0EEENS1_30default_config_static_selectorELNS0_4arch9wavefront6targetE1EEEvSW_.num_agpr, 0
	.set _ZN7rocprim17ROCPRIM_400000_NS6detail17trampoline_kernelINS0_14default_configENS1_29binary_search_config_selectorIsiEEZNS1_14transform_implILb0ES3_S5_N6thrust23THRUST_200600_302600_NS6detail15normal_iteratorINS8_7pointerIsNS8_11hip_rocprim5par_tENS8_11use_defaultESE_EEEENSA_INSB_IiSD_SE_SE_EEEEZNS1_13binary_searchIS3_S5_PsSG_SI_NS1_16binary_search_opENS9_16wrapped_functionINS8_6system6detail7generic6detail18binary_search_lessEbEEEE10hipError_tPvRmT1_T2_T3_mmT4_T5_P12ihipStream_tbEUlRKsE_EEST_SX_SY_mSZ_S12_bEUlT_E_NS1_11comp_targetILNS1_3genE3ELNS1_11target_archE908ELNS1_3gpuE7ELNS1_3repE0EEENS1_30default_config_static_selectorELNS0_4arch9wavefront6targetE1EEEvSW_.numbered_sgpr, 0
	.set _ZN7rocprim17ROCPRIM_400000_NS6detail17trampoline_kernelINS0_14default_configENS1_29binary_search_config_selectorIsiEEZNS1_14transform_implILb0ES3_S5_N6thrust23THRUST_200600_302600_NS6detail15normal_iteratorINS8_7pointerIsNS8_11hip_rocprim5par_tENS8_11use_defaultESE_EEEENSA_INSB_IiSD_SE_SE_EEEEZNS1_13binary_searchIS3_S5_PsSG_SI_NS1_16binary_search_opENS9_16wrapped_functionINS8_6system6detail7generic6detail18binary_search_lessEbEEEE10hipError_tPvRmT1_T2_T3_mmT4_T5_P12ihipStream_tbEUlRKsE_EEST_SX_SY_mSZ_S12_bEUlT_E_NS1_11comp_targetILNS1_3genE3ELNS1_11target_archE908ELNS1_3gpuE7ELNS1_3repE0EEENS1_30default_config_static_selectorELNS0_4arch9wavefront6targetE1EEEvSW_.num_named_barrier, 0
	.set _ZN7rocprim17ROCPRIM_400000_NS6detail17trampoline_kernelINS0_14default_configENS1_29binary_search_config_selectorIsiEEZNS1_14transform_implILb0ES3_S5_N6thrust23THRUST_200600_302600_NS6detail15normal_iteratorINS8_7pointerIsNS8_11hip_rocprim5par_tENS8_11use_defaultESE_EEEENSA_INSB_IiSD_SE_SE_EEEEZNS1_13binary_searchIS3_S5_PsSG_SI_NS1_16binary_search_opENS9_16wrapped_functionINS8_6system6detail7generic6detail18binary_search_lessEbEEEE10hipError_tPvRmT1_T2_T3_mmT4_T5_P12ihipStream_tbEUlRKsE_EEST_SX_SY_mSZ_S12_bEUlT_E_NS1_11comp_targetILNS1_3genE3ELNS1_11target_archE908ELNS1_3gpuE7ELNS1_3repE0EEENS1_30default_config_static_selectorELNS0_4arch9wavefront6targetE1EEEvSW_.private_seg_size, 0
	.set _ZN7rocprim17ROCPRIM_400000_NS6detail17trampoline_kernelINS0_14default_configENS1_29binary_search_config_selectorIsiEEZNS1_14transform_implILb0ES3_S5_N6thrust23THRUST_200600_302600_NS6detail15normal_iteratorINS8_7pointerIsNS8_11hip_rocprim5par_tENS8_11use_defaultESE_EEEENSA_INSB_IiSD_SE_SE_EEEEZNS1_13binary_searchIS3_S5_PsSG_SI_NS1_16binary_search_opENS9_16wrapped_functionINS8_6system6detail7generic6detail18binary_search_lessEbEEEE10hipError_tPvRmT1_T2_T3_mmT4_T5_P12ihipStream_tbEUlRKsE_EEST_SX_SY_mSZ_S12_bEUlT_E_NS1_11comp_targetILNS1_3genE3ELNS1_11target_archE908ELNS1_3gpuE7ELNS1_3repE0EEENS1_30default_config_static_selectorELNS0_4arch9wavefront6targetE1EEEvSW_.uses_vcc, 0
	.set _ZN7rocprim17ROCPRIM_400000_NS6detail17trampoline_kernelINS0_14default_configENS1_29binary_search_config_selectorIsiEEZNS1_14transform_implILb0ES3_S5_N6thrust23THRUST_200600_302600_NS6detail15normal_iteratorINS8_7pointerIsNS8_11hip_rocprim5par_tENS8_11use_defaultESE_EEEENSA_INSB_IiSD_SE_SE_EEEEZNS1_13binary_searchIS3_S5_PsSG_SI_NS1_16binary_search_opENS9_16wrapped_functionINS8_6system6detail7generic6detail18binary_search_lessEbEEEE10hipError_tPvRmT1_T2_T3_mmT4_T5_P12ihipStream_tbEUlRKsE_EEST_SX_SY_mSZ_S12_bEUlT_E_NS1_11comp_targetILNS1_3genE3ELNS1_11target_archE908ELNS1_3gpuE7ELNS1_3repE0EEENS1_30default_config_static_selectorELNS0_4arch9wavefront6targetE1EEEvSW_.uses_flat_scratch, 0
	.set _ZN7rocprim17ROCPRIM_400000_NS6detail17trampoline_kernelINS0_14default_configENS1_29binary_search_config_selectorIsiEEZNS1_14transform_implILb0ES3_S5_N6thrust23THRUST_200600_302600_NS6detail15normal_iteratorINS8_7pointerIsNS8_11hip_rocprim5par_tENS8_11use_defaultESE_EEEENSA_INSB_IiSD_SE_SE_EEEEZNS1_13binary_searchIS3_S5_PsSG_SI_NS1_16binary_search_opENS9_16wrapped_functionINS8_6system6detail7generic6detail18binary_search_lessEbEEEE10hipError_tPvRmT1_T2_T3_mmT4_T5_P12ihipStream_tbEUlRKsE_EEST_SX_SY_mSZ_S12_bEUlT_E_NS1_11comp_targetILNS1_3genE3ELNS1_11target_archE908ELNS1_3gpuE7ELNS1_3repE0EEENS1_30default_config_static_selectorELNS0_4arch9wavefront6targetE1EEEvSW_.has_dyn_sized_stack, 0
	.set _ZN7rocprim17ROCPRIM_400000_NS6detail17trampoline_kernelINS0_14default_configENS1_29binary_search_config_selectorIsiEEZNS1_14transform_implILb0ES3_S5_N6thrust23THRUST_200600_302600_NS6detail15normal_iteratorINS8_7pointerIsNS8_11hip_rocprim5par_tENS8_11use_defaultESE_EEEENSA_INSB_IiSD_SE_SE_EEEEZNS1_13binary_searchIS3_S5_PsSG_SI_NS1_16binary_search_opENS9_16wrapped_functionINS8_6system6detail7generic6detail18binary_search_lessEbEEEE10hipError_tPvRmT1_T2_T3_mmT4_T5_P12ihipStream_tbEUlRKsE_EEST_SX_SY_mSZ_S12_bEUlT_E_NS1_11comp_targetILNS1_3genE3ELNS1_11target_archE908ELNS1_3gpuE7ELNS1_3repE0EEENS1_30default_config_static_selectorELNS0_4arch9wavefront6targetE1EEEvSW_.has_recursion, 0
	.set _ZN7rocprim17ROCPRIM_400000_NS6detail17trampoline_kernelINS0_14default_configENS1_29binary_search_config_selectorIsiEEZNS1_14transform_implILb0ES3_S5_N6thrust23THRUST_200600_302600_NS6detail15normal_iteratorINS8_7pointerIsNS8_11hip_rocprim5par_tENS8_11use_defaultESE_EEEENSA_INSB_IiSD_SE_SE_EEEEZNS1_13binary_searchIS3_S5_PsSG_SI_NS1_16binary_search_opENS9_16wrapped_functionINS8_6system6detail7generic6detail18binary_search_lessEbEEEE10hipError_tPvRmT1_T2_T3_mmT4_T5_P12ihipStream_tbEUlRKsE_EEST_SX_SY_mSZ_S12_bEUlT_E_NS1_11comp_targetILNS1_3genE3ELNS1_11target_archE908ELNS1_3gpuE7ELNS1_3repE0EEENS1_30default_config_static_selectorELNS0_4arch9wavefront6targetE1EEEvSW_.has_indirect_call, 0
	.section	.AMDGPU.csdata,"",@progbits
; Kernel info:
; codeLenInByte = 0
; TotalNumSgprs: 4
; NumVgprs: 0
; ScratchSize: 0
; MemoryBound: 0
; FloatMode: 240
; IeeeMode: 1
; LDSByteSize: 0 bytes/workgroup (compile time only)
; SGPRBlocks: 0
; VGPRBlocks: 0
; NumSGPRsForWavesPerEU: 4
; NumVGPRsForWavesPerEU: 1
; Occupancy: 10
; WaveLimiterHint : 0
; COMPUTE_PGM_RSRC2:SCRATCH_EN: 0
; COMPUTE_PGM_RSRC2:USER_SGPR: 6
; COMPUTE_PGM_RSRC2:TRAP_HANDLER: 0
; COMPUTE_PGM_RSRC2:TGID_X_EN: 1
; COMPUTE_PGM_RSRC2:TGID_Y_EN: 0
; COMPUTE_PGM_RSRC2:TGID_Z_EN: 0
; COMPUTE_PGM_RSRC2:TIDIG_COMP_CNT: 0
	.section	.text._ZN7rocprim17ROCPRIM_400000_NS6detail17trampoline_kernelINS0_14default_configENS1_29binary_search_config_selectorIsiEEZNS1_14transform_implILb0ES3_S5_N6thrust23THRUST_200600_302600_NS6detail15normal_iteratorINS8_7pointerIsNS8_11hip_rocprim5par_tENS8_11use_defaultESE_EEEENSA_INSB_IiSD_SE_SE_EEEEZNS1_13binary_searchIS3_S5_PsSG_SI_NS1_16binary_search_opENS9_16wrapped_functionINS8_6system6detail7generic6detail18binary_search_lessEbEEEE10hipError_tPvRmT1_T2_T3_mmT4_T5_P12ihipStream_tbEUlRKsE_EEST_SX_SY_mSZ_S12_bEUlT_E_NS1_11comp_targetILNS1_3genE2ELNS1_11target_archE906ELNS1_3gpuE6ELNS1_3repE0EEENS1_30default_config_static_selectorELNS0_4arch9wavefront6targetE1EEEvSW_,"axG",@progbits,_ZN7rocprim17ROCPRIM_400000_NS6detail17trampoline_kernelINS0_14default_configENS1_29binary_search_config_selectorIsiEEZNS1_14transform_implILb0ES3_S5_N6thrust23THRUST_200600_302600_NS6detail15normal_iteratorINS8_7pointerIsNS8_11hip_rocprim5par_tENS8_11use_defaultESE_EEEENSA_INSB_IiSD_SE_SE_EEEEZNS1_13binary_searchIS3_S5_PsSG_SI_NS1_16binary_search_opENS9_16wrapped_functionINS8_6system6detail7generic6detail18binary_search_lessEbEEEE10hipError_tPvRmT1_T2_T3_mmT4_T5_P12ihipStream_tbEUlRKsE_EEST_SX_SY_mSZ_S12_bEUlT_E_NS1_11comp_targetILNS1_3genE2ELNS1_11target_archE906ELNS1_3gpuE6ELNS1_3repE0EEENS1_30default_config_static_selectorELNS0_4arch9wavefront6targetE1EEEvSW_,comdat
	.protected	_ZN7rocprim17ROCPRIM_400000_NS6detail17trampoline_kernelINS0_14default_configENS1_29binary_search_config_selectorIsiEEZNS1_14transform_implILb0ES3_S5_N6thrust23THRUST_200600_302600_NS6detail15normal_iteratorINS8_7pointerIsNS8_11hip_rocprim5par_tENS8_11use_defaultESE_EEEENSA_INSB_IiSD_SE_SE_EEEEZNS1_13binary_searchIS3_S5_PsSG_SI_NS1_16binary_search_opENS9_16wrapped_functionINS8_6system6detail7generic6detail18binary_search_lessEbEEEE10hipError_tPvRmT1_T2_T3_mmT4_T5_P12ihipStream_tbEUlRKsE_EEST_SX_SY_mSZ_S12_bEUlT_E_NS1_11comp_targetILNS1_3genE2ELNS1_11target_archE906ELNS1_3gpuE6ELNS1_3repE0EEENS1_30default_config_static_selectorELNS0_4arch9wavefront6targetE1EEEvSW_ ; -- Begin function _ZN7rocprim17ROCPRIM_400000_NS6detail17trampoline_kernelINS0_14default_configENS1_29binary_search_config_selectorIsiEEZNS1_14transform_implILb0ES3_S5_N6thrust23THRUST_200600_302600_NS6detail15normal_iteratorINS8_7pointerIsNS8_11hip_rocprim5par_tENS8_11use_defaultESE_EEEENSA_INSB_IiSD_SE_SE_EEEEZNS1_13binary_searchIS3_S5_PsSG_SI_NS1_16binary_search_opENS9_16wrapped_functionINS8_6system6detail7generic6detail18binary_search_lessEbEEEE10hipError_tPvRmT1_T2_T3_mmT4_T5_P12ihipStream_tbEUlRKsE_EEST_SX_SY_mSZ_S12_bEUlT_E_NS1_11comp_targetILNS1_3genE2ELNS1_11target_archE906ELNS1_3gpuE6ELNS1_3repE0EEENS1_30default_config_static_selectorELNS0_4arch9wavefront6targetE1EEEvSW_
	.globl	_ZN7rocprim17ROCPRIM_400000_NS6detail17trampoline_kernelINS0_14default_configENS1_29binary_search_config_selectorIsiEEZNS1_14transform_implILb0ES3_S5_N6thrust23THRUST_200600_302600_NS6detail15normal_iteratorINS8_7pointerIsNS8_11hip_rocprim5par_tENS8_11use_defaultESE_EEEENSA_INSB_IiSD_SE_SE_EEEEZNS1_13binary_searchIS3_S5_PsSG_SI_NS1_16binary_search_opENS9_16wrapped_functionINS8_6system6detail7generic6detail18binary_search_lessEbEEEE10hipError_tPvRmT1_T2_T3_mmT4_T5_P12ihipStream_tbEUlRKsE_EEST_SX_SY_mSZ_S12_bEUlT_E_NS1_11comp_targetILNS1_3genE2ELNS1_11target_archE906ELNS1_3gpuE6ELNS1_3repE0EEENS1_30default_config_static_selectorELNS0_4arch9wavefront6targetE1EEEvSW_
	.p2align	8
	.type	_ZN7rocprim17ROCPRIM_400000_NS6detail17trampoline_kernelINS0_14default_configENS1_29binary_search_config_selectorIsiEEZNS1_14transform_implILb0ES3_S5_N6thrust23THRUST_200600_302600_NS6detail15normal_iteratorINS8_7pointerIsNS8_11hip_rocprim5par_tENS8_11use_defaultESE_EEEENSA_INSB_IiSD_SE_SE_EEEEZNS1_13binary_searchIS3_S5_PsSG_SI_NS1_16binary_search_opENS9_16wrapped_functionINS8_6system6detail7generic6detail18binary_search_lessEbEEEE10hipError_tPvRmT1_T2_T3_mmT4_T5_P12ihipStream_tbEUlRKsE_EEST_SX_SY_mSZ_S12_bEUlT_E_NS1_11comp_targetILNS1_3genE2ELNS1_11target_archE906ELNS1_3gpuE6ELNS1_3repE0EEENS1_30default_config_static_selectorELNS0_4arch9wavefront6targetE1EEEvSW_,@function
_ZN7rocprim17ROCPRIM_400000_NS6detail17trampoline_kernelINS0_14default_configENS1_29binary_search_config_selectorIsiEEZNS1_14transform_implILb0ES3_S5_N6thrust23THRUST_200600_302600_NS6detail15normal_iteratorINS8_7pointerIsNS8_11hip_rocprim5par_tENS8_11use_defaultESE_EEEENSA_INSB_IiSD_SE_SE_EEEEZNS1_13binary_searchIS3_S5_PsSG_SI_NS1_16binary_search_opENS9_16wrapped_functionINS8_6system6detail7generic6detail18binary_search_lessEbEEEE10hipError_tPvRmT1_T2_T3_mmT4_T5_P12ihipStream_tbEUlRKsE_EEST_SX_SY_mSZ_S12_bEUlT_E_NS1_11comp_targetILNS1_3genE2ELNS1_11target_archE906ELNS1_3gpuE6ELNS1_3repE0EEENS1_30default_config_static_selectorELNS0_4arch9wavefront6targetE1EEEvSW_: ; @_ZN7rocprim17ROCPRIM_400000_NS6detail17trampoline_kernelINS0_14default_configENS1_29binary_search_config_selectorIsiEEZNS1_14transform_implILb0ES3_S5_N6thrust23THRUST_200600_302600_NS6detail15normal_iteratorINS8_7pointerIsNS8_11hip_rocprim5par_tENS8_11use_defaultESE_EEEENSA_INSB_IiSD_SE_SE_EEEEZNS1_13binary_searchIS3_S5_PsSG_SI_NS1_16binary_search_opENS9_16wrapped_functionINS8_6system6detail7generic6detail18binary_search_lessEbEEEE10hipError_tPvRmT1_T2_T3_mmT4_T5_P12ihipStream_tbEUlRKsE_EEST_SX_SY_mSZ_S12_bEUlT_E_NS1_11comp_targetILNS1_3genE2ELNS1_11target_archE906ELNS1_3gpuE6ELNS1_3repE0EEENS1_30default_config_static_selectorELNS0_4arch9wavefront6targetE1EEEvSW_
; %bb.0:
	s_load_dwordx8 s[8:15], s[4:5], 0x0
	s_load_dwordx4 s[16:19], s[4:5], 0x20
	s_load_dword s2, s[4:5], 0x38
	s_waitcnt lgkmcnt(0)
	s_lshl_b64 s[0:1], s[10:11], 1
	s_add_u32 s3, s8, s0
	s_addc_u32 s4, s9, s1
	s_lshl_b64 s[0:1], s[10:11], 2
	s_add_u32 s22, s14, s0
	s_addc_u32 s23, s15, s1
	s_lshl_b32 s8, s6, 10
	s_mov_b32 s9, 0
	s_add_i32 s2, s2, -1
	s_lshl_b64 s[0:1], s[8:9], 1
	s_add_u32 s14, s3, s0
	s_addc_u32 s15, s4, s1
	s_cmp_lg_u32 s6, s2
	s_cbranch_scc0 .LBB317_23
; %bb.1:
	v_lshlrev_b32_e32 v1, 1, v0
	v_mov_b32_e32 v2, s15
	v_add_co_u32_e32 v1, vcc, s14, v1
	v_addc_co_u32_e32 v2, vcc, 0, v2, vcc
	flat_load_ushort v8, v[1:2]
	flat_load_ushort v9, v[1:2] offset:512
	flat_load_ushort v7, v[1:2] offset:1024
	flat_load_ushort v5, v[1:2] offset:1536
	s_cmp_lg_u64 s[18:19], 0
	v_mov_b32_e32 v1, 0
	s_cselect_b64 s[2:3], -1, 0
	s_cmp_eq_u64 s[18:19], 0
	s_mov_b64 s[0:1], 0
	v_mov_b32_e32 v2, 0
	s_cbranch_scc1 .LBB317_5
; %bb.2:
	v_mov_b32_e32 v3, s18
	v_mov_b32_e32 v4, s19
	;; [unrolled: 1-line block ×3, first 2 shown]
.LBB317_3:                              ; =>This Inner Loop Header: Depth=1
	v_sub_co_u32_e32 v10, vcc, v3, v1
	v_subb_co_u32_e32 v11, vcc, v4, v2, vcc
	v_lshrrev_b64 v[12:13], 1, v[10:11]
	v_lshrrev_b64 v[10:11], 6, v[10:11]
	v_add_co_u32_e32 v12, vcc, v12, v1
	v_addc_co_u32_e32 v13, vcc, v13, v2, vcc
	v_add_co_u32_e32 v10, vcc, v12, v10
	v_addc_co_u32_e32 v11, vcc, v13, v11, vcc
	v_lshlrev_b64 v[12:13], 1, v[10:11]
	v_add_co_u32_e32 v12, vcc, s16, v12
	v_addc_co_u32_e32 v13, vcc, v6, v13, vcc
	global_load_ushort v12, v[12:13], off
	v_add_co_u32_e32 v13, vcc, 1, v10
	v_addc_co_u32_e32 v14, vcc, 0, v11, vcc
	s_waitcnt vmcnt(0) lgkmcnt(0)
	v_cmp_lt_i16_e32 vcc, v12, v8
	v_cndmask_b32_e32 v4, v11, v4, vcc
	v_cndmask_b32_e32 v3, v10, v3, vcc
	;; [unrolled: 1-line block ×4, first 2 shown]
	v_cmp_ge_u64_e32 vcc, v[1:2], v[3:4]
	s_or_b64 s[0:1], vcc, s[0:1]
	s_andn2_b64 exec, exec, s[0:1]
	s_cbranch_execnz .LBB317_3
; %bb.4:
	s_or_b64 exec, exec, s[0:1]
.LBB317_5:
	v_cmp_ne_u64_e32 vcc, s[18:19], v[1:2]
	v_mov_b32_e32 v6, 0
	s_and_saveexec_b64 s[0:1], vcc
	s_cbranch_execz .LBB317_7
; %bb.6:
	v_lshlrev_b64 v[1:2], 1, v[1:2]
	v_mov_b32_e32 v3, s17
	v_add_co_u32_e32 v1, vcc, s16, v1
	v_addc_co_u32_e32 v2, vcc, v3, v2, vcc
	global_load_ushort v1, v[1:2], off
	s_waitcnt vmcnt(0) lgkmcnt(0)
	v_cmp_ge_i16_e32 vcc, v8, v1
	v_cndmask_b32_e64 v6, 0, 1, vcc
.LBB317_7:
	s_or_b64 exec, exec, s[0:1]
	v_cndmask_b32_e64 v1, 0, 1, s[2:3]
	v_cmp_ne_u32_e64 s[0:1], 1, v1
	s_andn2_b64 vcc, exec, s[2:3]
	s_cbranch_vccnz .LBB317_40
; %bb.8:
	v_mov_b32_e32 v1, 0
	v_mov_b32_e32 v3, s18
	s_mov_b64 s[2:3], 0
	v_mov_b32_e32 v2, 0
	v_mov_b32_e32 v4, s19
	s_waitcnt vmcnt(0) lgkmcnt(0)
	v_mov_b32_e32 v8, s17
.LBB317_9:                              ; =>This Inner Loop Header: Depth=1
	v_sub_co_u32_e32 v10, vcc, v3, v1
	v_subb_co_u32_e32 v11, vcc, v4, v2, vcc
	v_lshrrev_b64 v[12:13], 1, v[10:11]
	v_lshrrev_b64 v[10:11], 6, v[10:11]
	v_add_co_u32_e32 v12, vcc, v12, v1
	v_addc_co_u32_e32 v13, vcc, v13, v2, vcc
	v_add_co_u32_e32 v10, vcc, v12, v10
	v_addc_co_u32_e32 v11, vcc, v13, v11, vcc
	v_lshlrev_b64 v[12:13], 1, v[10:11]
	v_add_co_u32_e32 v12, vcc, s16, v12
	v_addc_co_u32_e32 v13, vcc, v8, v13, vcc
	global_load_ushort v12, v[12:13], off
	v_add_co_u32_e32 v13, vcc, 1, v10
	v_addc_co_u32_e32 v14, vcc, 0, v11, vcc
	s_waitcnt vmcnt(0)
	v_cmp_lt_i16_e32 vcc, v12, v9
	v_cndmask_b32_e32 v4, v11, v4, vcc
	v_cndmask_b32_e32 v3, v10, v3, vcc
	;; [unrolled: 1-line block ×4, first 2 shown]
	v_cmp_ge_u64_e32 vcc, v[1:2], v[3:4]
	s_or_b64 s[2:3], vcc, s[2:3]
	s_andn2_b64 exec, exec, s[2:3]
	s_cbranch_execnz .LBB317_9
; %bb.10:
	s_or_b64 exec, exec, s[2:3]
	v_cmp_ne_u64_e32 vcc, s[18:19], v[1:2]
	v_mov_b32_e32 v8, 0
	s_and_saveexec_b64 s[2:3], vcc
	s_cbranch_execz .LBB317_12
.LBB317_11:
	v_lshlrev_b64 v[1:2], 1, v[1:2]
	v_mov_b32_e32 v3, s17
	v_add_co_u32_e32 v1, vcc, s16, v1
	v_addc_co_u32_e32 v2, vcc, v3, v2, vcc
	global_load_ushort v1, v[1:2], off
	s_waitcnt vmcnt(0)
	v_cmp_ge_i16_e32 vcc, v9, v1
	v_cndmask_b32_e64 v8, 0, 1, vcc
.LBB317_12:
	s_or_b64 exec, exec, s[2:3]
	s_and_b64 vcc, exec, s[0:1]
	s_cbranch_vccnz .LBB317_41
; %bb.13:
	v_mov_b32_e32 v1, 0
	v_mov_b32_e32 v3, s18
	s_mov_b64 s[2:3], 0
	v_mov_b32_e32 v2, 0
	v_mov_b32_e32 v4, s19
	;; [unrolled: 1-line block ×3, first 2 shown]
.LBB317_14:                             ; =>This Inner Loop Header: Depth=1
	v_sub_co_u32_e32 v10, vcc, v3, v1
	v_subb_co_u32_e32 v11, vcc, v4, v2, vcc
	v_lshrrev_b64 v[12:13], 1, v[10:11]
	v_lshrrev_b64 v[10:11], 6, v[10:11]
	v_add_co_u32_e32 v12, vcc, v12, v1
	v_addc_co_u32_e32 v13, vcc, v13, v2, vcc
	v_add_co_u32_e32 v10, vcc, v12, v10
	v_addc_co_u32_e32 v11, vcc, v13, v11, vcc
	v_lshlrev_b64 v[12:13], 1, v[10:11]
	v_add_co_u32_e32 v12, vcc, s16, v12
	v_addc_co_u32_e32 v13, vcc, v9, v13, vcc
	global_load_ushort v12, v[12:13], off
	v_add_co_u32_e32 v13, vcc, 1, v10
	v_addc_co_u32_e32 v14, vcc, 0, v11, vcc
	s_waitcnt vmcnt(0)
	v_cmp_lt_i16_e32 vcc, v12, v7
	v_cndmask_b32_e32 v4, v11, v4, vcc
	v_cndmask_b32_e32 v3, v10, v3, vcc
	;; [unrolled: 1-line block ×4, first 2 shown]
	v_cmp_ge_u64_e32 vcc, v[1:2], v[3:4]
	s_or_b64 s[2:3], vcc, s[2:3]
	s_andn2_b64 exec, exec, s[2:3]
	s_cbranch_execnz .LBB317_14
; %bb.15:
	s_or_b64 exec, exec, s[2:3]
	v_cmp_ne_u64_e32 vcc, s[18:19], v[1:2]
	v_mov_b32_e32 v9, 0
	s_and_saveexec_b64 s[2:3], vcc
	s_cbranch_execz .LBB317_17
.LBB317_16:
	v_lshlrev_b64 v[1:2], 1, v[1:2]
	v_mov_b32_e32 v3, s17
	v_add_co_u32_e32 v1, vcc, s16, v1
	v_addc_co_u32_e32 v2, vcc, v3, v2, vcc
	global_load_ushort v1, v[1:2], off
	s_waitcnt vmcnt(0)
	v_cmp_ge_i16_e32 vcc, v7, v1
	v_cndmask_b32_e64 v9, 0, 1, vcc
.LBB317_17:
	s_or_b64 exec, exec, s[2:3]
	s_and_b64 vcc, exec, s[0:1]
	s_cbranch_vccnz .LBB317_42
; %bb.18:
	v_mov_b32_e32 v1, 0
	v_mov_b32_e32 v3, s18
	s_mov_b64 s[0:1], 0
	v_mov_b32_e32 v2, 0
	v_mov_b32_e32 v4, s19
	;; [unrolled: 1-line block ×3, first 2 shown]
.LBB317_19:                             ; =>This Inner Loop Header: Depth=1
	v_sub_co_u32_e32 v10, vcc, v3, v1
	v_subb_co_u32_e32 v11, vcc, v4, v2, vcc
	v_lshrrev_b64 v[12:13], 1, v[10:11]
	v_lshrrev_b64 v[10:11], 6, v[10:11]
	v_add_co_u32_e32 v12, vcc, v12, v1
	v_addc_co_u32_e32 v13, vcc, v13, v2, vcc
	v_add_co_u32_e32 v10, vcc, v12, v10
	v_addc_co_u32_e32 v11, vcc, v13, v11, vcc
	v_lshlrev_b64 v[12:13], 1, v[10:11]
	v_add_co_u32_e32 v12, vcc, s16, v12
	v_addc_co_u32_e32 v13, vcc, v7, v13, vcc
	global_load_ushort v12, v[12:13], off
	v_add_co_u32_e32 v13, vcc, 1, v10
	v_addc_co_u32_e32 v14, vcc, 0, v11, vcc
	s_waitcnt vmcnt(0)
	v_cmp_lt_i16_e32 vcc, v12, v5
	v_cndmask_b32_e32 v4, v11, v4, vcc
	v_cndmask_b32_e32 v3, v10, v3, vcc
	;; [unrolled: 1-line block ×4, first 2 shown]
	v_cmp_ge_u64_e32 vcc, v[1:2], v[3:4]
	s_or_b64 s[0:1], vcc, s[0:1]
	s_andn2_b64 exec, exec, s[0:1]
	s_cbranch_execnz .LBB317_19
; %bb.20:
	s_or_b64 exec, exec, s[0:1]
	v_cmp_ne_u64_e32 vcc, s[18:19], v[1:2]
	v_mov_b32_e32 v7, 0
	s_and_saveexec_b64 s[0:1], vcc
	s_cbranch_execz .LBB317_22
.LBB317_21:
	v_lshlrev_b64 v[1:2], 1, v[1:2]
	v_mov_b32_e32 v3, s17
	v_add_co_u32_e32 v1, vcc, s16, v1
	v_addc_co_u32_e32 v2, vcc, v3, v2, vcc
	global_load_ushort v1, v[1:2], off
	s_waitcnt vmcnt(0)
	v_cmp_ge_i16_e32 vcc, v5, v1
	v_cndmask_b32_e64 v7, 0, 1, vcc
.LBB317_22:
	s_or_b64 exec, exec, s[0:1]
	s_lshl_b64 s[0:1], s[8:9], 2
	s_add_u32 s0, s22, s0
	s_addc_u32 s1, s23, s1
	v_lshlrev_b32_e32 v1, 2, v0
	v_mov_b32_e32 v2, s1
	v_add_co_u32_e32 v1, vcc, s0, v1
	v_addc_co_u32_e32 v2, vcc, 0, v2, vcc
	flat_store_dword v[1:2], v6
	flat_store_dword v[1:2], v8 offset:1024
	flat_store_dword v[1:2], v9 offset:2048
	s_mov_b64 s[10:11], -1
	s_branch .LBB317_72
.LBB317_23:
	s_mov_b64 s[10:11], 0
                                        ; implicit-def: $vgpr7
                                        ; implicit-def: $vgpr1_vgpr2
	s_cbranch_execz .LBB317_72
; %bb.24:
	s_sub_i32 s12, s12, s8
	v_mov_b32_e32 v1, 0
	v_cmp_gt_u32_e64 s[0:1], s12, v0
	v_mov_b32_e32 v2, v1
	s_and_saveexec_b64 s[2:3], s[0:1]
	s_cbranch_execz .LBB317_26
; %bb.25:
	v_lshlrev_b32_e32 v2, 1, v0
	v_mov_b32_e32 v3, s15
	v_add_co_u32_e32 v2, vcc, s14, v2
	v_addc_co_u32_e32 v3, vcc, 0, v3, vcc
	flat_load_ushort v2, v[2:3]
	v_mov_b32_e32 v3, v1
	s_waitcnt vmcnt(0) lgkmcnt(0)
	v_and_b32_e32 v2, 0xffff, v2
	v_mov_b32_e32 v1, v2
	v_mov_b32_e32 v2, v3
.LBB317_26:
	s_or_b64 exec, exec, s[2:3]
	v_or_b32_e32 v3, 0x100, v0
	v_cmp_gt_u32_e64 s[2:3], s12, v3
	s_and_saveexec_b64 s[4:5], s[2:3]
	s_cbranch_execz .LBB317_28
; %bb.27:
	v_lshlrev_b32_e32 v3, 1, v0
	v_mov_b32_e32 v4, s15
	v_add_co_u32_e32 v3, vcc, s14, v3
	v_addc_co_u32_e32 v4, vcc, 0, v4, vcc
	flat_load_ushort v3, v[3:4] offset:512
	s_mov_b32 s6, 0x5040100
	s_waitcnt vmcnt(0) lgkmcnt(0)
	v_perm_b32 v1, v3, v1, s6
.LBB317_28:
	s_or_b64 exec, exec, s[4:5]
	v_or_b32_e32 v3, 0x200, v0
	v_cmp_gt_u32_e64 s[4:5], s12, v3
	s_and_saveexec_b64 s[6:7], s[4:5]
	s_cbranch_execz .LBB317_30
; %bb.29:
	v_lshlrev_b32_e32 v3, 1, v0
	v_mov_b32_e32 v4, s15
	v_add_co_u32_e32 v3, vcc, s14, v3
	v_addc_co_u32_e32 v4, vcc, 0, v4, vcc
	flat_load_ushort v3, v[3:4] offset:1024
	s_mov_b32 s13, 0xffff
	s_waitcnt vmcnt(0) lgkmcnt(0)
	v_bfi_b32 v2, s13, v3, v2
.LBB317_30:
	s_or_b64 exec, exec, s[6:7]
	v_or_b32_e32 v3, 0x300, v0
	v_cmp_gt_u32_e64 s[6:7], s12, v3
	s_and_saveexec_b64 s[12:13], s[6:7]
	s_cbranch_execz .LBB317_32
; %bb.31:
	v_lshlrev_b32_e32 v3, 1, v0
	v_mov_b32_e32 v4, s15
	v_add_co_u32_e32 v3, vcc, s14, v3
	v_addc_co_u32_e32 v4, vcc, 0, v4, vcc
	flat_load_ushort v3, v[3:4] offset:1536
	s_mov_b32 s14, 0x5040100
	s_waitcnt vmcnt(0) lgkmcnt(0)
	v_perm_b32 v2, v3, v2, s14
.LBB317_32:
	s_or_b64 exec, exec, s[12:13]
	s_cmp_lg_u64 s[18:19], 0
	v_mov_b32_e32 v8, 0
	s_cselect_b64 s[12:13], -1, 0
	v_mov_b32_e32 v9, v8
	v_mov_b32_e32 v10, v8
	;; [unrolled: 1-line block ×3, first 2 shown]
	s_and_saveexec_b64 s[14:15], s[0:1]
	s_cbranch_execnz .LBB317_36
; %bb.33:
	s_or_b64 exec, exec, s[14:15]
	s_and_saveexec_b64 s[14:15], s[2:3]
	s_cbranch_execnz .LBB317_47
.LBB317_34:
	s_or_b64 exec, exec, s[14:15]
	s_and_saveexec_b64 s[14:15], s[4:5]
	s_cbranch_execnz .LBB317_53
.LBB317_35:
	s_or_b64 exec, exec, s[14:15]
	s_and_saveexec_b64 s[14:15], s[6:7]
	s_cbranch_execnz .LBB317_59
	s_branch .LBB317_65
.LBB317_36:
	s_andn2_b64 vcc, exec, s[12:13]
	s_cbranch_vccnz .LBB317_43
; %bb.37:
	v_mov_b32_e32 v3, 0
	v_mov_b32_e32 v5, s18
	s_mov_b64 s[20:21], 0
	v_mov_b32_e32 v4, 0
	v_mov_b32_e32 v6, s19
	;; [unrolled: 1-line block ×3, first 2 shown]
.LBB317_38:                             ; =>This Inner Loop Header: Depth=1
	v_sub_co_u32_e32 v8, vcc, v5, v3
	v_subb_co_u32_e32 v9, vcc, v6, v4, vcc
	v_lshrrev_b64 v[10:11], 1, v[8:9]
	v_lshrrev_b64 v[8:9], 6, v[8:9]
	v_add_co_u32_e32 v10, vcc, v10, v3
	v_addc_co_u32_e32 v11, vcc, v11, v4, vcc
	v_add_co_u32_e32 v8, vcc, v10, v8
	v_addc_co_u32_e32 v9, vcc, v11, v9, vcc
	v_lshlrev_b64 v[10:11], 1, v[8:9]
	v_add_co_u32_e32 v10, vcc, s16, v10
	v_addc_co_u32_e32 v11, vcc, v7, v11, vcc
	global_load_ushort v10, v[10:11], off
	v_add_co_u32_e32 v11, vcc, 1, v8
	v_addc_co_u32_e32 v12, vcc, 0, v9, vcc
	s_waitcnt vmcnt(0)
	v_cmp_lt_i16_e32 vcc, v10, v1
	v_cndmask_b32_e32 v6, v9, v6, vcc
	v_cndmask_b32_e32 v5, v8, v5, vcc
	v_cndmask_b32_e32 v4, v4, v12, vcc
	v_cndmask_b32_e32 v3, v3, v11, vcc
	v_cmp_ge_u64_e32 vcc, v[3:4], v[5:6]
	s_or_b64 s[20:21], vcc, s[20:21]
	s_andn2_b64 exec, exec, s[20:21]
	s_cbranch_execnz .LBB317_38
; %bb.39:
	s_or_b64 exec, exec, s[20:21]
	s_branch .LBB317_44
.LBB317_40:
	v_mov_b32_e32 v1, 0
	v_mov_b32_e32 v2, 0
	v_cmp_ne_u64_e32 vcc, s[18:19], v[1:2]
	s_waitcnt vmcnt(0) lgkmcnt(0)
	v_mov_b32_e32 v8, 0
	s_and_saveexec_b64 s[2:3], vcc
	s_cbranch_execnz .LBB317_11
	s_branch .LBB317_12
.LBB317_41:
	v_mov_b32_e32 v1, 0
	v_mov_b32_e32 v2, 0
	v_cmp_ne_u64_e32 vcc, s[18:19], v[1:2]
	v_mov_b32_e32 v9, 0
	s_and_saveexec_b64 s[2:3], vcc
	s_cbranch_execnz .LBB317_16
	s_branch .LBB317_17
.LBB317_42:
	v_mov_b32_e32 v1, 0
	v_mov_b32_e32 v2, 0
	v_cmp_ne_u64_e32 vcc, s[18:19], v[1:2]
	v_mov_b32_e32 v7, 0
	s_and_saveexec_b64 s[0:1], vcc
	s_cbranch_execnz .LBB317_21
	s_branch .LBB317_22
.LBB317_43:
	v_mov_b32_e32 v3, 0
	v_mov_b32_e32 v4, 0
.LBB317_44:
	v_cmp_ne_u64_e32 vcc, s[18:19], v[3:4]
	v_mov_b32_e32 v9, 0
	v_mov_b32_e32 v8, 0
	s_and_saveexec_b64 s[20:21], vcc
	s_cbranch_execz .LBB317_46
; %bb.45:
	v_lshlrev_b64 v[3:4], 1, v[3:4]
	v_mov_b32_e32 v5, s17
	v_add_co_u32_e32 v3, vcc, s16, v3
	v_addc_co_u32_e32 v4, vcc, v5, v4, vcc
	global_load_ushort v3, v[3:4], off
	s_waitcnt vmcnt(0)
	v_cmp_ge_i16_e32 vcc, v1, v3
	v_cndmask_b32_e64 v8, 0, 1, vcc
.LBB317_46:
	s_or_b64 exec, exec, s[20:21]
	v_mov_b32_e32 v10, v9
	v_mov_b32_e32 v7, v9
	s_or_b64 exec, exec, s[14:15]
	s_and_saveexec_b64 s[14:15], s[2:3]
	s_cbranch_execz .LBB317_34
.LBB317_47:
	s_andn2_b64 vcc, exec, s[12:13]
	s_cbranch_vccnz .LBB317_77
; %bb.48:
	v_mov_b32_e32 v3, 0
	v_mov_b32_e32 v5, s18
	s_mov_b64 s[20:21], 0
	v_mov_b32_e32 v4, 0
	v_mov_b32_e32 v6, s19
	;; [unrolled: 1-line block ×3, first 2 shown]
.LBB317_49:                             ; =>This Inner Loop Header: Depth=1
	v_sub_co_u32_e32 v11, vcc, v5, v3
	v_subb_co_u32_e32 v12, vcc, v6, v4, vcc
	v_lshrrev_b64 v[13:14], 1, v[11:12]
	v_lshrrev_b64 v[11:12], 6, v[11:12]
	v_add_co_u32_e32 v13, vcc, v13, v3
	v_addc_co_u32_e32 v14, vcc, v14, v4, vcc
	v_add_co_u32_e32 v11, vcc, v13, v11
	v_addc_co_u32_e32 v12, vcc, v14, v12, vcc
	v_lshlrev_b64 v[13:14], 1, v[11:12]
	v_add_co_u32_e32 v13, vcc, s16, v13
	v_addc_co_u32_e32 v14, vcc, v9, v14, vcc
	global_load_ushort v13, v[13:14], off
	v_add_co_u32_e32 v14, vcc, 1, v11
	v_addc_co_u32_e32 v15, vcc, 0, v12, vcc
	s_waitcnt vmcnt(0)
	v_cmp_lt_i16_sdwa vcc, v13, v1 src0_sel:DWORD src1_sel:WORD_1
	v_cndmask_b32_e32 v6, v12, v6, vcc
	v_cndmask_b32_e32 v5, v11, v5, vcc
	;; [unrolled: 1-line block ×4, first 2 shown]
	v_cmp_ge_u64_e32 vcc, v[3:4], v[5:6]
	s_or_b64 s[20:21], vcc, s[20:21]
	s_andn2_b64 exec, exec, s[20:21]
	s_cbranch_execnz .LBB317_49
; %bb.50:
	s_or_b64 exec, exec, s[20:21]
	v_cmp_ne_u64_e32 vcc, s[18:19], v[3:4]
	v_mov_b32_e32 v9, 0
	s_and_saveexec_b64 s[20:21], vcc
	s_cbranch_execz .LBB317_52
.LBB317_51:
	v_lshlrev_b64 v[3:4], 1, v[3:4]
	v_mov_b32_e32 v5, s17
	v_add_co_u32_e32 v3, vcc, s16, v3
	v_addc_co_u32_e32 v4, vcc, v5, v4, vcc
	global_load_ushort v3, v[3:4], off
	s_waitcnt vmcnt(0)
	v_cmp_ge_i16_sdwa s[24:25], v1, v3 src0_sel:WORD_1 src1_sel:DWORD
	v_cndmask_b32_e64 v9, 0, 1, s[24:25]
.LBB317_52:
	s_or_b64 exec, exec, s[20:21]
	s_or_b64 exec, exec, s[14:15]
	s_and_saveexec_b64 s[14:15], s[4:5]
	s_cbranch_execz .LBB317_35
.LBB317_53:
	s_andn2_b64 vcc, exec, s[12:13]
	s_cbranch_vccnz .LBB317_78
; %bb.54:
	v_mov_b32_e32 v3, 0
	v_mov_b32_e32 v5, s18
	s_mov_b64 s[20:21], 0
	v_mov_b32_e32 v4, 0
	v_mov_b32_e32 v6, s19
	;; [unrolled: 1-line block ×3, first 2 shown]
.LBB317_55:                             ; =>This Inner Loop Header: Depth=1
	v_sub_co_u32_e32 v10, vcc, v5, v3
	v_subb_co_u32_e32 v11, vcc, v6, v4, vcc
	v_lshrrev_b64 v[12:13], 1, v[10:11]
	v_lshrrev_b64 v[10:11], 6, v[10:11]
	v_add_co_u32_e32 v12, vcc, v12, v3
	v_addc_co_u32_e32 v13, vcc, v13, v4, vcc
	v_add_co_u32_e32 v10, vcc, v12, v10
	v_addc_co_u32_e32 v11, vcc, v13, v11, vcc
	v_lshlrev_b64 v[12:13], 1, v[10:11]
	v_add_co_u32_e32 v12, vcc, s16, v12
	v_addc_co_u32_e32 v13, vcc, v1, v13, vcc
	global_load_ushort v12, v[12:13], off
	v_add_co_u32_e32 v13, vcc, 1, v10
	v_addc_co_u32_e32 v14, vcc, 0, v11, vcc
	s_waitcnt vmcnt(0)
	v_cmp_lt_i16_e32 vcc, v12, v2
	v_cndmask_b32_e32 v6, v11, v6, vcc
	v_cndmask_b32_e32 v5, v10, v5, vcc
	;; [unrolled: 1-line block ×4, first 2 shown]
	v_cmp_ge_u64_e32 vcc, v[3:4], v[5:6]
	s_or_b64 s[20:21], vcc, s[20:21]
	s_andn2_b64 exec, exec, s[20:21]
	s_cbranch_execnz .LBB317_55
; %bb.56:
	s_or_b64 exec, exec, s[20:21]
	v_cmp_ne_u64_e32 vcc, s[18:19], v[3:4]
	v_mov_b32_e32 v10, 0
	s_and_saveexec_b64 s[20:21], vcc
	s_cbranch_execz .LBB317_58
.LBB317_57:
	v_lshlrev_b64 v[3:4], 1, v[3:4]
	v_mov_b32_e32 v1, s17
	v_add_co_u32_e32 v3, vcc, s16, v3
	v_addc_co_u32_e32 v4, vcc, v1, v4, vcc
	global_load_ushort v1, v[3:4], off
	s_waitcnt vmcnt(0)
	v_cmp_ge_i16_e32 vcc, v2, v1
	v_cndmask_b32_e64 v10, 0, 1, vcc
.LBB317_58:
	s_or_b64 exec, exec, s[20:21]
	s_or_b64 exec, exec, s[14:15]
	s_and_saveexec_b64 s[14:15], s[6:7]
	s_cbranch_execz .LBB317_65
.LBB317_59:
	s_andn2_b64 vcc, exec, s[12:13]
	s_cbranch_vccnz .LBB317_79
; %bb.60:
	v_mov_b32_e32 v3, 0
	v_mov_b32_e32 v5, s18
	s_mov_b64 s[12:13], 0
	v_mov_b32_e32 v4, 0
	v_mov_b32_e32 v6, s19
	;; [unrolled: 1-line block ×3, first 2 shown]
.LBB317_61:                             ; =>This Inner Loop Header: Depth=1
	v_sub_co_u32_e32 v11, vcc, v5, v3
	v_subb_co_u32_e32 v12, vcc, v6, v4, vcc
	v_lshrrev_b64 v[13:14], 1, v[11:12]
	v_lshrrev_b64 v[11:12], 6, v[11:12]
	v_add_co_u32_e32 v7, vcc, v13, v3
	v_addc_co_u32_e32 v13, vcc, v14, v4, vcc
	v_add_co_u32_e32 v11, vcc, v7, v11
	v_addc_co_u32_e32 v12, vcc, v13, v12, vcc
	v_lshlrev_b64 v[13:14], 1, v[11:12]
	v_add_co_u32_e32 v13, vcc, s16, v13
	v_addc_co_u32_e32 v14, vcc, v1, v14, vcc
	global_load_ushort v7, v[13:14], off
	v_add_co_u32_e32 v13, vcc, 1, v11
	v_addc_co_u32_e32 v14, vcc, 0, v12, vcc
	s_waitcnt vmcnt(0)
	v_cmp_lt_i16_sdwa vcc, v7, v2 src0_sel:DWORD src1_sel:WORD_1
	v_cndmask_b32_e32 v6, v12, v6, vcc
	v_cndmask_b32_e32 v5, v11, v5, vcc
	;; [unrolled: 1-line block ×4, first 2 shown]
	v_cmp_ge_u64_e32 vcc, v[3:4], v[5:6]
	s_or_b64 s[12:13], vcc, s[12:13]
	s_andn2_b64 exec, exec, s[12:13]
	s_cbranch_execnz .LBB317_61
; %bb.62:
	s_or_b64 exec, exec, s[12:13]
	v_cmp_ne_u64_e32 vcc, s[18:19], v[3:4]
	v_mov_b32_e32 v7, 0
	s_and_saveexec_b64 s[12:13], vcc
	s_cbranch_execz .LBB317_64
.LBB317_63:
	v_lshlrev_b64 v[3:4], 1, v[3:4]
	v_mov_b32_e32 v1, s17
	v_add_co_u32_e32 v3, vcc, s16, v3
	v_addc_co_u32_e32 v4, vcc, v1, v4, vcc
	global_load_ushort v1, v[3:4], off
	s_waitcnt vmcnt(0)
	v_cmp_ge_i16_sdwa s[16:17], v2, v1 src0_sel:WORD_1 src1_sel:DWORD
	v_cndmask_b32_e64 v7, 0, 1, s[16:17]
.LBB317_64:
	s_or_b64 exec, exec, s[12:13]
.LBB317_65:
	s_or_b64 exec, exec, s[14:15]
	s_lshl_b64 s[8:9], s[8:9], 2
	s_add_u32 s8, s22, s8
	s_addc_u32 s9, s23, s9
	v_lshlrev_b32_e32 v0, 2, v0
	v_mov_b32_e32 v2, s9
	v_add_co_u32_e32 v1, vcc, s8, v0
	v_addc_co_u32_e32 v2, vcc, 0, v2, vcc
	s_and_saveexec_b64 s[8:9], s[0:1]
	s_xor_b64 s[0:1], exec, s[8:9]
	s_cbranch_execz .LBB317_67
; %bb.66:
	flat_store_dword v[1:2], v8
.LBB317_67:
	s_or_b64 exec, exec, s[0:1]
	s_and_saveexec_b64 s[0:1], s[2:3]
	s_cbranch_execnz .LBB317_75
; %bb.68:
	s_or_b64 exec, exec, s[0:1]
	s_and_saveexec_b64 s[0:1], s[4:5]
	s_cbranch_execnz .LBB317_76
.LBB317_69:
	s_or_b64 exec, exec, s[0:1]
	s_and_saveexec_b64 s[0:1], s[6:7]
.LBB317_70:
	s_or_b64 s[10:11], s[10:11], exec
.LBB317_71:
	s_or_b64 exec, exec, s[0:1]
.LBB317_72:
	s_and_saveexec_b64 s[0:1], s[10:11]
	s_cbranch_execnz .LBB317_74
; %bb.73:
	s_endpgm
.LBB317_74:
	flat_store_dword v[1:2], v7 offset:3072
	s_endpgm
.LBB317_75:
	flat_store_dword v[1:2], v9 offset:1024
	s_or_b64 exec, exec, s[0:1]
	s_and_saveexec_b64 s[0:1], s[4:5]
	s_cbranch_execz .LBB317_69
.LBB317_76:
	flat_store_dword v[1:2], v10 offset:2048
	s_or_b64 exec, exec, s[0:1]
	s_and_saveexec_b64 s[0:1], s[6:7]
	s_cbranch_execnz .LBB317_70
	s_branch .LBB317_71
.LBB317_77:
	v_mov_b32_e32 v3, 0
	v_mov_b32_e32 v4, 0
	v_cmp_ne_u64_e32 vcc, s[18:19], v[3:4]
	v_mov_b32_e32 v9, 0
	s_and_saveexec_b64 s[20:21], vcc
	s_cbranch_execnz .LBB317_51
	s_branch .LBB317_52
.LBB317_78:
	v_mov_b32_e32 v3, 0
	v_mov_b32_e32 v4, 0
	v_cmp_ne_u64_e32 vcc, s[18:19], v[3:4]
	v_mov_b32_e32 v10, 0
	s_and_saveexec_b64 s[20:21], vcc
	s_cbranch_execnz .LBB317_57
	s_branch .LBB317_58
.LBB317_79:
	v_mov_b32_e32 v3, 0
	v_mov_b32_e32 v4, 0
	v_cmp_ne_u64_e32 vcc, s[18:19], v[3:4]
	v_mov_b32_e32 v7, 0
	s_and_saveexec_b64 s[12:13], vcc
	s_cbranch_execnz .LBB317_63
	s_branch .LBB317_64
	.section	.rodata,"a",@progbits
	.p2align	6, 0x0
	.amdhsa_kernel _ZN7rocprim17ROCPRIM_400000_NS6detail17trampoline_kernelINS0_14default_configENS1_29binary_search_config_selectorIsiEEZNS1_14transform_implILb0ES3_S5_N6thrust23THRUST_200600_302600_NS6detail15normal_iteratorINS8_7pointerIsNS8_11hip_rocprim5par_tENS8_11use_defaultESE_EEEENSA_INSB_IiSD_SE_SE_EEEEZNS1_13binary_searchIS3_S5_PsSG_SI_NS1_16binary_search_opENS9_16wrapped_functionINS8_6system6detail7generic6detail18binary_search_lessEbEEEE10hipError_tPvRmT1_T2_T3_mmT4_T5_P12ihipStream_tbEUlRKsE_EEST_SX_SY_mSZ_S12_bEUlT_E_NS1_11comp_targetILNS1_3genE2ELNS1_11target_archE906ELNS1_3gpuE6ELNS1_3repE0EEENS1_30default_config_static_selectorELNS0_4arch9wavefront6targetE1EEEvSW_
		.amdhsa_group_segment_fixed_size 0
		.amdhsa_private_segment_fixed_size 0
		.amdhsa_kernarg_size 312
		.amdhsa_user_sgpr_count 6
		.amdhsa_user_sgpr_private_segment_buffer 1
		.amdhsa_user_sgpr_dispatch_ptr 0
		.amdhsa_user_sgpr_queue_ptr 0
		.amdhsa_user_sgpr_kernarg_segment_ptr 1
		.amdhsa_user_sgpr_dispatch_id 0
		.amdhsa_user_sgpr_flat_scratch_init 0
		.amdhsa_user_sgpr_private_segment_size 0
		.amdhsa_uses_dynamic_stack 0
		.amdhsa_system_sgpr_private_segment_wavefront_offset 0
		.amdhsa_system_sgpr_workgroup_id_x 1
		.amdhsa_system_sgpr_workgroup_id_y 0
		.amdhsa_system_sgpr_workgroup_id_z 0
		.amdhsa_system_sgpr_workgroup_info 0
		.amdhsa_system_vgpr_workitem_id 0
		.amdhsa_next_free_vgpr 16
		.amdhsa_next_free_sgpr 26
		.amdhsa_reserve_vcc 1
		.amdhsa_reserve_flat_scratch 0
		.amdhsa_float_round_mode_32 0
		.amdhsa_float_round_mode_16_64 0
		.amdhsa_float_denorm_mode_32 3
		.amdhsa_float_denorm_mode_16_64 3
		.amdhsa_dx10_clamp 1
		.amdhsa_ieee_mode 1
		.amdhsa_fp16_overflow 0
		.amdhsa_exception_fp_ieee_invalid_op 0
		.amdhsa_exception_fp_denorm_src 0
		.amdhsa_exception_fp_ieee_div_zero 0
		.amdhsa_exception_fp_ieee_overflow 0
		.amdhsa_exception_fp_ieee_underflow 0
		.amdhsa_exception_fp_ieee_inexact 0
		.amdhsa_exception_int_div_zero 0
	.end_amdhsa_kernel
	.section	.text._ZN7rocprim17ROCPRIM_400000_NS6detail17trampoline_kernelINS0_14default_configENS1_29binary_search_config_selectorIsiEEZNS1_14transform_implILb0ES3_S5_N6thrust23THRUST_200600_302600_NS6detail15normal_iteratorINS8_7pointerIsNS8_11hip_rocprim5par_tENS8_11use_defaultESE_EEEENSA_INSB_IiSD_SE_SE_EEEEZNS1_13binary_searchIS3_S5_PsSG_SI_NS1_16binary_search_opENS9_16wrapped_functionINS8_6system6detail7generic6detail18binary_search_lessEbEEEE10hipError_tPvRmT1_T2_T3_mmT4_T5_P12ihipStream_tbEUlRKsE_EEST_SX_SY_mSZ_S12_bEUlT_E_NS1_11comp_targetILNS1_3genE2ELNS1_11target_archE906ELNS1_3gpuE6ELNS1_3repE0EEENS1_30default_config_static_selectorELNS0_4arch9wavefront6targetE1EEEvSW_,"axG",@progbits,_ZN7rocprim17ROCPRIM_400000_NS6detail17trampoline_kernelINS0_14default_configENS1_29binary_search_config_selectorIsiEEZNS1_14transform_implILb0ES3_S5_N6thrust23THRUST_200600_302600_NS6detail15normal_iteratorINS8_7pointerIsNS8_11hip_rocprim5par_tENS8_11use_defaultESE_EEEENSA_INSB_IiSD_SE_SE_EEEEZNS1_13binary_searchIS3_S5_PsSG_SI_NS1_16binary_search_opENS9_16wrapped_functionINS8_6system6detail7generic6detail18binary_search_lessEbEEEE10hipError_tPvRmT1_T2_T3_mmT4_T5_P12ihipStream_tbEUlRKsE_EEST_SX_SY_mSZ_S12_bEUlT_E_NS1_11comp_targetILNS1_3genE2ELNS1_11target_archE906ELNS1_3gpuE6ELNS1_3repE0EEENS1_30default_config_static_selectorELNS0_4arch9wavefront6targetE1EEEvSW_,comdat
.Lfunc_end317:
	.size	_ZN7rocprim17ROCPRIM_400000_NS6detail17trampoline_kernelINS0_14default_configENS1_29binary_search_config_selectorIsiEEZNS1_14transform_implILb0ES3_S5_N6thrust23THRUST_200600_302600_NS6detail15normal_iteratorINS8_7pointerIsNS8_11hip_rocprim5par_tENS8_11use_defaultESE_EEEENSA_INSB_IiSD_SE_SE_EEEEZNS1_13binary_searchIS3_S5_PsSG_SI_NS1_16binary_search_opENS9_16wrapped_functionINS8_6system6detail7generic6detail18binary_search_lessEbEEEE10hipError_tPvRmT1_T2_T3_mmT4_T5_P12ihipStream_tbEUlRKsE_EEST_SX_SY_mSZ_S12_bEUlT_E_NS1_11comp_targetILNS1_3genE2ELNS1_11target_archE906ELNS1_3gpuE6ELNS1_3repE0EEENS1_30default_config_static_selectorELNS0_4arch9wavefront6targetE1EEEvSW_, .Lfunc_end317-_ZN7rocprim17ROCPRIM_400000_NS6detail17trampoline_kernelINS0_14default_configENS1_29binary_search_config_selectorIsiEEZNS1_14transform_implILb0ES3_S5_N6thrust23THRUST_200600_302600_NS6detail15normal_iteratorINS8_7pointerIsNS8_11hip_rocprim5par_tENS8_11use_defaultESE_EEEENSA_INSB_IiSD_SE_SE_EEEEZNS1_13binary_searchIS3_S5_PsSG_SI_NS1_16binary_search_opENS9_16wrapped_functionINS8_6system6detail7generic6detail18binary_search_lessEbEEEE10hipError_tPvRmT1_T2_T3_mmT4_T5_P12ihipStream_tbEUlRKsE_EEST_SX_SY_mSZ_S12_bEUlT_E_NS1_11comp_targetILNS1_3genE2ELNS1_11target_archE906ELNS1_3gpuE6ELNS1_3repE0EEENS1_30default_config_static_selectorELNS0_4arch9wavefront6targetE1EEEvSW_
                                        ; -- End function
	.set _ZN7rocprim17ROCPRIM_400000_NS6detail17trampoline_kernelINS0_14default_configENS1_29binary_search_config_selectorIsiEEZNS1_14transform_implILb0ES3_S5_N6thrust23THRUST_200600_302600_NS6detail15normal_iteratorINS8_7pointerIsNS8_11hip_rocprim5par_tENS8_11use_defaultESE_EEEENSA_INSB_IiSD_SE_SE_EEEEZNS1_13binary_searchIS3_S5_PsSG_SI_NS1_16binary_search_opENS9_16wrapped_functionINS8_6system6detail7generic6detail18binary_search_lessEbEEEE10hipError_tPvRmT1_T2_T3_mmT4_T5_P12ihipStream_tbEUlRKsE_EEST_SX_SY_mSZ_S12_bEUlT_E_NS1_11comp_targetILNS1_3genE2ELNS1_11target_archE906ELNS1_3gpuE6ELNS1_3repE0EEENS1_30default_config_static_selectorELNS0_4arch9wavefront6targetE1EEEvSW_.num_vgpr, 16
	.set _ZN7rocprim17ROCPRIM_400000_NS6detail17trampoline_kernelINS0_14default_configENS1_29binary_search_config_selectorIsiEEZNS1_14transform_implILb0ES3_S5_N6thrust23THRUST_200600_302600_NS6detail15normal_iteratorINS8_7pointerIsNS8_11hip_rocprim5par_tENS8_11use_defaultESE_EEEENSA_INSB_IiSD_SE_SE_EEEEZNS1_13binary_searchIS3_S5_PsSG_SI_NS1_16binary_search_opENS9_16wrapped_functionINS8_6system6detail7generic6detail18binary_search_lessEbEEEE10hipError_tPvRmT1_T2_T3_mmT4_T5_P12ihipStream_tbEUlRKsE_EEST_SX_SY_mSZ_S12_bEUlT_E_NS1_11comp_targetILNS1_3genE2ELNS1_11target_archE906ELNS1_3gpuE6ELNS1_3repE0EEENS1_30default_config_static_selectorELNS0_4arch9wavefront6targetE1EEEvSW_.num_agpr, 0
	.set _ZN7rocprim17ROCPRIM_400000_NS6detail17trampoline_kernelINS0_14default_configENS1_29binary_search_config_selectorIsiEEZNS1_14transform_implILb0ES3_S5_N6thrust23THRUST_200600_302600_NS6detail15normal_iteratorINS8_7pointerIsNS8_11hip_rocprim5par_tENS8_11use_defaultESE_EEEENSA_INSB_IiSD_SE_SE_EEEEZNS1_13binary_searchIS3_S5_PsSG_SI_NS1_16binary_search_opENS9_16wrapped_functionINS8_6system6detail7generic6detail18binary_search_lessEbEEEE10hipError_tPvRmT1_T2_T3_mmT4_T5_P12ihipStream_tbEUlRKsE_EEST_SX_SY_mSZ_S12_bEUlT_E_NS1_11comp_targetILNS1_3genE2ELNS1_11target_archE906ELNS1_3gpuE6ELNS1_3repE0EEENS1_30default_config_static_selectorELNS0_4arch9wavefront6targetE1EEEvSW_.numbered_sgpr, 26
	.set _ZN7rocprim17ROCPRIM_400000_NS6detail17trampoline_kernelINS0_14default_configENS1_29binary_search_config_selectorIsiEEZNS1_14transform_implILb0ES3_S5_N6thrust23THRUST_200600_302600_NS6detail15normal_iteratorINS8_7pointerIsNS8_11hip_rocprim5par_tENS8_11use_defaultESE_EEEENSA_INSB_IiSD_SE_SE_EEEEZNS1_13binary_searchIS3_S5_PsSG_SI_NS1_16binary_search_opENS9_16wrapped_functionINS8_6system6detail7generic6detail18binary_search_lessEbEEEE10hipError_tPvRmT1_T2_T3_mmT4_T5_P12ihipStream_tbEUlRKsE_EEST_SX_SY_mSZ_S12_bEUlT_E_NS1_11comp_targetILNS1_3genE2ELNS1_11target_archE906ELNS1_3gpuE6ELNS1_3repE0EEENS1_30default_config_static_selectorELNS0_4arch9wavefront6targetE1EEEvSW_.num_named_barrier, 0
	.set _ZN7rocprim17ROCPRIM_400000_NS6detail17trampoline_kernelINS0_14default_configENS1_29binary_search_config_selectorIsiEEZNS1_14transform_implILb0ES3_S5_N6thrust23THRUST_200600_302600_NS6detail15normal_iteratorINS8_7pointerIsNS8_11hip_rocprim5par_tENS8_11use_defaultESE_EEEENSA_INSB_IiSD_SE_SE_EEEEZNS1_13binary_searchIS3_S5_PsSG_SI_NS1_16binary_search_opENS9_16wrapped_functionINS8_6system6detail7generic6detail18binary_search_lessEbEEEE10hipError_tPvRmT1_T2_T3_mmT4_T5_P12ihipStream_tbEUlRKsE_EEST_SX_SY_mSZ_S12_bEUlT_E_NS1_11comp_targetILNS1_3genE2ELNS1_11target_archE906ELNS1_3gpuE6ELNS1_3repE0EEENS1_30default_config_static_selectorELNS0_4arch9wavefront6targetE1EEEvSW_.private_seg_size, 0
	.set _ZN7rocprim17ROCPRIM_400000_NS6detail17trampoline_kernelINS0_14default_configENS1_29binary_search_config_selectorIsiEEZNS1_14transform_implILb0ES3_S5_N6thrust23THRUST_200600_302600_NS6detail15normal_iteratorINS8_7pointerIsNS8_11hip_rocprim5par_tENS8_11use_defaultESE_EEEENSA_INSB_IiSD_SE_SE_EEEEZNS1_13binary_searchIS3_S5_PsSG_SI_NS1_16binary_search_opENS9_16wrapped_functionINS8_6system6detail7generic6detail18binary_search_lessEbEEEE10hipError_tPvRmT1_T2_T3_mmT4_T5_P12ihipStream_tbEUlRKsE_EEST_SX_SY_mSZ_S12_bEUlT_E_NS1_11comp_targetILNS1_3genE2ELNS1_11target_archE906ELNS1_3gpuE6ELNS1_3repE0EEENS1_30default_config_static_selectorELNS0_4arch9wavefront6targetE1EEEvSW_.uses_vcc, 1
	.set _ZN7rocprim17ROCPRIM_400000_NS6detail17trampoline_kernelINS0_14default_configENS1_29binary_search_config_selectorIsiEEZNS1_14transform_implILb0ES3_S5_N6thrust23THRUST_200600_302600_NS6detail15normal_iteratorINS8_7pointerIsNS8_11hip_rocprim5par_tENS8_11use_defaultESE_EEEENSA_INSB_IiSD_SE_SE_EEEEZNS1_13binary_searchIS3_S5_PsSG_SI_NS1_16binary_search_opENS9_16wrapped_functionINS8_6system6detail7generic6detail18binary_search_lessEbEEEE10hipError_tPvRmT1_T2_T3_mmT4_T5_P12ihipStream_tbEUlRKsE_EEST_SX_SY_mSZ_S12_bEUlT_E_NS1_11comp_targetILNS1_3genE2ELNS1_11target_archE906ELNS1_3gpuE6ELNS1_3repE0EEENS1_30default_config_static_selectorELNS0_4arch9wavefront6targetE1EEEvSW_.uses_flat_scratch, 0
	.set _ZN7rocprim17ROCPRIM_400000_NS6detail17trampoline_kernelINS0_14default_configENS1_29binary_search_config_selectorIsiEEZNS1_14transform_implILb0ES3_S5_N6thrust23THRUST_200600_302600_NS6detail15normal_iteratorINS8_7pointerIsNS8_11hip_rocprim5par_tENS8_11use_defaultESE_EEEENSA_INSB_IiSD_SE_SE_EEEEZNS1_13binary_searchIS3_S5_PsSG_SI_NS1_16binary_search_opENS9_16wrapped_functionINS8_6system6detail7generic6detail18binary_search_lessEbEEEE10hipError_tPvRmT1_T2_T3_mmT4_T5_P12ihipStream_tbEUlRKsE_EEST_SX_SY_mSZ_S12_bEUlT_E_NS1_11comp_targetILNS1_3genE2ELNS1_11target_archE906ELNS1_3gpuE6ELNS1_3repE0EEENS1_30default_config_static_selectorELNS0_4arch9wavefront6targetE1EEEvSW_.has_dyn_sized_stack, 0
	.set _ZN7rocprim17ROCPRIM_400000_NS6detail17trampoline_kernelINS0_14default_configENS1_29binary_search_config_selectorIsiEEZNS1_14transform_implILb0ES3_S5_N6thrust23THRUST_200600_302600_NS6detail15normal_iteratorINS8_7pointerIsNS8_11hip_rocprim5par_tENS8_11use_defaultESE_EEEENSA_INSB_IiSD_SE_SE_EEEEZNS1_13binary_searchIS3_S5_PsSG_SI_NS1_16binary_search_opENS9_16wrapped_functionINS8_6system6detail7generic6detail18binary_search_lessEbEEEE10hipError_tPvRmT1_T2_T3_mmT4_T5_P12ihipStream_tbEUlRKsE_EEST_SX_SY_mSZ_S12_bEUlT_E_NS1_11comp_targetILNS1_3genE2ELNS1_11target_archE906ELNS1_3gpuE6ELNS1_3repE0EEENS1_30default_config_static_selectorELNS0_4arch9wavefront6targetE1EEEvSW_.has_recursion, 0
	.set _ZN7rocprim17ROCPRIM_400000_NS6detail17trampoline_kernelINS0_14default_configENS1_29binary_search_config_selectorIsiEEZNS1_14transform_implILb0ES3_S5_N6thrust23THRUST_200600_302600_NS6detail15normal_iteratorINS8_7pointerIsNS8_11hip_rocprim5par_tENS8_11use_defaultESE_EEEENSA_INSB_IiSD_SE_SE_EEEEZNS1_13binary_searchIS3_S5_PsSG_SI_NS1_16binary_search_opENS9_16wrapped_functionINS8_6system6detail7generic6detail18binary_search_lessEbEEEE10hipError_tPvRmT1_T2_T3_mmT4_T5_P12ihipStream_tbEUlRKsE_EEST_SX_SY_mSZ_S12_bEUlT_E_NS1_11comp_targetILNS1_3genE2ELNS1_11target_archE906ELNS1_3gpuE6ELNS1_3repE0EEENS1_30default_config_static_selectorELNS0_4arch9wavefront6targetE1EEEvSW_.has_indirect_call, 0
	.section	.AMDGPU.csdata,"",@progbits
; Kernel info:
; codeLenInByte = 2700
; TotalNumSgprs: 30
; NumVgprs: 16
; ScratchSize: 0
; MemoryBound: 0
; FloatMode: 240
; IeeeMode: 1
; LDSByteSize: 0 bytes/workgroup (compile time only)
; SGPRBlocks: 3
; VGPRBlocks: 3
; NumSGPRsForWavesPerEU: 30
; NumVGPRsForWavesPerEU: 16
; Occupancy: 10
; WaveLimiterHint : 1
; COMPUTE_PGM_RSRC2:SCRATCH_EN: 0
; COMPUTE_PGM_RSRC2:USER_SGPR: 6
; COMPUTE_PGM_RSRC2:TRAP_HANDLER: 0
; COMPUTE_PGM_RSRC2:TGID_X_EN: 1
; COMPUTE_PGM_RSRC2:TGID_Y_EN: 0
; COMPUTE_PGM_RSRC2:TGID_Z_EN: 0
; COMPUTE_PGM_RSRC2:TIDIG_COMP_CNT: 0
	.section	.text._ZN7rocprim17ROCPRIM_400000_NS6detail17trampoline_kernelINS0_14default_configENS1_29binary_search_config_selectorIsiEEZNS1_14transform_implILb0ES3_S5_N6thrust23THRUST_200600_302600_NS6detail15normal_iteratorINS8_7pointerIsNS8_11hip_rocprim5par_tENS8_11use_defaultESE_EEEENSA_INSB_IiSD_SE_SE_EEEEZNS1_13binary_searchIS3_S5_PsSG_SI_NS1_16binary_search_opENS9_16wrapped_functionINS8_6system6detail7generic6detail18binary_search_lessEbEEEE10hipError_tPvRmT1_T2_T3_mmT4_T5_P12ihipStream_tbEUlRKsE_EEST_SX_SY_mSZ_S12_bEUlT_E_NS1_11comp_targetILNS1_3genE10ELNS1_11target_archE1201ELNS1_3gpuE5ELNS1_3repE0EEENS1_30default_config_static_selectorELNS0_4arch9wavefront6targetE1EEEvSW_,"axG",@progbits,_ZN7rocprim17ROCPRIM_400000_NS6detail17trampoline_kernelINS0_14default_configENS1_29binary_search_config_selectorIsiEEZNS1_14transform_implILb0ES3_S5_N6thrust23THRUST_200600_302600_NS6detail15normal_iteratorINS8_7pointerIsNS8_11hip_rocprim5par_tENS8_11use_defaultESE_EEEENSA_INSB_IiSD_SE_SE_EEEEZNS1_13binary_searchIS3_S5_PsSG_SI_NS1_16binary_search_opENS9_16wrapped_functionINS8_6system6detail7generic6detail18binary_search_lessEbEEEE10hipError_tPvRmT1_T2_T3_mmT4_T5_P12ihipStream_tbEUlRKsE_EEST_SX_SY_mSZ_S12_bEUlT_E_NS1_11comp_targetILNS1_3genE10ELNS1_11target_archE1201ELNS1_3gpuE5ELNS1_3repE0EEENS1_30default_config_static_selectorELNS0_4arch9wavefront6targetE1EEEvSW_,comdat
	.protected	_ZN7rocprim17ROCPRIM_400000_NS6detail17trampoline_kernelINS0_14default_configENS1_29binary_search_config_selectorIsiEEZNS1_14transform_implILb0ES3_S5_N6thrust23THRUST_200600_302600_NS6detail15normal_iteratorINS8_7pointerIsNS8_11hip_rocprim5par_tENS8_11use_defaultESE_EEEENSA_INSB_IiSD_SE_SE_EEEEZNS1_13binary_searchIS3_S5_PsSG_SI_NS1_16binary_search_opENS9_16wrapped_functionINS8_6system6detail7generic6detail18binary_search_lessEbEEEE10hipError_tPvRmT1_T2_T3_mmT4_T5_P12ihipStream_tbEUlRKsE_EEST_SX_SY_mSZ_S12_bEUlT_E_NS1_11comp_targetILNS1_3genE10ELNS1_11target_archE1201ELNS1_3gpuE5ELNS1_3repE0EEENS1_30default_config_static_selectorELNS0_4arch9wavefront6targetE1EEEvSW_ ; -- Begin function _ZN7rocprim17ROCPRIM_400000_NS6detail17trampoline_kernelINS0_14default_configENS1_29binary_search_config_selectorIsiEEZNS1_14transform_implILb0ES3_S5_N6thrust23THRUST_200600_302600_NS6detail15normal_iteratorINS8_7pointerIsNS8_11hip_rocprim5par_tENS8_11use_defaultESE_EEEENSA_INSB_IiSD_SE_SE_EEEEZNS1_13binary_searchIS3_S5_PsSG_SI_NS1_16binary_search_opENS9_16wrapped_functionINS8_6system6detail7generic6detail18binary_search_lessEbEEEE10hipError_tPvRmT1_T2_T3_mmT4_T5_P12ihipStream_tbEUlRKsE_EEST_SX_SY_mSZ_S12_bEUlT_E_NS1_11comp_targetILNS1_3genE10ELNS1_11target_archE1201ELNS1_3gpuE5ELNS1_3repE0EEENS1_30default_config_static_selectorELNS0_4arch9wavefront6targetE1EEEvSW_
	.globl	_ZN7rocprim17ROCPRIM_400000_NS6detail17trampoline_kernelINS0_14default_configENS1_29binary_search_config_selectorIsiEEZNS1_14transform_implILb0ES3_S5_N6thrust23THRUST_200600_302600_NS6detail15normal_iteratorINS8_7pointerIsNS8_11hip_rocprim5par_tENS8_11use_defaultESE_EEEENSA_INSB_IiSD_SE_SE_EEEEZNS1_13binary_searchIS3_S5_PsSG_SI_NS1_16binary_search_opENS9_16wrapped_functionINS8_6system6detail7generic6detail18binary_search_lessEbEEEE10hipError_tPvRmT1_T2_T3_mmT4_T5_P12ihipStream_tbEUlRKsE_EEST_SX_SY_mSZ_S12_bEUlT_E_NS1_11comp_targetILNS1_3genE10ELNS1_11target_archE1201ELNS1_3gpuE5ELNS1_3repE0EEENS1_30default_config_static_selectorELNS0_4arch9wavefront6targetE1EEEvSW_
	.p2align	8
	.type	_ZN7rocprim17ROCPRIM_400000_NS6detail17trampoline_kernelINS0_14default_configENS1_29binary_search_config_selectorIsiEEZNS1_14transform_implILb0ES3_S5_N6thrust23THRUST_200600_302600_NS6detail15normal_iteratorINS8_7pointerIsNS8_11hip_rocprim5par_tENS8_11use_defaultESE_EEEENSA_INSB_IiSD_SE_SE_EEEEZNS1_13binary_searchIS3_S5_PsSG_SI_NS1_16binary_search_opENS9_16wrapped_functionINS8_6system6detail7generic6detail18binary_search_lessEbEEEE10hipError_tPvRmT1_T2_T3_mmT4_T5_P12ihipStream_tbEUlRKsE_EEST_SX_SY_mSZ_S12_bEUlT_E_NS1_11comp_targetILNS1_3genE10ELNS1_11target_archE1201ELNS1_3gpuE5ELNS1_3repE0EEENS1_30default_config_static_selectorELNS0_4arch9wavefront6targetE1EEEvSW_,@function
_ZN7rocprim17ROCPRIM_400000_NS6detail17trampoline_kernelINS0_14default_configENS1_29binary_search_config_selectorIsiEEZNS1_14transform_implILb0ES3_S5_N6thrust23THRUST_200600_302600_NS6detail15normal_iteratorINS8_7pointerIsNS8_11hip_rocprim5par_tENS8_11use_defaultESE_EEEENSA_INSB_IiSD_SE_SE_EEEEZNS1_13binary_searchIS3_S5_PsSG_SI_NS1_16binary_search_opENS9_16wrapped_functionINS8_6system6detail7generic6detail18binary_search_lessEbEEEE10hipError_tPvRmT1_T2_T3_mmT4_T5_P12ihipStream_tbEUlRKsE_EEST_SX_SY_mSZ_S12_bEUlT_E_NS1_11comp_targetILNS1_3genE10ELNS1_11target_archE1201ELNS1_3gpuE5ELNS1_3repE0EEENS1_30default_config_static_selectorELNS0_4arch9wavefront6targetE1EEEvSW_: ; @_ZN7rocprim17ROCPRIM_400000_NS6detail17trampoline_kernelINS0_14default_configENS1_29binary_search_config_selectorIsiEEZNS1_14transform_implILb0ES3_S5_N6thrust23THRUST_200600_302600_NS6detail15normal_iteratorINS8_7pointerIsNS8_11hip_rocprim5par_tENS8_11use_defaultESE_EEEENSA_INSB_IiSD_SE_SE_EEEEZNS1_13binary_searchIS3_S5_PsSG_SI_NS1_16binary_search_opENS9_16wrapped_functionINS8_6system6detail7generic6detail18binary_search_lessEbEEEE10hipError_tPvRmT1_T2_T3_mmT4_T5_P12ihipStream_tbEUlRKsE_EEST_SX_SY_mSZ_S12_bEUlT_E_NS1_11comp_targetILNS1_3genE10ELNS1_11target_archE1201ELNS1_3gpuE5ELNS1_3repE0EEENS1_30default_config_static_selectorELNS0_4arch9wavefront6targetE1EEEvSW_
; %bb.0:
	.section	.rodata,"a",@progbits
	.p2align	6, 0x0
	.amdhsa_kernel _ZN7rocprim17ROCPRIM_400000_NS6detail17trampoline_kernelINS0_14default_configENS1_29binary_search_config_selectorIsiEEZNS1_14transform_implILb0ES3_S5_N6thrust23THRUST_200600_302600_NS6detail15normal_iteratorINS8_7pointerIsNS8_11hip_rocprim5par_tENS8_11use_defaultESE_EEEENSA_INSB_IiSD_SE_SE_EEEEZNS1_13binary_searchIS3_S5_PsSG_SI_NS1_16binary_search_opENS9_16wrapped_functionINS8_6system6detail7generic6detail18binary_search_lessEbEEEE10hipError_tPvRmT1_T2_T3_mmT4_T5_P12ihipStream_tbEUlRKsE_EEST_SX_SY_mSZ_S12_bEUlT_E_NS1_11comp_targetILNS1_3genE10ELNS1_11target_archE1201ELNS1_3gpuE5ELNS1_3repE0EEENS1_30default_config_static_selectorELNS0_4arch9wavefront6targetE1EEEvSW_
		.amdhsa_group_segment_fixed_size 0
		.amdhsa_private_segment_fixed_size 0
		.amdhsa_kernarg_size 56
		.amdhsa_user_sgpr_count 6
		.amdhsa_user_sgpr_private_segment_buffer 1
		.amdhsa_user_sgpr_dispatch_ptr 0
		.amdhsa_user_sgpr_queue_ptr 0
		.amdhsa_user_sgpr_kernarg_segment_ptr 1
		.amdhsa_user_sgpr_dispatch_id 0
		.amdhsa_user_sgpr_flat_scratch_init 0
		.amdhsa_user_sgpr_private_segment_size 0
		.amdhsa_uses_dynamic_stack 0
		.amdhsa_system_sgpr_private_segment_wavefront_offset 0
		.amdhsa_system_sgpr_workgroup_id_x 1
		.amdhsa_system_sgpr_workgroup_id_y 0
		.amdhsa_system_sgpr_workgroup_id_z 0
		.amdhsa_system_sgpr_workgroup_info 0
		.amdhsa_system_vgpr_workitem_id 0
		.amdhsa_next_free_vgpr 1
		.amdhsa_next_free_sgpr 0
		.amdhsa_reserve_vcc 0
		.amdhsa_reserve_flat_scratch 0
		.amdhsa_float_round_mode_32 0
		.amdhsa_float_round_mode_16_64 0
		.amdhsa_float_denorm_mode_32 3
		.amdhsa_float_denorm_mode_16_64 3
		.amdhsa_dx10_clamp 1
		.amdhsa_ieee_mode 1
		.amdhsa_fp16_overflow 0
		.amdhsa_exception_fp_ieee_invalid_op 0
		.amdhsa_exception_fp_denorm_src 0
		.amdhsa_exception_fp_ieee_div_zero 0
		.amdhsa_exception_fp_ieee_overflow 0
		.amdhsa_exception_fp_ieee_underflow 0
		.amdhsa_exception_fp_ieee_inexact 0
		.amdhsa_exception_int_div_zero 0
	.end_amdhsa_kernel
	.section	.text._ZN7rocprim17ROCPRIM_400000_NS6detail17trampoline_kernelINS0_14default_configENS1_29binary_search_config_selectorIsiEEZNS1_14transform_implILb0ES3_S5_N6thrust23THRUST_200600_302600_NS6detail15normal_iteratorINS8_7pointerIsNS8_11hip_rocprim5par_tENS8_11use_defaultESE_EEEENSA_INSB_IiSD_SE_SE_EEEEZNS1_13binary_searchIS3_S5_PsSG_SI_NS1_16binary_search_opENS9_16wrapped_functionINS8_6system6detail7generic6detail18binary_search_lessEbEEEE10hipError_tPvRmT1_T2_T3_mmT4_T5_P12ihipStream_tbEUlRKsE_EEST_SX_SY_mSZ_S12_bEUlT_E_NS1_11comp_targetILNS1_3genE10ELNS1_11target_archE1201ELNS1_3gpuE5ELNS1_3repE0EEENS1_30default_config_static_selectorELNS0_4arch9wavefront6targetE1EEEvSW_,"axG",@progbits,_ZN7rocprim17ROCPRIM_400000_NS6detail17trampoline_kernelINS0_14default_configENS1_29binary_search_config_selectorIsiEEZNS1_14transform_implILb0ES3_S5_N6thrust23THRUST_200600_302600_NS6detail15normal_iteratorINS8_7pointerIsNS8_11hip_rocprim5par_tENS8_11use_defaultESE_EEEENSA_INSB_IiSD_SE_SE_EEEEZNS1_13binary_searchIS3_S5_PsSG_SI_NS1_16binary_search_opENS9_16wrapped_functionINS8_6system6detail7generic6detail18binary_search_lessEbEEEE10hipError_tPvRmT1_T2_T3_mmT4_T5_P12ihipStream_tbEUlRKsE_EEST_SX_SY_mSZ_S12_bEUlT_E_NS1_11comp_targetILNS1_3genE10ELNS1_11target_archE1201ELNS1_3gpuE5ELNS1_3repE0EEENS1_30default_config_static_selectorELNS0_4arch9wavefront6targetE1EEEvSW_,comdat
.Lfunc_end318:
	.size	_ZN7rocprim17ROCPRIM_400000_NS6detail17trampoline_kernelINS0_14default_configENS1_29binary_search_config_selectorIsiEEZNS1_14transform_implILb0ES3_S5_N6thrust23THRUST_200600_302600_NS6detail15normal_iteratorINS8_7pointerIsNS8_11hip_rocprim5par_tENS8_11use_defaultESE_EEEENSA_INSB_IiSD_SE_SE_EEEEZNS1_13binary_searchIS3_S5_PsSG_SI_NS1_16binary_search_opENS9_16wrapped_functionINS8_6system6detail7generic6detail18binary_search_lessEbEEEE10hipError_tPvRmT1_T2_T3_mmT4_T5_P12ihipStream_tbEUlRKsE_EEST_SX_SY_mSZ_S12_bEUlT_E_NS1_11comp_targetILNS1_3genE10ELNS1_11target_archE1201ELNS1_3gpuE5ELNS1_3repE0EEENS1_30default_config_static_selectorELNS0_4arch9wavefront6targetE1EEEvSW_, .Lfunc_end318-_ZN7rocprim17ROCPRIM_400000_NS6detail17trampoline_kernelINS0_14default_configENS1_29binary_search_config_selectorIsiEEZNS1_14transform_implILb0ES3_S5_N6thrust23THRUST_200600_302600_NS6detail15normal_iteratorINS8_7pointerIsNS8_11hip_rocprim5par_tENS8_11use_defaultESE_EEEENSA_INSB_IiSD_SE_SE_EEEEZNS1_13binary_searchIS3_S5_PsSG_SI_NS1_16binary_search_opENS9_16wrapped_functionINS8_6system6detail7generic6detail18binary_search_lessEbEEEE10hipError_tPvRmT1_T2_T3_mmT4_T5_P12ihipStream_tbEUlRKsE_EEST_SX_SY_mSZ_S12_bEUlT_E_NS1_11comp_targetILNS1_3genE10ELNS1_11target_archE1201ELNS1_3gpuE5ELNS1_3repE0EEENS1_30default_config_static_selectorELNS0_4arch9wavefront6targetE1EEEvSW_
                                        ; -- End function
	.set _ZN7rocprim17ROCPRIM_400000_NS6detail17trampoline_kernelINS0_14default_configENS1_29binary_search_config_selectorIsiEEZNS1_14transform_implILb0ES3_S5_N6thrust23THRUST_200600_302600_NS6detail15normal_iteratorINS8_7pointerIsNS8_11hip_rocprim5par_tENS8_11use_defaultESE_EEEENSA_INSB_IiSD_SE_SE_EEEEZNS1_13binary_searchIS3_S5_PsSG_SI_NS1_16binary_search_opENS9_16wrapped_functionINS8_6system6detail7generic6detail18binary_search_lessEbEEEE10hipError_tPvRmT1_T2_T3_mmT4_T5_P12ihipStream_tbEUlRKsE_EEST_SX_SY_mSZ_S12_bEUlT_E_NS1_11comp_targetILNS1_3genE10ELNS1_11target_archE1201ELNS1_3gpuE5ELNS1_3repE0EEENS1_30default_config_static_selectorELNS0_4arch9wavefront6targetE1EEEvSW_.num_vgpr, 0
	.set _ZN7rocprim17ROCPRIM_400000_NS6detail17trampoline_kernelINS0_14default_configENS1_29binary_search_config_selectorIsiEEZNS1_14transform_implILb0ES3_S5_N6thrust23THRUST_200600_302600_NS6detail15normal_iteratorINS8_7pointerIsNS8_11hip_rocprim5par_tENS8_11use_defaultESE_EEEENSA_INSB_IiSD_SE_SE_EEEEZNS1_13binary_searchIS3_S5_PsSG_SI_NS1_16binary_search_opENS9_16wrapped_functionINS8_6system6detail7generic6detail18binary_search_lessEbEEEE10hipError_tPvRmT1_T2_T3_mmT4_T5_P12ihipStream_tbEUlRKsE_EEST_SX_SY_mSZ_S12_bEUlT_E_NS1_11comp_targetILNS1_3genE10ELNS1_11target_archE1201ELNS1_3gpuE5ELNS1_3repE0EEENS1_30default_config_static_selectorELNS0_4arch9wavefront6targetE1EEEvSW_.num_agpr, 0
	.set _ZN7rocprim17ROCPRIM_400000_NS6detail17trampoline_kernelINS0_14default_configENS1_29binary_search_config_selectorIsiEEZNS1_14transform_implILb0ES3_S5_N6thrust23THRUST_200600_302600_NS6detail15normal_iteratorINS8_7pointerIsNS8_11hip_rocprim5par_tENS8_11use_defaultESE_EEEENSA_INSB_IiSD_SE_SE_EEEEZNS1_13binary_searchIS3_S5_PsSG_SI_NS1_16binary_search_opENS9_16wrapped_functionINS8_6system6detail7generic6detail18binary_search_lessEbEEEE10hipError_tPvRmT1_T2_T3_mmT4_T5_P12ihipStream_tbEUlRKsE_EEST_SX_SY_mSZ_S12_bEUlT_E_NS1_11comp_targetILNS1_3genE10ELNS1_11target_archE1201ELNS1_3gpuE5ELNS1_3repE0EEENS1_30default_config_static_selectorELNS0_4arch9wavefront6targetE1EEEvSW_.numbered_sgpr, 0
	.set _ZN7rocprim17ROCPRIM_400000_NS6detail17trampoline_kernelINS0_14default_configENS1_29binary_search_config_selectorIsiEEZNS1_14transform_implILb0ES3_S5_N6thrust23THRUST_200600_302600_NS6detail15normal_iteratorINS8_7pointerIsNS8_11hip_rocprim5par_tENS8_11use_defaultESE_EEEENSA_INSB_IiSD_SE_SE_EEEEZNS1_13binary_searchIS3_S5_PsSG_SI_NS1_16binary_search_opENS9_16wrapped_functionINS8_6system6detail7generic6detail18binary_search_lessEbEEEE10hipError_tPvRmT1_T2_T3_mmT4_T5_P12ihipStream_tbEUlRKsE_EEST_SX_SY_mSZ_S12_bEUlT_E_NS1_11comp_targetILNS1_3genE10ELNS1_11target_archE1201ELNS1_3gpuE5ELNS1_3repE0EEENS1_30default_config_static_selectorELNS0_4arch9wavefront6targetE1EEEvSW_.num_named_barrier, 0
	.set _ZN7rocprim17ROCPRIM_400000_NS6detail17trampoline_kernelINS0_14default_configENS1_29binary_search_config_selectorIsiEEZNS1_14transform_implILb0ES3_S5_N6thrust23THRUST_200600_302600_NS6detail15normal_iteratorINS8_7pointerIsNS8_11hip_rocprim5par_tENS8_11use_defaultESE_EEEENSA_INSB_IiSD_SE_SE_EEEEZNS1_13binary_searchIS3_S5_PsSG_SI_NS1_16binary_search_opENS9_16wrapped_functionINS8_6system6detail7generic6detail18binary_search_lessEbEEEE10hipError_tPvRmT1_T2_T3_mmT4_T5_P12ihipStream_tbEUlRKsE_EEST_SX_SY_mSZ_S12_bEUlT_E_NS1_11comp_targetILNS1_3genE10ELNS1_11target_archE1201ELNS1_3gpuE5ELNS1_3repE0EEENS1_30default_config_static_selectorELNS0_4arch9wavefront6targetE1EEEvSW_.private_seg_size, 0
	.set _ZN7rocprim17ROCPRIM_400000_NS6detail17trampoline_kernelINS0_14default_configENS1_29binary_search_config_selectorIsiEEZNS1_14transform_implILb0ES3_S5_N6thrust23THRUST_200600_302600_NS6detail15normal_iteratorINS8_7pointerIsNS8_11hip_rocprim5par_tENS8_11use_defaultESE_EEEENSA_INSB_IiSD_SE_SE_EEEEZNS1_13binary_searchIS3_S5_PsSG_SI_NS1_16binary_search_opENS9_16wrapped_functionINS8_6system6detail7generic6detail18binary_search_lessEbEEEE10hipError_tPvRmT1_T2_T3_mmT4_T5_P12ihipStream_tbEUlRKsE_EEST_SX_SY_mSZ_S12_bEUlT_E_NS1_11comp_targetILNS1_3genE10ELNS1_11target_archE1201ELNS1_3gpuE5ELNS1_3repE0EEENS1_30default_config_static_selectorELNS0_4arch9wavefront6targetE1EEEvSW_.uses_vcc, 0
	.set _ZN7rocprim17ROCPRIM_400000_NS6detail17trampoline_kernelINS0_14default_configENS1_29binary_search_config_selectorIsiEEZNS1_14transform_implILb0ES3_S5_N6thrust23THRUST_200600_302600_NS6detail15normal_iteratorINS8_7pointerIsNS8_11hip_rocprim5par_tENS8_11use_defaultESE_EEEENSA_INSB_IiSD_SE_SE_EEEEZNS1_13binary_searchIS3_S5_PsSG_SI_NS1_16binary_search_opENS9_16wrapped_functionINS8_6system6detail7generic6detail18binary_search_lessEbEEEE10hipError_tPvRmT1_T2_T3_mmT4_T5_P12ihipStream_tbEUlRKsE_EEST_SX_SY_mSZ_S12_bEUlT_E_NS1_11comp_targetILNS1_3genE10ELNS1_11target_archE1201ELNS1_3gpuE5ELNS1_3repE0EEENS1_30default_config_static_selectorELNS0_4arch9wavefront6targetE1EEEvSW_.uses_flat_scratch, 0
	.set _ZN7rocprim17ROCPRIM_400000_NS6detail17trampoline_kernelINS0_14default_configENS1_29binary_search_config_selectorIsiEEZNS1_14transform_implILb0ES3_S5_N6thrust23THRUST_200600_302600_NS6detail15normal_iteratorINS8_7pointerIsNS8_11hip_rocprim5par_tENS8_11use_defaultESE_EEEENSA_INSB_IiSD_SE_SE_EEEEZNS1_13binary_searchIS3_S5_PsSG_SI_NS1_16binary_search_opENS9_16wrapped_functionINS8_6system6detail7generic6detail18binary_search_lessEbEEEE10hipError_tPvRmT1_T2_T3_mmT4_T5_P12ihipStream_tbEUlRKsE_EEST_SX_SY_mSZ_S12_bEUlT_E_NS1_11comp_targetILNS1_3genE10ELNS1_11target_archE1201ELNS1_3gpuE5ELNS1_3repE0EEENS1_30default_config_static_selectorELNS0_4arch9wavefront6targetE1EEEvSW_.has_dyn_sized_stack, 0
	.set _ZN7rocprim17ROCPRIM_400000_NS6detail17trampoline_kernelINS0_14default_configENS1_29binary_search_config_selectorIsiEEZNS1_14transform_implILb0ES3_S5_N6thrust23THRUST_200600_302600_NS6detail15normal_iteratorINS8_7pointerIsNS8_11hip_rocprim5par_tENS8_11use_defaultESE_EEEENSA_INSB_IiSD_SE_SE_EEEEZNS1_13binary_searchIS3_S5_PsSG_SI_NS1_16binary_search_opENS9_16wrapped_functionINS8_6system6detail7generic6detail18binary_search_lessEbEEEE10hipError_tPvRmT1_T2_T3_mmT4_T5_P12ihipStream_tbEUlRKsE_EEST_SX_SY_mSZ_S12_bEUlT_E_NS1_11comp_targetILNS1_3genE10ELNS1_11target_archE1201ELNS1_3gpuE5ELNS1_3repE0EEENS1_30default_config_static_selectorELNS0_4arch9wavefront6targetE1EEEvSW_.has_recursion, 0
	.set _ZN7rocprim17ROCPRIM_400000_NS6detail17trampoline_kernelINS0_14default_configENS1_29binary_search_config_selectorIsiEEZNS1_14transform_implILb0ES3_S5_N6thrust23THRUST_200600_302600_NS6detail15normal_iteratorINS8_7pointerIsNS8_11hip_rocprim5par_tENS8_11use_defaultESE_EEEENSA_INSB_IiSD_SE_SE_EEEEZNS1_13binary_searchIS3_S5_PsSG_SI_NS1_16binary_search_opENS9_16wrapped_functionINS8_6system6detail7generic6detail18binary_search_lessEbEEEE10hipError_tPvRmT1_T2_T3_mmT4_T5_P12ihipStream_tbEUlRKsE_EEST_SX_SY_mSZ_S12_bEUlT_E_NS1_11comp_targetILNS1_3genE10ELNS1_11target_archE1201ELNS1_3gpuE5ELNS1_3repE0EEENS1_30default_config_static_selectorELNS0_4arch9wavefront6targetE1EEEvSW_.has_indirect_call, 0
	.section	.AMDGPU.csdata,"",@progbits
; Kernel info:
; codeLenInByte = 0
; TotalNumSgprs: 4
; NumVgprs: 0
; ScratchSize: 0
; MemoryBound: 0
; FloatMode: 240
; IeeeMode: 1
; LDSByteSize: 0 bytes/workgroup (compile time only)
; SGPRBlocks: 0
; VGPRBlocks: 0
; NumSGPRsForWavesPerEU: 4
; NumVGPRsForWavesPerEU: 1
; Occupancy: 10
; WaveLimiterHint : 0
; COMPUTE_PGM_RSRC2:SCRATCH_EN: 0
; COMPUTE_PGM_RSRC2:USER_SGPR: 6
; COMPUTE_PGM_RSRC2:TRAP_HANDLER: 0
; COMPUTE_PGM_RSRC2:TGID_X_EN: 1
; COMPUTE_PGM_RSRC2:TGID_Y_EN: 0
; COMPUTE_PGM_RSRC2:TGID_Z_EN: 0
; COMPUTE_PGM_RSRC2:TIDIG_COMP_CNT: 0
	.section	.text._ZN7rocprim17ROCPRIM_400000_NS6detail17trampoline_kernelINS0_14default_configENS1_29binary_search_config_selectorIsiEEZNS1_14transform_implILb0ES3_S5_N6thrust23THRUST_200600_302600_NS6detail15normal_iteratorINS8_7pointerIsNS8_11hip_rocprim5par_tENS8_11use_defaultESE_EEEENSA_INSB_IiSD_SE_SE_EEEEZNS1_13binary_searchIS3_S5_PsSG_SI_NS1_16binary_search_opENS9_16wrapped_functionINS8_6system6detail7generic6detail18binary_search_lessEbEEEE10hipError_tPvRmT1_T2_T3_mmT4_T5_P12ihipStream_tbEUlRKsE_EEST_SX_SY_mSZ_S12_bEUlT_E_NS1_11comp_targetILNS1_3genE10ELNS1_11target_archE1200ELNS1_3gpuE4ELNS1_3repE0EEENS1_30default_config_static_selectorELNS0_4arch9wavefront6targetE1EEEvSW_,"axG",@progbits,_ZN7rocprim17ROCPRIM_400000_NS6detail17trampoline_kernelINS0_14default_configENS1_29binary_search_config_selectorIsiEEZNS1_14transform_implILb0ES3_S5_N6thrust23THRUST_200600_302600_NS6detail15normal_iteratorINS8_7pointerIsNS8_11hip_rocprim5par_tENS8_11use_defaultESE_EEEENSA_INSB_IiSD_SE_SE_EEEEZNS1_13binary_searchIS3_S5_PsSG_SI_NS1_16binary_search_opENS9_16wrapped_functionINS8_6system6detail7generic6detail18binary_search_lessEbEEEE10hipError_tPvRmT1_T2_T3_mmT4_T5_P12ihipStream_tbEUlRKsE_EEST_SX_SY_mSZ_S12_bEUlT_E_NS1_11comp_targetILNS1_3genE10ELNS1_11target_archE1200ELNS1_3gpuE4ELNS1_3repE0EEENS1_30default_config_static_selectorELNS0_4arch9wavefront6targetE1EEEvSW_,comdat
	.protected	_ZN7rocprim17ROCPRIM_400000_NS6detail17trampoline_kernelINS0_14default_configENS1_29binary_search_config_selectorIsiEEZNS1_14transform_implILb0ES3_S5_N6thrust23THRUST_200600_302600_NS6detail15normal_iteratorINS8_7pointerIsNS8_11hip_rocprim5par_tENS8_11use_defaultESE_EEEENSA_INSB_IiSD_SE_SE_EEEEZNS1_13binary_searchIS3_S5_PsSG_SI_NS1_16binary_search_opENS9_16wrapped_functionINS8_6system6detail7generic6detail18binary_search_lessEbEEEE10hipError_tPvRmT1_T2_T3_mmT4_T5_P12ihipStream_tbEUlRKsE_EEST_SX_SY_mSZ_S12_bEUlT_E_NS1_11comp_targetILNS1_3genE10ELNS1_11target_archE1200ELNS1_3gpuE4ELNS1_3repE0EEENS1_30default_config_static_selectorELNS0_4arch9wavefront6targetE1EEEvSW_ ; -- Begin function _ZN7rocprim17ROCPRIM_400000_NS6detail17trampoline_kernelINS0_14default_configENS1_29binary_search_config_selectorIsiEEZNS1_14transform_implILb0ES3_S5_N6thrust23THRUST_200600_302600_NS6detail15normal_iteratorINS8_7pointerIsNS8_11hip_rocprim5par_tENS8_11use_defaultESE_EEEENSA_INSB_IiSD_SE_SE_EEEEZNS1_13binary_searchIS3_S5_PsSG_SI_NS1_16binary_search_opENS9_16wrapped_functionINS8_6system6detail7generic6detail18binary_search_lessEbEEEE10hipError_tPvRmT1_T2_T3_mmT4_T5_P12ihipStream_tbEUlRKsE_EEST_SX_SY_mSZ_S12_bEUlT_E_NS1_11comp_targetILNS1_3genE10ELNS1_11target_archE1200ELNS1_3gpuE4ELNS1_3repE0EEENS1_30default_config_static_selectorELNS0_4arch9wavefront6targetE1EEEvSW_
	.globl	_ZN7rocprim17ROCPRIM_400000_NS6detail17trampoline_kernelINS0_14default_configENS1_29binary_search_config_selectorIsiEEZNS1_14transform_implILb0ES3_S5_N6thrust23THRUST_200600_302600_NS6detail15normal_iteratorINS8_7pointerIsNS8_11hip_rocprim5par_tENS8_11use_defaultESE_EEEENSA_INSB_IiSD_SE_SE_EEEEZNS1_13binary_searchIS3_S5_PsSG_SI_NS1_16binary_search_opENS9_16wrapped_functionINS8_6system6detail7generic6detail18binary_search_lessEbEEEE10hipError_tPvRmT1_T2_T3_mmT4_T5_P12ihipStream_tbEUlRKsE_EEST_SX_SY_mSZ_S12_bEUlT_E_NS1_11comp_targetILNS1_3genE10ELNS1_11target_archE1200ELNS1_3gpuE4ELNS1_3repE0EEENS1_30default_config_static_selectorELNS0_4arch9wavefront6targetE1EEEvSW_
	.p2align	8
	.type	_ZN7rocprim17ROCPRIM_400000_NS6detail17trampoline_kernelINS0_14default_configENS1_29binary_search_config_selectorIsiEEZNS1_14transform_implILb0ES3_S5_N6thrust23THRUST_200600_302600_NS6detail15normal_iteratorINS8_7pointerIsNS8_11hip_rocprim5par_tENS8_11use_defaultESE_EEEENSA_INSB_IiSD_SE_SE_EEEEZNS1_13binary_searchIS3_S5_PsSG_SI_NS1_16binary_search_opENS9_16wrapped_functionINS8_6system6detail7generic6detail18binary_search_lessEbEEEE10hipError_tPvRmT1_T2_T3_mmT4_T5_P12ihipStream_tbEUlRKsE_EEST_SX_SY_mSZ_S12_bEUlT_E_NS1_11comp_targetILNS1_3genE10ELNS1_11target_archE1200ELNS1_3gpuE4ELNS1_3repE0EEENS1_30default_config_static_selectorELNS0_4arch9wavefront6targetE1EEEvSW_,@function
_ZN7rocprim17ROCPRIM_400000_NS6detail17trampoline_kernelINS0_14default_configENS1_29binary_search_config_selectorIsiEEZNS1_14transform_implILb0ES3_S5_N6thrust23THRUST_200600_302600_NS6detail15normal_iteratorINS8_7pointerIsNS8_11hip_rocprim5par_tENS8_11use_defaultESE_EEEENSA_INSB_IiSD_SE_SE_EEEEZNS1_13binary_searchIS3_S5_PsSG_SI_NS1_16binary_search_opENS9_16wrapped_functionINS8_6system6detail7generic6detail18binary_search_lessEbEEEE10hipError_tPvRmT1_T2_T3_mmT4_T5_P12ihipStream_tbEUlRKsE_EEST_SX_SY_mSZ_S12_bEUlT_E_NS1_11comp_targetILNS1_3genE10ELNS1_11target_archE1200ELNS1_3gpuE4ELNS1_3repE0EEENS1_30default_config_static_selectorELNS0_4arch9wavefront6targetE1EEEvSW_: ; @_ZN7rocprim17ROCPRIM_400000_NS6detail17trampoline_kernelINS0_14default_configENS1_29binary_search_config_selectorIsiEEZNS1_14transform_implILb0ES3_S5_N6thrust23THRUST_200600_302600_NS6detail15normal_iteratorINS8_7pointerIsNS8_11hip_rocprim5par_tENS8_11use_defaultESE_EEEENSA_INSB_IiSD_SE_SE_EEEEZNS1_13binary_searchIS3_S5_PsSG_SI_NS1_16binary_search_opENS9_16wrapped_functionINS8_6system6detail7generic6detail18binary_search_lessEbEEEE10hipError_tPvRmT1_T2_T3_mmT4_T5_P12ihipStream_tbEUlRKsE_EEST_SX_SY_mSZ_S12_bEUlT_E_NS1_11comp_targetILNS1_3genE10ELNS1_11target_archE1200ELNS1_3gpuE4ELNS1_3repE0EEENS1_30default_config_static_selectorELNS0_4arch9wavefront6targetE1EEEvSW_
; %bb.0:
	.section	.rodata,"a",@progbits
	.p2align	6, 0x0
	.amdhsa_kernel _ZN7rocprim17ROCPRIM_400000_NS6detail17trampoline_kernelINS0_14default_configENS1_29binary_search_config_selectorIsiEEZNS1_14transform_implILb0ES3_S5_N6thrust23THRUST_200600_302600_NS6detail15normal_iteratorINS8_7pointerIsNS8_11hip_rocprim5par_tENS8_11use_defaultESE_EEEENSA_INSB_IiSD_SE_SE_EEEEZNS1_13binary_searchIS3_S5_PsSG_SI_NS1_16binary_search_opENS9_16wrapped_functionINS8_6system6detail7generic6detail18binary_search_lessEbEEEE10hipError_tPvRmT1_T2_T3_mmT4_T5_P12ihipStream_tbEUlRKsE_EEST_SX_SY_mSZ_S12_bEUlT_E_NS1_11comp_targetILNS1_3genE10ELNS1_11target_archE1200ELNS1_3gpuE4ELNS1_3repE0EEENS1_30default_config_static_selectorELNS0_4arch9wavefront6targetE1EEEvSW_
		.amdhsa_group_segment_fixed_size 0
		.amdhsa_private_segment_fixed_size 0
		.amdhsa_kernarg_size 56
		.amdhsa_user_sgpr_count 6
		.amdhsa_user_sgpr_private_segment_buffer 1
		.amdhsa_user_sgpr_dispatch_ptr 0
		.amdhsa_user_sgpr_queue_ptr 0
		.amdhsa_user_sgpr_kernarg_segment_ptr 1
		.amdhsa_user_sgpr_dispatch_id 0
		.amdhsa_user_sgpr_flat_scratch_init 0
		.amdhsa_user_sgpr_private_segment_size 0
		.amdhsa_uses_dynamic_stack 0
		.amdhsa_system_sgpr_private_segment_wavefront_offset 0
		.amdhsa_system_sgpr_workgroup_id_x 1
		.amdhsa_system_sgpr_workgroup_id_y 0
		.amdhsa_system_sgpr_workgroup_id_z 0
		.amdhsa_system_sgpr_workgroup_info 0
		.amdhsa_system_vgpr_workitem_id 0
		.amdhsa_next_free_vgpr 1
		.amdhsa_next_free_sgpr 0
		.amdhsa_reserve_vcc 0
		.amdhsa_reserve_flat_scratch 0
		.amdhsa_float_round_mode_32 0
		.amdhsa_float_round_mode_16_64 0
		.amdhsa_float_denorm_mode_32 3
		.amdhsa_float_denorm_mode_16_64 3
		.amdhsa_dx10_clamp 1
		.amdhsa_ieee_mode 1
		.amdhsa_fp16_overflow 0
		.amdhsa_exception_fp_ieee_invalid_op 0
		.amdhsa_exception_fp_denorm_src 0
		.amdhsa_exception_fp_ieee_div_zero 0
		.amdhsa_exception_fp_ieee_overflow 0
		.amdhsa_exception_fp_ieee_underflow 0
		.amdhsa_exception_fp_ieee_inexact 0
		.amdhsa_exception_int_div_zero 0
	.end_amdhsa_kernel
	.section	.text._ZN7rocprim17ROCPRIM_400000_NS6detail17trampoline_kernelINS0_14default_configENS1_29binary_search_config_selectorIsiEEZNS1_14transform_implILb0ES3_S5_N6thrust23THRUST_200600_302600_NS6detail15normal_iteratorINS8_7pointerIsNS8_11hip_rocprim5par_tENS8_11use_defaultESE_EEEENSA_INSB_IiSD_SE_SE_EEEEZNS1_13binary_searchIS3_S5_PsSG_SI_NS1_16binary_search_opENS9_16wrapped_functionINS8_6system6detail7generic6detail18binary_search_lessEbEEEE10hipError_tPvRmT1_T2_T3_mmT4_T5_P12ihipStream_tbEUlRKsE_EEST_SX_SY_mSZ_S12_bEUlT_E_NS1_11comp_targetILNS1_3genE10ELNS1_11target_archE1200ELNS1_3gpuE4ELNS1_3repE0EEENS1_30default_config_static_selectorELNS0_4arch9wavefront6targetE1EEEvSW_,"axG",@progbits,_ZN7rocprim17ROCPRIM_400000_NS6detail17trampoline_kernelINS0_14default_configENS1_29binary_search_config_selectorIsiEEZNS1_14transform_implILb0ES3_S5_N6thrust23THRUST_200600_302600_NS6detail15normal_iteratorINS8_7pointerIsNS8_11hip_rocprim5par_tENS8_11use_defaultESE_EEEENSA_INSB_IiSD_SE_SE_EEEEZNS1_13binary_searchIS3_S5_PsSG_SI_NS1_16binary_search_opENS9_16wrapped_functionINS8_6system6detail7generic6detail18binary_search_lessEbEEEE10hipError_tPvRmT1_T2_T3_mmT4_T5_P12ihipStream_tbEUlRKsE_EEST_SX_SY_mSZ_S12_bEUlT_E_NS1_11comp_targetILNS1_3genE10ELNS1_11target_archE1200ELNS1_3gpuE4ELNS1_3repE0EEENS1_30default_config_static_selectorELNS0_4arch9wavefront6targetE1EEEvSW_,comdat
.Lfunc_end319:
	.size	_ZN7rocprim17ROCPRIM_400000_NS6detail17trampoline_kernelINS0_14default_configENS1_29binary_search_config_selectorIsiEEZNS1_14transform_implILb0ES3_S5_N6thrust23THRUST_200600_302600_NS6detail15normal_iteratorINS8_7pointerIsNS8_11hip_rocprim5par_tENS8_11use_defaultESE_EEEENSA_INSB_IiSD_SE_SE_EEEEZNS1_13binary_searchIS3_S5_PsSG_SI_NS1_16binary_search_opENS9_16wrapped_functionINS8_6system6detail7generic6detail18binary_search_lessEbEEEE10hipError_tPvRmT1_T2_T3_mmT4_T5_P12ihipStream_tbEUlRKsE_EEST_SX_SY_mSZ_S12_bEUlT_E_NS1_11comp_targetILNS1_3genE10ELNS1_11target_archE1200ELNS1_3gpuE4ELNS1_3repE0EEENS1_30default_config_static_selectorELNS0_4arch9wavefront6targetE1EEEvSW_, .Lfunc_end319-_ZN7rocprim17ROCPRIM_400000_NS6detail17trampoline_kernelINS0_14default_configENS1_29binary_search_config_selectorIsiEEZNS1_14transform_implILb0ES3_S5_N6thrust23THRUST_200600_302600_NS6detail15normal_iteratorINS8_7pointerIsNS8_11hip_rocprim5par_tENS8_11use_defaultESE_EEEENSA_INSB_IiSD_SE_SE_EEEEZNS1_13binary_searchIS3_S5_PsSG_SI_NS1_16binary_search_opENS9_16wrapped_functionINS8_6system6detail7generic6detail18binary_search_lessEbEEEE10hipError_tPvRmT1_T2_T3_mmT4_T5_P12ihipStream_tbEUlRKsE_EEST_SX_SY_mSZ_S12_bEUlT_E_NS1_11comp_targetILNS1_3genE10ELNS1_11target_archE1200ELNS1_3gpuE4ELNS1_3repE0EEENS1_30default_config_static_selectorELNS0_4arch9wavefront6targetE1EEEvSW_
                                        ; -- End function
	.set _ZN7rocprim17ROCPRIM_400000_NS6detail17trampoline_kernelINS0_14default_configENS1_29binary_search_config_selectorIsiEEZNS1_14transform_implILb0ES3_S5_N6thrust23THRUST_200600_302600_NS6detail15normal_iteratorINS8_7pointerIsNS8_11hip_rocprim5par_tENS8_11use_defaultESE_EEEENSA_INSB_IiSD_SE_SE_EEEEZNS1_13binary_searchIS3_S5_PsSG_SI_NS1_16binary_search_opENS9_16wrapped_functionINS8_6system6detail7generic6detail18binary_search_lessEbEEEE10hipError_tPvRmT1_T2_T3_mmT4_T5_P12ihipStream_tbEUlRKsE_EEST_SX_SY_mSZ_S12_bEUlT_E_NS1_11comp_targetILNS1_3genE10ELNS1_11target_archE1200ELNS1_3gpuE4ELNS1_3repE0EEENS1_30default_config_static_selectorELNS0_4arch9wavefront6targetE1EEEvSW_.num_vgpr, 0
	.set _ZN7rocprim17ROCPRIM_400000_NS6detail17trampoline_kernelINS0_14default_configENS1_29binary_search_config_selectorIsiEEZNS1_14transform_implILb0ES3_S5_N6thrust23THRUST_200600_302600_NS6detail15normal_iteratorINS8_7pointerIsNS8_11hip_rocprim5par_tENS8_11use_defaultESE_EEEENSA_INSB_IiSD_SE_SE_EEEEZNS1_13binary_searchIS3_S5_PsSG_SI_NS1_16binary_search_opENS9_16wrapped_functionINS8_6system6detail7generic6detail18binary_search_lessEbEEEE10hipError_tPvRmT1_T2_T3_mmT4_T5_P12ihipStream_tbEUlRKsE_EEST_SX_SY_mSZ_S12_bEUlT_E_NS1_11comp_targetILNS1_3genE10ELNS1_11target_archE1200ELNS1_3gpuE4ELNS1_3repE0EEENS1_30default_config_static_selectorELNS0_4arch9wavefront6targetE1EEEvSW_.num_agpr, 0
	.set _ZN7rocprim17ROCPRIM_400000_NS6detail17trampoline_kernelINS0_14default_configENS1_29binary_search_config_selectorIsiEEZNS1_14transform_implILb0ES3_S5_N6thrust23THRUST_200600_302600_NS6detail15normal_iteratorINS8_7pointerIsNS8_11hip_rocprim5par_tENS8_11use_defaultESE_EEEENSA_INSB_IiSD_SE_SE_EEEEZNS1_13binary_searchIS3_S5_PsSG_SI_NS1_16binary_search_opENS9_16wrapped_functionINS8_6system6detail7generic6detail18binary_search_lessEbEEEE10hipError_tPvRmT1_T2_T3_mmT4_T5_P12ihipStream_tbEUlRKsE_EEST_SX_SY_mSZ_S12_bEUlT_E_NS1_11comp_targetILNS1_3genE10ELNS1_11target_archE1200ELNS1_3gpuE4ELNS1_3repE0EEENS1_30default_config_static_selectorELNS0_4arch9wavefront6targetE1EEEvSW_.numbered_sgpr, 0
	.set _ZN7rocprim17ROCPRIM_400000_NS6detail17trampoline_kernelINS0_14default_configENS1_29binary_search_config_selectorIsiEEZNS1_14transform_implILb0ES3_S5_N6thrust23THRUST_200600_302600_NS6detail15normal_iteratorINS8_7pointerIsNS8_11hip_rocprim5par_tENS8_11use_defaultESE_EEEENSA_INSB_IiSD_SE_SE_EEEEZNS1_13binary_searchIS3_S5_PsSG_SI_NS1_16binary_search_opENS9_16wrapped_functionINS8_6system6detail7generic6detail18binary_search_lessEbEEEE10hipError_tPvRmT1_T2_T3_mmT4_T5_P12ihipStream_tbEUlRKsE_EEST_SX_SY_mSZ_S12_bEUlT_E_NS1_11comp_targetILNS1_3genE10ELNS1_11target_archE1200ELNS1_3gpuE4ELNS1_3repE0EEENS1_30default_config_static_selectorELNS0_4arch9wavefront6targetE1EEEvSW_.num_named_barrier, 0
	.set _ZN7rocprim17ROCPRIM_400000_NS6detail17trampoline_kernelINS0_14default_configENS1_29binary_search_config_selectorIsiEEZNS1_14transform_implILb0ES3_S5_N6thrust23THRUST_200600_302600_NS6detail15normal_iteratorINS8_7pointerIsNS8_11hip_rocprim5par_tENS8_11use_defaultESE_EEEENSA_INSB_IiSD_SE_SE_EEEEZNS1_13binary_searchIS3_S5_PsSG_SI_NS1_16binary_search_opENS9_16wrapped_functionINS8_6system6detail7generic6detail18binary_search_lessEbEEEE10hipError_tPvRmT1_T2_T3_mmT4_T5_P12ihipStream_tbEUlRKsE_EEST_SX_SY_mSZ_S12_bEUlT_E_NS1_11comp_targetILNS1_3genE10ELNS1_11target_archE1200ELNS1_3gpuE4ELNS1_3repE0EEENS1_30default_config_static_selectorELNS0_4arch9wavefront6targetE1EEEvSW_.private_seg_size, 0
	.set _ZN7rocprim17ROCPRIM_400000_NS6detail17trampoline_kernelINS0_14default_configENS1_29binary_search_config_selectorIsiEEZNS1_14transform_implILb0ES3_S5_N6thrust23THRUST_200600_302600_NS6detail15normal_iteratorINS8_7pointerIsNS8_11hip_rocprim5par_tENS8_11use_defaultESE_EEEENSA_INSB_IiSD_SE_SE_EEEEZNS1_13binary_searchIS3_S5_PsSG_SI_NS1_16binary_search_opENS9_16wrapped_functionINS8_6system6detail7generic6detail18binary_search_lessEbEEEE10hipError_tPvRmT1_T2_T3_mmT4_T5_P12ihipStream_tbEUlRKsE_EEST_SX_SY_mSZ_S12_bEUlT_E_NS1_11comp_targetILNS1_3genE10ELNS1_11target_archE1200ELNS1_3gpuE4ELNS1_3repE0EEENS1_30default_config_static_selectorELNS0_4arch9wavefront6targetE1EEEvSW_.uses_vcc, 0
	.set _ZN7rocprim17ROCPRIM_400000_NS6detail17trampoline_kernelINS0_14default_configENS1_29binary_search_config_selectorIsiEEZNS1_14transform_implILb0ES3_S5_N6thrust23THRUST_200600_302600_NS6detail15normal_iteratorINS8_7pointerIsNS8_11hip_rocprim5par_tENS8_11use_defaultESE_EEEENSA_INSB_IiSD_SE_SE_EEEEZNS1_13binary_searchIS3_S5_PsSG_SI_NS1_16binary_search_opENS9_16wrapped_functionINS8_6system6detail7generic6detail18binary_search_lessEbEEEE10hipError_tPvRmT1_T2_T3_mmT4_T5_P12ihipStream_tbEUlRKsE_EEST_SX_SY_mSZ_S12_bEUlT_E_NS1_11comp_targetILNS1_3genE10ELNS1_11target_archE1200ELNS1_3gpuE4ELNS1_3repE0EEENS1_30default_config_static_selectorELNS0_4arch9wavefront6targetE1EEEvSW_.uses_flat_scratch, 0
	.set _ZN7rocprim17ROCPRIM_400000_NS6detail17trampoline_kernelINS0_14default_configENS1_29binary_search_config_selectorIsiEEZNS1_14transform_implILb0ES3_S5_N6thrust23THRUST_200600_302600_NS6detail15normal_iteratorINS8_7pointerIsNS8_11hip_rocprim5par_tENS8_11use_defaultESE_EEEENSA_INSB_IiSD_SE_SE_EEEEZNS1_13binary_searchIS3_S5_PsSG_SI_NS1_16binary_search_opENS9_16wrapped_functionINS8_6system6detail7generic6detail18binary_search_lessEbEEEE10hipError_tPvRmT1_T2_T3_mmT4_T5_P12ihipStream_tbEUlRKsE_EEST_SX_SY_mSZ_S12_bEUlT_E_NS1_11comp_targetILNS1_3genE10ELNS1_11target_archE1200ELNS1_3gpuE4ELNS1_3repE0EEENS1_30default_config_static_selectorELNS0_4arch9wavefront6targetE1EEEvSW_.has_dyn_sized_stack, 0
	.set _ZN7rocprim17ROCPRIM_400000_NS6detail17trampoline_kernelINS0_14default_configENS1_29binary_search_config_selectorIsiEEZNS1_14transform_implILb0ES3_S5_N6thrust23THRUST_200600_302600_NS6detail15normal_iteratorINS8_7pointerIsNS8_11hip_rocprim5par_tENS8_11use_defaultESE_EEEENSA_INSB_IiSD_SE_SE_EEEEZNS1_13binary_searchIS3_S5_PsSG_SI_NS1_16binary_search_opENS9_16wrapped_functionINS8_6system6detail7generic6detail18binary_search_lessEbEEEE10hipError_tPvRmT1_T2_T3_mmT4_T5_P12ihipStream_tbEUlRKsE_EEST_SX_SY_mSZ_S12_bEUlT_E_NS1_11comp_targetILNS1_3genE10ELNS1_11target_archE1200ELNS1_3gpuE4ELNS1_3repE0EEENS1_30default_config_static_selectorELNS0_4arch9wavefront6targetE1EEEvSW_.has_recursion, 0
	.set _ZN7rocprim17ROCPRIM_400000_NS6detail17trampoline_kernelINS0_14default_configENS1_29binary_search_config_selectorIsiEEZNS1_14transform_implILb0ES3_S5_N6thrust23THRUST_200600_302600_NS6detail15normal_iteratorINS8_7pointerIsNS8_11hip_rocprim5par_tENS8_11use_defaultESE_EEEENSA_INSB_IiSD_SE_SE_EEEEZNS1_13binary_searchIS3_S5_PsSG_SI_NS1_16binary_search_opENS9_16wrapped_functionINS8_6system6detail7generic6detail18binary_search_lessEbEEEE10hipError_tPvRmT1_T2_T3_mmT4_T5_P12ihipStream_tbEUlRKsE_EEST_SX_SY_mSZ_S12_bEUlT_E_NS1_11comp_targetILNS1_3genE10ELNS1_11target_archE1200ELNS1_3gpuE4ELNS1_3repE0EEENS1_30default_config_static_selectorELNS0_4arch9wavefront6targetE1EEEvSW_.has_indirect_call, 0
	.section	.AMDGPU.csdata,"",@progbits
; Kernel info:
; codeLenInByte = 0
; TotalNumSgprs: 4
; NumVgprs: 0
; ScratchSize: 0
; MemoryBound: 0
; FloatMode: 240
; IeeeMode: 1
; LDSByteSize: 0 bytes/workgroup (compile time only)
; SGPRBlocks: 0
; VGPRBlocks: 0
; NumSGPRsForWavesPerEU: 4
; NumVGPRsForWavesPerEU: 1
; Occupancy: 10
; WaveLimiterHint : 0
; COMPUTE_PGM_RSRC2:SCRATCH_EN: 0
; COMPUTE_PGM_RSRC2:USER_SGPR: 6
; COMPUTE_PGM_RSRC2:TRAP_HANDLER: 0
; COMPUTE_PGM_RSRC2:TGID_X_EN: 1
; COMPUTE_PGM_RSRC2:TGID_Y_EN: 0
; COMPUTE_PGM_RSRC2:TGID_Z_EN: 0
; COMPUTE_PGM_RSRC2:TIDIG_COMP_CNT: 0
	.section	.text._ZN7rocprim17ROCPRIM_400000_NS6detail17trampoline_kernelINS0_14default_configENS1_29binary_search_config_selectorIsiEEZNS1_14transform_implILb0ES3_S5_N6thrust23THRUST_200600_302600_NS6detail15normal_iteratorINS8_7pointerIsNS8_11hip_rocprim5par_tENS8_11use_defaultESE_EEEENSA_INSB_IiSD_SE_SE_EEEEZNS1_13binary_searchIS3_S5_PsSG_SI_NS1_16binary_search_opENS9_16wrapped_functionINS8_6system6detail7generic6detail18binary_search_lessEbEEEE10hipError_tPvRmT1_T2_T3_mmT4_T5_P12ihipStream_tbEUlRKsE_EEST_SX_SY_mSZ_S12_bEUlT_E_NS1_11comp_targetILNS1_3genE9ELNS1_11target_archE1100ELNS1_3gpuE3ELNS1_3repE0EEENS1_30default_config_static_selectorELNS0_4arch9wavefront6targetE1EEEvSW_,"axG",@progbits,_ZN7rocprim17ROCPRIM_400000_NS6detail17trampoline_kernelINS0_14default_configENS1_29binary_search_config_selectorIsiEEZNS1_14transform_implILb0ES3_S5_N6thrust23THRUST_200600_302600_NS6detail15normal_iteratorINS8_7pointerIsNS8_11hip_rocprim5par_tENS8_11use_defaultESE_EEEENSA_INSB_IiSD_SE_SE_EEEEZNS1_13binary_searchIS3_S5_PsSG_SI_NS1_16binary_search_opENS9_16wrapped_functionINS8_6system6detail7generic6detail18binary_search_lessEbEEEE10hipError_tPvRmT1_T2_T3_mmT4_T5_P12ihipStream_tbEUlRKsE_EEST_SX_SY_mSZ_S12_bEUlT_E_NS1_11comp_targetILNS1_3genE9ELNS1_11target_archE1100ELNS1_3gpuE3ELNS1_3repE0EEENS1_30default_config_static_selectorELNS0_4arch9wavefront6targetE1EEEvSW_,comdat
	.protected	_ZN7rocprim17ROCPRIM_400000_NS6detail17trampoline_kernelINS0_14default_configENS1_29binary_search_config_selectorIsiEEZNS1_14transform_implILb0ES3_S5_N6thrust23THRUST_200600_302600_NS6detail15normal_iteratorINS8_7pointerIsNS8_11hip_rocprim5par_tENS8_11use_defaultESE_EEEENSA_INSB_IiSD_SE_SE_EEEEZNS1_13binary_searchIS3_S5_PsSG_SI_NS1_16binary_search_opENS9_16wrapped_functionINS8_6system6detail7generic6detail18binary_search_lessEbEEEE10hipError_tPvRmT1_T2_T3_mmT4_T5_P12ihipStream_tbEUlRKsE_EEST_SX_SY_mSZ_S12_bEUlT_E_NS1_11comp_targetILNS1_3genE9ELNS1_11target_archE1100ELNS1_3gpuE3ELNS1_3repE0EEENS1_30default_config_static_selectorELNS0_4arch9wavefront6targetE1EEEvSW_ ; -- Begin function _ZN7rocprim17ROCPRIM_400000_NS6detail17trampoline_kernelINS0_14default_configENS1_29binary_search_config_selectorIsiEEZNS1_14transform_implILb0ES3_S5_N6thrust23THRUST_200600_302600_NS6detail15normal_iteratorINS8_7pointerIsNS8_11hip_rocprim5par_tENS8_11use_defaultESE_EEEENSA_INSB_IiSD_SE_SE_EEEEZNS1_13binary_searchIS3_S5_PsSG_SI_NS1_16binary_search_opENS9_16wrapped_functionINS8_6system6detail7generic6detail18binary_search_lessEbEEEE10hipError_tPvRmT1_T2_T3_mmT4_T5_P12ihipStream_tbEUlRKsE_EEST_SX_SY_mSZ_S12_bEUlT_E_NS1_11comp_targetILNS1_3genE9ELNS1_11target_archE1100ELNS1_3gpuE3ELNS1_3repE0EEENS1_30default_config_static_selectorELNS0_4arch9wavefront6targetE1EEEvSW_
	.globl	_ZN7rocprim17ROCPRIM_400000_NS6detail17trampoline_kernelINS0_14default_configENS1_29binary_search_config_selectorIsiEEZNS1_14transform_implILb0ES3_S5_N6thrust23THRUST_200600_302600_NS6detail15normal_iteratorINS8_7pointerIsNS8_11hip_rocprim5par_tENS8_11use_defaultESE_EEEENSA_INSB_IiSD_SE_SE_EEEEZNS1_13binary_searchIS3_S5_PsSG_SI_NS1_16binary_search_opENS9_16wrapped_functionINS8_6system6detail7generic6detail18binary_search_lessEbEEEE10hipError_tPvRmT1_T2_T3_mmT4_T5_P12ihipStream_tbEUlRKsE_EEST_SX_SY_mSZ_S12_bEUlT_E_NS1_11comp_targetILNS1_3genE9ELNS1_11target_archE1100ELNS1_3gpuE3ELNS1_3repE0EEENS1_30default_config_static_selectorELNS0_4arch9wavefront6targetE1EEEvSW_
	.p2align	8
	.type	_ZN7rocprim17ROCPRIM_400000_NS6detail17trampoline_kernelINS0_14default_configENS1_29binary_search_config_selectorIsiEEZNS1_14transform_implILb0ES3_S5_N6thrust23THRUST_200600_302600_NS6detail15normal_iteratorINS8_7pointerIsNS8_11hip_rocprim5par_tENS8_11use_defaultESE_EEEENSA_INSB_IiSD_SE_SE_EEEEZNS1_13binary_searchIS3_S5_PsSG_SI_NS1_16binary_search_opENS9_16wrapped_functionINS8_6system6detail7generic6detail18binary_search_lessEbEEEE10hipError_tPvRmT1_T2_T3_mmT4_T5_P12ihipStream_tbEUlRKsE_EEST_SX_SY_mSZ_S12_bEUlT_E_NS1_11comp_targetILNS1_3genE9ELNS1_11target_archE1100ELNS1_3gpuE3ELNS1_3repE0EEENS1_30default_config_static_selectorELNS0_4arch9wavefront6targetE1EEEvSW_,@function
_ZN7rocprim17ROCPRIM_400000_NS6detail17trampoline_kernelINS0_14default_configENS1_29binary_search_config_selectorIsiEEZNS1_14transform_implILb0ES3_S5_N6thrust23THRUST_200600_302600_NS6detail15normal_iteratorINS8_7pointerIsNS8_11hip_rocprim5par_tENS8_11use_defaultESE_EEEENSA_INSB_IiSD_SE_SE_EEEEZNS1_13binary_searchIS3_S5_PsSG_SI_NS1_16binary_search_opENS9_16wrapped_functionINS8_6system6detail7generic6detail18binary_search_lessEbEEEE10hipError_tPvRmT1_T2_T3_mmT4_T5_P12ihipStream_tbEUlRKsE_EEST_SX_SY_mSZ_S12_bEUlT_E_NS1_11comp_targetILNS1_3genE9ELNS1_11target_archE1100ELNS1_3gpuE3ELNS1_3repE0EEENS1_30default_config_static_selectorELNS0_4arch9wavefront6targetE1EEEvSW_: ; @_ZN7rocprim17ROCPRIM_400000_NS6detail17trampoline_kernelINS0_14default_configENS1_29binary_search_config_selectorIsiEEZNS1_14transform_implILb0ES3_S5_N6thrust23THRUST_200600_302600_NS6detail15normal_iteratorINS8_7pointerIsNS8_11hip_rocprim5par_tENS8_11use_defaultESE_EEEENSA_INSB_IiSD_SE_SE_EEEEZNS1_13binary_searchIS3_S5_PsSG_SI_NS1_16binary_search_opENS9_16wrapped_functionINS8_6system6detail7generic6detail18binary_search_lessEbEEEE10hipError_tPvRmT1_T2_T3_mmT4_T5_P12ihipStream_tbEUlRKsE_EEST_SX_SY_mSZ_S12_bEUlT_E_NS1_11comp_targetILNS1_3genE9ELNS1_11target_archE1100ELNS1_3gpuE3ELNS1_3repE0EEENS1_30default_config_static_selectorELNS0_4arch9wavefront6targetE1EEEvSW_
; %bb.0:
	.section	.rodata,"a",@progbits
	.p2align	6, 0x0
	.amdhsa_kernel _ZN7rocprim17ROCPRIM_400000_NS6detail17trampoline_kernelINS0_14default_configENS1_29binary_search_config_selectorIsiEEZNS1_14transform_implILb0ES3_S5_N6thrust23THRUST_200600_302600_NS6detail15normal_iteratorINS8_7pointerIsNS8_11hip_rocprim5par_tENS8_11use_defaultESE_EEEENSA_INSB_IiSD_SE_SE_EEEEZNS1_13binary_searchIS3_S5_PsSG_SI_NS1_16binary_search_opENS9_16wrapped_functionINS8_6system6detail7generic6detail18binary_search_lessEbEEEE10hipError_tPvRmT1_T2_T3_mmT4_T5_P12ihipStream_tbEUlRKsE_EEST_SX_SY_mSZ_S12_bEUlT_E_NS1_11comp_targetILNS1_3genE9ELNS1_11target_archE1100ELNS1_3gpuE3ELNS1_3repE0EEENS1_30default_config_static_selectorELNS0_4arch9wavefront6targetE1EEEvSW_
		.amdhsa_group_segment_fixed_size 0
		.amdhsa_private_segment_fixed_size 0
		.amdhsa_kernarg_size 56
		.amdhsa_user_sgpr_count 6
		.amdhsa_user_sgpr_private_segment_buffer 1
		.amdhsa_user_sgpr_dispatch_ptr 0
		.amdhsa_user_sgpr_queue_ptr 0
		.amdhsa_user_sgpr_kernarg_segment_ptr 1
		.amdhsa_user_sgpr_dispatch_id 0
		.amdhsa_user_sgpr_flat_scratch_init 0
		.amdhsa_user_sgpr_private_segment_size 0
		.amdhsa_uses_dynamic_stack 0
		.amdhsa_system_sgpr_private_segment_wavefront_offset 0
		.amdhsa_system_sgpr_workgroup_id_x 1
		.amdhsa_system_sgpr_workgroup_id_y 0
		.amdhsa_system_sgpr_workgroup_id_z 0
		.amdhsa_system_sgpr_workgroup_info 0
		.amdhsa_system_vgpr_workitem_id 0
		.amdhsa_next_free_vgpr 1
		.amdhsa_next_free_sgpr 0
		.amdhsa_reserve_vcc 0
		.amdhsa_reserve_flat_scratch 0
		.amdhsa_float_round_mode_32 0
		.amdhsa_float_round_mode_16_64 0
		.amdhsa_float_denorm_mode_32 3
		.amdhsa_float_denorm_mode_16_64 3
		.amdhsa_dx10_clamp 1
		.amdhsa_ieee_mode 1
		.amdhsa_fp16_overflow 0
		.amdhsa_exception_fp_ieee_invalid_op 0
		.amdhsa_exception_fp_denorm_src 0
		.amdhsa_exception_fp_ieee_div_zero 0
		.amdhsa_exception_fp_ieee_overflow 0
		.amdhsa_exception_fp_ieee_underflow 0
		.amdhsa_exception_fp_ieee_inexact 0
		.amdhsa_exception_int_div_zero 0
	.end_amdhsa_kernel
	.section	.text._ZN7rocprim17ROCPRIM_400000_NS6detail17trampoline_kernelINS0_14default_configENS1_29binary_search_config_selectorIsiEEZNS1_14transform_implILb0ES3_S5_N6thrust23THRUST_200600_302600_NS6detail15normal_iteratorINS8_7pointerIsNS8_11hip_rocprim5par_tENS8_11use_defaultESE_EEEENSA_INSB_IiSD_SE_SE_EEEEZNS1_13binary_searchIS3_S5_PsSG_SI_NS1_16binary_search_opENS9_16wrapped_functionINS8_6system6detail7generic6detail18binary_search_lessEbEEEE10hipError_tPvRmT1_T2_T3_mmT4_T5_P12ihipStream_tbEUlRKsE_EEST_SX_SY_mSZ_S12_bEUlT_E_NS1_11comp_targetILNS1_3genE9ELNS1_11target_archE1100ELNS1_3gpuE3ELNS1_3repE0EEENS1_30default_config_static_selectorELNS0_4arch9wavefront6targetE1EEEvSW_,"axG",@progbits,_ZN7rocprim17ROCPRIM_400000_NS6detail17trampoline_kernelINS0_14default_configENS1_29binary_search_config_selectorIsiEEZNS1_14transform_implILb0ES3_S5_N6thrust23THRUST_200600_302600_NS6detail15normal_iteratorINS8_7pointerIsNS8_11hip_rocprim5par_tENS8_11use_defaultESE_EEEENSA_INSB_IiSD_SE_SE_EEEEZNS1_13binary_searchIS3_S5_PsSG_SI_NS1_16binary_search_opENS9_16wrapped_functionINS8_6system6detail7generic6detail18binary_search_lessEbEEEE10hipError_tPvRmT1_T2_T3_mmT4_T5_P12ihipStream_tbEUlRKsE_EEST_SX_SY_mSZ_S12_bEUlT_E_NS1_11comp_targetILNS1_3genE9ELNS1_11target_archE1100ELNS1_3gpuE3ELNS1_3repE0EEENS1_30default_config_static_selectorELNS0_4arch9wavefront6targetE1EEEvSW_,comdat
.Lfunc_end320:
	.size	_ZN7rocprim17ROCPRIM_400000_NS6detail17trampoline_kernelINS0_14default_configENS1_29binary_search_config_selectorIsiEEZNS1_14transform_implILb0ES3_S5_N6thrust23THRUST_200600_302600_NS6detail15normal_iteratorINS8_7pointerIsNS8_11hip_rocprim5par_tENS8_11use_defaultESE_EEEENSA_INSB_IiSD_SE_SE_EEEEZNS1_13binary_searchIS3_S5_PsSG_SI_NS1_16binary_search_opENS9_16wrapped_functionINS8_6system6detail7generic6detail18binary_search_lessEbEEEE10hipError_tPvRmT1_T2_T3_mmT4_T5_P12ihipStream_tbEUlRKsE_EEST_SX_SY_mSZ_S12_bEUlT_E_NS1_11comp_targetILNS1_3genE9ELNS1_11target_archE1100ELNS1_3gpuE3ELNS1_3repE0EEENS1_30default_config_static_selectorELNS0_4arch9wavefront6targetE1EEEvSW_, .Lfunc_end320-_ZN7rocprim17ROCPRIM_400000_NS6detail17trampoline_kernelINS0_14default_configENS1_29binary_search_config_selectorIsiEEZNS1_14transform_implILb0ES3_S5_N6thrust23THRUST_200600_302600_NS6detail15normal_iteratorINS8_7pointerIsNS8_11hip_rocprim5par_tENS8_11use_defaultESE_EEEENSA_INSB_IiSD_SE_SE_EEEEZNS1_13binary_searchIS3_S5_PsSG_SI_NS1_16binary_search_opENS9_16wrapped_functionINS8_6system6detail7generic6detail18binary_search_lessEbEEEE10hipError_tPvRmT1_T2_T3_mmT4_T5_P12ihipStream_tbEUlRKsE_EEST_SX_SY_mSZ_S12_bEUlT_E_NS1_11comp_targetILNS1_3genE9ELNS1_11target_archE1100ELNS1_3gpuE3ELNS1_3repE0EEENS1_30default_config_static_selectorELNS0_4arch9wavefront6targetE1EEEvSW_
                                        ; -- End function
	.set _ZN7rocprim17ROCPRIM_400000_NS6detail17trampoline_kernelINS0_14default_configENS1_29binary_search_config_selectorIsiEEZNS1_14transform_implILb0ES3_S5_N6thrust23THRUST_200600_302600_NS6detail15normal_iteratorINS8_7pointerIsNS8_11hip_rocprim5par_tENS8_11use_defaultESE_EEEENSA_INSB_IiSD_SE_SE_EEEEZNS1_13binary_searchIS3_S5_PsSG_SI_NS1_16binary_search_opENS9_16wrapped_functionINS8_6system6detail7generic6detail18binary_search_lessEbEEEE10hipError_tPvRmT1_T2_T3_mmT4_T5_P12ihipStream_tbEUlRKsE_EEST_SX_SY_mSZ_S12_bEUlT_E_NS1_11comp_targetILNS1_3genE9ELNS1_11target_archE1100ELNS1_3gpuE3ELNS1_3repE0EEENS1_30default_config_static_selectorELNS0_4arch9wavefront6targetE1EEEvSW_.num_vgpr, 0
	.set _ZN7rocprim17ROCPRIM_400000_NS6detail17trampoline_kernelINS0_14default_configENS1_29binary_search_config_selectorIsiEEZNS1_14transform_implILb0ES3_S5_N6thrust23THRUST_200600_302600_NS6detail15normal_iteratorINS8_7pointerIsNS8_11hip_rocprim5par_tENS8_11use_defaultESE_EEEENSA_INSB_IiSD_SE_SE_EEEEZNS1_13binary_searchIS3_S5_PsSG_SI_NS1_16binary_search_opENS9_16wrapped_functionINS8_6system6detail7generic6detail18binary_search_lessEbEEEE10hipError_tPvRmT1_T2_T3_mmT4_T5_P12ihipStream_tbEUlRKsE_EEST_SX_SY_mSZ_S12_bEUlT_E_NS1_11comp_targetILNS1_3genE9ELNS1_11target_archE1100ELNS1_3gpuE3ELNS1_3repE0EEENS1_30default_config_static_selectorELNS0_4arch9wavefront6targetE1EEEvSW_.num_agpr, 0
	.set _ZN7rocprim17ROCPRIM_400000_NS6detail17trampoline_kernelINS0_14default_configENS1_29binary_search_config_selectorIsiEEZNS1_14transform_implILb0ES3_S5_N6thrust23THRUST_200600_302600_NS6detail15normal_iteratorINS8_7pointerIsNS8_11hip_rocprim5par_tENS8_11use_defaultESE_EEEENSA_INSB_IiSD_SE_SE_EEEEZNS1_13binary_searchIS3_S5_PsSG_SI_NS1_16binary_search_opENS9_16wrapped_functionINS8_6system6detail7generic6detail18binary_search_lessEbEEEE10hipError_tPvRmT1_T2_T3_mmT4_T5_P12ihipStream_tbEUlRKsE_EEST_SX_SY_mSZ_S12_bEUlT_E_NS1_11comp_targetILNS1_3genE9ELNS1_11target_archE1100ELNS1_3gpuE3ELNS1_3repE0EEENS1_30default_config_static_selectorELNS0_4arch9wavefront6targetE1EEEvSW_.numbered_sgpr, 0
	.set _ZN7rocprim17ROCPRIM_400000_NS6detail17trampoline_kernelINS0_14default_configENS1_29binary_search_config_selectorIsiEEZNS1_14transform_implILb0ES3_S5_N6thrust23THRUST_200600_302600_NS6detail15normal_iteratorINS8_7pointerIsNS8_11hip_rocprim5par_tENS8_11use_defaultESE_EEEENSA_INSB_IiSD_SE_SE_EEEEZNS1_13binary_searchIS3_S5_PsSG_SI_NS1_16binary_search_opENS9_16wrapped_functionINS8_6system6detail7generic6detail18binary_search_lessEbEEEE10hipError_tPvRmT1_T2_T3_mmT4_T5_P12ihipStream_tbEUlRKsE_EEST_SX_SY_mSZ_S12_bEUlT_E_NS1_11comp_targetILNS1_3genE9ELNS1_11target_archE1100ELNS1_3gpuE3ELNS1_3repE0EEENS1_30default_config_static_selectorELNS0_4arch9wavefront6targetE1EEEvSW_.num_named_barrier, 0
	.set _ZN7rocprim17ROCPRIM_400000_NS6detail17trampoline_kernelINS0_14default_configENS1_29binary_search_config_selectorIsiEEZNS1_14transform_implILb0ES3_S5_N6thrust23THRUST_200600_302600_NS6detail15normal_iteratorINS8_7pointerIsNS8_11hip_rocprim5par_tENS8_11use_defaultESE_EEEENSA_INSB_IiSD_SE_SE_EEEEZNS1_13binary_searchIS3_S5_PsSG_SI_NS1_16binary_search_opENS9_16wrapped_functionINS8_6system6detail7generic6detail18binary_search_lessEbEEEE10hipError_tPvRmT1_T2_T3_mmT4_T5_P12ihipStream_tbEUlRKsE_EEST_SX_SY_mSZ_S12_bEUlT_E_NS1_11comp_targetILNS1_3genE9ELNS1_11target_archE1100ELNS1_3gpuE3ELNS1_3repE0EEENS1_30default_config_static_selectorELNS0_4arch9wavefront6targetE1EEEvSW_.private_seg_size, 0
	.set _ZN7rocprim17ROCPRIM_400000_NS6detail17trampoline_kernelINS0_14default_configENS1_29binary_search_config_selectorIsiEEZNS1_14transform_implILb0ES3_S5_N6thrust23THRUST_200600_302600_NS6detail15normal_iteratorINS8_7pointerIsNS8_11hip_rocprim5par_tENS8_11use_defaultESE_EEEENSA_INSB_IiSD_SE_SE_EEEEZNS1_13binary_searchIS3_S5_PsSG_SI_NS1_16binary_search_opENS9_16wrapped_functionINS8_6system6detail7generic6detail18binary_search_lessEbEEEE10hipError_tPvRmT1_T2_T3_mmT4_T5_P12ihipStream_tbEUlRKsE_EEST_SX_SY_mSZ_S12_bEUlT_E_NS1_11comp_targetILNS1_3genE9ELNS1_11target_archE1100ELNS1_3gpuE3ELNS1_3repE0EEENS1_30default_config_static_selectorELNS0_4arch9wavefront6targetE1EEEvSW_.uses_vcc, 0
	.set _ZN7rocprim17ROCPRIM_400000_NS6detail17trampoline_kernelINS0_14default_configENS1_29binary_search_config_selectorIsiEEZNS1_14transform_implILb0ES3_S5_N6thrust23THRUST_200600_302600_NS6detail15normal_iteratorINS8_7pointerIsNS8_11hip_rocprim5par_tENS8_11use_defaultESE_EEEENSA_INSB_IiSD_SE_SE_EEEEZNS1_13binary_searchIS3_S5_PsSG_SI_NS1_16binary_search_opENS9_16wrapped_functionINS8_6system6detail7generic6detail18binary_search_lessEbEEEE10hipError_tPvRmT1_T2_T3_mmT4_T5_P12ihipStream_tbEUlRKsE_EEST_SX_SY_mSZ_S12_bEUlT_E_NS1_11comp_targetILNS1_3genE9ELNS1_11target_archE1100ELNS1_3gpuE3ELNS1_3repE0EEENS1_30default_config_static_selectorELNS0_4arch9wavefront6targetE1EEEvSW_.uses_flat_scratch, 0
	.set _ZN7rocprim17ROCPRIM_400000_NS6detail17trampoline_kernelINS0_14default_configENS1_29binary_search_config_selectorIsiEEZNS1_14transform_implILb0ES3_S5_N6thrust23THRUST_200600_302600_NS6detail15normal_iteratorINS8_7pointerIsNS8_11hip_rocprim5par_tENS8_11use_defaultESE_EEEENSA_INSB_IiSD_SE_SE_EEEEZNS1_13binary_searchIS3_S5_PsSG_SI_NS1_16binary_search_opENS9_16wrapped_functionINS8_6system6detail7generic6detail18binary_search_lessEbEEEE10hipError_tPvRmT1_T2_T3_mmT4_T5_P12ihipStream_tbEUlRKsE_EEST_SX_SY_mSZ_S12_bEUlT_E_NS1_11comp_targetILNS1_3genE9ELNS1_11target_archE1100ELNS1_3gpuE3ELNS1_3repE0EEENS1_30default_config_static_selectorELNS0_4arch9wavefront6targetE1EEEvSW_.has_dyn_sized_stack, 0
	.set _ZN7rocprim17ROCPRIM_400000_NS6detail17trampoline_kernelINS0_14default_configENS1_29binary_search_config_selectorIsiEEZNS1_14transform_implILb0ES3_S5_N6thrust23THRUST_200600_302600_NS6detail15normal_iteratorINS8_7pointerIsNS8_11hip_rocprim5par_tENS8_11use_defaultESE_EEEENSA_INSB_IiSD_SE_SE_EEEEZNS1_13binary_searchIS3_S5_PsSG_SI_NS1_16binary_search_opENS9_16wrapped_functionINS8_6system6detail7generic6detail18binary_search_lessEbEEEE10hipError_tPvRmT1_T2_T3_mmT4_T5_P12ihipStream_tbEUlRKsE_EEST_SX_SY_mSZ_S12_bEUlT_E_NS1_11comp_targetILNS1_3genE9ELNS1_11target_archE1100ELNS1_3gpuE3ELNS1_3repE0EEENS1_30default_config_static_selectorELNS0_4arch9wavefront6targetE1EEEvSW_.has_recursion, 0
	.set _ZN7rocprim17ROCPRIM_400000_NS6detail17trampoline_kernelINS0_14default_configENS1_29binary_search_config_selectorIsiEEZNS1_14transform_implILb0ES3_S5_N6thrust23THRUST_200600_302600_NS6detail15normal_iteratorINS8_7pointerIsNS8_11hip_rocprim5par_tENS8_11use_defaultESE_EEEENSA_INSB_IiSD_SE_SE_EEEEZNS1_13binary_searchIS3_S5_PsSG_SI_NS1_16binary_search_opENS9_16wrapped_functionINS8_6system6detail7generic6detail18binary_search_lessEbEEEE10hipError_tPvRmT1_T2_T3_mmT4_T5_P12ihipStream_tbEUlRKsE_EEST_SX_SY_mSZ_S12_bEUlT_E_NS1_11comp_targetILNS1_3genE9ELNS1_11target_archE1100ELNS1_3gpuE3ELNS1_3repE0EEENS1_30default_config_static_selectorELNS0_4arch9wavefront6targetE1EEEvSW_.has_indirect_call, 0
	.section	.AMDGPU.csdata,"",@progbits
; Kernel info:
; codeLenInByte = 0
; TotalNumSgprs: 4
; NumVgprs: 0
; ScratchSize: 0
; MemoryBound: 0
; FloatMode: 240
; IeeeMode: 1
; LDSByteSize: 0 bytes/workgroup (compile time only)
; SGPRBlocks: 0
; VGPRBlocks: 0
; NumSGPRsForWavesPerEU: 4
; NumVGPRsForWavesPerEU: 1
; Occupancy: 10
; WaveLimiterHint : 0
; COMPUTE_PGM_RSRC2:SCRATCH_EN: 0
; COMPUTE_PGM_RSRC2:USER_SGPR: 6
; COMPUTE_PGM_RSRC2:TRAP_HANDLER: 0
; COMPUTE_PGM_RSRC2:TGID_X_EN: 1
; COMPUTE_PGM_RSRC2:TGID_Y_EN: 0
; COMPUTE_PGM_RSRC2:TGID_Z_EN: 0
; COMPUTE_PGM_RSRC2:TIDIG_COMP_CNT: 0
	.section	.text._ZN7rocprim17ROCPRIM_400000_NS6detail17trampoline_kernelINS0_14default_configENS1_29binary_search_config_selectorIsiEEZNS1_14transform_implILb0ES3_S5_N6thrust23THRUST_200600_302600_NS6detail15normal_iteratorINS8_7pointerIsNS8_11hip_rocprim5par_tENS8_11use_defaultESE_EEEENSA_INSB_IiSD_SE_SE_EEEEZNS1_13binary_searchIS3_S5_PsSG_SI_NS1_16binary_search_opENS9_16wrapped_functionINS8_6system6detail7generic6detail18binary_search_lessEbEEEE10hipError_tPvRmT1_T2_T3_mmT4_T5_P12ihipStream_tbEUlRKsE_EEST_SX_SY_mSZ_S12_bEUlT_E_NS1_11comp_targetILNS1_3genE8ELNS1_11target_archE1030ELNS1_3gpuE2ELNS1_3repE0EEENS1_30default_config_static_selectorELNS0_4arch9wavefront6targetE1EEEvSW_,"axG",@progbits,_ZN7rocprim17ROCPRIM_400000_NS6detail17trampoline_kernelINS0_14default_configENS1_29binary_search_config_selectorIsiEEZNS1_14transform_implILb0ES3_S5_N6thrust23THRUST_200600_302600_NS6detail15normal_iteratorINS8_7pointerIsNS8_11hip_rocprim5par_tENS8_11use_defaultESE_EEEENSA_INSB_IiSD_SE_SE_EEEEZNS1_13binary_searchIS3_S5_PsSG_SI_NS1_16binary_search_opENS9_16wrapped_functionINS8_6system6detail7generic6detail18binary_search_lessEbEEEE10hipError_tPvRmT1_T2_T3_mmT4_T5_P12ihipStream_tbEUlRKsE_EEST_SX_SY_mSZ_S12_bEUlT_E_NS1_11comp_targetILNS1_3genE8ELNS1_11target_archE1030ELNS1_3gpuE2ELNS1_3repE0EEENS1_30default_config_static_selectorELNS0_4arch9wavefront6targetE1EEEvSW_,comdat
	.protected	_ZN7rocprim17ROCPRIM_400000_NS6detail17trampoline_kernelINS0_14default_configENS1_29binary_search_config_selectorIsiEEZNS1_14transform_implILb0ES3_S5_N6thrust23THRUST_200600_302600_NS6detail15normal_iteratorINS8_7pointerIsNS8_11hip_rocprim5par_tENS8_11use_defaultESE_EEEENSA_INSB_IiSD_SE_SE_EEEEZNS1_13binary_searchIS3_S5_PsSG_SI_NS1_16binary_search_opENS9_16wrapped_functionINS8_6system6detail7generic6detail18binary_search_lessEbEEEE10hipError_tPvRmT1_T2_T3_mmT4_T5_P12ihipStream_tbEUlRKsE_EEST_SX_SY_mSZ_S12_bEUlT_E_NS1_11comp_targetILNS1_3genE8ELNS1_11target_archE1030ELNS1_3gpuE2ELNS1_3repE0EEENS1_30default_config_static_selectorELNS0_4arch9wavefront6targetE1EEEvSW_ ; -- Begin function _ZN7rocprim17ROCPRIM_400000_NS6detail17trampoline_kernelINS0_14default_configENS1_29binary_search_config_selectorIsiEEZNS1_14transform_implILb0ES3_S5_N6thrust23THRUST_200600_302600_NS6detail15normal_iteratorINS8_7pointerIsNS8_11hip_rocprim5par_tENS8_11use_defaultESE_EEEENSA_INSB_IiSD_SE_SE_EEEEZNS1_13binary_searchIS3_S5_PsSG_SI_NS1_16binary_search_opENS9_16wrapped_functionINS8_6system6detail7generic6detail18binary_search_lessEbEEEE10hipError_tPvRmT1_T2_T3_mmT4_T5_P12ihipStream_tbEUlRKsE_EEST_SX_SY_mSZ_S12_bEUlT_E_NS1_11comp_targetILNS1_3genE8ELNS1_11target_archE1030ELNS1_3gpuE2ELNS1_3repE0EEENS1_30default_config_static_selectorELNS0_4arch9wavefront6targetE1EEEvSW_
	.globl	_ZN7rocprim17ROCPRIM_400000_NS6detail17trampoline_kernelINS0_14default_configENS1_29binary_search_config_selectorIsiEEZNS1_14transform_implILb0ES3_S5_N6thrust23THRUST_200600_302600_NS6detail15normal_iteratorINS8_7pointerIsNS8_11hip_rocprim5par_tENS8_11use_defaultESE_EEEENSA_INSB_IiSD_SE_SE_EEEEZNS1_13binary_searchIS3_S5_PsSG_SI_NS1_16binary_search_opENS9_16wrapped_functionINS8_6system6detail7generic6detail18binary_search_lessEbEEEE10hipError_tPvRmT1_T2_T3_mmT4_T5_P12ihipStream_tbEUlRKsE_EEST_SX_SY_mSZ_S12_bEUlT_E_NS1_11comp_targetILNS1_3genE8ELNS1_11target_archE1030ELNS1_3gpuE2ELNS1_3repE0EEENS1_30default_config_static_selectorELNS0_4arch9wavefront6targetE1EEEvSW_
	.p2align	8
	.type	_ZN7rocprim17ROCPRIM_400000_NS6detail17trampoline_kernelINS0_14default_configENS1_29binary_search_config_selectorIsiEEZNS1_14transform_implILb0ES3_S5_N6thrust23THRUST_200600_302600_NS6detail15normal_iteratorINS8_7pointerIsNS8_11hip_rocprim5par_tENS8_11use_defaultESE_EEEENSA_INSB_IiSD_SE_SE_EEEEZNS1_13binary_searchIS3_S5_PsSG_SI_NS1_16binary_search_opENS9_16wrapped_functionINS8_6system6detail7generic6detail18binary_search_lessEbEEEE10hipError_tPvRmT1_T2_T3_mmT4_T5_P12ihipStream_tbEUlRKsE_EEST_SX_SY_mSZ_S12_bEUlT_E_NS1_11comp_targetILNS1_3genE8ELNS1_11target_archE1030ELNS1_3gpuE2ELNS1_3repE0EEENS1_30default_config_static_selectorELNS0_4arch9wavefront6targetE1EEEvSW_,@function
_ZN7rocprim17ROCPRIM_400000_NS6detail17trampoline_kernelINS0_14default_configENS1_29binary_search_config_selectorIsiEEZNS1_14transform_implILb0ES3_S5_N6thrust23THRUST_200600_302600_NS6detail15normal_iteratorINS8_7pointerIsNS8_11hip_rocprim5par_tENS8_11use_defaultESE_EEEENSA_INSB_IiSD_SE_SE_EEEEZNS1_13binary_searchIS3_S5_PsSG_SI_NS1_16binary_search_opENS9_16wrapped_functionINS8_6system6detail7generic6detail18binary_search_lessEbEEEE10hipError_tPvRmT1_T2_T3_mmT4_T5_P12ihipStream_tbEUlRKsE_EEST_SX_SY_mSZ_S12_bEUlT_E_NS1_11comp_targetILNS1_3genE8ELNS1_11target_archE1030ELNS1_3gpuE2ELNS1_3repE0EEENS1_30default_config_static_selectorELNS0_4arch9wavefront6targetE1EEEvSW_: ; @_ZN7rocprim17ROCPRIM_400000_NS6detail17trampoline_kernelINS0_14default_configENS1_29binary_search_config_selectorIsiEEZNS1_14transform_implILb0ES3_S5_N6thrust23THRUST_200600_302600_NS6detail15normal_iteratorINS8_7pointerIsNS8_11hip_rocprim5par_tENS8_11use_defaultESE_EEEENSA_INSB_IiSD_SE_SE_EEEEZNS1_13binary_searchIS3_S5_PsSG_SI_NS1_16binary_search_opENS9_16wrapped_functionINS8_6system6detail7generic6detail18binary_search_lessEbEEEE10hipError_tPvRmT1_T2_T3_mmT4_T5_P12ihipStream_tbEUlRKsE_EEST_SX_SY_mSZ_S12_bEUlT_E_NS1_11comp_targetILNS1_3genE8ELNS1_11target_archE1030ELNS1_3gpuE2ELNS1_3repE0EEENS1_30default_config_static_selectorELNS0_4arch9wavefront6targetE1EEEvSW_
; %bb.0:
	.section	.rodata,"a",@progbits
	.p2align	6, 0x0
	.amdhsa_kernel _ZN7rocprim17ROCPRIM_400000_NS6detail17trampoline_kernelINS0_14default_configENS1_29binary_search_config_selectorIsiEEZNS1_14transform_implILb0ES3_S5_N6thrust23THRUST_200600_302600_NS6detail15normal_iteratorINS8_7pointerIsNS8_11hip_rocprim5par_tENS8_11use_defaultESE_EEEENSA_INSB_IiSD_SE_SE_EEEEZNS1_13binary_searchIS3_S5_PsSG_SI_NS1_16binary_search_opENS9_16wrapped_functionINS8_6system6detail7generic6detail18binary_search_lessEbEEEE10hipError_tPvRmT1_T2_T3_mmT4_T5_P12ihipStream_tbEUlRKsE_EEST_SX_SY_mSZ_S12_bEUlT_E_NS1_11comp_targetILNS1_3genE8ELNS1_11target_archE1030ELNS1_3gpuE2ELNS1_3repE0EEENS1_30default_config_static_selectorELNS0_4arch9wavefront6targetE1EEEvSW_
		.amdhsa_group_segment_fixed_size 0
		.amdhsa_private_segment_fixed_size 0
		.amdhsa_kernarg_size 56
		.amdhsa_user_sgpr_count 6
		.amdhsa_user_sgpr_private_segment_buffer 1
		.amdhsa_user_sgpr_dispatch_ptr 0
		.amdhsa_user_sgpr_queue_ptr 0
		.amdhsa_user_sgpr_kernarg_segment_ptr 1
		.amdhsa_user_sgpr_dispatch_id 0
		.amdhsa_user_sgpr_flat_scratch_init 0
		.amdhsa_user_sgpr_private_segment_size 0
		.amdhsa_uses_dynamic_stack 0
		.amdhsa_system_sgpr_private_segment_wavefront_offset 0
		.amdhsa_system_sgpr_workgroup_id_x 1
		.amdhsa_system_sgpr_workgroup_id_y 0
		.amdhsa_system_sgpr_workgroup_id_z 0
		.amdhsa_system_sgpr_workgroup_info 0
		.amdhsa_system_vgpr_workitem_id 0
		.amdhsa_next_free_vgpr 1
		.amdhsa_next_free_sgpr 0
		.amdhsa_reserve_vcc 0
		.amdhsa_reserve_flat_scratch 0
		.amdhsa_float_round_mode_32 0
		.amdhsa_float_round_mode_16_64 0
		.amdhsa_float_denorm_mode_32 3
		.amdhsa_float_denorm_mode_16_64 3
		.amdhsa_dx10_clamp 1
		.amdhsa_ieee_mode 1
		.amdhsa_fp16_overflow 0
		.amdhsa_exception_fp_ieee_invalid_op 0
		.amdhsa_exception_fp_denorm_src 0
		.amdhsa_exception_fp_ieee_div_zero 0
		.amdhsa_exception_fp_ieee_overflow 0
		.amdhsa_exception_fp_ieee_underflow 0
		.amdhsa_exception_fp_ieee_inexact 0
		.amdhsa_exception_int_div_zero 0
	.end_amdhsa_kernel
	.section	.text._ZN7rocprim17ROCPRIM_400000_NS6detail17trampoline_kernelINS0_14default_configENS1_29binary_search_config_selectorIsiEEZNS1_14transform_implILb0ES3_S5_N6thrust23THRUST_200600_302600_NS6detail15normal_iteratorINS8_7pointerIsNS8_11hip_rocprim5par_tENS8_11use_defaultESE_EEEENSA_INSB_IiSD_SE_SE_EEEEZNS1_13binary_searchIS3_S5_PsSG_SI_NS1_16binary_search_opENS9_16wrapped_functionINS8_6system6detail7generic6detail18binary_search_lessEbEEEE10hipError_tPvRmT1_T2_T3_mmT4_T5_P12ihipStream_tbEUlRKsE_EEST_SX_SY_mSZ_S12_bEUlT_E_NS1_11comp_targetILNS1_3genE8ELNS1_11target_archE1030ELNS1_3gpuE2ELNS1_3repE0EEENS1_30default_config_static_selectorELNS0_4arch9wavefront6targetE1EEEvSW_,"axG",@progbits,_ZN7rocprim17ROCPRIM_400000_NS6detail17trampoline_kernelINS0_14default_configENS1_29binary_search_config_selectorIsiEEZNS1_14transform_implILb0ES3_S5_N6thrust23THRUST_200600_302600_NS6detail15normal_iteratorINS8_7pointerIsNS8_11hip_rocprim5par_tENS8_11use_defaultESE_EEEENSA_INSB_IiSD_SE_SE_EEEEZNS1_13binary_searchIS3_S5_PsSG_SI_NS1_16binary_search_opENS9_16wrapped_functionINS8_6system6detail7generic6detail18binary_search_lessEbEEEE10hipError_tPvRmT1_T2_T3_mmT4_T5_P12ihipStream_tbEUlRKsE_EEST_SX_SY_mSZ_S12_bEUlT_E_NS1_11comp_targetILNS1_3genE8ELNS1_11target_archE1030ELNS1_3gpuE2ELNS1_3repE0EEENS1_30default_config_static_selectorELNS0_4arch9wavefront6targetE1EEEvSW_,comdat
.Lfunc_end321:
	.size	_ZN7rocprim17ROCPRIM_400000_NS6detail17trampoline_kernelINS0_14default_configENS1_29binary_search_config_selectorIsiEEZNS1_14transform_implILb0ES3_S5_N6thrust23THRUST_200600_302600_NS6detail15normal_iteratorINS8_7pointerIsNS8_11hip_rocprim5par_tENS8_11use_defaultESE_EEEENSA_INSB_IiSD_SE_SE_EEEEZNS1_13binary_searchIS3_S5_PsSG_SI_NS1_16binary_search_opENS9_16wrapped_functionINS8_6system6detail7generic6detail18binary_search_lessEbEEEE10hipError_tPvRmT1_T2_T3_mmT4_T5_P12ihipStream_tbEUlRKsE_EEST_SX_SY_mSZ_S12_bEUlT_E_NS1_11comp_targetILNS1_3genE8ELNS1_11target_archE1030ELNS1_3gpuE2ELNS1_3repE0EEENS1_30default_config_static_selectorELNS0_4arch9wavefront6targetE1EEEvSW_, .Lfunc_end321-_ZN7rocprim17ROCPRIM_400000_NS6detail17trampoline_kernelINS0_14default_configENS1_29binary_search_config_selectorIsiEEZNS1_14transform_implILb0ES3_S5_N6thrust23THRUST_200600_302600_NS6detail15normal_iteratorINS8_7pointerIsNS8_11hip_rocprim5par_tENS8_11use_defaultESE_EEEENSA_INSB_IiSD_SE_SE_EEEEZNS1_13binary_searchIS3_S5_PsSG_SI_NS1_16binary_search_opENS9_16wrapped_functionINS8_6system6detail7generic6detail18binary_search_lessEbEEEE10hipError_tPvRmT1_T2_T3_mmT4_T5_P12ihipStream_tbEUlRKsE_EEST_SX_SY_mSZ_S12_bEUlT_E_NS1_11comp_targetILNS1_3genE8ELNS1_11target_archE1030ELNS1_3gpuE2ELNS1_3repE0EEENS1_30default_config_static_selectorELNS0_4arch9wavefront6targetE1EEEvSW_
                                        ; -- End function
	.set _ZN7rocprim17ROCPRIM_400000_NS6detail17trampoline_kernelINS0_14default_configENS1_29binary_search_config_selectorIsiEEZNS1_14transform_implILb0ES3_S5_N6thrust23THRUST_200600_302600_NS6detail15normal_iteratorINS8_7pointerIsNS8_11hip_rocprim5par_tENS8_11use_defaultESE_EEEENSA_INSB_IiSD_SE_SE_EEEEZNS1_13binary_searchIS3_S5_PsSG_SI_NS1_16binary_search_opENS9_16wrapped_functionINS8_6system6detail7generic6detail18binary_search_lessEbEEEE10hipError_tPvRmT1_T2_T3_mmT4_T5_P12ihipStream_tbEUlRKsE_EEST_SX_SY_mSZ_S12_bEUlT_E_NS1_11comp_targetILNS1_3genE8ELNS1_11target_archE1030ELNS1_3gpuE2ELNS1_3repE0EEENS1_30default_config_static_selectorELNS0_4arch9wavefront6targetE1EEEvSW_.num_vgpr, 0
	.set _ZN7rocprim17ROCPRIM_400000_NS6detail17trampoline_kernelINS0_14default_configENS1_29binary_search_config_selectorIsiEEZNS1_14transform_implILb0ES3_S5_N6thrust23THRUST_200600_302600_NS6detail15normal_iteratorINS8_7pointerIsNS8_11hip_rocprim5par_tENS8_11use_defaultESE_EEEENSA_INSB_IiSD_SE_SE_EEEEZNS1_13binary_searchIS3_S5_PsSG_SI_NS1_16binary_search_opENS9_16wrapped_functionINS8_6system6detail7generic6detail18binary_search_lessEbEEEE10hipError_tPvRmT1_T2_T3_mmT4_T5_P12ihipStream_tbEUlRKsE_EEST_SX_SY_mSZ_S12_bEUlT_E_NS1_11comp_targetILNS1_3genE8ELNS1_11target_archE1030ELNS1_3gpuE2ELNS1_3repE0EEENS1_30default_config_static_selectorELNS0_4arch9wavefront6targetE1EEEvSW_.num_agpr, 0
	.set _ZN7rocprim17ROCPRIM_400000_NS6detail17trampoline_kernelINS0_14default_configENS1_29binary_search_config_selectorIsiEEZNS1_14transform_implILb0ES3_S5_N6thrust23THRUST_200600_302600_NS6detail15normal_iteratorINS8_7pointerIsNS8_11hip_rocprim5par_tENS8_11use_defaultESE_EEEENSA_INSB_IiSD_SE_SE_EEEEZNS1_13binary_searchIS3_S5_PsSG_SI_NS1_16binary_search_opENS9_16wrapped_functionINS8_6system6detail7generic6detail18binary_search_lessEbEEEE10hipError_tPvRmT1_T2_T3_mmT4_T5_P12ihipStream_tbEUlRKsE_EEST_SX_SY_mSZ_S12_bEUlT_E_NS1_11comp_targetILNS1_3genE8ELNS1_11target_archE1030ELNS1_3gpuE2ELNS1_3repE0EEENS1_30default_config_static_selectorELNS0_4arch9wavefront6targetE1EEEvSW_.numbered_sgpr, 0
	.set _ZN7rocprim17ROCPRIM_400000_NS6detail17trampoline_kernelINS0_14default_configENS1_29binary_search_config_selectorIsiEEZNS1_14transform_implILb0ES3_S5_N6thrust23THRUST_200600_302600_NS6detail15normal_iteratorINS8_7pointerIsNS8_11hip_rocprim5par_tENS8_11use_defaultESE_EEEENSA_INSB_IiSD_SE_SE_EEEEZNS1_13binary_searchIS3_S5_PsSG_SI_NS1_16binary_search_opENS9_16wrapped_functionINS8_6system6detail7generic6detail18binary_search_lessEbEEEE10hipError_tPvRmT1_T2_T3_mmT4_T5_P12ihipStream_tbEUlRKsE_EEST_SX_SY_mSZ_S12_bEUlT_E_NS1_11comp_targetILNS1_3genE8ELNS1_11target_archE1030ELNS1_3gpuE2ELNS1_3repE0EEENS1_30default_config_static_selectorELNS0_4arch9wavefront6targetE1EEEvSW_.num_named_barrier, 0
	.set _ZN7rocprim17ROCPRIM_400000_NS6detail17trampoline_kernelINS0_14default_configENS1_29binary_search_config_selectorIsiEEZNS1_14transform_implILb0ES3_S5_N6thrust23THRUST_200600_302600_NS6detail15normal_iteratorINS8_7pointerIsNS8_11hip_rocprim5par_tENS8_11use_defaultESE_EEEENSA_INSB_IiSD_SE_SE_EEEEZNS1_13binary_searchIS3_S5_PsSG_SI_NS1_16binary_search_opENS9_16wrapped_functionINS8_6system6detail7generic6detail18binary_search_lessEbEEEE10hipError_tPvRmT1_T2_T3_mmT4_T5_P12ihipStream_tbEUlRKsE_EEST_SX_SY_mSZ_S12_bEUlT_E_NS1_11comp_targetILNS1_3genE8ELNS1_11target_archE1030ELNS1_3gpuE2ELNS1_3repE0EEENS1_30default_config_static_selectorELNS0_4arch9wavefront6targetE1EEEvSW_.private_seg_size, 0
	.set _ZN7rocprim17ROCPRIM_400000_NS6detail17trampoline_kernelINS0_14default_configENS1_29binary_search_config_selectorIsiEEZNS1_14transform_implILb0ES3_S5_N6thrust23THRUST_200600_302600_NS6detail15normal_iteratorINS8_7pointerIsNS8_11hip_rocprim5par_tENS8_11use_defaultESE_EEEENSA_INSB_IiSD_SE_SE_EEEEZNS1_13binary_searchIS3_S5_PsSG_SI_NS1_16binary_search_opENS9_16wrapped_functionINS8_6system6detail7generic6detail18binary_search_lessEbEEEE10hipError_tPvRmT1_T2_T3_mmT4_T5_P12ihipStream_tbEUlRKsE_EEST_SX_SY_mSZ_S12_bEUlT_E_NS1_11comp_targetILNS1_3genE8ELNS1_11target_archE1030ELNS1_3gpuE2ELNS1_3repE0EEENS1_30default_config_static_selectorELNS0_4arch9wavefront6targetE1EEEvSW_.uses_vcc, 0
	.set _ZN7rocprim17ROCPRIM_400000_NS6detail17trampoline_kernelINS0_14default_configENS1_29binary_search_config_selectorIsiEEZNS1_14transform_implILb0ES3_S5_N6thrust23THRUST_200600_302600_NS6detail15normal_iteratorINS8_7pointerIsNS8_11hip_rocprim5par_tENS8_11use_defaultESE_EEEENSA_INSB_IiSD_SE_SE_EEEEZNS1_13binary_searchIS3_S5_PsSG_SI_NS1_16binary_search_opENS9_16wrapped_functionINS8_6system6detail7generic6detail18binary_search_lessEbEEEE10hipError_tPvRmT1_T2_T3_mmT4_T5_P12ihipStream_tbEUlRKsE_EEST_SX_SY_mSZ_S12_bEUlT_E_NS1_11comp_targetILNS1_3genE8ELNS1_11target_archE1030ELNS1_3gpuE2ELNS1_3repE0EEENS1_30default_config_static_selectorELNS0_4arch9wavefront6targetE1EEEvSW_.uses_flat_scratch, 0
	.set _ZN7rocprim17ROCPRIM_400000_NS6detail17trampoline_kernelINS0_14default_configENS1_29binary_search_config_selectorIsiEEZNS1_14transform_implILb0ES3_S5_N6thrust23THRUST_200600_302600_NS6detail15normal_iteratorINS8_7pointerIsNS8_11hip_rocprim5par_tENS8_11use_defaultESE_EEEENSA_INSB_IiSD_SE_SE_EEEEZNS1_13binary_searchIS3_S5_PsSG_SI_NS1_16binary_search_opENS9_16wrapped_functionINS8_6system6detail7generic6detail18binary_search_lessEbEEEE10hipError_tPvRmT1_T2_T3_mmT4_T5_P12ihipStream_tbEUlRKsE_EEST_SX_SY_mSZ_S12_bEUlT_E_NS1_11comp_targetILNS1_3genE8ELNS1_11target_archE1030ELNS1_3gpuE2ELNS1_3repE0EEENS1_30default_config_static_selectorELNS0_4arch9wavefront6targetE1EEEvSW_.has_dyn_sized_stack, 0
	.set _ZN7rocprim17ROCPRIM_400000_NS6detail17trampoline_kernelINS0_14default_configENS1_29binary_search_config_selectorIsiEEZNS1_14transform_implILb0ES3_S5_N6thrust23THRUST_200600_302600_NS6detail15normal_iteratorINS8_7pointerIsNS8_11hip_rocprim5par_tENS8_11use_defaultESE_EEEENSA_INSB_IiSD_SE_SE_EEEEZNS1_13binary_searchIS3_S5_PsSG_SI_NS1_16binary_search_opENS9_16wrapped_functionINS8_6system6detail7generic6detail18binary_search_lessEbEEEE10hipError_tPvRmT1_T2_T3_mmT4_T5_P12ihipStream_tbEUlRKsE_EEST_SX_SY_mSZ_S12_bEUlT_E_NS1_11comp_targetILNS1_3genE8ELNS1_11target_archE1030ELNS1_3gpuE2ELNS1_3repE0EEENS1_30default_config_static_selectorELNS0_4arch9wavefront6targetE1EEEvSW_.has_recursion, 0
	.set _ZN7rocprim17ROCPRIM_400000_NS6detail17trampoline_kernelINS0_14default_configENS1_29binary_search_config_selectorIsiEEZNS1_14transform_implILb0ES3_S5_N6thrust23THRUST_200600_302600_NS6detail15normal_iteratorINS8_7pointerIsNS8_11hip_rocprim5par_tENS8_11use_defaultESE_EEEENSA_INSB_IiSD_SE_SE_EEEEZNS1_13binary_searchIS3_S5_PsSG_SI_NS1_16binary_search_opENS9_16wrapped_functionINS8_6system6detail7generic6detail18binary_search_lessEbEEEE10hipError_tPvRmT1_T2_T3_mmT4_T5_P12ihipStream_tbEUlRKsE_EEST_SX_SY_mSZ_S12_bEUlT_E_NS1_11comp_targetILNS1_3genE8ELNS1_11target_archE1030ELNS1_3gpuE2ELNS1_3repE0EEENS1_30default_config_static_selectorELNS0_4arch9wavefront6targetE1EEEvSW_.has_indirect_call, 0
	.section	.AMDGPU.csdata,"",@progbits
; Kernel info:
; codeLenInByte = 0
; TotalNumSgprs: 4
; NumVgprs: 0
; ScratchSize: 0
; MemoryBound: 0
; FloatMode: 240
; IeeeMode: 1
; LDSByteSize: 0 bytes/workgroup (compile time only)
; SGPRBlocks: 0
; VGPRBlocks: 0
; NumSGPRsForWavesPerEU: 4
; NumVGPRsForWavesPerEU: 1
; Occupancy: 10
; WaveLimiterHint : 0
; COMPUTE_PGM_RSRC2:SCRATCH_EN: 0
; COMPUTE_PGM_RSRC2:USER_SGPR: 6
; COMPUTE_PGM_RSRC2:TRAP_HANDLER: 0
; COMPUTE_PGM_RSRC2:TGID_X_EN: 1
; COMPUTE_PGM_RSRC2:TGID_Y_EN: 0
; COMPUTE_PGM_RSRC2:TGID_Z_EN: 0
; COMPUTE_PGM_RSRC2:TIDIG_COMP_CNT: 0
	.section	.text._ZN7rocprim17ROCPRIM_400000_NS6detail17trampoline_kernelINS0_14default_configENS1_27lower_bound_config_selectorIdlEEZNS1_14transform_implILb0ES3_S5_N6thrust23THRUST_200600_302600_NS6detail15normal_iteratorINS8_7pointerIdNS8_11hip_rocprim5par_tENS8_11use_defaultESE_EEEENSA_INSB_IlSD_SE_SE_EEEEZNS1_13binary_searchIS3_S5_NSA_INS8_10device_ptrIdEEEESG_SI_NS1_21lower_bound_search_opENS9_16wrapped_functionINS8_6system6detail7generic6detail18binary_search_lessEbEEEE10hipError_tPvRmT1_T2_T3_mmT4_T5_P12ihipStream_tbEUlRKdE_EESV_SZ_S10_mS11_S14_bEUlT_E_NS1_11comp_targetILNS1_3genE0ELNS1_11target_archE4294967295ELNS1_3gpuE0ELNS1_3repE0EEENS1_30default_config_static_selectorELNS0_4arch9wavefront6targetE1EEEvSY_,"axG",@progbits,_ZN7rocprim17ROCPRIM_400000_NS6detail17trampoline_kernelINS0_14default_configENS1_27lower_bound_config_selectorIdlEEZNS1_14transform_implILb0ES3_S5_N6thrust23THRUST_200600_302600_NS6detail15normal_iteratorINS8_7pointerIdNS8_11hip_rocprim5par_tENS8_11use_defaultESE_EEEENSA_INSB_IlSD_SE_SE_EEEEZNS1_13binary_searchIS3_S5_NSA_INS8_10device_ptrIdEEEESG_SI_NS1_21lower_bound_search_opENS9_16wrapped_functionINS8_6system6detail7generic6detail18binary_search_lessEbEEEE10hipError_tPvRmT1_T2_T3_mmT4_T5_P12ihipStream_tbEUlRKdE_EESV_SZ_S10_mS11_S14_bEUlT_E_NS1_11comp_targetILNS1_3genE0ELNS1_11target_archE4294967295ELNS1_3gpuE0ELNS1_3repE0EEENS1_30default_config_static_selectorELNS0_4arch9wavefront6targetE1EEEvSY_,comdat
	.protected	_ZN7rocprim17ROCPRIM_400000_NS6detail17trampoline_kernelINS0_14default_configENS1_27lower_bound_config_selectorIdlEEZNS1_14transform_implILb0ES3_S5_N6thrust23THRUST_200600_302600_NS6detail15normal_iteratorINS8_7pointerIdNS8_11hip_rocprim5par_tENS8_11use_defaultESE_EEEENSA_INSB_IlSD_SE_SE_EEEEZNS1_13binary_searchIS3_S5_NSA_INS8_10device_ptrIdEEEESG_SI_NS1_21lower_bound_search_opENS9_16wrapped_functionINS8_6system6detail7generic6detail18binary_search_lessEbEEEE10hipError_tPvRmT1_T2_T3_mmT4_T5_P12ihipStream_tbEUlRKdE_EESV_SZ_S10_mS11_S14_bEUlT_E_NS1_11comp_targetILNS1_3genE0ELNS1_11target_archE4294967295ELNS1_3gpuE0ELNS1_3repE0EEENS1_30default_config_static_selectorELNS0_4arch9wavefront6targetE1EEEvSY_ ; -- Begin function _ZN7rocprim17ROCPRIM_400000_NS6detail17trampoline_kernelINS0_14default_configENS1_27lower_bound_config_selectorIdlEEZNS1_14transform_implILb0ES3_S5_N6thrust23THRUST_200600_302600_NS6detail15normal_iteratorINS8_7pointerIdNS8_11hip_rocprim5par_tENS8_11use_defaultESE_EEEENSA_INSB_IlSD_SE_SE_EEEEZNS1_13binary_searchIS3_S5_NSA_INS8_10device_ptrIdEEEESG_SI_NS1_21lower_bound_search_opENS9_16wrapped_functionINS8_6system6detail7generic6detail18binary_search_lessEbEEEE10hipError_tPvRmT1_T2_T3_mmT4_T5_P12ihipStream_tbEUlRKdE_EESV_SZ_S10_mS11_S14_bEUlT_E_NS1_11comp_targetILNS1_3genE0ELNS1_11target_archE4294967295ELNS1_3gpuE0ELNS1_3repE0EEENS1_30default_config_static_selectorELNS0_4arch9wavefront6targetE1EEEvSY_
	.globl	_ZN7rocprim17ROCPRIM_400000_NS6detail17trampoline_kernelINS0_14default_configENS1_27lower_bound_config_selectorIdlEEZNS1_14transform_implILb0ES3_S5_N6thrust23THRUST_200600_302600_NS6detail15normal_iteratorINS8_7pointerIdNS8_11hip_rocprim5par_tENS8_11use_defaultESE_EEEENSA_INSB_IlSD_SE_SE_EEEEZNS1_13binary_searchIS3_S5_NSA_INS8_10device_ptrIdEEEESG_SI_NS1_21lower_bound_search_opENS9_16wrapped_functionINS8_6system6detail7generic6detail18binary_search_lessEbEEEE10hipError_tPvRmT1_T2_T3_mmT4_T5_P12ihipStream_tbEUlRKdE_EESV_SZ_S10_mS11_S14_bEUlT_E_NS1_11comp_targetILNS1_3genE0ELNS1_11target_archE4294967295ELNS1_3gpuE0ELNS1_3repE0EEENS1_30default_config_static_selectorELNS0_4arch9wavefront6targetE1EEEvSY_
	.p2align	8
	.type	_ZN7rocprim17ROCPRIM_400000_NS6detail17trampoline_kernelINS0_14default_configENS1_27lower_bound_config_selectorIdlEEZNS1_14transform_implILb0ES3_S5_N6thrust23THRUST_200600_302600_NS6detail15normal_iteratorINS8_7pointerIdNS8_11hip_rocprim5par_tENS8_11use_defaultESE_EEEENSA_INSB_IlSD_SE_SE_EEEEZNS1_13binary_searchIS3_S5_NSA_INS8_10device_ptrIdEEEESG_SI_NS1_21lower_bound_search_opENS9_16wrapped_functionINS8_6system6detail7generic6detail18binary_search_lessEbEEEE10hipError_tPvRmT1_T2_T3_mmT4_T5_P12ihipStream_tbEUlRKdE_EESV_SZ_S10_mS11_S14_bEUlT_E_NS1_11comp_targetILNS1_3genE0ELNS1_11target_archE4294967295ELNS1_3gpuE0ELNS1_3repE0EEENS1_30default_config_static_selectorELNS0_4arch9wavefront6targetE1EEEvSY_,@function
_ZN7rocprim17ROCPRIM_400000_NS6detail17trampoline_kernelINS0_14default_configENS1_27lower_bound_config_selectorIdlEEZNS1_14transform_implILb0ES3_S5_N6thrust23THRUST_200600_302600_NS6detail15normal_iteratorINS8_7pointerIdNS8_11hip_rocprim5par_tENS8_11use_defaultESE_EEEENSA_INSB_IlSD_SE_SE_EEEEZNS1_13binary_searchIS3_S5_NSA_INS8_10device_ptrIdEEEESG_SI_NS1_21lower_bound_search_opENS9_16wrapped_functionINS8_6system6detail7generic6detail18binary_search_lessEbEEEE10hipError_tPvRmT1_T2_T3_mmT4_T5_P12ihipStream_tbEUlRKdE_EESV_SZ_S10_mS11_S14_bEUlT_E_NS1_11comp_targetILNS1_3genE0ELNS1_11target_archE4294967295ELNS1_3gpuE0ELNS1_3repE0EEENS1_30default_config_static_selectorELNS0_4arch9wavefront6targetE1EEEvSY_: ; @_ZN7rocprim17ROCPRIM_400000_NS6detail17trampoline_kernelINS0_14default_configENS1_27lower_bound_config_selectorIdlEEZNS1_14transform_implILb0ES3_S5_N6thrust23THRUST_200600_302600_NS6detail15normal_iteratorINS8_7pointerIdNS8_11hip_rocprim5par_tENS8_11use_defaultESE_EEEENSA_INSB_IlSD_SE_SE_EEEEZNS1_13binary_searchIS3_S5_NSA_INS8_10device_ptrIdEEEESG_SI_NS1_21lower_bound_search_opENS9_16wrapped_functionINS8_6system6detail7generic6detail18binary_search_lessEbEEEE10hipError_tPvRmT1_T2_T3_mmT4_T5_P12ihipStream_tbEUlRKdE_EESV_SZ_S10_mS11_S14_bEUlT_E_NS1_11comp_targetILNS1_3genE0ELNS1_11target_archE4294967295ELNS1_3gpuE0ELNS1_3repE0EEENS1_30default_config_static_selectorELNS0_4arch9wavefront6targetE1EEEvSY_
; %bb.0:
	.section	.rodata,"a",@progbits
	.p2align	6, 0x0
	.amdhsa_kernel _ZN7rocprim17ROCPRIM_400000_NS6detail17trampoline_kernelINS0_14default_configENS1_27lower_bound_config_selectorIdlEEZNS1_14transform_implILb0ES3_S5_N6thrust23THRUST_200600_302600_NS6detail15normal_iteratorINS8_7pointerIdNS8_11hip_rocprim5par_tENS8_11use_defaultESE_EEEENSA_INSB_IlSD_SE_SE_EEEEZNS1_13binary_searchIS3_S5_NSA_INS8_10device_ptrIdEEEESG_SI_NS1_21lower_bound_search_opENS9_16wrapped_functionINS8_6system6detail7generic6detail18binary_search_lessEbEEEE10hipError_tPvRmT1_T2_T3_mmT4_T5_P12ihipStream_tbEUlRKdE_EESV_SZ_S10_mS11_S14_bEUlT_E_NS1_11comp_targetILNS1_3genE0ELNS1_11target_archE4294967295ELNS1_3gpuE0ELNS1_3repE0EEENS1_30default_config_static_selectorELNS0_4arch9wavefront6targetE1EEEvSY_
		.amdhsa_group_segment_fixed_size 0
		.amdhsa_private_segment_fixed_size 0
		.amdhsa_kernarg_size 56
		.amdhsa_user_sgpr_count 6
		.amdhsa_user_sgpr_private_segment_buffer 1
		.amdhsa_user_sgpr_dispatch_ptr 0
		.amdhsa_user_sgpr_queue_ptr 0
		.amdhsa_user_sgpr_kernarg_segment_ptr 1
		.amdhsa_user_sgpr_dispatch_id 0
		.amdhsa_user_sgpr_flat_scratch_init 0
		.amdhsa_user_sgpr_private_segment_size 0
		.amdhsa_uses_dynamic_stack 0
		.amdhsa_system_sgpr_private_segment_wavefront_offset 0
		.amdhsa_system_sgpr_workgroup_id_x 1
		.amdhsa_system_sgpr_workgroup_id_y 0
		.amdhsa_system_sgpr_workgroup_id_z 0
		.amdhsa_system_sgpr_workgroup_info 0
		.amdhsa_system_vgpr_workitem_id 0
		.amdhsa_next_free_vgpr 1
		.amdhsa_next_free_sgpr 0
		.amdhsa_reserve_vcc 0
		.amdhsa_reserve_flat_scratch 0
		.amdhsa_float_round_mode_32 0
		.amdhsa_float_round_mode_16_64 0
		.amdhsa_float_denorm_mode_32 3
		.amdhsa_float_denorm_mode_16_64 3
		.amdhsa_dx10_clamp 1
		.amdhsa_ieee_mode 1
		.amdhsa_fp16_overflow 0
		.amdhsa_exception_fp_ieee_invalid_op 0
		.amdhsa_exception_fp_denorm_src 0
		.amdhsa_exception_fp_ieee_div_zero 0
		.amdhsa_exception_fp_ieee_overflow 0
		.amdhsa_exception_fp_ieee_underflow 0
		.amdhsa_exception_fp_ieee_inexact 0
		.amdhsa_exception_int_div_zero 0
	.end_amdhsa_kernel
	.section	.text._ZN7rocprim17ROCPRIM_400000_NS6detail17trampoline_kernelINS0_14default_configENS1_27lower_bound_config_selectorIdlEEZNS1_14transform_implILb0ES3_S5_N6thrust23THRUST_200600_302600_NS6detail15normal_iteratorINS8_7pointerIdNS8_11hip_rocprim5par_tENS8_11use_defaultESE_EEEENSA_INSB_IlSD_SE_SE_EEEEZNS1_13binary_searchIS3_S5_NSA_INS8_10device_ptrIdEEEESG_SI_NS1_21lower_bound_search_opENS9_16wrapped_functionINS8_6system6detail7generic6detail18binary_search_lessEbEEEE10hipError_tPvRmT1_T2_T3_mmT4_T5_P12ihipStream_tbEUlRKdE_EESV_SZ_S10_mS11_S14_bEUlT_E_NS1_11comp_targetILNS1_3genE0ELNS1_11target_archE4294967295ELNS1_3gpuE0ELNS1_3repE0EEENS1_30default_config_static_selectorELNS0_4arch9wavefront6targetE1EEEvSY_,"axG",@progbits,_ZN7rocprim17ROCPRIM_400000_NS6detail17trampoline_kernelINS0_14default_configENS1_27lower_bound_config_selectorIdlEEZNS1_14transform_implILb0ES3_S5_N6thrust23THRUST_200600_302600_NS6detail15normal_iteratorINS8_7pointerIdNS8_11hip_rocprim5par_tENS8_11use_defaultESE_EEEENSA_INSB_IlSD_SE_SE_EEEEZNS1_13binary_searchIS3_S5_NSA_INS8_10device_ptrIdEEEESG_SI_NS1_21lower_bound_search_opENS9_16wrapped_functionINS8_6system6detail7generic6detail18binary_search_lessEbEEEE10hipError_tPvRmT1_T2_T3_mmT4_T5_P12ihipStream_tbEUlRKdE_EESV_SZ_S10_mS11_S14_bEUlT_E_NS1_11comp_targetILNS1_3genE0ELNS1_11target_archE4294967295ELNS1_3gpuE0ELNS1_3repE0EEENS1_30default_config_static_selectorELNS0_4arch9wavefront6targetE1EEEvSY_,comdat
.Lfunc_end322:
	.size	_ZN7rocprim17ROCPRIM_400000_NS6detail17trampoline_kernelINS0_14default_configENS1_27lower_bound_config_selectorIdlEEZNS1_14transform_implILb0ES3_S5_N6thrust23THRUST_200600_302600_NS6detail15normal_iteratorINS8_7pointerIdNS8_11hip_rocprim5par_tENS8_11use_defaultESE_EEEENSA_INSB_IlSD_SE_SE_EEEEZNS1_13binary_searchIS3_S5_NSA_INS8_10device_ptrIdEEEESG_SI_NS1_21lower_bound_search_opENS9_16wrapped_functionINS8_6system6detail7generic6detail18binary_search_lessEbEEEE10hipError_tPvRmT1_T2_T3_mmT4_T5_P12ihipStream_tbEUlRKdE_EESV_SZ_S10_mS11_S14_bEUlT_E_NS1_11comp_targetILNS1_3genE0ELNS1_11target_archE4294967295ELNS1_3gpuE0ELNS1_3repE0EEENS1_30default_config_static_selectorELNS0_4arch9wavefront6targetE1EEEvSY_, .Lfunc_end322-_ZN7rocprim17ROCPRIM_400000_NS6detail17trampoline_kernelINS0_14default_configENS1_27lower_bound_config_selectorIdlEEZNS1_14transform_implILb0ES3_S5_N6thrust23THRUST_200600_302600_NS6detail15normal_iteratorINS8_7pointerIdNS8_11hip_rocprim5par_tENS8_11use_defaultESE_EEEENSA_INSB_IlSD_SE_SE_EEEEZNS1_13binary_searchIS3_S5_NSA_INS8_10device_ptrIdEEEESG_SI_NS1_21lower_bound_search_opENS9_16wrapped_functionINS8_6system6detail7generic6detail18binary_search_lessEbEEEE10hipError_tPvRmT1_T2_T3_mmT4_T5_P12ihipStream_tbEUlRKdE_EESV_SZ_S10_mS11_S14_bEUlT_E_NS1_11comp_targetILNS1_3genE0ELNS1_11target_archE4294967295ELNS1_3gpuE0ELNS1_3repE0EEENS1_30default_config_static_selectorELNS0_4arch9wavefront6targetE1EEEvSY_
                                        ; -- End function
	.set _ZN7rocprim17ROCPRIM_400000_NS6detail17trampoline_kernelINS0_14default_configENS1_27lower_bound_config_selectorIdlEEZNS1_14transform_implILb0ES3_S5_N6thrust23THRUST_200600_302600_NS6detail15normal_iteratorINS8_7pointerIdNS8_11hip_rocprim5par_tENS8_11use_defaultESE_EEEENSA_INSB_IlSD_SE_SE_EEEEZNS1_13binary_searchIS3_S5_NSA_INS8_10device_ptrIdEEEESG_SI_NS1_21lower_bound_search_opENS9_16wrapped_functionINS8_6system6detail7generic6detail18binary_search_lessEbEEEE10hipError_tPvRmT1_T2_T3_mmT4_T5_P12ihipStream_tbEUlRKdE_EESV_SZ_S10_mS11_S14_bEUlT_E_NS1_11comp_targetILNS1_3genE0ELNS1_11target_archE4294967295ELNS1_3gpuE0ELNS1_3repE0EEENS1_30default_config_static_selectorELNS0_4arch9wavefront6targetE1EEEvSY_.num_vgpr, 0
	.set _ZN7rocprim17ROCPRIM_400000_NS6detail17trampoline_kernelINS0_14default_configENS1_27lower_bound_config_selectorIdlEEZNS1_14transform_implILb0ES3_S5_N6thrust23THRUST_200600_302600_NS6detail15normal_iteratorINS8_7pointerIdNS8_11hip_rocprim5par_tENS8_11use_defaultESE_EEEENSA_INSB_IlSD_SE_SE_EEEEZNS1_13binary_searchIS3_S5_NSA_INS8_10device_ptrIdEEEESG_SI_NS1_21lower_bound_search_opENS9_16wrapped_functionINS8_6system6detail7generic6detail18binary_search_lessEbEEEE10hipError_tPvRmT1_T2_T3_mmT4_T5_P12ihipStream_tbEUlRKdE_EESV_SZ_S10_mS11_S14_bEUlT_E_NS1_11comp_targetILNS1_3genE0ELNS1_11target_archE4294967295ELNS1_3gpuE0ELNS1_3repE0EEENS1_30default_config_static_selectorELNS0_4arch9wavefront6targetE1EEEvSY_.num_agpr, 0
	.set _ZN7rocprim17ROCPRIM_400000_NS6detail17trampoline_kernelINS0_14default_configENS1_27lower_bound_config_selectorIdlEEZNS1_14transform_implILb0ES3_S5_N6thrust23THRUST_200600_302600_NS6detail15normal_iteratorINS8_7pointerIdNS8_11hip_rocprim5par_tENS8_11use_defaultESE_EEEENSA_INSB_IlSD_SE_SE_EEEEZNS1_13binary_searchIS3_S5_NSA_INS8_10device_ptrIdEEEESG_SI_NS1_21lower_bound_search_opENS9_16wrapped_functionINS8_6system6detail7generic6detail18binary_search_lessEbEEEE10hipError_tPvRmT1_T2_T3_mmT4_T5_P12ihipStream_tbEUlRKdE_EESV_SZ_S10_mS11_S14_bEUlT_E_NS1_11comp_targetILNS1_3genE0ELNS1_11target_archE4294967295ELNS1_3gpuE0ELNS1_3repE0EEENS1_30default_config_static_selectorELNS0_4arch9wavefront6targetE1EEEvSY_.numbered_sgpr, 0
	.set _ZN7rocprim17ROCPRIM_400000_NS6detail17trampoline_kernelINS0_14default_configENS1_27lower_bound_config_selectorIdlEEZNS1_14transform_implILb0ES3_S5_N6thrust23THRUST_200600_302600_NS6detail15normal_iteratorINS8_7pointerIdNS8_11hip_rocprim5par_tENS8_11use_defaultESE_EEEENSA_INSB_IlSD_SE_SE_EEEEZNS1_13binary_searchIS3_S5_NSA_INS8_10device_ptrIdEEEESG_SI_NS1_21lower_bound_search_opENS9_16wrapped_functionINS8_6system6detail7generic6detail18binary_search_lessEbEEEE10hipError_tPvRmT1_T2_T3_mmT4_T5_P12ihipStream_tbEUlRKdE_EESV_SZ_S10_mS11_S14_bEUlT_E_NS1_11comp_targetILNS1_3genE0ELNS1_11target_archE4294967295ELNS1_3gpuE0ELNS1_3repE0EEENS1_30default_config_static_selectorELNS0_4arch9wavefront6targetE1EEEvSY_.num_named_barrier, 0
	.set _ZN7rocprim17ROCPRIM_400000_NS6detail17trampoline_kernelINS0_14default_configENS1_27lower_bound_config_selectorIdlEEZNS1_14transform_implILb0ES3_S5_N6thrust23THRUST_200600_302600_NS6detail15normal_iteratorINS8_7pointerIdNS8_11hip_rocprim5par_tENS8_11use_defaultESE_EEEENSA_INSB_IlSD_SE_SE_EEEEZNS1_13binary_searchIS3_S5_NSA_INS8_10device_ptrIdEEEESG_SI_NS1_21lower_bound_search_opENS9_16wrapped_functionINS8_6system6detail7generic6detail18binary_search_lessEbEEEE10hipError_tPvRmT1_T2_T3_mmT4_T5_P12ihipStream_tbEUlRKdE_EESV_SZ_S10_mS11_S14_bEUlT_E_NS1_11comp_targetILNS1_3genE0ELNS1_11target_archE4294967295ELNS1_3gpuE0ELNS1_3repE0EEENS1_30default_config_static_selectorELNS0_4arch9wavefront6targetE1EEEvSY_.private_seg_size, 0
	.set _ZN7rocprim17ROCPRIM_400000_NS6detail17trampoline_kernelINS0_14default_configENS1_27lower_bound_config_selectorIdlEEZNS1_14transform_implILb0ES3_S5_N6thrust23THRUST_200600_302600_NS6detail15normal_iteratorINS8_7pointerIdNS8_11hip_rocprim5par_tENS8_11use_defaultESE_EEEENSA_INSB_IlSD_SE_SE_EEEEZNS1_13binary_searchIS3_S5_NSA_INS8_10device_ptrIdEEEESG_SI_NS1_21lower_bound_search_opENS9_16wrapped_functionINS8_6system6detail7generic6detail18binary_search_lessEbEEEE10hipError_tPvRmT1_T2_T3_mmT4_T5_P12ihipStream_tbEUlRKdE_EESV_SZ_S10_mS11_S14_bEUlT_E_NS1_11comp_targetILNS1_3genE0ELNS1_11target_archE4294967295ELNS1_3gpuE0ELNS1_3repE0EEENS1_30default_config_static_selectorELNS0_4arch9wavefront6targetE1EEEvSY_.uses_vcc, 0
	.set _ZN7rocprim17ROCPRIM_400000_NS6detail17trampoline_kernelINS0_14default_configENS1_27lower_bound_config_selectorIdlEEZNS1_14transform_implILb0ES3_S5_N6thrust23THRUST_200600_302600_NS6detail15normal_iteratorINS8_7pointerIdNS8_11hip_rocprim5par_tENS8_11use_defaultESE_EEEENSA_INSB_IlSD_SE_SE_EEEEZNS1_13binary_searchIS3_S5_NSA_INS8_10device_ptrIdEEEESG_SI_NS1_21lower_bound_search_opENS9_16wrapped_functionINS8_6system6detail7generic6detail18binary_search_lessEbEEEE10hipError_tPvRmT1_T2_T3_mmT4_T5_P12ihipStream_tbEUlRKdE_EESV_SZ_S10_mS11_S14_bEUlT_E_NS1_11comp_targetILNS1_3genE0ELNS1_11target_archE4294967295ELNS1_3gpuE0ELNS1_3repE0EEENS1_30default_config_static_selectorELNS0_4arch9wavefront6targetE1EEEvSY_.uses_flat_scratch, 0
	.set _ZN7rocprim17ROCPRIM_400000_NS6detail17trampoline_kernelINS0_14default_configENS1_27lower_bound_config_selectorIdlEEZNS1_14transform_implILb0ES3_S5_N6thrust23THRUST_200600_302600_NS6detail15normal_iteratorINS8_7pointerIdNS8_11hip_rocprim5par_tENS8_11use_defaultESE_EEEENSA_INSB_IlSD_SE_SE_EEEEZNS1_13binary_searchIS3_S5_NSA_INS8_10device_ptrIdEEEESG_SI_NS1_21lower_bound_search_opENS9_16wrapped_functionINS8_6system6detail7generic6detail18binary_search_lessEbEEEE10hipError_tPvRmT1_T2_T3_mmT4_T5_P12ihipStream_tbEUlRKdE_EESV_SZ_S10_mS11_S14_bEUlT_E_NS1_11comp_targetILNS1_3genE0ELNS1_11target_archE4294967295ELNS1_3gpuE0ELNS1_3repE0EEENS1_30default_config_static_selectorELNS0_4arch9wavefront6targetE1EEEvSY_.has_dyn_sized_stack, 0
	.set _ZN7rocprim17ROCPRIM_400000_NS6detail17trampoline_kernelINS0_14default_configENS1_27lower_bound_config_selectorIdlEEZNS1_14transform_implILb0ES3_S5_N6thrust23THRUST_200600_302600_NS6detail15normal_iteratorINS8_7pointerIdNS8_11hip_rocprim5par_tENS8_11use_defaultESE_EEEENSA_INSB_IlSD_SE_SE_EEEEZNS1_13binary_searchIS3_S5_NSA_INS8_10device_ptrIdEEEESG_SI_NS1_21lower_bound_search_opENS9_16wrapped_functionINS8_6system6detail7generic6detail18binary_search_lessEbEEEE10hipError_tPvRmT1_T2_T3_mmT4_T5_P12ihipStream_tbEUlRKdE_EESV_SZ_S10_mS11_S14_bEUlT_E_NS1_11comp_targetILNS1_3genE0ELNS1_11target_archE4294967295ELNS1_3gpuE0ELNS1_3repE0EEENS1_30default_config_static_selectorELNS0_4arch9wavefront6targetE1EEEvSY_.has_recursion, 0
	.set _ZN7rocprim17ROCPRIM_400000_NS6detail17trampoline_kernelINS0_14default_configENS1_27lower_bound_config_selectorIdlEEZNS1_14transform_implILb0ES3_S5_N6thrust23THRUST_200600_302600_NS6detail15normal_iteratorINS8_7pointerIdNS8_11hip_rocprim5par_tENS8_11use_defaultESE_EEEENSA_INSB_IlSD_SE_SE_EEEEZNS1_13binary_searchIS3_S5_NSA_INS8_10device_ptrIdEEEESG_SI_NS1_21lower_bound_search_opENS9_16wrapped_functionINS8_6system6detail7generic6detail18binary_search_lessEbEEEE10hipError_tPvRmT1_T2_T3_mmT4_T5_P12ihipStream_tbEUlRKdE_EESV_SZ_S10_mS11_S14_bEUlT_E_NS1_11comp_targetILNS1_3genE0ELNS1_11target_archE4294967295ELNS1_3gpuE0ELNS1_3repE0EEENS1_30default_config_static_selectorELNS0_4arch9wavefront6targetE1EEEvSY_.has_indirect_call, 0
	.section	.AMDGPU.csdata,"",@progbits
; Kernel info:
; codeLenInByte = 0
; TotalNumSgprs: 4
; NumVgprs: 0
; ScratchSize: 0
; MemoryBound: 0
; FloatMode: 240
; IeeeMode: 1
; LDSByteSize: 0 bytes/workgroup (compile time only)
; SGPRBlocks: 0
; VGPRBlocks: 0
; NumSGPRsForWavesPerEU: 4
; NumVGPRsForWavesPerEU: 1
; Occupancy: 10
; WaveLimiterHint : 0
; COMPUTE_PGM_RSRC2:SCRATCH_EN: 0
; COMPUTE_PGM_RSRC2:USER_SGPR: 6
; COMPUTE_PGM_RSRC2:TRAP_HANDLER: 0
; COMPUTE_PGM_RSRC2:TGID_X_EN: 1
; COMPUTE_PGM_RSRC2:TGID_Y_EN: 0
; COMPUTE_PGM_RSRC2:TGID_Z_EN: 0
; COMPUTE_PGM_RSRC2:TIDIG_COMP_CNT: 0
	.section	.text._ZN7rocprim17ROCPRIM_400000_NS6detail17trampoline_kernelINS0_14default_configENS1_27lower_bound_config_selectorIdlEEZNS1_14transform_implILb0ES3_S5_N6thrust23THRUST_200600_302600_NS6detail15normal_iteratorINS8_7pointerIdNS8_11hip_rocprim5par_tENS8_11use_defaultESE_EEEENSA_INSB_IlSD_SE_SE_EEEEZNS1_13binary_searchIS3_S5_NSA_INS8_10device_ptrIdEEEESG_SI_NS1_21lower_bound_search_opENS9_16wrapped_functionINS8_6system6detail7generic6detail18binary_search_lessEbEEEE10hipError_tPvRmT1_T2_T3_mmT4_T5_P12ihipStream_tbEUlRKdE_EESV_SZ_S10_mS11_S14_bEUlT_E_NS1_11comp_targetILNS1_3genE5ELNS1_11target_archE942ELNS1_3gpuE9ELNS1_3repE0EEENS1_30default_config_static_selectorELNS0_4arch9wavefront6targetE1EEEvSY_,"axG",@progbits,_ZN7rocprim17ROCPRIM_400000_NS6detail17trampoline_kernelINS0_14default_configENS1_27lower_bound_config_selectorIdlEEZNS1_14transform_implILb0ES3_S5_N6thrust23THRUST_200600_302600_NS6detail15normal_iteratorINS8_7pointerIdNS8_11hip_rocprim5par_tENS8_11use_defaultESE_EEEENSA_INSB_IlSD_SE_SE_EEEEZNS1_13binary_searchIS3_S5_NSA_INS8_10device_ptrIdEEEESG_SI_NS1_21lower_bound_search_opENS9_16wrapped_functionINS8_6system6detail7generic6detail18binary_search_lessEbEEEE10hipError_tPvRmT1_T2_T3_mmT4_T5_P12ihipStream_tbEUlRKdE_EESV_SZ_S10_mS11_S14_bEUlT_E_NS1_11comp_targetILNS1_3genE5ELNS1_11target_archE942ELNS1_3gpuE9ELNS1_3repE0EEENS1_30default_config_static_selectorELNS0_4arch9wavefront6targetE1EEEvSY_,comdat
	.protected	_ZN7rocprim17ROCPRIM_400000_NS6detail17trampoline_kernelINS0_14default_configENS1_27lower_bound_config_selectorIdlEEZNS1_14transform_implILb0ES3_S5_N6thrust23THRUST_200600_302600_NS6detail15normal_iteratorINS8_7pointerIdNS8_11hip_rocprim5par_tENS8_11use_defaultESE_EEEENSA_INSB_IlSD_SE_SE_EEEEZNS1_13binary_searchIS3_S5_NSA_INS8_10device_ptrIdEEEESG_SI_NS1_21lower_bound_search_opENS9_16wrapped_functionINS8_6system6detail7generic6detail18binary_search_lessEbEEEE10hipError_tPvRmT1_T2_T3_mmT4_T5_P12ihipStream_tbEUlRKdE_EESV_SZ_S10_mS11_S14_bEUlT_E_NS1_11comp_targetILNS1_3genE5ELNS1_11target_archE942ELNS1_3gpuE9ELNS1_3repE0EEENS1_30default_config_static_selectorELNS0_4arch9wavefront6targetE1EEEvSY_ ; -- Begin function _ZN7rocprim17ROCPRIM_400000_NS6detail17trampoline_kernelINS0_14default_configENS1_27lower_bound_config_selectorIdlEEZNS1_14transform_implILb0ES3_S5_N6thrust23THRUST_200600_302600_NS6detail15normal_iteratorINS8_7pointerIdNS8_11hip_rocprim5par_tENS8_11use_defaultESE_EEEENSA_INSB_IlSD_SE_SE_EEEEZNS1_13binary_searchIS3_S5_NSA_INS8_10device_ptrIdEEEESG_SI_NS1_21lower_bound_search_opENS9_16wrapped_functionINS8_6system6detail7generic6detail18binary_search_lessEbEEEE10hipError_tPvRmT1_T2_T3_mmT4_T5_P12ihipStream_tbEUlRKdE_EESV_SZ_S10_mS11_S14_bEUlT_E_NS1_11comp_targetILNS1_3genE5ELNS1_11target_archE942ELNS1_3gpuE9ELNS1_3repE0EEENS1_30default_config_static_selectorELNS0_4arch9wavefront6targetE1EEEvSY_
	.globl	_ZN7rocprim17ROCPRIM_400000_NS6detail17trampoline_kernelINS0_14default_configENS1_27lower_bound_config_selectorIdlEEZNS1_14transform_implILb0ES3_S5_N6thrust23THRUST_200600_302600_NS6detail15normal_iteratorINS8_7pointerIdNS8_11hip_rocprim5par_tENS8_11use_defaultESE_EEEENSA_INSB_IlSD_SE_SE_EEEEZNS1_13binary_searchIS3_S5_NSA_INS8_10device_ptrIdEEEESG_SI_NS1_21lower_bound_search_opENS9_16wrapped_functionINS8_6system6detail7generic6detail18binary_search_lessEbEEEE10hipError_tPvRmT1_T2_T3_mmT4_T5_P12ihipStream_tbEUlRKdE_EESV_SZ_S10_mS11_S14_bEUlT_E_NS1_11comp_targetILNS1_3genE5ELNS1_11target_archE942ELNS1_3gpuE9ELNS1_3repE0EEENS1_30default_config_static_selectorELNS0_4arch9wavefront6targetE1EEEvSY_
	.p2align	8
	.type	_ZN7rocprim17ROCPRIM_400000_NS6detail17trampoline_kernelINS0_14default_configENS1_27lower_bound_config_selectorIdlEEZNS1_14transform_implILb0ES3_S5_N6thrust23THRUST_200600_302600_NS6detail15normal_iteratorINS8_7pointerIdNS8_11hip_rocprim5par_tENS8_11use_defaultESE_EEEENSA_INSB_IlSD_SE_SE_EEEEZNS1_13binary_searchIS3_S5_NSA_INS8_10device_ptrIdEEEESG_SI_NS1_21lower_bound_search_opENS9_16wrapped_functionINS8_6system6detail7generic6detail18binary_search_lessEbEEEE10hipError_tPvRmT1_T2_T3_mmT4_T5_P12ihipStream_tbEUlRKdE_EESV_SZ_S10_mS11_S14_bEUlT_E_NS1_11comp_targetILNS1_3genE5ELNS1_11target_archE942ELNS1_3gpuE9ELNS1_3repE0EEENS1_30default_config_static_selectorELNS0_4arch9wavefront6targetE1EEEvSY_,@function
_ZN7rocprim17ROCPRIM_400000_NS6detail17trampoline_kernelINS0_14default_configENS1_27lower_bound_config_selectorIdlEEZNS1_14transform_implILb0ES3_S5_N6thrust23THRUST_200600_302600_NS6detail15normal_iteratorINS8_7pointerIdNS8_11hip_rocprim5par_tENS8_11use_defaultESE_EEEENSA_INSB_IlSD_SE_SE_EEEEZNS1_13binary_searchIS3_S5_NSA_INS8_10device_ptrIdEEEESG_SI_NS1_21lower_bound_search_opENS9_16wrapped_functionINS8_6system6detail7generic6detail18binary_search_lessEbEEEE10hipError_tPvRmT1_T2_T3_mmT4_T5_P12ihipStream_tbEUlRKdE_EESV_SZ_S10_mS11_S14_bEUlT_E_NS1_11comp_targetILNS1_3genE5ELNS1_11target_archE942ELNS1_3gpuE9ELNS1_3repE0EEENS1_30default_config_static_selectorELNS0_4arch9wavefront6targetE1EEEvSY_: ; @_ZN7rocprim17ROCPRIM_400000_NS6detail17trampoline_kernelINS0_14default_configENS1_27lower_bound_config_selectorIdlEEZNS1_14transform_implILb0ES3_S5_N6thrust23THRUST_200600_302600_NS6detail15normal_iteratorINS8_7pointerIdNS8_11hip_rocprim5par_tENS8_11use_defaultESE_EEEENSA_INSB_IlSD_SE_SE_EEEEZNS1_13binary_searchIS3_S5_NSA_INS8_10device_ptrIdEEEESG_SI_NS1_21lower_bound_search_opENS9_16wrapped_functionINS8_6system6detail7generic6detail18binary_search_lessEbEEEE10hipError_tPvRmT1_T2_T3_mmT4_T5_P12ihipStream_tbEUlRKdE_EESV_SZ_S10_mS11_S14_bEUlT_E_NS1_11comp_targetILNS1_3genE5ELNS1_11target_archE942ELNS1_3gpuE9ELNS1_3repE0EEENS1_30default_config_static_selectorELNS0_4arch9wavefront6targetE1EEEvSY_
; %bb.0:
	.section	.rodata,"a",@progbits
	.p2align	6, 0x0
	.amdhsa_kernel _ZN7rocprim17ROCPRIM_400000_NS6detail17trampoline_kernelINS0_14default_configENS1_27lower_bound_config_selectorIdlEEZNS1_14transform_implILb0ES3_S5_N6thrust23THRUST_200600_302600_NS6detail15normal_iteratorINS8_7pointerIdNS8_11hip_rocprim5par_tENS8_11use_defaultESE_EEEENSA_INSB_IlSD_SE_SE_EEEEZNS1_13binary_searchIS3_S5_NSA_INS8_10device_ptrIdEEEESG_SI_NS1_21lower_bound_search_opENS9_16wrapped_functionINS8_6system6detail7generic6detail18binary_search_lessEbEEEE10hipError_tPvRmT1_T2_T3_mmT4_T5_P12ihipStream_tbEUlRKdE_EESV_SZ_S10_mS11_S14_bEUlT_E_NS1_11comp_targetILNS1_3genE5ELNS1_11target_archE942ELNS1_3gpuE9ELNS1_3repE0EEENS1_30default_config_static_selectorELNS0_4arch9wavefront6targetE1EEEvSY_
		.amdhsa_group_segment_fixed_size 0
		.amdhsa_private_segment_fixed_size 0
		.amdhsa_kernarg_size 56
		.amdhsa_user_sgpr_count 6
		.amdhsa_user_sgpr_private_segment_buffer 1
		.amdhsa_user_sgpr_dispatch_ptr 0
		.amdhsa_user_sgpr_queue_ptr 0
		.amdhsa_user_sgpr_kernarg_segment_ptr 1
		.amdhsa_user_sgpr_dispatch_id 0
		.amdhsa_user_sgpr_flat_scratch_init 0
		.amdhsa_user_sgpr_private_segment_size 0
		.amdhsa_uses_dynamic_stack 0
		.amdhsa_system_sgpr_private_segment_wavefront_offset 0
		.amdhsa_system_sgpr_workgroup_id_x 1
		.amdhsa_system_sgpr_workgroup_id_y 0
		.amdhsa_system_sgpr_workgroup_id_z 0
		.amdhsa_system_sgpr_workgroup_info 0
		.amdhsa_system_vgpr_workitem_id 0
		.amdhsa_next_free_vgpr 1
		.amdhsa_next_free_sgpr 0
		.amdhsa_reserve_vcc 0
		.amdhsa_reserve_flat_scratch 0
		.amdhsa_float_round_mode_32 0
		.amdhsa_float_round_mode_16_64 0
		.amdhsa_float_denorm_mode_32 3
		.amdhsa_float_denorm_mode_16_64 3
		.amdhsa_dx10_clamp 1
		.amdhsa_ieee_mode 1
		.amdhsa_fp16_overflow 0
		.amdhsa_exception_fp_ieee_invalid_op 0
		.amdhsa_exception_fp_denorm_src 0
		.amdhsa_exception_fp_ieee_div_zero 0
		.amdhsa_exception_fp_ieee_overflow 0
		.amdhsa_exception_fp_ieee_underflow 0
		.amdhsa_exception_fp_ieee_inexact 0
		.amdhsa_exception_int_div_zero 0
	.end_amdhsa_kernel
	.section	.text._ZN7rocprim17ROCPRIM_400000_NS6detail17trampoline_kernelINS0_14default_configENS1_27lower_bound_config_selectorIdlEEZNS1_14transform_implILb0ES3_S5_N6thrust23THRUST_200600_302600_NS6detail15normal_iteratorINS8_7pointerIdNS8_11hip_rocprim5par_tENS8_11use_defaultESE_EEEENSA_INSB_IlSD_SE_SE_EEEEZNS1_13binary_searchIS3_S5_NSA_INS8_10device_ptrIdEEEESG_SI_NS1_21lower_bound_search_opENS9_16wrapped_functionINS8_6system6detail7generic6detail18binary_search_lessEbEEEE10hipError_tPvRmT1_T2_T3_mmT4_T5_P12ihipStream_tbEUlRKdE_EESV_SZ_S10_mS11_S14_bEUlT_E_NS1_11comp_targetILNS1_3genE5ELNS1_11target_archE942ELNS1_3gpuE9ELNS1_3repE0EEENS1_30default_config_static_selectorELNS0_4arch9wavefront6targetE1EEEvSY_,"axG",@progbits,_ZN7rocprim17ROCPRIM_400000_NS6detail17trampoline_kernelINS0_14default_configENS1_27lower_bound_config_selectorIdlEEZNS1_14transform_implILb0ES3_S5_N6thrust23THRUST_200600_302600_NS6detail15normal_iteratorINS8_7pointerIdNS8_11hip_rocprim5par_tENS8_11use_defaultESE_EEEENSA_INSB_IlSD_SE_SE_EEEEZNS1_13binary_searchIS3_S5_NSA_INS8_10device_ptrIdEEEESG_SI_NS1_21lower_bound_search_opENS9_16wrapped_functionINS8_6system6detail7generic6detail18binary_search_lessEbEEEE10hipError_tPvRmT1_T2_T3_mmT4_T5_P12ihipStream_tbEUlRKdE_EESV_SZ_S10_mS11_S14_bEUlT_E_NS1_11comp_targetILNS1_3genE5ELNS1_11target_archE942ELNS1_3gpuE9ELNS1_3repE0EEENS1_30default_config_static_selectorELNS0_4arch9wavefront6targetE1EEEvSY_,comdat
.Lfunc_end323:
	.size	_ZN7rocprim17ROCPRIM_400000_NS6detail17trampoline_kernelINS0_14default_configENS1_27lower_bound_config_selectorIdlEEZNS1_14transform_implILb0ES3_S5_N6thrust23THRUST_200600_302600_NS6detail15normal_iteratorINS8_7pointerIdNS8_11hip_rocprim5par_tENS8_11use_defaultESE_EEEENSA_INSB_IlSD_SE_SE_EEEEZNS1_13binary_searchIS3_S5_NSA_INS8_10device_ptrIdEEEESG_SI_NS1_21lower_bound_search_opENS9_16wrapped_functionINS8_6system6detail7generic6detail18binary_search_lessEbEEEE10hipError_tPvRmT1_T2_T3_mmT4_T5_P12ihipStream_tbEUlRKdE_EESV_SZ_S10_mS11_S14_bEUlT_E_NS1_11comp_targetILNS1_3genE5ELNS1_11target_archE942ELNS1_3gpuE9ELNS1_3repE0EEENS1_30default_config_static_selectorELNS0_4arch9wavefront6targetE1EEEvSY_, .Lfunc_end323-_ZN7rocprim17ROCPRIM_400000_NS6detail17trampoline_kernelINS0_14default_configENS1_27lower_bound_config_selectorIdlEEZNS1_14transform_implILb0ES3_S5_N6thrust23THRUST_200600_302600_NS6detail15normal_iteratorINS8_7pointerIdNS8_11hip_rocprim5par_tENS8_11use_defaultESE_EEEENSA_INSB_IlSD_SE_SE_EEEEZNS1_13binary_searchIS3_S5_NSA_INS8_10device_ptrIdEEEESG_SI_NS1_21lower_bound_search_opENS9_16wrapped_functionINS8_6system6detail7generic6detail18binary_search_lessEbEEEE10hipError_tPvRmT1_T2_T3_mmT4_T5_P12ihipStream_tbEUlRKdE_EESV_SZ_S10_mS11_S14_bEUlT_E_NS1_11comp_targetILNS1_3genE5ELNS1_11target_archE942ELNS1_3gpuE9ELNS1_3repE0EEENS1_30default_config_static_selectorELNS0_4arch9wavefront6targetE1EEEvSY_
                                        ; -- End function
	.set _ZN7rocprim17ROCPRIM_400000_NS6detail17trampoline_kernelINS0_14default_configENS1_27lower_bound_config_selectorIdlEEZNS1_14transform_implILb0ES3_S5_N6thrust23THRUST_200600_302600_NS6detail15normal_iteratorINS8_7pointerIdNS8_11hip_rocprim5par_tENS8_11use_defaultESE_EEEENSA_INSB_IlSD_SE_SE_EEEEZNS1_13binary_searchIS3_S5_NSA_INS8_10device_ptrIdEEEESG_SI_NS1_21lower_bound_search_opENS9_16wrapped_functionINS8_6system6detail7generic6detail18binary_search_lessEbEEEE10hipError_tPvRmT1_T2_T3_mmT4_T5_P12ihipStream_tbEUlRKdE_EESV_SZ_S10_mS11_S14_bEUlT_E_NS1_11comp_targetILNS1_3genE5ELNS1_11target_archE942ELNS1_3gpuE9ELNS1_3repE0EEENS1_30default_config_static_selectorELNS0_4arch9wavefront6targetE1EEEvSY_.num_vgpr, 0
	.set _ZN7rocprim17ROCPRIM_400000_NS6detail17trampoline_kernelINS0_14default_configENS1_27lower_bound_config_selectorIdlEEZNS1_14transform_implILb0ES3_S5_N6thrust23THRUST_200600_302600_NS6detail15normal_iteratorINS8_7pointerIdNS8_11hip_rocprim5par_tENS8_11use_defaultESE_EEEENSA_INSB_IlSD_SE_SE_EEEEZNS1_13binary_searchIS3_S5_NSA_INS8_10device_ptrIdEEEESG_SI_NS1_21lower_bound_search_opENS9_16wrapped_functionINS8_6system6detail7generic6detail18binary_search_lessEbEEEE10hipError_tPvRmT1_T2_T3_mmT4_T5_P12ihipStream_tbEUlRKdE_EESV_SZ_S10_mS11_S14_bEUlT_E_NS1_11comp_targetILNS1_3genE5ELNS1_11target_archE942ELNS1_3gpuE9ELNS1_3repE0EEENS1_30default_config_static_selectorELNS0_4arch9wavefront6targetE1EEEvSY_.num_agpr, 0
	.set _ZN7rocprim17ROCPRIM_400000_NS6detail17trampoline_kernelINS0_14default_configENS1_27lower_bound_config_selectorIdlEEZNS1_14transform_implILb0ES3_S5_N6thrust23THRUST_200600_302600_NS6detail15normal_iteratorINS8_7pointerIdNS8_11hip_rocprim5par_tENS8_11use_defaultESE_EEEENSA_INSB_IlSD_SE_SE_EEEEZNS1_13binary_searchIS3_S5_NSA_INS8_10device_ptrIdEEEESG_SI_NS1_21lower_bound_search_opENS9_16wrapped_functionINS8_6system6detail7generic6detail18binary_search_lessEbEEEE10hipError_tPvRmT1_T2_T3_mmT4_T5_P12ihipStream_tbEUlRKdE_EESV_SZ_S10_mS11_S14_bEUlT_E_NS1_11comp_targetILNS1_3genE5ELNS1_11target_archE942ELNS1_3gpuE9ELNS1_3repE0EEENS1_30default_config_static_selectorELNS0_4arch9wavefront6targetE1EEEvSY_.numbered_sgpr, 0
	.set _ZN7rocprim17ROCPRIM_400000_NS6detail17trampoline_kernelINS0_14default_configENS1_27lower_bound_config_selectorIdlEEZNS1_14transform_implILb0ES3_S5_N6thrust23THRUST_200600_302600_NS6detail15normal_iteratorINS8_7pointerIdNS8_11hip_rocprim5par_tENS8_11use_defaultESE_EEEENSA_INSB_IlSD_SE_SE_EEEEZNS1_13binary_searchIS3_S5_NSA_INS8_10device_ptrIdEEEESG_SI_NS1_21lower_bound_search_opENS9_16wrapped_functionINS8_6system6detail7generic6detail18binary_search_lessEbEEEE10hipError_tPvRmT1_T2_T3_mmT4_T5_P12ihipStream_tbEUlRKdE_EESV_SZ_S10_mS11_S14_bEUlT_E_NS1_11comp_targetILNS1_3genE5ELNS1_11target_archE942ELNS1_3gpuE9ELNS1_3repE0EEENS1_30default_config_static_selectorELNS0_4arch9wavefront6targetE1EEEvSY_.num_named_barrier, 0
	.set _ZN7rocprim17ROCPRIM_400000_NS6detail17trampoline_kernelINS0_14default_configENS1_27lower_bound_config_selectorIdlEEZNS1_14transform_implILb0ES3_S5_N6thrust23THRUST_200600_302600_NS6detail15normal_iteratorINS8_7pointerIdNS8_11hip_rocprim5par_tENS8_11use_defaultESE_EEEENSA_INSB_IlSD_SE_SE_EEEEZNS1_13binary_searchIS3_S5_NSA_INS8_10device_ptrIdEEEESG_SI_NS1_21lower_bound_search_opENS9_16wrapped_functionINS8_6system6detail7generic6detail18binary_search_lessEbEEEE10hipError_tPvRmT1_T2_T3_mmT4_T5_P12ihipStream_tbEUlRKdE_EESV_SZ_S10_mS11_S14_bEUlT_E_NS1_11comp_targetILNS1_3genE5ELNS1_11target_archE942ELNS1_3gpuE9ELNS1_3repE0EEENS1_30default_config_static_selectorELNS0_4arch9wavefront6targetE1EEEvSY_.private_seg_size, 0
	.set _ZN7rocprim17ROCPRIM_400000_NS6detail17trampoline_kernelINS0_14default_configENS1_27lower_bound_config_selectorIdlEEZNS1_14transform_implILb0ES3_S5_N6thrust23THRUST_200600_302600_NS6detail15normal_iteratorINS8_7pointerIdNS8_11hip_rocprim5par_tENS8_11use_defaultESE_EEEENSA_INSB_IlSD_SE_SE_EEEEZNS1_13binary_searchIS3_S5_NSA_INS8_10device_ptrIdEEEESG_SI_NS1_21lower_bound_search_opENS9_16wrapped_functionINS8_6system6detail7generic6detail18binary_search_lessEbEEEE10hipError_tPvRmT1_T2_T3_mmT4_T5_P12ihipStream_tbEUlRKdE_EESV_SZ_S10_mS11_S14_bEUlT_E_NS1_11comp_targetILNS1_3genE5ELNS1_11target_archE942ELNS1_3gpuE9ELNS1_3repE0EEENS1_30default_config_static_selectorELNS0_4arch9wavefront6targetE1EEEvSY_.uses_vcc, 0
	.set _ZN7rocprim17ROCPRIM_400000_NS6detail17trampoline_kernelINS0_14default_configENS1_27lower_bound_config_selectorIdlEEZNS1_14transform_implILb0ES3_S5_N6thrust23THRUST_200600_302600_NS6detail15normal_iteratorINS8_7pointerIdNS8_11hip_rocprim5par_tENS8_11use_defaultESE_EEEENSA_INSB_IlSD_SE_SE_EEEEZNS1_13binary_searchIS3_S5_NSA_INS8_10device_ptrIdEEEESG_SI_NS1_21lower_bound_search_opENS9_16wrapped_functionINS8_6system6detail7generic6detail18binary_search_lessEbEEEE10hipError_tPvRmT1_T2_T3_mmT4_T5_P12ihipStream_tbEUlRKdE_EESV_SZ_S10_mS11_S14_bEUlT_E_NS1_11comp_targetILNS1_3genE5ELNS1_11target_archE942ELNS1_3gpuE9ELNS1_3repE0EEENS1_30default_config_static_selectorELNS0_4arch9wavefront6targetE1EEEvSY_.uses_flat_scratch, 0
	.set _ZN7rocprim17ROCPRIM_400000_NS6detail17trampoline_kernelINS0_14default_configENS1_27lower_bound_config_selectorIdlEEZNS1_14transform_implILb0ES3_S5_N6thrust23THRUST_200600_302600_NS6detail15normal_iteratorINS8_7pointerIdNS8_11hip_rocprim5par_tENS8_11use_defaultESE_EEEENSA_INSB_IlSD_SE_SE_EEEEZNS1_13binary_searchIS3_S5_NSA_INS8_10device_ptrIdEEEESG_SI_NS1_21lower_bound_search_opENS9_16wrapped_functionINS8_6system6detail7generic6detail18binary_search_lessEbEEEE10hipError_tPvRmT1_T2_T3_mmT4_T5_P12ihipStream_tbEUlRKdE_EESV_SZ_S10_mS11_S14_bEUlT_E_NS1_11comp_targetILNS1_3genE5ELNS1_11target_archE942ELNS1_3gpuE9ELNS1_3repE0EEENS1_30default_config_static_selectorELNS0_4arch9wavefront6targetE1EEEvSY_.has_dyn_sized_stack, 0
	.set _ZN7rocprim17ROCPRIM_400000_NS6detail17trampoline_kernelINS0_14default_configENS1_27lower_bound_config_selectorIdlEEZNS1_14transform_implILb0ES3_S5_N6thrust23THRUST_200600_302600_NS6detail15normal_iteratorINS8_7pointerIdNS8_11hip_rocprim5par_tENS8_11use_defaultESE_EEEENSA_INSB_IlSD_SE_SE_EEEEZNS1_13binary_searchIS3_S5_NSA_INS8_10device_ptrIdEEEESG_SI_NS1_21lower_bound_search_opENS9_16wrapped_functionINS8_6system6detail7generic6detail18binary_search_lessEbEEEE10hipError_tPvRmT1_T2_T3_mmT4_T5_P12ihipStream_tbEUlRKdE_EESV_SZ_S10_mS11_S14_bEUlT_E_NS1_11comp_targetILNS1_3genE5ELNS1_11target_archE942ELNS1_3gpuE9ELNS1_3repE0EEENS1_30default_config_static_selectorELNS0_4arch9wavefront6targetE1EEEvSY_.has_recursion, 0
	.set _ZN7rocprim17ROCPRIM_400000_NS6detail17trampoline_kernelINS0_14default_configENS1_27lower_bound_config_selectorIdlEEZNS1_14transform_implILb0ES3_S5_N6thrust23THRUST_200600_302600_NS6detail15normal_iteratorINS8_7pointerIdNS8_11hip_rocprim5par_tENS8_11use_defaultESE_EEEENSA_INSB_IlSD_SE_SE_EEEEZNS1_13binary_searchIS3_S5_NSA_INS8_10device_ptrIdEEEESG_SI_NS1_21lower_bound_search_opENS9_16wrapped_functionINS8_6system6detail7generic6detail18binary_search_lessEbEEEE10hipError_tPvRmT1_T2_T3_mmT4_T5_P12ihipStream_tbEUlRKdE_EESV_SZ_S10_mS11_S14_bEUlT_E_NS1_11comp_targetILNS1_3genE5ELNS1_11target_archE942ELNS1_3gpuE9ELNS1_3repE0EEENS1_30default_config_static_selectorELNS0_4arch9wavefront6targetE1EEEvSY_.has_indirect_call, 0
	.section	.AMDGPU.csdata,"",@progbits
; Kernel info:
; codeLenInByte = 0
; TotalNumSgprs: 4
; NumVgprs: 0
; ScratchSize: 0
; MemoryBound: 0
; FloatMode: 240
; IeeeMode: 1
; LDSByteSize: 0 bytes/workgroup (compile time only)
; SGPRBlocks: 0
; VGPRBlocks: 0
; NumSGPRsForWavesPerEU: 4
; NumVGPRsForWavesPerEU: 1
; Occupancy: 10
; WaveLimiterHint : 0
; COMPUTE_PGM_RSRC2:SCRATCH_EN: 0
; COMPUTE_PGM_RSRC2:USER_SGPR: 6
; COMPUTE_PGM_RSRC2:TRAP_HANDLER: 0
; COMPUTE_PGM_RSRC2:TGID_X_EN: 1
; COMPUTE_PGM_RSRC2:TGID_Y_EN: 0
; COMPUTE_PGM_RSRC2:TGID_Z_EN: 0
; COMPUTE_PGM_RSRC2:TIDIG_COMP_CNT: 0
	.section	.text._ZN7rocprim17ROCPRIM_400000_NS6detail17trampoline_kernelINS0_14default_configENS1_27lower_bound_config_selectorIdlEEZNS1_14transform_implILb0ES3_S5_N6thrust23THRUST_200600_302600_NS6detail15normal_iteratorINS8_7pointerIdNS8_11hip_rocprim5par_tENS8_11use_defaultESE_EEEENSA_INSB_IlSD_SE_SE_EEEEZNS1_13binary_searchIS3_S5_NSA_INS8_10device_ptrIdEEEESG_SI_NS1_21lower_bound_search_opENS9_16wrapped_functionINS8_6system6detail7generic6detail18binary_search_lessEbEEEE10hipError_tPvRmT1_T2_T3_mmT4_T5_P12ihipStream_tbEUlRKdE_EESV_SZ_S10_mS11_S14_bEUlT_E_NS1_11comp_targetILNS1_3genE4ELNS1_11target_archE910ELNS1_3gpuE8ELNS1_3repE0EEENS1_30default_config_static_selectorELNS0_4arch9wavefront6targetE1EEEvSY_,"axG",@progbits,_ZN7rocprim17ROCPRIM_400000_NS6detail17trampoline_kernelINS0_14default_configENS1_27lower_bound_config_selectorIdlEEZNS1_14transform_implILb0ES3_S5_N6thrust23THRUST_200600_302600_NS6detail15normal_iteratorINS8_7pointerIdNS8_11hip_rocprim5par_tENS8_11use_defaultESE_EEEENSA_INSB_IlSD_SE_SE_EEEEZNS1_13binary_searchIS3_S5_NSA_INS8_10device_ptrIdEEEESG_SI_NS1_21lower_bound_search_opENS9_16wrapped_functionINS8_6system6detail7generic6detail18binary_search_lessEbEEEE10hipError_tPvRmT1_T2_T3_mmT4_T5_P12ihipStream_tbEUlRKdE_EESV_SZ_S10_mS11_S14_bEUlT_E_NS1_11comp_targetILNS1_3genE4ELNS1_11target_archE910ELNS1_3gpuE8ELNS1_3repE0EEENS1_30default_config_static_selectorELNS0_4arch9wavefront6targetE1EEEvSY_,comdat
	.protected	_ZN7rocprim17ROCPRIM_400000_NS6detail17trampoline_kernelINS0_14default_configENS1_27lower_bound_config_selectorIdlEEZNS1_14transform_implILb0ES3_S5_N6thrust23THRUST_200600_302600_NS6detail15normal_iteratorINS8_7pointerIdNS8_11hip_rocprim5par_tENS8_11use_defaultESE_EEEENSA_INSB_IlSD_SE_SE_EEEEZNS1_13binary_searchIS3_S5_NSA_INS8_10device_ptrIdEEEESG_SI_NS1_21lower_bound_search_opENS9_16wrapped_functionINS8_6system6detail7generic6detail18binary_search_lessEbEEEE10hipError_tPvRmT1_T2_T3_mmT4_T5_P12ihipStream_tbEUlRKdE_EESV_SZ_S10_mS11_S14_bEUlT_E_NS1_11comp_targetILNS1_3genE4ELNS1_11target_archE910ELNS1_3gpuE8ELNS1_3repE0EEENS1_30default_config_static_selectorELNS0_4arch9wavefront6targetE1EEEvSY_ ; -- Begin function _ZN7rocprim17ROCPRIM_400000_NS6detail17trampoline_kernelINS0_14default_configENS1_27lower_bound_config_selectorIdlEEZNS1_14transform_implILb0ES3_S5_N6thrust23THRUST_200600_302600_NS6detail15normal_iteratorINS8_7pointerIdNS8_11hip_rocprim5par_tENS8_11use_defaultESE_EEEENSA_INSB_IlSD_SE_SE_EEEEZNS1_13binary_searchIS3_S5_NSA_INS8_10device_ptrIdEEEESG_SI_NS1_21lower_bound_search_opENS9_16wrapped_functionINS8_6system6detail7generic6detail18binary_search_lessEbEEEE10hipError_tPvRmT1_T2_T3_mmT4_T5_P12ihipStream_tbEUlRKdE_EESV_SZ_S10_mS11_S14_bEUlT_E_NS1_11comp_targetILNS1_3genE4ELNS1_11target_archE910ELNS1_3gpuE8ELNS1_3repE0EEENS1_30default_config_static_selectorELNS0_4arch9wavefront6targetE1EEEvSY_
	.globl	_ZN7rocprim17ROCPRIM_400000_NS6detail17trampoline_kernelINS0_14default_configENS1_27lower_bound_config_selectorIdlEEZNS1_14transform_implILb0ES3_S5_N6thrust23THRUST_200600_302600_NS6detail15normal_iteratorINS8_7pointerIdNS8_11hip_rocprim5par_tENS8_11use_defaultESE_EEEENSA_INSB_IlSD_SE_SE_EEEEZNS1_13binary_searchIS3_S5_NSA_INS8_10device_ptrIdEEEESG_SI_NS1_21lower_bound_search_opENS9_16wrapped_functionINS8_6system6detail7generic6detail18binary_search_lessEbEEEE10hipError_tPvRmT1_T2_T3_mmT4_T5_P12ihipStream_tbEUlRKdE_EESV_SZ_S10_mS11_S14_bEUlT_E_NS1_11comp_targetILNS1_3genE4ELNS1_11target_archE910ELNS1_3gpuE8ELNS1_3repE0EEENS1_30default_config_static_selectorELNS0_4arch9wavefront6targetE1EEEvSY_
	.p2align	8
	.type	_ZN7rocprim17ROCPRIM_400000_NS6detail17trampoline_kernelINS0_14default_configENS1_27lower_bound_config_selectorIdlEEZNS1_14transform_implILb0ES3_S5_N6thrust23THRUST_200600_302600_NS6detail15normal_iteratorINS8_7pointerIdNS8_11hip_rocprim5par_tENS8_11use_defaultESE_EEEENSA_INSB_IlSD_SE_SE_EEEEZNS1_13binary_searchIS3_S5_NSA_INS8_10device_ptrIdEEEESG_SI_NS1_21lower_bound_search_opENS9_16wrapped_functionINS8_6system6detail7generic6detail18binary_search_lessEbEEEE10hipError_tPvRmT1_T2_T3_mmT4_T5_P12ihipStream_tbEUlRKdE_EESV_SZ_S10_mS11_S14_bEUlT_E_NS1_11comp_targetILNS1_3genE4ELNS1_11target_archE910ELNS1_3gpuE8ELNS1_3repE0EEENS1_30default_config_static_selectorELNS0_4arch9wavefront6targetE1EEEvSY_,@function
_ZN7rocprim17ROCPRIM_400000_NS6detail17trampoline_kernelINS0_14default_configENS1_27lower_bound_config_selectorIdlEEZNS1_14transform_implILb0ES3_S5_N6thrust23THRUST_200600_302600_NS6detail15normal_iteratorINS8_7pointerIdNS8_11hip_rocprim5par_tENS8_11use_defaultESE_EEEENSA_INSB_IlSD_SE_SE_EEEEZNS1_13binary_searchIS3_S5_NSA_INS8_10device_ptrIdEEEESG_SI_NS1_21lower_bound_search_opENS9_16wrapped_functionINS8_6system6detail7generic6detail18binary_search_lessEbEEEE10hipError_tPvRmT1_T2_T3_mmT4_T5_P12ihipStream_tbEUlRKdE_EESV_SZ_S10_mS11_S14_bEUlT_E_NS1_11comp_targetILNS1_3genE4ELNS1_11target_archE910ELNS1_3gpuE8ELNS1_3repE0EEENS1_30default_config_static_selectorELNS0_4arch9wavefront6targetE1EEEvSY_: ; @_ZN7rocprim17ROCPRIM_400000_NS6detail17trampoline_kernelINS0_14default_configENS1_27lower_bound_config_selectorIdlEEZNS1_14transform_implILb0ES3_S5_N6thrust23THRUST_200600_302600_NS6detail15normal_iteratorINS8_7pointerIdNS8_11hip_rocprim5par_tENS8_11use_defaultESE_EEEENSA_INSB_IlSD_SE_SE_EEEEZNS1_13binary_searchIS3_S5_NSA_INS8_10device_ptrIdEEEESG_SI_NS1_21lower_bound_search_opENS9_16wrapped_functionINS8_6system6detail7generic6detail18binary_search_lessEbEEEE10hipError_tPvRmT1_T2_T3_mmT4_T5_P12ihipStream_tbEUlRKdE_EESV_SZ_S10_mS11_S14_bEUlT_E_NS1_11comp_targetILNS1_3genE4ELNS1_11target_archE910ELNS1_3gpuE8ELNS1_3repE0EEENS1_30default_config_static_selectorELNS0_4arch9wavefront6targetE1EEEvSY_
; %bb.0:
	.section	.rodata,"a",@progbits
	.p2align	6, 0x0
	.amdhsa_kernel _ZN7rocprim17ROCPRIM_400000_NS6detail17trampoline_kernelINS0_14default_configENS1_27lower_bound_config_selectorIdlEEZNS1_14transform_implILb0ES3_S5_N6thrust23THRUST_200600_302600_NS6detail15normal_iteratorINS8_7pointerIdNS8_11hip_rocprim5par_tENS8_11use_defaultESE_EEEENSA_INSB_IlSD_SE_SE_EEEEZNS1_13binary_searchIS3_S5_NSA_INS8_10device_ptrIdEEEESG_SI_NS1_21lower_bound_search_opENS9_16wrapped_functionINS8_6system6detail7generic6detail18binary_search_lessEbEEEE10hipError_tPvRmT1_T2_T3_mmT4_T5_P12ihipStream_tbEUlRKdE_EESV_SZ_S10_mS11_S14_bEUlT_E_NS1_11comp_targetILNS1_3genE4ELNS1_11target_archE910ELNS1_3gpuE8ELNS1_3repE0EEENS1_30default_config_static_selectorELNS0_4arch9wavefront6targetE1EEEvSY_
		.amdhsa_group_segment_fixed_size 0
		.amdhsa_private_segment_fixed_size 0
		.amdhsa_kernarg_size 56
		.amdhsa_user_sgpr_count 6
		.amdhsa_user_sgpr_private_segment_buffer 1
		.amdhsa_user_sgpr_dispatch_ptr 0
		.amdhsa_user_sgpr_queue_ptr 0
		.amdhsa_user_sgpr_kernarg_segment_ptr 1
		.amdhsa_user_sgpr_dispatch_id 0
		.amdhsa_user_sgpr_flat_scratch_init 0
		.amdhsa_user_sgpr_private_segment_size 0
		.amdhsa_uses_dynamic_stack 0
		.amdhsa_system_sgpr_private_segment_wavefront_offset 0
		.amdhsa_system_sgpr_workgroup_id_x 1
		.amdhsa_system_sgpr_workgroup_id_y 0
		.amdhsa_system_sgpr_workgroup_id_z 0
		.amdhsa_system_sgpr_workgroup_info 0
		.amdhsa_system_vgpr_workitem_id 0
		.amdhsa_next_free_vgpr 1
		.amdhsa_next_free_sgpr 0
		.amdhsa_reserve_vcc 0
		.amdhsa_reserve_flat_scratch 0
		.amdhsa_float_round_mode_32 0
		.amdhsa_float_round_mode_16_64 0
		.amdhsa_float_denorm_mode_32 3
		.amdhsa_float_denorm_mode_16_64 3
		.amdhsa_dx10_clamp 1
		.amdhsa_ieee_mode 1
		.amdhsa_fp16_overflow 0
		.amdhsa_exception_fp_ieee_invalid_op 0
		.amdhsa_exception_fp_denorm_src 0
		.amdhsa_exception_fp_ieee_div_zero 0
		.amdhsa_exception_fp_ieee_overflow 0
		.amdhsa_exception_fp_ieee_underflow 0
		.amdhsa_exception_fp_ieee_inexact 0
		.amdhsa_exception_int_div_zero 0
	.end_amdhsa_kernel
	.section	.text._ZN7rocprim17ROCPRIM_400000_NS6detail17trampoline_kernelINS0_14default_configENS1_27lower_bound_config_selectorIdlEEZNS1_14transform_implILb0ES3_S5_N6thrust23THRUST_200600_302600_NS6detail15normal_iteratorINS8_7pointerIdNS8_11hip_rocprim5par_tENS8_11use_defaultESE_EEEENSA_INSB_IlSD_SE_SE_EEEEZNS1_13binary_searchIS3_S5_NSA_INS8_10device_ptrIdEEEESG_SI_NS1_21lower_bound_search_opENS9_16wrapped_functionINS8_6system6detail7generic6detail18binary_search_lessEbEEEE10hipError_tPvRmT1_T2_T3_mmT4_T5_P12ihipStream_tbEUlRKdE_EESV_SZ_S10_mS11_S14_bEUlT_E_NS1_11comp_targetILNS1_3genE4ELNS1_11target_archE910ELNS1_3gpuE8ELNS1_3repE0EEENS1_30default_config_static_selectorELNS0_4arch9wavefront6targetE1EEEvSY_,"axG",@progbits,_ZN7rocprim17ROCPRIM_400000_NS6detail17trampoline_kernelINS0_14default_configENS1_27lower_bound_config_selectorIdlEEZNS1_14transform_implILb0ES3_S5_N6thrust23THRUST_200600_302600_NS6detail15normal_iteratorINS8_7pointerIdNS8_11hip_rocprim5par_tENS8_11use_defaultESE_EEEENSA_INSB_IlSD_SE_SE_EEEEZNS1_13binary_searchIS3_S5_NSA_INS8_10device_ptrIdEEEESG_SI_NS1_21lower_bound_search_opENS9_16wrapped_functionINS8_6system6detail7generic6detail18binary_search_lessEbEEEE10hipError_tPvRmT1_T2_T3_mmT4_T5_P12ihipStream_tbEUlRKdE_EESV_SZ_S10_mS11_S14_bEUlT_E_NS1_11comp_targetILNS1_3genE4ELNS1_11target_archE910ELNS1_3gpuE8ELNS1_3repE0EEENS1_30default_config_static_selectorELNS0_4arch9wavefront6targetE1EEEvSY_,comdat
.Lfunc_end324:
	.size	_ZN7rocprim17ROCPRIM_400000_NS6detail17trampoline_kernelINS0_14default_configENS1_27lower_bound_config_selectorIdlEEZNS1_14transform_implILb0ES3_S5_N6thrust23THRUST_200600_302600_NS6detail15normal_iteratorINS8_7pointerIdNS8_11hip_rocprim5par_tENS8_11use_defaultESE_EEEENSA_INSB_IlSD_SE_SE_EEEEZNS1_13binary_searchIS3_S5_NSA_INS8_10device_ptrIdEEEESG_SI_NS1_21lower_bound_search_opENS9_16wrapped_functionINS8_6system6detail7generic6detail18binary_search_lessEbEEEE10hipError_tPvRmT1_T2_T3_mmT4_T5_P12ihipStream_tbEUlRKdE_EESV_SZ_S10_mS11_S14_bEUlT_E_NS1_11comp_targetILNS1_3genE4ELNS1_11target_archE910ELNS1_3gpuE8ELNS1_3repE0EEENS1_30default_config_static_selectorELNS0_4arch9wavefront6targetE1EEEvSY_, .Lfunc_end324-_ZN7rocprim17ROCPRIM_400000_NS6detail17trampoline_kernelINS0_14default_configENS1_27lower_bound_config_selectorIdlEEZNS1_14transform_implILb0ES3_S5_N6thrust23THRUST_200600_302600_NS6detail15normal_iteratorINS8_7pointerIdNS8_11hip_rocprim5par_tENS8_11use_defaultESE_EEEENSA_INSB_IlSD_SE_SE_EEEEZNS1_13binary_searchIS3_S5_NSA_INS8_10device_ptrIdEEEESG_SI_NS1_21lower_bound_search_opENS9_16wrapped_functionINS8_6system6detail7generic6detail18binary_search_lessEbEEEE10hipError_tPvRmT1_T2_T3_mmT4_T5_P12ihipStream_tbEUlRKdE_EESV_SZ_S10_mS11_S14_bEUlT_E_NS1_11comp_targetILNS1_3genE4ELNS1_11target_archE910ELNS1_3gpuE8ELNS1_3repE0EEENS1_30default_config_static_selectorELNS0_4arch9wavefront6targetE1EEEvSY_
                                        ; -- End function
	.set _ZN7rocprim17ROCPRIM_400000_NS6detail17trampoline_kernelINS0_14default_configENS1_27lower_bound_config_selectorIdlEEZNS1_14transform_implILb0ES3_S5_N6thrust23THRUST_200600_302600_NS6detail15normal_iteratorINS8_7pointerIdNS8_11hip_rocprim5par_tENS8_11use_defaultESE_EEEENSA_INSB_IlSD_SE_SE_EEEEZNS1_13binary_searchIS3_S5_NSA_INS8_10device_ptrIdEEEESG_SI_NS1_21lower_bound_search_opENS9_16wrapped_functionINS8_6system6detail7generic6detail18binary_search_lessEbEEEE10hipError_tPvRmT1_T2_T3_mmT4_T5_P12ihipStream_tbEUlRKdE_EESV_SZ_S10_mS11_S14_bEUlT_E_NS1_11comp_targetILNS1_3genE4ELNS1_11target_archE910ELNS1_3gpuE8ELNS1_3repE0EEENS1_30default_config_static_selectorELNS0_4arch9wavefront6targetE1EEEvSY_.num_vgpr, 0
	.set _ZN7rocprim17ROCPRIM_400000_NS6detail17trampoline_kernelINS0_14default_configENS1_27lower_bound_config_selectorIdlEEZNS1_14transform_implILb0ES3_S5_N6thrust23THRUST_200600_302600_NS6detail15normal_iteratorINS8_7pointerIdNS8_11hip_rocprim5par_tENS8_11use_defaultESE_EEEENSA_INSB_IlSD_SE_SE_EEEEZNS1_13binary_searchIS3_S5_NSA_INS8_10device_ptrIdEEEESG_SI_NS1_21lower_bound_search_opENS9_16wrapped_functionINS8_6system6detail7generic6detail18binary_search_lessEbEEEE10hipError_tPvRmT1_T2_T3_mmT4_T5_P12ihipStream_tbEUlRKdE_EESV_SZ_S10_mS11_S14_bEUlT_E_NS1_11comp_targetILNS1_3genE4ELNS1_11target_archE910ELNS1_3gpuE8ELNS1_3repE0EEENS1_30default_config_static_selectorELNS0_4arch9wavefront6targetE1EEEvSY_.num_agpr, 0
	.set _ZN7rocprim17ROCPRIM_400000_NS6detail17trampoline_kernelINS0_14default_configENS1_27lower_bound_config_selectorIdlEEZNS1_14transform_implILb0ES3_S5_N6thrust23THRUST_200600_302600_NS6detail15normal_iteratorINS8_7pointerIdNS8_11hip_rocprim5par_tENS8_11use_defaultESE_EEEENSA_INSB_IlSD_SE_SE_EEEEZNS1_13binary_searchIS3_S5_NSA_INS8_10device_ptrIdEEEESG_SI_NS1_21lower_bound_search_opENS9_16wrapped_functionINS8_6system6detail7generic6detail18binary_search_lessEbEEEE10hipError_tPvRmT1_T2_T3_mmT4_T5_P12ihipStream_tbEUlRKdE_EESV_SZ_S10_mS11_S14_bEUlT_E_NS1_11comp_targetILNS1_3genE4ELNS1_11target_archE910ELNS1_3gpuE8ELNS1_3repE0EEENS1_30default_config_static_selectorELNS0_4arch9wavefront6targetE1EEEvSY_.numbered_sgpr, 0
	.set _ZN7rocprim17ROCPRIM_400000_NS6detail17trampoline_kernelINS0_14default_configENS1_27lower_bound_config_selectorIdlEEZNS1_14transform_implILb0ES3_S5_N6thrust23THRUST_200600_302600_NS6detail15normal_iteratorINS8_7pointerIdNS8_11hip_rocprim5par_tENS8_11use_defaultESE_EEEENSA_INSB_IlSD_SE_SE_EEEEZNS1_13binary_searchIS3_S5_NSA_INS8_10device_ptrIdEEEESG_SI_NS1_21lower_bound_search_opENS9_16wrapped_functionINS8_6system6detail7generic6detail18binary_search_lessEbEEEE10hipError_tPvRmT1_T2_T3_mmT4_T5_P12ihipStream_tbEUlRKdE_EESV_SZ_S10_mS11_S14_bEUlT_E_NS1_11comp_targetILNS1_3genE4ELNS1_11target_archE910ELNS1_3gpuE8ELNS1_3repE0EEENS1_30default_config_static_selectorELNS0_4arch9wavefront6targetE1EEEvSY_.num_named_barrier, 0
	.set _ZN7rocprim17ROCPRIM_400000_NS6detail17trampoline_kernelINS0_14default_configENS1_27lower_bound_config_selectorIdlEEZNS1_14transform_implILb0ES3_S5_N6thrust23THRUST_200600_302600_NS6detail15normal_iteratorINS8_7pointerIdNS8_11hip_rocprim5par_tENS8_11use_defaultESE_EEEENSA_INSB_IlSD_SE_SE_EEEEZNS1_13binary_searchIS3_S5_NSA_INS8_10device_ptrIdEEEESG_SI_NS1_21lower_bound_search_opENS9_16wrapped_functionINS8_6system6detail7generic6detail18binary_search_lessEbEEEE10hipError_tPvRmT1_T2_T3_mmT4_T5_P12ihipStream_tbEUlRKdE_EESV_SZ_S10_mS11_S14_bEUlT_E_NS1_11comp_targetILNS1_3genE4ELNS1_11target_archE910ELNS1_3gpuE8ELNS1_3repE0EEENS1_30default_config_static_selectorELNS0_4arch9wavefront6targetE1EEEvSY_.private_seg_size, 0
	.set _ZN7rocprim17ROCPRIM_400000_NS6detail17trampoline_kernelINS0_14default_configENS1_27lower_bound_config_selectorIdlEEZNS1_14transform_implILb0ES3_S5_N6thrust23THRUST_200600_302600_NS6detail15normal_iteratorINS8_7pointerIdNS8_11hip_rocprim5par_tENS8_11use_defaultESE_EEEENSA_INSB_IlSD_SE_SE_EEEEZNS1_13binary_searchIS3_S5_NSA_INS8_10device_ptrIdEEEESG_SI_NS1_21lower_bound_search_opENS9_16wrapped_functionINS8_6system6detail7generic6detail18binary_search_lessEbEEEE10hipError_tPvRmT1_T2_T3_mmT4_T5_P12ihipStream_tbEUlRKdE_EESV_SZ_S10_mS11_S14_bEUlT_E_NS1_11comp_targetILNS1_3genE4ELNS1_11target_archE910ELNS1_3gpuE8ELNS1_3repE0EEENS1_30default_config_static_selectorELNS0_4arch9wavefront6targetE1EEEvSY_.uses_vcc, 0
	.set _ZN7rocprim17ROCPRIM_400000_NS6detail17trampoline_kernelINS0_14default_configENS1_27lower_bound_config_selectorIdlEEZNS1_14transform_implILb0ES3_S5_N6thrust23THRUST_200600_302600_NS6detail15normal_iteratorINS8_7pointerIdNS8_11hip_rocprim5par_tENS8_11use_defaultESE_EEEENSA_INSB_IlSD_SE_SE_EEEEZNS1_13binary_searchIS3_S5_NSA_INS8_10device_ptrIdEEEESG_SI_NS1_21lower_bound_search_opENS9_16wrapped_functionINS8_6system6detail7generic6detail18binary_search_lessEbEEEE10hipError_tPvRmT1_T2_T3_mmT4_T5_P12ihipStream_tbEUlRKdE_EESV_SZ_S10_mS11_S14_bEUlT_E_NS1_11comp_targetILNS1_3genE4ELNS1_11target_archE910ELNS1_3gpuE8ELNS1_3repE0EEENS1_30default_config_static_selectorELNS0_4arch9wavefront6targetE1EEEvSY_.uses_flat_scratch, 0
	.set _ZN7rocprim17ROCPRIM_400000_NS6detail17trampoline_kernelINS0_14default_configENS1_27lower_bound_config_selectorIdlEEZNS1_14transform_implILb0ES3_S5_N6thrust23THRUST_200600_302600_NS6detail15normal_iteratorINS8_7pointerIdNS8_11hip_rocprim5par_tENS8_11use_defaultESE_EEEENSA_INSB_IlSD_SE_SE_EEEEZNS1_13binary_searchIS3_S5_NSA_INS8_10device_ptrIdEEEESG_SI_NS1_21lower_bound_search_opENS9_16wrapped_functionINS8_6system6detail7generic6detail18binary_search_lessEbEEEE10hipError_tPvRmT1_T2_T3_mmT4_T5_P12ihipStream_tbEUlRKdE_EESV_SZ_S10_mS11_S14_bEUlT_E_NS1_11comp_targetILNS1_3genE4ELNS1_11target_archE910ELNS1_3gpuE8ELNS1_3repE0EEENS1_30default_config_static_selectorELNS0_4arch9wavefront6targetE1EEEvSY_.has_dyn_sized_stack, 0
	.set _ZN7rocprim17ROCPRIM_400000_NS6detail17trampoline_kernelINS0_14default_configENS1_27lower_bound_config_selectorIdlEEZNS1_14transform_implILb0ES3_S5_N6thrust23THRUST_200600_302600_NS6detail15normal_iteratorINS8_7pointerIdNS8_11hip_rocprim5par_tENS8_11use_defaultESE_EEEENSA_INSB_IlSD_SE_SE_EEEEZNS1_13binary_searchIS3_S5_NSA_INS8_10device_ptrIdEEEESG_SI_NS1_21lower_bound_search_opENS9_16wrapped_functionINS8_6system6detail7generic6detail18binary_search_lessEbEEEE10hipError_tPvRmT1_T2_T3_mmT4_T5_P12ihipStream_tbEUlRKdE_EESV_SZ_S10_mS11_S14_bEUlT_E_NS1_11comp_targetILNS1_3genE4ELNS1_11target_archE910ELNS1_3gpuE8ELNS1_3repE0EEENS1_30default_config_static_selectorELNS0_4arch9wavefront6targetE1EEEvSY_.has_recursion, 0
	.set _ZN7rocprim17ROCPRIM_400000_NS6detail17trampoline_kernelINS0_14default_configENS1_27lower_bound_config_selectorIdlEEZNS1_14transform_implILb0ES3_S5_N6thrust23THRUST_200600_302600_NS6detail15normal_iteratorINS8_7pointerIdNS8_11hip_rocprim5par_tENS8_11use_defaultESE_EEEENSA_INSB_IlSD_SE_SE_EEEEZNS1_13binary_searchIS3_S5_NSA_INS8_10device_ptrIdEEEESG_SI_NS1_21lower_bound_search_opENS9_16wrapped_functionINS8_6system6detail7generic6detail18binary_search_lessEbEEEE10hipError_tPvRmT1_T2_T3_mmT4_T5_P12ihipStream_tbEUlRKdE_EESV_SZ_S10_mS11_S14_bEUlT_E_NS1_11comp_targetILNS1_3genE4ELNS1_11target_archE910ELNS1_3gpuE8ELNS1_3repE0EEENS1_30default_config_static_selectorELNS0_4arch9wavefront6targetE1EEEvSY_.has_indirect_call, 0
	.section	.AMDGPU.csdata,"",@progbits
; Kernel info:
; codeLenInByte = 0
; TotalNumSgprs: 4
; NumVgprs: 0
; ScratchSize: 0
; MemoryBound: 0
; FloatMode: 240
; IeeeMode: 1
; LDSByteSize: 0 bytes/workgroup (compile time only)
; SGPRBlocks: 0
; VGPRBlocks: 0
; NumSGPRsForWavesPerEU: 4
; NumVGPRsForWavesPerEU: 1
; Occupancy: 10
; WaveLimiterHint : 0
; COMPUTE_PGM_RSRC2:SCRATCH_EN: 0
; COMPUTE_PGM_RSRC2:USER_SGPR: 6
; COMPUTE_PGM_RSRC2:TRAP_HANDLER: 0
; COMPUTE_PGM_RSRC2:TGID_X_EN: 1
; COMPUTE_PGM_RSRC2:TGID_Y_EN: 0
; COMPUTE_PGM_RSRC2:TGID_Z_EN: 0
; COMPUTE_PGM_RSRC2:TIDIG_COMP_CNT: 0
	.section	.text._ZN7rocprim17ROCPRIM_400000_NS6detail17trampoline_kernelINS0_14default_configENS1_27lower_bound_config_selectorIdlEEZNS1_14transform_implILb0ES3_S5_N6thrust23THRUST_200600_302600_NS6detail15normal_iteratorINS8_7pointerIdNS8_11hip_rocprim5par_tENS8_11use_defaultESE_EEEENSA_INSB_IlSD_SE_SE_EEEEZNS1_13binary_searchIS3_S5_NSA_INS8_10device_ptrIdEEEESG_SI_NS1_21lower_bound_search_opENS9_16wrapped_functionINS8_6system6detail7generic6detail18binary_search_lessEbEEEE10hipError_tPvRmT1_T2_T3_mmT4_T5_P12ihipStream_tbEUlRKdE_EESV_SZ_S10_mS11_S14_bEUlT_E_NS1_11comp_targetILNS1_3genE3ELNS1_11target_archE908ELNS1_3gpuE7ELNS1_3repE0EEENS1_30default_config_static_selectorELNS0_4arch9wavefront6targetE1EEEvSY_,"axG",@progbits,_ZN7rocprim17ROCPRIM_400000_NS6detail17trampoline_kernelINS0_14default_configENS1_27lower_bound_config_selectorIdlEEZNS1_14transform_implILb0ES3_S5_N6thrust23THRUST_200600_302600_NS6detail15normal_iteratorINS8_7pointerIdNS8_11hip_rocprim5par_tENS8_11use_defaultESE_EEEENSA_INSB_IlSD_SE_SE_EEEEZNS1_13binary_searchIS3_S5_NSA_INS8_10device_ptrIdEEEESG_SI_NS1_21lower_bound_search_opENS9_16wrapped_functionINS8_6system6detail7generic6detail18binary_search_lessEbEEEE10hipError_tPvRmT1_T2_T3_mmT4_T5_P12ihipStream_tbEUlRKdE_EESV_SZ_S10_mS11_S14_bEUlT_E_NS1_11comp_targetILNS1_3genE3ELNS1_11target_archE908ELNS1_3gpuE7ELNS1_3repE0EEENS1_30default_config_static_selectorELNS0_4arch9wavefront6targetE1EEEvSY_,comdat
	.protected	_ZN7rocprim17ROCPRIM_400000_NS6detail17trampoline_kernelINS0_14default_configENS1_27lower_bound_config_selectorIdlEEZNS1_14transform_implILb0ES3_S5_N6thrust23THRUST_200600_302600_NS6detail15normal_iteratorINS8_7pointerIdNS8_11hip_rocprim5par_tENS8_11use_defaultESE_EEEENSA_INSB_IlSD_SE_SE_EEEEZNS1_13binary_searchIS3_S5_NSA_INS8_10device_ptrIdEEEESG_SI_NS1_21lower_bound_search_opENS9_16wrapped_functionINS8_6system6detail7generic6detail18binary_search_lessEbEEEE10hipError_tPvRmT1_T2_T3_mmT4_T5_P12ihipStream_tbEUlRKdE_EESV_SZ_S10_mS11_S14_bEUlT_E_NS1_11comp_targetILNS1_3genE3ELNS1_11target_archE908ELNS1_3gpuE7ELNS1_3repE0EEENS1_30default_config_static_selectorELNS0_4arch9wavefront6targetE1EEEvSY_ ; -- Begin function _ZN7rocprim17ROCPRIM_400000_NS6detail17trampoline_kernelINS0_14default_configENS1_27lower_bound_config_selectorIdlEEZNS1_14transform_implILb0ES3_S5_N6thrust23THRUST_200600_302600_NS6detail15normal_iteratorINS8_7pointerIdNS8_11hip_rocprim5par_tENS8_11use_defaultESE_EEEENSA_INSB_IlSD_SE_SE_EEEEZNS1_13binary_searchIS3_S5_NSA_INS8_10device_ptrIdEEEESG_SI_NS1_21lower_bound_search_opENS9_16wrapped_functionINS8_6system6detail7generic6detail18binary_search_lessEbEEEE10hipError_tPvRmT1_T2_T3_mmT4_T5_P12ihipStream_tbEUlRKdE_EESV_SZ_S10_mS11_S14_bEUlT_E_NS1_11comp_targetILNS1_3genE3ELNS1_11target_archE908ELNS1_3gpuE7ELNS1_3repE0EEENS1_30default_config_static_selectorELNS0_4arch9wavefront6targetE1EEEvSY_
	.globl	_ZN7rocprim17ROCPRIM_400000_NS6detail17trampoline_kernelINS0_14default_configENS1_27lower_bound_config_selectorIdlEEZNS1_14transform_implILb0ES3_S5_N6thrust23THRUST_200600_302600_NS6detail15normal_iteratorINS8_7pointerIdNS8_11hip_rocprim5par_tENS8_11use_defaultESE_EEEENSA_INSB_IlSD_SE_SE_EEEEZNS1_13binary_searchIS3_S5_NSA_INS8_10device_ptrIdEEEESG_SI_NS1_21lower_bound_search_opENS9_16wrapped_functionINS8_6system6detail7generic6detail18binary_search_lessEbEEEE10hipError_tPvRmT1_T2_T3_mmT4_T5_P12ihipStream_tbEUlRKdE_EESV_SZ_S10_mS11_S14_bEUlT_E_NS1_11comp_targetILNS1_3genE3ELNS1_11target_archE908ELNS1_3gpuE7ELNS1_3repE0EEENS1_30default_config_static_selectorELNS0_4arch9wavefront6targetE1EEEvSY_
	.p2align	8
	.type	_ZN7rocprim17ROCPRIM_400000_NS6detail17trampoline_kernelINS0_14default_configENS1_27lower_bound_config_selectorIdlEEZNS1_14transform_implILb0ES3_S5_N6thrust23THRUST_200600_302600_NS6detail15normal_iteratorINS8_7pointerIdNS8_11hip_rocprim5par_tENS8_11use_defaultESE_EEEENSA_INSB_IlSD_SE_SE_EEEEZNS1_13binary_searchIS3_S5_NSA_INS8_10device_ptrIdEEEESG_SI_NS1_21lower_bound_search_opENS9_16wrapped_functionINS8_6system6detail7generic6detail18binary_search_lessEbEEEE10hipError_tPvRmT1_T2_T3_mmT4_T5_P12ihipStream_tbEUlRKdE_EESV_SZ_S10_mS11_S14_bEUlT_E_NS1_11comp_targetILNS1_3genE3ELNS1_11target_archE908ELNS1_3gpuE7ELNS1_3repE0EEENS1_30default_config_static_selectorELNS0_4arch9wavefront6targetE1EEEvSY_,@function
_ZN7rocprim17ROCPRIM_400000_NS6detail17trampoline_kernelINS0_14default_configENS1_27lower_bound_config_selectorIdlEEZNS1_14transform_implILb0ES3_S5_N6thrust23THRUST_200600_302600_NS6detail15normal_iteratorINS8_7pointerIdNS8_11hip_rocprim5par_tENS8_11use_defaultESE_EEEENSA_INSB_IlSD_SE_SE_EEEEZNS1_13binary_searchIS3_S5_NSA_INS8_10device_ptrIdEEEESG_SI_NS1_21lower_bound_search_opENS9_16wrapped_functionINS8_6system6detail7generic6detail18binary_search_lessEbEEEE10hipError_tPvRmT1_T2_T3_mmT4_T5_P12ihipStream_tbEUlRKdE_EESV_SZ_S10_mS11_S14_bEUlT_E_NS1_11comp_targetILNS1_3genE3ELNS1_11target_archE908ELNS1_3gpuE7ELNS1_3repE0EEENS1_30default_config_static_selectorELNS0_4arch9wavefront6targetE1EEEvSY_: ; @_ZN7rocprim17ROCPRIM_400000_NS6detail17trampoline_kernelINS0_14default_configENS1_27lower_bound_config_selectorIdlEEZNS1_14transform_implILb0ES3_S5_N6thrust23THRUST_200600_302600_NS6detail15normal_iteratorINS8_7pointerIdNS8_11hip_rocprim5par_tENS8_11use_defaultESE_EEEENSA_INSB_IlSD_SE_SE_EEEEZNS1_13binary_searchIS3_S5_NSA_INS8_10device_ptrIdEEEESG_SI_NS1_21lower_bound_search_opENS9_16wrapped_functionINS8_6system6detail7generic6detail18binary_search_lessEbEEEE10hipError_tPvRmT1_T2_T3_mmT4_T5_P12ihipStream_tbEUlRKdE_EESV_SZ_S10_mS11_S14_bEUlT_E_NS1_11comp_targetILNS1_3genE3ELNS1_11target_archE908ELNS1_3gpuE7ELNS1_3repE0EEENS1_30default_config_static_selectorELNS0_4arch9wavefront6targetE1EEEvSY_
; %bb.0:
	.section	.rodata,"a",@progbits
	.p2align	6, 0x0
	.amdhsa_kernel _ZN7rocprim17ROCPRIM_400000_NS6detail17trampoline_kernelINS0_14default_configENS1_27lower_bound_config_selectorIdlEEZNS1_14transform_implILb0ES3_S5_N6thrust23THRUST_200600_302600_NS6detail15normal_iteratorINS8_7pointerIdNS8_11hip_rocprim5par_tENS8_11use_defaultESE_EEEENSA_INSB_IlSD_SE_SE_EEEEZNS1_13binary_searchIS3_S5_NSA_INS8_10device_ptrIdEEEESG_SI_NS1_21lower_bound_search_opENS9_16wrapped_functionINS8_6system6detail7generic6detail18binary_search_lessEbEEEE10hipError_tPvRmT1_T2_T3_mmT4_T5_P12ihipStream_tbEUlRKdE_EESV_SZ_S10_mS11_S14_bEUlT_E_NS1_11comp_targetILNS1_3genE3ELNS1_11target_archE908ELNS1_3gpuE7ELNS1_3repE0EEENS1_30default_config_static_selectorELNS0_4arch9wavefront6targetE1EEEvSY_
		.amdhsa_group_segment_fixed_size 0
		.amdhsa_private_segment_fixed_size 0
		.amdhsa_kernarg_size 56
		.amdhsa_user_sgpr_count 6
		.amdhsa_user_sgpr_private_segment_buffer 1
		.amdhsa_user_sgpr_dispatch_ptr 0
		.amdhsa_user_sgpr_queue_ptr 0
		.amdhsa_user_sgpr_kernarg_segment_ptr 1
		.amdhsa_user_sgpr_dispatch_id 0
		.amdhsa_user_sgpr_flat_scratch_init 0
		.amdhsa_user_sgpr_private_segment_size 0
		.amdhsa_uses_dynamic_stack 0
		.amdhsa_system_sgpr_private_segment_wavefront_offset 0
		.amdhsa_system_sgpr_workgroup_id_x 1
		.amdhsa_system_sgpr_workgroup_id_y 0
		.amdhsa_system_sgpr_workgroup_id_z 0
		.amdhsa_system_sgpr_workgroup_info 0
		.amdhsa_system_vgpr_workitem_id 0
		.amdhsa_next_free_vgpr 1
		.amdhsa_next_free_sgpr 0
		.amdhsa_reserve_vcc 0
		.amdhsa_reserve_flat_scratch 0
		.amdhsa_float_round_mode_32 0
		.amdhsa_float_round_mode_16_64 0
		.amdhsa_float_denorm_mode_32 3
		.amdhsa_float_denorm_mode_16_64 3
		.amdhsa_dx10_clamp 1
		.amdhsa_ieee_mode 1
		.amdhsa_fp16_overflow 0
		.amdhsa_exception_fp_ieee_invalid_op 0
		.amdhsa_exception_fp_denorm_src 0
		.amdhsa_exception_fp_ieee_div_zero 0
		.amdhsa_exception_fp_ieee_overflow 0
		.amdhsa_exception_fp_ieee_underflow 0
		.amdhsa_exception_fp_ieee_inexact 0
		.amdhsa_exception_int_div_zero 0
	.end_amdhsa_kernel
	.section	.text._ZN7rocprim17ROCPRIM_400000_NS6detail17trampoline_kernelINS0_14default_configENS1_27lower_bound_config_selectorIdlEEZNS1_14transform_implILb0ES3_S5_N6thrust23THRUST_200600_302600_NS6detail15normal_iteratorINS8_7pointerIdNS8_11hip_rocprim5par_tENS8_11use_defaultESE_EEEENSA_INSB_IlSD_SE_SE_EEEEZNS1_13binary_searchIS3_S5_NSA_INS8_10device_ptrIdEEEESG_SI_NS1_21lower_bound_search_opENS9_16wrapped_functionINS8_6system6detail7generic6detail18binary_search_lessEbEEEE10hipError_tPvRmT1_T2_T3_mmT4_T5_P12ihipStream_tbEUlRKdE_EESV_SZ_S10_mS11_S14_bEUlT_E_NS1_11comp_targetILNS1_3genE3ELNS1_11target_archE908ELNS1_3gpuE7ELNS1_3repE0EEENS1_30default_config_static_selectorELNS0_4arch9wavefront6targetE1EEEvSY_,"axG",@progbits,_ZN7rocprim17ROCPRIM_400000_NS6detail17trampoline_kernelINS0_14default_configENS1_27lower_bound_config_selectorIdlEEZNS1_14transform_implILb0ES3_S5_N6thrust23THRUST_200600_302600_NS6detail15normal_iteratorINS8_7pointerIdNS8_11hip_rocprim5par_tENS8_11use_defaultESE_EEEENSA_INSB_IlSD_SE_SE_EEEEZNS1_13binary_searchIS3_S5_NSA_INS8_10device_ptrIdEEEESG_SI_NS1_21lower_bound_search_opENS9_16wrapped_functionINS8_6system6detail7generic6detail18binary_search_lessEbEEEE10hipError_tPvRmT1_T2_T3_mmT4_T5_P12ihipStream_tbEUlRKdE_EESV_SZ_S10_mS11_S14_bEUlT_E_NS1_11comp_targetILNS1_3genE3ELNS1_11target_archE908ELNS1_3gpuE7ELNS1_3repE0EEENS1_30default_config_static_selectorELNS0_4arch9wavefront6targetE1EEEvSY_,comdat
.Lfunc_end325:
	.size	_ZN7rocprim17ROCPRIM_400000_NS6detail17trampoline_kernelINS0_14default_configENS1_27lower_bound_config_selectorIdlEEZNS1_14transform_implILb0ES3_S5_N6thrust23THRUST_200600_302600_NS6detail15normal_iteratorINS8_7pointerIdNS8_11hip_rocprim5par_tENS8_11use_defaultESE_EEEENSA_INSB_IlSD_SE_SE_EEEEZNS1_13binary_searchIS3_S5_NSA_INS8_10device_ptrIdEEEESG_SI_NS1_21lower_bound_search_opENS9_16wrapped_functionINS8_6system6detail7generic6detail18binary_search_lessEbEEEE10hipError_tPvRmT1_T2_T3_mmT4_T5_P12ihipStream_tbEUlRKdE_EESV_SZ_S10_mS11_S14_bEUlT_E_NS1_11comp_targetILNS1_3genE3ELNS1_11target_archE908ELNS1_3gpuE7ELNS1_3repE0EEENS1_30default_config_static_selectorELNS0_4arch9wavefront6targetE1EEEvSY_, .Lfunc_end325-_ZN7rocprim17ROCPRIM_400000_NS6detail17trampoline_kernelINS0_14default_configENS1_27lower_bound_config_selectorIdlEEZNS1_14transform_implILb0ES3_S5_N6thrust23THRUST_200600_302600_NS6detail15normal_iteratorINS8_7pointerIdNS8_11hip_rocprim5par_tENS8_11use_defaultESE_EEEENSA_INSB_IlSD_SE_SE_EEEEZNS1_13binary_searchIS3_S5_NSA_INS8_10device_ptrIdEEEESG_SI_NS1_21lower_bound_search_opENS9_16wrapped_functionINS8_6system6detail7generic6detail18binary_search_lessEbEEEE10hipError_tPvRmT1_T2_T3_mmT4_T5_P12ihipStream_tbEUlRKdE_EESV_SZ_S10_mS11_S14_bEUlT_E_NS1_11comp_targetILNS1_3genE3ELNS1_11target_archE908ELNS1_3gpuE7ELNS1_3repE0EEENS1_30default_config_static_selectorELNS0_4arch9wavefront6targetE1EEEvSY_
                                        ; -- End function
	.set _ZN7rocprim17ROCPRIM_400000_NS6detail17trampoline_kernelINS0_14default_configENS1_27lower_bound_config_selectorIdlEEZNS1_14transform_implILb0ES3_S5_N6thrust23THRUST_200600_302600_NS6detail15normal_iteratorINS8_7pointerIdNS8_11hip_rocprim5par_tENS8_11use_defaultESE_EEEENSA_INSB_IlSD_SE_SE_EEEEZNS1_13binary_searchIS3_S5_NSA_INS8_10device_ptrIdEEEESG_SI_NS1_21lower_bound_search_opENS9_16wrapped_functionINS8_6system6detail7generic6detail18binary_search_lessEbEEEE10hipError_tPvRmT1_T2_T3_mmT4_T5_P12ihipStream_tbEUlRKdE_EESV_SZ_S10_mS11_S14_bEUlT_E_NS1_11comp_targetILNS1_3genE3ELNS1_11target_archE908ELNS1_3gpuE7ELNS1_3repE0EEENS1_30default_config_static_selectorELNS0_4arch9wavefront6targetE1EEEvSY_.num_vgpr, 0
	.set _ZN7rocprim17ROCPRIM_400000_NS6detail17trampoline_kernelINS0_14default_configENS1_27lower_bound_config_selectorIdlEEZNS1_14transform_implILb0ES3_S5_N6thrust23THRUST_200600_302600_NS6detail15normal_iteratorINS8_7pointerIdNS8_11hip_rocprim5par_tENS8_11use_defaultESE_EEEENSA_INSB_IlSD_SE_SE_EEEEZNS1_13binary_searchIS3_S5_NSA_INS8_10device_ptrIdEEEESG_SI_NS1_21lower_bound_search_opENS9_16wrapped_functionINS8_6system6detail7generic6detail18binary_search_lessEbEEEE10hipError_tPvRmT1_T2_T3_mmT4_T5_P12ihipStream_tbEUlRKdE_EESV_SZ_S10_mS11_S14_bEUlT_E_NS1_11comp_targetILNS1_3genE3ELNS1_11target_archE908ELNS1_3gpuE7ELNS1_3repE0EEENS1_30default_config_static_selectorELNS0_4arch9wavefront6targetE1EEEvSY_.num_agpr, 0
	.set _ZN7rocprim17ROCPRIM_400000_NS6detail17trampoline_kernelINS0_14default_configENS1_27lower_bound_config_selectorIdlEEZNS1_14transform_implILb0ES3_S5_N6thrust23THRUST_200600_302600_NS6detail15normal_iteratorINS8_7pointerIdNS8_11hip_rocprim5par_tENS8_11use_defaultESE_EEEENSA_INSB_IlSD_SE_SE_EEEEZNS1_13binary_searchIS3_S5_NSA_INS8_10device_ptrIdEEEESG_SI_NS1_21lower_bound_search_opENS9_16wrapped_functionINS8_6system6detail7generic6detail18binary_search_lessEbEEEE10hipError_tPvRmT1_T2_T3_mmT4_T5_P12ihipStream_tbEUlRKdE_EESV_SZ_S10_mS11_S14_bEUlT_E_NS1_11comp_targetILNS1_3genE3ELNS1_11target_archE908ELNS1_3gpuE7ELNS1_3repE0EEENS1_30default_config_static_selectorELNS0_4arch9wavefront6targetE1EEEvSY_.numbered_sgpr, 0
	.set _ZN7rocprim17ROCPRIM_400000_NS6detail17trampoline_kernelINS0_14default_configENS1_27lower_bound_config_selectorIdlEEZNS1_14transform_implILb0ES3_S5_N6thrust23THRUST_200600_302600_NS6detail15normal_iteratorINS8_7pointerIdNS8_11hip_rocprim5par_tENS8_11use_defaultESE_EEEENSA_INSB_IlSD_SE_SE_EEEEZNS1_13binary_searchIS3_S5_NSA_INS8_10device_ptrIdEEEESG_SI_NS1_21lower_bound_search_opENS9_16wrapped_functionINS8_6system6detail7generic6detail18binary_search_lessEbEEEE10hipError_tPvRmT1_T2_T3_mmT4_T5_P12ihipStream_tbEUlRKdE_EESV_SZ_S10_mS11_S14_bEUlT_E_NS1_11comp_targetILNS1_3genE3ELNS1_11target_archE908ELNS1_3gpuE7ELNS1_3repE0EEENS1_30default_config_static_selectorELNS0_4arch9wavefront6targetE1EEEvSY_.num_named_barrier, 0
	.set _ZN7rocprim17ROCPRIM_400000_NS6detail17trampoline_kernelINS0_14default_configENS1_27lower_bound_config_selectorIdlEEZNS1_14transform_implILb0ES3_S5_N6thrust23THRUST_200600_302600_NS6detail15normal_iteratorINS8_7pointerIdNS8_11hip_rocprim5par_tENS8_11use_defaultESE_EEEENSA_INSB_IlSD_SE_SE_EEEEZNS1_13binary_searchIS3_S5_NSA_INS8_10device_ptrIdEEEESG_SI_NS1_21lower_bound_search_opENS9_16wrapped_functionINS8_6system6detail7generic6detail18binary_search_lessEbEEEE10hipError_tPvRmT1_T2_T3_mmT4_T5_P12ihipStream_tbEUlRKdE_EESV_SZ_S10_mS11_S14_bEUlT_E_NS1_11comp_targetILNS1_3genE3ELNS1_11target_archE908ELNS1_3gpuE7ELNS1_3repE0EEENS1_30default_config_static_selectorELNS0_4arch9wavefront6targetE1EEEvSY_.private_seg_size, 0
	.set _ZN7rocprim17ROCPRIM_400000_NS6detail17trampoline_kernelINS0_14default_configENS1_27lower_bound_config_selectorIdlEEZNS1_14transform_implILb0ES3_S5_N6thrust23THRUST_200600_302600_NS6detail15normal_iteratorINS8_7pointerIdNS8_11hip_rocprim5par_tENS8_11use_defaultESE_EEEENSA_INSB_IlSD_SE_SE_EEEEZNS1_13binary_searchIS3_S5_NSA_INS8_10device_ptrIdEEEESG_SI_NS1_21lower_bound_search_opENS9_16wrapped_functionINS8_6system6detail7generic6detail18binary_search_lessEbEEEE10hipError_tPvRmT1_T2_T3_mmT4_T5_P12ihipStream_tbEUlRKdE_EESV_SZ_S10_mS11_S14_bEUlT_E_NS1_11comp_targetILNS1_3genE3ELNS1_11target_archE908ELNS1_3gpuE7ELNS1_3repE0EEENS1_30default_config_static_selectorELNS0_4arch9wavefront6targetE1EEEvSY_.uses_vcc, 0
	.set _ZN7rocprim17ROCPRIM_400000_NS6detail17trampoline_kernelINS0_14default_configENS1_27lower_bound_config_selectorIdlEEZNS1_14transform_implILb0ES3_S5_N6thrust23THRUST_200600_302600_NS6detail15normal_iteratorINS8_7pointerIdNS8_11hip_rocprim5par_tENS8_11use_defaultESE_EEEENSA_INSB_IlSD_SE_SE_EEEEZNS1_13binary_searchIS3_S5_NSA_INS8_10device_ptrIdEEEESG_SI_NS1_21lower_bound_search_opENS9_16wrapped_functionINS8_6system6detail7generic6detail18binary_search_lessEbEEEE10hipError_tPvRmT1_T2_T3_mmT4_T5_P12ihipStream_tbEUlRKdE_EESV_SZ_S10_mS11_S14_bEUlT_E_NS1_11comp_targetILNS1_3genE3ELNS1_11target_archE908ELNS1_3gpuE7ELNS1_3repE0EEENS1_30default_config_static_selectorELNS0_4arch9wavefront6targetE1EEEvSY_.uses_flat_scratch, 0
	.set _ZN7rocprim17ROCPRIM_400000_NS6detail17trampoline_kernelINS0_14default_configENS1_27lower_bound_config_selectorIdlEEZNS1_14transform_implILb0ES3_S5_N6thrust23THRUST_200600_302600_NS6detail15normal_iteratorINS8_7pointerIdNS8_11hip_rocprim5par_tENS8_11use_defaultESE_EEEENSA_INSB_IlSD_SE_SE_EEEEZNS1_13binary_searchIS3_S5_NSA_INS8_10device_ptrIdEEEESG_SI_NS1_21lower_bound_search_opENS9_16wrapped_functionINS8_6system6detail7generic6detail18binary_search_lessEbEEEE10hipError_tPvRmT1_T2_T3_mmT4_T5_P12ihipStream_tbEUlRKdE_EESV_SZ_S10_mS11_S14_bEUlT_E_NS1_11comp_targetILNS1_3genE3ELNS1_11target_archE908ELNS1_3gpuE7ELNS1_3repE0EEENS1_30default_config_static_selectorELNS0_4arch9wavefront6targetE1EEEvSY_.has_dyn_sized_stack, 0
	.set _ZN7rocprim17ROCPRIM_400000_NS6detail17trampoline_kernelINS0_14default_configENS1_27lower_bound_config_selectorIdlEEZNS1_14transform_implILb0ES3_S5_N6thrust23THRUST_200600_302600_NS6detail15normal_iteratorINS8_7pointerIdNS8_11hip_rocprim5par_tENS8_11use_defaultESE_EEEENSA_INSB_IlSD_SE_SE_EEEEZNS1_13binary_searchIS3_S5_NSA_INS8_10device_ptrIdEEEESG_SI_NS1_21lower_bound_search_opENS9_16wrapped_functionINS8_6system6detail7generic6detail18binary_search_lessEbEEEE10hipError_tPvRmT1_T2_T3_mmT4_T5_P12ihipStream_tbEUlRKdE_EESV_SZ_S10_mS11_S14_bEUlT_E_NS1_11comp_targetILNS1_3genE3ELNS1_11target_archE908ELNS1_3gpuE7ELNS1_3repE0EEENS1_30default_config_static_selectorELNS0_4arch9wavefront6targetE1EEEvSY_.has_recursion, 0
	.set _ZN7rocprim17ROCPRIM_400000_NS6detail17trampoline_kernelINS0_14default_configENS1_27lower_bound_config_selectorIdlEEZNS1_14transform_implILb0ES3_S5_N6thrust23THRUST_200600_302600_NS6detail15normal_iteratorINS8_7pointerIdNS8_11hip_rocprim5par_tENS8_11use_defaultESE_EEEENSA_INSB_IlSD_SE_SE_EEEEZNS1_13binary_searchIS3_S5_NSA_INS8_10device_ptrIdEEEESG_SI_NS1_21lower_bound_search_opENS9_16wrapped_functionINS8_6system6detail7generic6detail18binary_search_lessEbEEEE10hipError_tPvRmT1_T2_T3_mmT4_T5_P12ihipStream_tbEUlRKdE_EESV_SZ_S10_mS11_S14_bEUlT_E_NS1_11comp_targetILNS1_3genE3ELNS1_11target_archE908ELNS1_3gpuE7ELNS1_3repE0EEENS1_30default_config_static_selectorELNS0_4arch9wavefront6targetE1EEEvSY_.has_indirect_call, 0
	.section	.AMDGPU.csdata,"",@progbits
; Kernel info:
; codeLenInByte = 0
; TotalNumSgprs: 4
; NumVgprs: 0
; ScratchSize: 0
; MemoryBound: 0
; FloatMode: 240
; IeeeMode: 1
; LDSByteSize: 0 bytes/workgroup (compile time only)
; SGPRBlocks: 0
; VGPRBlocks: 0
; NumSGPRsForWavesPerEU: 4
; NumVGPRsForWavesPerEU: 1
; Occupancy: 10
; WaveLimiterHint : 0
; COMPUTE_PGM_RSRC2:SCRATCH_EN: 0
; COMPUTE_PGM_RSRC2:USER_SGPR: 6
; COMPUTE_PGM_RSRC2:TRAP_HANDLER: 0
; COMPUTE_PGM_RSRC2:TGID_X_EN: 1
; COMPUTE_PGM_RSRC2:TGID_Y_EN: 0
; COMPUTE_PGM_RSRC2:TGID_Z_EN: 0
; COMPUTE_PGM_RSRC2:TIDIG_COMP_CNT: 0
	.section	.text._ZN7rocprim17ROCPRIM_400000_NS6detail17trampoline_kernelINS0_14default_configENS1_27lower_bound_config_selectorIdlEEZNS1_14transform_implILb0ES3_S5_N6thrust23THRUST_200600_302600_NS6detail15normal_iteratorINS8_7pointerIdNS8_11hip_rocprim5par_tENS8_11use_defaultESE_EEEENSA_INSB_IlSD_SE_SE_EEEEZNS1_13binary_searchIS3_S5_NSA_INS8_10device_ptrIdEEEESG_SI_NS1_21lower_bound_search_opENS9_16wrapped_functionINS8_6system6detail7generic6detail18binary_search_lessEbEEEE10hipError_tPvRmT1_T2_T3_mmT4_T5_P12ihipStream_tbEUlRKdE_EESV_SZ_S10_mS11_S14_bEUlT_E_NS1_11comp_targetILNS1_3genE2ELNS1_11target_archE906ELNS1_3gpuE6ELNS1_3repE0EEENS1_30default_config_static_selectorELNS0_4arch9wavefront6targetE1EEEvSY_,"axG",@progbits,_ZN7rocprim17ROCPRIM_400000_NS6detail17trampoline_kernelINS0_14default_configENS1_27lower_bound_config_selectorIdlEEZNS1_14transform_implILb0ES3_S5_N6thrust23THRUST_200600_302600_NS6detail15normal_iteratorINS8_7pointerIdNS8_11hip_rocprim5par_tENS8_11use_defaultESE_EEEENSA_INSB_IlSD_SE_SE_EEEEZNS1_13binary_searchIS3_S5_NSA_INS8_10device_ptrIdEEEESG_SI_NS1_21lower_bound_search_opENS9_16wrapped_functionINS8_6system6detail7generic6detail18binary_search_lessEbEEEE10hipError_tPvRmT1_T2_T3_mmT4_T5_P12ihipStream_tbEUlRKdE_EESV_SZ_S10_mS11_S14_bEUlT_E_NS1_11comp_targetILNS1_3genE2ELNS1_11target_archE906ELNS1_3gpuE6ELNS1_3repE0EEENS1_30default_config_static_selectorELNS0_4arch9wavefront6targetE1EEEvSY_,comdat
	.protected	_ZN7rocprim17ROCPRIM_400000_NS6detail17trampoline_kernelINS0_14default_configENS1_27lower_bound_config_selectorIdlEEZNS1_14transform_implILb0ES3_S5_N6thrust23THRUST_200600_302600_NS6detail15normal_iteratorINS8_7pointerIdNS8_11hip_rocprim5par_tENS8_11use_defaultESE_EEEENSA_INSB_IlSD_SE_SE_EEEEZNS1_13binary_searchIS3_S5_NSA_INS8_10device_ptrIdEEEESG_SI_NS1_21lower_bound_search_opENS9_16wrapped_functionINS8_6system6detail7generic6detail18binary_search_lessEbEEEE10hipError_tPvRmT1_T2_T3_mmT4_T5_P12ihipStream_tbEUlRKdE_EESV_SZ_S10_mS11_S14_bEUlT_E_NS1_11comp_targetILNS1_3genE2ELNS1_11target_archE906ELNS1_3gpuE6ELNS1_3repE0EEENS1_30default_config_static_selectorELNS0_4arch9wavefront6targetE1EEEvSY_ ; -- Begin function _ZN7rocprim17ROCPRIM_400000_NS6detail17trampoline_kernelINS0_14default_configENS1_27lower_bound_config_selectorIdlEEZNS1_14transform_implILb0ES3_S5_N6thrust23THRUST_200600_302600_NS6detail15normal_iteratorINS8_7pointerIdNS8_11hip_rocprim5par_tENS8_11use_defaultESE_EEEENSA_INSB_IlSD_SE_SE_EEEEZNS1_13binary_searchIS3_S5_NSA_INS8_10device_ptrIdEEEESG_SI_NS1_21lower_bound_search_opENS9_16wrapped_functionINS8_6system6detail7generic6detail18binary_search_lessEbEEEE10hipError_tPvRmT1_T2_T3_mmT4_T5_P12ihipStream_tbEUlRKdE_EESV_SZ_S10_mS11_S14_bEUlT_E_NS1_11comp_targetILNS1_3genE2ELNS1_11target_archE906ELNS1_3gpuE6ELNS1_3repE0EEENS1_30default_config_static_selectorELNS0_4arch9wavefront6targetE1EEEvSY_
	.globl	_ZN7rocprim17ROCPRIM_400000_NS6detail17trampoline_kernelINS0_14default_configENS1_27lower_bound_config_selectorIdlEEZNS1_14transform_implILb0ES3_S5_N6thrust23THRUST_200600_302600_NS6detail15normal_iteratorINS8_7pointerIdNS8_11hip_rocprim5par_tENS8_11use_defaultESE_EEEENSA_INSB_IlSD_SE_SE_EEEEZNS1_13binary_searchIS3_S5_NSA_INS8_10device_ptrIdEEEESG_SI_NS1_21lower_bound_search_opENS9_16wrapped_functionINS8_6system6detail7generic6detail18binary_search_lessEbEEEE10hipError_tPvRmT1_T2_T3_mmT4_T5_P12ihipStream_tbEUlRKdE_EESV_SZ_S10_mS11_S14_bEUlT_E_NS1_11comp_targetILNS1_3genE2ELNS1_11target_archE906ELNS1_3gpuE6ELNS1_3repE0EEENS1_30default_config_static_selectorELNS0_4arch9wavefront6targetE1EEEvSY_
	.p2align	8
	.type	_ZN7rocprim17ROCPRIM_400000_NS6detail17trampoline_kernelINS0_14default_configENS1_27lower_bound_config_selectorIdlEEZNS1_14transform_implILb0ES3_S5_N6thrust23THRUST_200600_302600_NS6detail15normal_iteratorINS8_7pointerIdNS8_11hip_rocprim5par_tENS8_11use_defaultESE_EEEENSA_INSB_IlSD_SE_SE_EEEEZNS1_13binary_searchIS3_S5_NSA_INS8_10device_ptrIdEEEESG_SI_NS1_21lower_bound_search_opENS9_16wrapped_functionINS8_6system6detail7generic6detail18binary_search_lessEbEEEE10hipError_tPvRmT1_T2_T3_mmT4_T5_P12ihipStream_tbEUlRKdE_EESV_SZ_S10_mS11_S14_bEUlT_E_NS1_11comp_targetILNS1_3genE2ELNS1_11target_archE906ELNS1_3gpuE6ELNS1_3repE0EEENS1_30default_config_static_selectorELNS0_4arch9wavefront6targetE1EEEvSY_,@function
_ZN7rocprim17ROCPRIM_400000_NS6detail17trampoline_kernelINS0_14default_configENS1_27lower_bound_config_selectorIdlEEZNS1_14transform_implILb0ES3_S5_N6thrust23THRUST_200600_302600_NS6detail15normal_iteratorINS8_7pointerIdNS8_11hip_rocprim5par_tENS8_11use_defaultESE_EEEENSA_INSB_IlSD_SE_SE_EEEEZNS1_13binary_searchIS3_S5_NSA_INS8_10device_ptrIdEEEESG_SI_NS1_21lower_bound_search_opENS9_16wrapped_functionINS8_6system6detail7generic6detail18binary_search_lessEbEEEE10hipError_tPvRmT1_T2_T3_mmT4_T5_P12ihipStream_tbEUlRKdE_EESV_SZ_S10_mS11_S14_bEUlT_E_NS1_11comp_targetILNS1_3genE2ELNS1_11target_archE906ELNS1_3gpuE6ELNS1_3repE0EEENS1_30default_config_static_selectorELNS0_4arch9wavefront6targetE1EEEvSY_: ; @_ZN7rocprim17ROCPRIM_400000_NS6detail17trampoline_kernelINS0_14default_configENS1_27lower_bound_config_selectorIdlEEZNS1_14transform_implILb0ES3_S5_N6thrust23THRUST_200600_302600_NS6detail15normal_iteratorINS8_7pointerIdNS8_11hip_rocprim5par_tENS8_11use_defaultESE_EEEENSA_INSB_IlSD_SE_SE_EEEEZNS1_13binary_searchIS3_S5_NSA_INS8_10device_ptrIdEEEESG_SI_NS1_21lower_bound_search_opENS9_16wrapped_functionINS8_6system6detail7generic6detail18binary_search_lessEbEEEE10hipError_tPvRmT1_T2_T3_mmT4_T5_P12ihipStream_tbEUlRKdE_EESV_SZ_S10_mS11_S14_bEUlT_E_NS1_11comp_targetILNS1_3genE2ELNS1_11target_archE906ELNS1_3gpuE6ELNS1_3repE0EEENS1_30default_config_static_selectorELNS0_4arch9wavefront6targetE1EEEvSY_
; %bb.0:
	s_load_dwordx4 s[0:3], s[4:5], 0x0
	s_load_dwordx4 s[8:11], s[4:5], 0x18
	s_load_dwordx2 s[12:13], s[4:5], 0x28
	s_load_dword s17, s[4:5], 0x38
	s_waitcnt lgkmcnt(0)
	s_lshl_b64 s[2:3], s[2:3], 3
	s_add_u32 s7, s0, s2
	s_addc_u32 s16, s1, s3
	s_add_u32 s14, s8, s2
	s_addc_u32 s15, s9, s3
	s_lshl_b32 s8, s6, 8
	s_add_i32 s17, s17, -1
	s_mov_b32 s9, 0
	s_cmp_lg_u32 s6, s17
	s_mov_b64 s[0:1], -1
	s_cbranch_scc0 .LBB326_7
; %bb.1:
	s_cmp_eq_u64 s[12:13], 0
	s_mov_b64 s[2:3], 0
	s_cbranch_scc1 .LBB326_5
; %bb.2:
	s_lshl_b64 s[0:1], s[8:9], 3
	s_add_u32 s0, s7, s0
	s_addc_u32 s1, s16, s1
	v_lshlrev_b32_e32 v1, 3, v0
	v_mov_b32_e32 v2, s1
	v_add_co_u32_e32 v1, vcc, s0, v1
	v_addc_co_u32_e32 v2, vcc, 0, v2, vcc
	flat_load_dwordx2 v[3:4], v[1:2]
	v_mov_b32_e32 v1, 0
	v_mov_b32_e32 v5, s12
	;; [unrolled: 1-line block ×5, first 2 shown]
.LBB326_3:                              ; =>This Inner Loop Header: Depth=1
	v_sub_co_u32_e32 v8, vcc, v5, v1
	v_subb_co_u32_e32 v9, vcc, v6, v2, vcc
	v_lshrrev_b64 v[10:11], 1, v[8:9]
	v_lshrrev_b64 v[8:9], 6, v[8:9]
	v_add_co_u32_e32 v10, vcc, v10, v1
	v_addc_co_u32_e32 v11, vcc, v11, v2, vcc
	v_add_co_u32_e32 v8, vcc, v10, v8
	v_addc_co_u32_e32 v9, vcc, v11, v9, vcc
	v_lshlrev_b64 v[10:11], 3, v[8:9]
	v_add_co_u32_e32 v10, vcc, s10, v10
	v_addc_co_u32_e32 v11, vcc, v7, v11, vcc
	global_load_dwordx2 v[10:11], v[10:11], off
	s_waitcnt vmcnt(0) lgkmcnt(0)
	v_cmp_lt_f64_e32 vcc, v[10:11], v[3:4]
	v_add_co_u32_e64 v10, s[0:1], 1, v8
	v_addc_co_u32_e64 v11, s[0:1], 0, v9, s[0:1]
	v_cndmask_b32_e32 v6, v9, v6, vcc
	v_cndmask_b32_e32 v5, v8, v5, vcc
	;; [unrolled: 1-line block ×4, first 2 shown]
	v_cmp_ge_u64_e32 vcc, v[1:2], v[5:6]
	s_or_b64 s[2:3], vcc, s[2:3]
	s_andn2_b64 exec, exec, s[2:3]
	s_cbranch_execnz .LBB326_3
; %bb.4:
	s_or_b64 exec, exec, s[2:3]
	s_branch .LBB326_6
.LBB326_5:
	v_mov_b32_e32 v1, 0
	v_mov_b32_e32 v2, 0
.LBB326_6:
	s_lshl_b64 s[0:1], s[8:9], 3
	s_add_u32 s0, s14, s0
	s_addc_u32 s1, s15, s1
	v_lshlrev_b32_e32 v3, 3, v0
	v_mov_b32_e32 v4, s1
	v_add_co_u32_e32 v3, vcc, s0, v3
	v_addc_co_u32_e32 v4, vcc, 0, v4, vcc
	s_mov_b64 s[0:1], 0
	flat_store_dwordx2 v[3:4], v[1:2]
.LBB326_7:
	s_and_b64 vcc, exec, s[0:1]
	s_cbranch_vccz .LBB326_16
; %bb.8:
	s_load_dword s0, s[4:5], 0x10
                                        ; implicit-def: $vgpr3_vgpr4
	s_waitcnt lgkmcnt(0)
	s_sub_i32 s2, s0, s8
	v_cmp_le_u32_e64 s[0:1], s2, v0
	v_cmp_gt_u32_e32 vcc, s2, v0
	s_and_saveexec_b64 s[4:5], vcc
	s_cbranch_execz .LBB326_10
; %bb.9:
	s_lshl_b64 s[2:3], s[8:9], 3
	s_add_u32 s2, s7, s2
	s_addc_u32 s3, s16, s3
	v_lshlrev_b32_e32 v1, 3, v0
	v_mov_b32_e32 v2, s3
	v_add_co_u32_e64 v1, s[2:3], s2, v1
	v_addc_co_u32_e64 v2, s[2:3], 0, v2, s[2:3]
	flat_load_dwordx2 v[3:4], v[1:2]
.LBB326_10:
	s_or_b64 exec, exec, s[4:5]
	s_cmp_lg_u64 s[12:13], 0
	s_cselect_b64 s[2:3], -1, 0
	s_xor_b64 s[0:1], s[0:1], -1
	v_mov_b32_e32 v1, 0
	s_mov_b64 s[4:5], 0
	v_mov_b32_e32 v2, 0
	s_and_b64 s[0:1], s[0:1], s[2:3]
	s_and_saveexec_b64 s[6:7], s[0:1]
	s_cbranch_execz .LBB326_14
; %bb.11:
	v_mov_b32_e32 v1, 0
	v_mov_b32_e32 v5, s12
	v_mov_b32_e32 v2, 0
	v_mov_b32_e32 v6, s13
	v_mov_b32_e32 v7, s11
.LBB326_12:                             ; =>This Inner Loop Header: Depth=1
	v_sub_co_u32_e64 v8, s[0:1], v5, v1
	v_subb_co_u32_e64 v9, s[0:1], v6, v2, s[0:1]
	v_lshrrev_b64 v[10:11], 1, v[8:9]
	v_lshrrev_b64 v[8:9], 6, v[8:9]
	v_add_co_u32_e64 v10, s[0:1], v10, v1
	v_addc_co_u32_e64 v11, s[0:1], v11, v2, s[0:1]
	v_add_co_u32_e64 v8, s[0:1], v10, v8
	v_addc_co_u32_e64 v9, s[0:1], v11, v9, s[0:1]
	v_lshlrev_b64 v[10:11], 3, v[8:9]
	v_add_co_u32_e64 v10, s[0:1], s10, v10
	v_addc_co_u32_e64 v11, s[0:1], v7, v11, s[0:1]
	global_load_dwordx2 v[10:11], v[10:11], off
	s_waitcnt vmcnt(0) lgkmcnt(0)
	v_cmp_lt_f64_e64 s[0:1], v[10:11], v[3:4]
	v_add_co_u32_e64 v10, s[2:3], 1, v8
	v_addc_co_u32_e64 v11, s[2:3], 0, v9, s[2:3]
	v_cndmask_b32_e64 v6, v9, v6, s[0:1]
	v_cndmask_b32_e64 v5, v8, v5, s[0:1]
	;; [unrolled: 1-line block ×4, first 2 shown]
	v_cmp_ge_u64_e64 s[0:1], v[1:2], v[5:6]
	s_or_b64 s[4:5], s[0:1], s[4:5]
	s_andn2_b64 exec, exec, s[4:5]
	s_cbranch_execnz .LBB326_12
; %bb.13:
	s_or_b64 exec, exec, s[4:5]
.LBB326_14:
	s_or_b64 exec, exec, s[6:7]
	s_and_saveexec_b64 s[0:1], vcc
	s_cbranch_execz .LBB326_16
; %bb.15:
	s_lshl_b64 s[0:1], s[8:9], 3
	s_add_u32 s0, s14, s0
	s_addc_u32 s1, s15, s1
	v_lshlrev_b32_e32 v0, 3, v0
	s_waitcnt vmcnt(0) lgkmcnt(0)
	v_mov_b32_e32 v4, s1
	v_add_co_u32_e32 v3, vcc, s0, v0
	v_addc_co_u32_e32 v4, vcc, 0, v4, vcc
	flat_store_dwordx2 v[3:4], v[1:2]
.LBB326_16:
	s_endpgm
	.section	.rodata,"a",@progbits
	.p2align	6, 0x0
	.amdhsa_kernel _ZN7rocprim17ROCPRIM_400000_NS6detail17trampoline_kernelINS0_14default_configENS1_27lower_bound_config_selectorIdlEEZNS1_14transform_implILb0ES3_S5_N6thrust23THRUST_200600_302600_NS6detail15normal_iteratorINS8_7pointerIdNS8_11hip_rocprim5par_tENS8_11use_defaultESE_EEEENSA_INSB_IlSD_SE_SE_EEEEZNS1_13binary_searchIS3_S5_NSA_INS8_10device_ptrIdEEEESG_SI_NS1_21lower_bound_search_opENS9_16wrapped_functionINS8_6system6detail7generic6detail18binary_search_lessEbEEEE10hipError_tPvRmT1_T2_T3_mmT4_T5_P12ihipStream_tbEUlRKdE_EESV_SZ_S10_mS11_S14_bEUlT_E_NS1_11comp_targetILNS1_3genE2ELNS1_11target_archE906ELNS1_3gpuE6ELNS1_3repE0EEENS1_30default_config_static_selectorELNS0_4arch9wavefront6targetE1EEEvSY_
		.amdhsa_group_segment_fixed_size 0
		.amdhsa_private_segment_fixed_size 0
		.amdhsa_kernarg_size 312
		.amdhsa_user_sgpr_count 6
		.amdhsa_user_sgpr_private_segment_buffer 1
		.amdhsa_user_sgpr_dispatch_ptr 0
		.amdhsa_user_sgpr_queue_ptr 0
		.amdhsa_user_sgpr_kernarg_segment_ptr 1
		.amdhsa_user_sgpr_dispatch_id 0
		.amdhsa_user_sgpr_flat_scratch_init 0
		.amdhsa_user_sgpr_private_segment_size 0
		.amdhsa_uses_dynamic_stack 0
		.amdhsa_system_sgpr_private_segment_wavefront_offset 0
		.amdhsa_system_sgpr_workgroup_id_x 1
		.amdhsa_system_sgpr_workgroup_id_y 0
		.amdhsa_system_sgpr_workgroup_id_z 0
		.amdhsa_system_sgpr_workgroup_info 0
		.amdhsa_system_vgpr_workitem_id 0
		.amdhsa_next_free_vgpr 12
		.amdhsa_next_free_sgpr 18
		.amdhsa_reserve_vcc 1
		.amdhsa_reserve_flat_scratch 0
		.amdhsa_float_round_mode_32 0
		.amdhsa_float_round_mode_16_64 0
		.amdhsa_float_denorm_mode_32 3
		.amdhsa_float_denorm_mode_16_64 3
		.amdhsa_dx10_clamp 1
		.amdhsa_ieee_mode 1
		.amdhsa_fp16_overflow 0
		.amdhsa_exception_fp_ieee_invalid_op 0
		.amdhsa_exception_fp_denorm_src 0
		.amdhsa_exception_fp_ieee_div_zero 0
		.amdhsa_exception_fp_ieee_overflow 0
		.amdhsa_exception_fp_ieee_underflow 0
		.amdhsa_exception_fp_ieee_inexact 0
		.amdhsa_exception_int_div_zero 0
	.end_amdhsa_kernel
	.section	.text._ZN7rocprim17ROCPRIM_400000_NS6detail17trampoline_kernelINS0_14default_configENS1_27lower_bound_config_selectorIdlEEZNS1_14transform_implILb0ES3_S5_N6thrust23THRUST_200600_302600_NS6detail15normal_iteratorINS8_7pointerIdNS8_11hip_rocprim5par_tENS8_11use_defaultESE_EEEENSA_INSB_IlSD_SE_SE_EEEEZNS1_13binary_searchIS3_S5_NSA_INS8_10device_ptrIdEEEESG_SI_NS1_21lower_bound_search_opENS9_16wrapped_functionINS8_6system6detail7generic6detail18binary_search_lessEbEEEE10hipError_tPvRmT1_T2_T3_mmT4_T5_P12ihipStream_tbEUlRKdE_EESV_SZ_S10_mS11_S14_bEUlT_E_NS1_11comp_targetILNS1_3genE2ELNS1_11target_archE906ELNS1_3gpuE6ELNS1_3repE0EEENS1_30default_config_static_selectorELNS0_4arch9wavefront6targetE1EEEvSY_,"axG",@progbits,_ZN7rocprim17ROCPRIM_400000_NS6detail17trampoline_kernelINS0_14default_configENS1_27lower_bound_config_selectorIdlEEZNS1_14transform_implILb0ES3_S5_N6thrust23THRUST_200600_302600_NS6detail15normal_iteratorINS8_7pointerIdNS8_11hip_rocprim5par_tENS8_11use_defaultESE_EEEENSA_INSB_IlSD_SE_SE_EEEEZNS1_13binary_searchIS3_S5_NSA_INS8_10device_ptrIdEEEESG_SI_NS1_21lower_bound_search_opENS9_16wrapped_functionINS8_6system6detail7generic6detail18binary_search_lessEbEEEE10hipError_tPvRmT1_T2_T3_mmT4_T5_P12ihipStream_tbEUlRKdE_EESV_SZ_S10_mS11_S14_bEUlT_E_NS1_11comp_targetILNS1_3genE2ELNS1_11target_archE906ELNS1_3gpuE6ELNS1_3repE0EEENS1_30default_config_static_selectorELNS0_4arch9wavefront6targetE1EEEvSY_,comdat
.Lfunc_end326:
	.size	_ZN7rocprim17ROCPRIM_400000_NS6detail17trampoline_kernelINS0_14default_configENS1_27lower_bound_config_selectorIdlEEZNS1_14transform_implILb0ES3_S5_N6thrust23THRUST_200600_302600_NS6detail15normal_iteratorINS8_7pointerIdNS8_11hip_rocprim5par_tENS8_11use_defaultESE_EEEENSA_INSB_IlSD_SE_SE_EEEEZNS1_13binary_searchIS3_S5_NSA_INS8_10device_ptrIdEEEESG_SI_NS1_21lower_bound_search_opENS9_16wrapped_functionINS8_6system6detail7generic6detail18binary_search_lessEbEEEE10hipError_tPvRmT1_T2_T3_mmT4_T5_P12ihipStream_tbEUlRKdE_EESV_SZ_S10_mS11_S14_bEUlT_E_NS1_11comp_targetILNS1_3genE2ELNS1_11target_archE906ELNS1_3gpuE6ELNS1_3repE0EEENS1_30default_config_static_selectorELNS0_4arch9wavefront6targetE1EEEvSY_, .Lfunc_end326-_ZN7rocprim17ROCPRIM_400000_NS6detail17trampoline_kernelINS0_14default_configENS1_27lower_bound_config_selectorIdlEEZNS1_14transform_implILb0ES3_S5_N6thrust23THRUST_200600_302600_NS6detail15normal_iteratorINS8_7pointerIdNS8_11hip_rocprim5par_tENS8_11use_defaultESE_EEEENSA_INSB_IlSD_SE_SE_EEEEZNS1_13binary_searchIS3_S5_NSA_INS8_10device_ptrIdEEEESG_SI_NS1_21lower_bound_search_opENS9_16wrapped_functionINS8_6system6detail7generic6detail18binary_search_lessEbEEEE10hipError_tPvRmT1_T2_T3_mmT4_T5_P12ihipStream_tbEUlRKdE_EESV_SZ_S10_mS11_S14_bEUlT_E_NS1_11comp_targetILNS1_3genE2ELNS1_11target_archE906ELNS1_3gpuE6ELNS1_3repE0EEENS1_30default_config_static_selectorELNS0_4arch9wavefront6targetE1EEEvSY_
                                        ; -- End function
	.set _ZN7rocprim17ROCPRIM_400000_NS6detail17trampoline_kernelINS0_14default_configENS1_27lower_bound_config_selectorIdlEEZNS1_14transform_implILb0ES3_S5_N6thrust23THRUST_200600_302600_NS6detail15normal_iteratorINS8_7pointerIdNS8_11hip_rocprim5par_tENS8_11use_defaultESE_EEEENSA_INSB_IlSD_SE_SE_EEEEZNS1_13binary_searchIS3_S5_NSA_INS8_10device_ptrIdEEEESG_SI_NS1_21lower_bound_search_opENS9_16wrapped_functionINS8_6system6detail7generic6detail18binary_search_lessEbEEEE10hipError_tPvRmT1_T2_T3_mmT4_T5_P12ihipStream_tbEUlRKdE_EESV_SZ_S10_mS11_S14_bEUlT_E_NS1_11comp_targetILNS1_3genE2ELNS1_11target_archE906ELNS1_3gpuE6ELNS1_3repE0EEENS1_30default_config_static_selectorELNS0_4arch9wavefront6targetE1EEEvSY_.num_vgpr, 12
	.set _ZN7rocprim17ROCPRIM_400000_NS6detail17trampoline_kernelINS0_14default_configENS1_27lower_bound_config_selectorIdlEEZNS1_14transform_implILb0ES3_S5_N6thrust23THRUST_200600_302600_NS6detail15normal_iteratorINS8_7pointerIdNS8_11hip_rocprim5par_tENS8_11use_defaultESE_EEEENSA_INSB_IlSD_SE_SE_EEEEZNS1_13binary_searchIS3_S5_NSA_INS8_10device_ptrIdEEEESG_SI_NS1_21lower_bound_search_opENS9_16wrapped_functionINS8_6system6detail7generic6detail18binary_search_lessEbEEEE10hipError_tPvRmT1_T2_T3_mmT4_T5_P12ihipStream_tbEUlRKdE_EESV_SZ_S10_mS11_S14_bEUlT_E_NS1_11comp_targetILNS1_3genE2ELNS1_11target_archE906ELNS1_3gpuE6ELNS1_3repE0EEENS1_30default_config_static_selectorELNS0_4arch9wavefront6targetE1EEEvSY_.num_agpr, 0
	.set _ZN7rocprim17ROCPRIM_400000_NS6detail17trampoline_kernelINS0_14default_configENS1_27lower_bound_config_selectorIdlEEZNS1_14transform_implILb0ES3_S5_N6thrust23THRUST_200600_302600_NS6detail15normal_iteratorINS8_7pointerIdNS8_11hip_rocprim5par_tENS8_11use_defaultESE_EEEENSA_INSB_IlSD_SE_SE_EEEEZNS1_13binary_searchIS3_S5_NSA_INS8_10device_ptrIdEEEESG_SI_NS1_21lower_bound_search_opENS9_16wrapped_functionINS8_6system6detail7generic6detail18binary_search_lessEbEEEE10hipError_tPvRmT1_T2_T3_mmT4_T5_P12ihipStream_tbEUlRKdE_EESV_SZ_S10_mS11_S14_bEUlT_E_NS1_11comp_targetILNS1_3genE2ELNS1_11target_archE906ELNS1_3gpuE6ELNS1_3repE0EEENS1_30default_config_static_selectorELNS0_4arch9wavefront6targetE1EEEvSY_.numbered_sgpr, 18
	.set _ZN7rocprim17ROCPRIM_400000_NS6detail17trampoline_kernelINS0_14default_configENS1_27lower_bound_config_selectorIdlEEZNS1_14transform_implILb0ES3_S5_N6thrust23THRUST_200600_302600_NS6detail15normal_iteratorINS8_7pointerIdNS8_11hip_rocprim5par_tENS8_11use_defaultESE_EEEENSA_INSB_IlSD_SE_SE_EEEEZNS1_13binary_searchIS3_S5_NSA_INS8_10device_ptrIdEEEESG_SI_NS1_21lower_bound_search_opENS9_16wrapped_functionINS8_6system6detail7generic6detail18binary_search_lessEbEEEE10hipError_tPvRmT1_T2_T3_mmT4_T5_P12ihipStream_tbEUlRKdE_EESV_SZ_S10_mS11_S14_bEUlT_E_NS1_11comp_targetILNS1_3genE2ELNS1_11target_archE906ELNS1_3gpuE6ELNS1_3repE0EEENS1_30default_config_static_selectorELNS0_4arch9wavefront6targetE1EEEvSY_.num_named_barrier, 0
	.set _ZN7rocprim17ROCPRIM_400000_NS6detail17trampoline_kernelINS0_14default_configENS1_27lower_bound_config_selectorIdlEEZNS1_14transform_implILb0ES3_S5_N6thrust23THRUST_200600_302600_NS6detail15normal_iteratorINS8_7pointerIdNS8_11hip_rocprim5par_tENS8_11use_defaultESE_EEEENSA_INSB_IlSD_SE_SE_EEEEZNS1_13binary_searchIS3_S5_NSA_INS8_10device_ptrIdEEEESG_SI_NS1_21lower_bound_search_opENS9_16wrapped_functionINS8_6system6detail7generic6detail18binary_search_lessEbEEEE10hipError_tPvRmT1_T2_T3_mmT4_T5_P12ihipStream_tbEUlRKdE_EESV_SZ_S10_mS11_S14_bEUlT_E_NS1_11comp_targetILNS1_3genE2ELNS1_11target_archE906ELNS1_3gpuE6ELNS1_3repE0EEENS1_30default_config_static_selectorELNS0_4arch9wavefront6targetE1EEEvSY_.private_seg_size, 0
	.set _ZN7rocprim17ROCPRIM_400000_NS6detail17trampoline_kernelINS0_14default_configENS1_27lower_bound_config_selectorIdlEEZNS1_14transform_implILb0ES3_S5_N6thrust23THRUST_200600_302600_NS6detail15normal_iteratorINS8_7pointerIdNS8_11hip_rocprim5par_tENS8_11use_defaultESE_EEEENSA_INSB_IlSD_SE_SE_EEEEZNS1_13binary_searchIS3_S5_NSA_INS8_10device_ptrIdEEEESG_SI_NS1_21lower_bound_search_opENS9_16wrapped_functionINS8_6system6detail7generic6detail18binary_search_lessEbEEEE10hipError_tPvRmT1_T2_T3_mmT4_T5_P12ihipStream_tbEUlRKdE_EESV_SZ_S10_mS11_S14_bEUlT_E_NS1_11comp_targetILNS1_3genE2ELNS1_11target_archE906ELNS1_3gpuE6ELNS1_3repE0EEENS1_30default_config_static_selectorELNS0_4arch9wavefront6targetE1EEEvSY_.uses_vcc, 1
	.set _ZN7rocprim17ROCPRIM_400000_NS6detail17trampoline_kernelINS0_14default_configENS1_27lower_bound_config_selectorIdlEEZNS1_14transform_implILb0ES3_S5_N6thrust23THRUST_200600_302600_NS6detail15normal_iteratorINS8_7pointerIdNS8_11hip_rocprim5par_tENS8_11use_defaultESE_EEEENSA_INSB_IlSD_SE_SE_EEEEZNS1_13binary_searchIS3_S5_NSA_INS8_10device_ptrIdEEEESG_SI_NS1_21lower_bound_search_opENS9_16wrapped_functionINS8_6system6detail7generic6detail18binary_search_lessEbEEEE10hipError_tPvRmT1_T2_T3_mmT4_T5_P12ihipStream_tbEUlRKdE_EESV_SZ_S10_mS11_S14_bEUlT_E_NS1_11comp_targetILNS1_3genE2ELNS1_11target_archE906ELNS1_3gpuE6ELNS1_3repE0EEENS1_30default_config_static_selectorELNS0_4arch9wavefront6targetE1EEEvSY_.uses_flat_scratch, 0
	.set _ZN7rocprim17ROCPRIM_400000_NS6detail17trampoline_kernelINS0_14default_configENS1_27lower_bound_config_selectorIdlEEZNS1_14transform_implILb0ES3_S5_N6thrust23THRUST_200600_302600_NS6detail15normal_iteratorINS8_7pointerIdNS8_11hip_rocprim5par_tENS8_11use_defaultESE_EEEENSA_INSB_IlSD_SE_SE_EEEEZNS1_13binary_searchIS3_S5_NSA_INS8_10device_ptrIdEEEESG_SI_NS1_21lower_bound_search_opENS9_16wrapped_functionINS8_6system6detail7generic6detail18binary_search_lessEbEEEE10hipError_tPvRmT1_T2_T3_mmT4_T5_P12ihipStream_tbEUlRKdE_EESV_SZ_S10_mS11_S14_bEUlT_E_NS1_11comp_targetILNS1_3genE2ELNS1_11target_archE906ELNS1_3gpuE6ELNS1_3repE0EEENS1_30default_config_static_selectorELNS0_4arch9wavefront6targetE1EEEvSY_.has_dyn_sized_stack, 0
	.set _ZN7rocprim17ROCPRIM_400000_NS6detail17trampoline_kernelINS0_14default_configENS1_27lower_bound_config_selectorIdlEEZNS1_14transform_implILb0ES3_S5_N6thrust23THRUST_200600_302600_NS6detail15normal_iteratorINS8_7pointerIdNS8_11hip_rocprim5par_tENS8_11use_defaultESE_EEEENSA_INSB_IlSD_SE_SE_EEEEZNS1_13binary_searchIS3_S5_NSA_INS8_10device_ptrIdEEEESG_SI_NS1_21lower_bound_search_opENS9_16wrapped_functionINS8_6system6detail7generic6detail18binary_search_lessEbEEEE10hipError_tPvRmT1_T2_T3_mmT4_T5_P12ihipStream_tbEUlRKdE_EESV_SZ_S10_mS11_S14_bEUlT_E_NS1_11comp_targetILNS1_3genE2ELNS1_11target_archE906ELNS1_3gpuE6ELNS1_3repE0EEENS1_30default_config_static_selectorELNS0_4arch9wavefront6targetE1EEEvSY_.has_recursion, 0
	.set _ZN7rocprim17ROCPRIM_400000_NS6detail17trampoline_kernelINS0_14default_configENS1_27lower_bound_config_selectorIdlEEZNS1_14transform_implILb0ES3_S5_N6thrust23THRUST_200600_302600_NS6detail15normal_iteratorINS8_7pointerIdNS8_11hip_rocprim5par_tENS8_11use_defaultESE_EEEENSA_INSB_IlSD_SE_SE_EEEEZNS1_13binary_searchIS3_S5_NSA_INS8_10device_ptrIdEEEESG_SI_NS1_21lower_bound_search_opENS9_16wrapped_functionINS8_6system6detail7generic6detail18binary_search_lessEbEEEE10hipError_tPvRmT1_T2_T3_mmT4_T5_P12ihipStream_tbEUlRKdE_EESV_SZ_S10_mS11_S14_bEUlT_E_NS1_11comp_targetILNS1_3genE2ELNS1_11target_archE906ELNS1_3gpuE6ELNS1_3repE0EEENS1_30default_config_static_selectorELNS0_4arch9wavefront6targetE1EEEvSY_.has_indirect_call, 0
	.section	.AMDGPU.csdata,"",@progbits
; Kernel info:
; codeLenInByte = 708
; TotalNumSgprs: 22
; NumVgprs: 12
; ScratchSize: 0
; MemoryBound: 0
; FloatMode: 240
; IeeeMode: 1
; LDSByteSize: 0 bytes/workgroup (compile time only)
; SGPRBlocks: 2
; VGPRBlocks: 2
; NumSGPRsForWavesPerEU: 22
; NumVGPRsForWavesPerEU: 12
; Occupancy: 10
; WaveLimiterHint : 0
; COMPUTE_PGM_RSRC2:SCRATCH_EN: 0
; COMPUTE_PGM_RSRC2:USER_SGPR: 6
; COMPUTE_PGM_RSRC2:TRAP_HANDLER: 0
; COMPUTE_PGM_RSRC2:TGID_X_EN: 1
; COMPUTE_PGM_RSRC2:TGID_Y_EN: 0
; COMPUTE_PGM_RSRC2:TGID_Z_EN: 0
; COMPUTE_PGM_RSRC2:TIDIG_COMP_CNT: 0
	.section	.text._ZN7rocprim17ROCPRIM_400000_NS6detail17trampoline_kernelINS0_14default_configENS1_27lower_bound_config_selectorIdlEEZNS1_14transform_implILb0ES3_S5_N6thrust23THRUST_200600_302600_NS6detail15normal_iteratorINS8_7pointerIdNS8_11hip_rocprim5par_tENS8_11use_defaultESE_EEEENSA_INSB_IlSD_SE_SE_EEEEZNS1_13binary_searchIS3_S5_NSA_INS8_10device_ptrIdEEEESG_SI_NS1_21lower_bound_search_opENS9_16wrapped_functionINS8_6system6detail7generic6detail18binary_search_lessEbEEEE10hipError_tPvRmT1_T2_T3_mmT4_T5_P12ihipStream_tbEUlRKdE_EESV_SZ_S10_mS11_S14_bEUlT_E_NS1_11comp_targetILNS1_3genE10ELNS1_11target_archE1201ELNS1_3gpuE5ELNS1_3repE0EEENS1_30default_config_static_selectorELNS0_4arch9wavefront6targetE1EEEvSY_,"axG",@progbits,_ZN7rocprim17ROCPRIM_400000_NS6detail17trampoline_kernelINS0_14default_configENS1_27lower_bound_config_selectorIdlEEZNS1_14transform_implILb0ES3_S5_N6thrust23THRUST_200600_302600_NS6detail15normal_iteratorINS8_7pointerIdNS8_11hip_rocprim5par_tENS8_11use_defaultESE_EEEENSA_INSB_IlSD_SE_SE_EEEEZNS1_13binary_searchIS3_S5_NSA_INS8_10device_ptrIdEEEESG_SI_NS1_21lower_bound_search_opENS9_16wrapped_functionINS8_6system6detail7generic6detail18binary_search_lessEbEEEE10hipError_tPvRmT1_T2_T3_mmT4_T5_P12ihipStream_tbEUlRKdE_EESV_SZ_S10_mS11_S14_bEUlT_E_NS1_11comp_targetILNS1_3genE10ELNS1_11target_archE1201ELNS1_3gpuE5ELNS1_3repE0EEENS1_30default_config_static_selectorELNS0_4arch9wavefront6targetE1EEEvSY_,comdat
	.protected	_ZN7rocprim17ROCPRIM_400000_NS6detail17trampoline_kernelINS0_14default_configENS1_27lower_bound_config_selectorIdlEEZNS1_14transform_implILb0ES3_S5_N6thrust23THRUST_200600_302600_NS6detail15normal_iteratorINS8_7pointerIdNS8_11hip_rocprim5par_tENS8_11use_defaultESE_EEEENSA_INSB_IlSD_SE_SE_EEEEZNS1_13binary_searchIS3_S5_NSA_INS8_10device_ptrIdEEEESG_SI_NS1_21lower_bound_search_opENS9_16wrapped_functionINS8_6system6detail7generic6detail18binary_search_lessEbEEEE10hipError_tPvRmT1_T2_T3_mmT4_T5_P12ihipStream_tbEUlRKdE_EESV_SZ_S10_mS11_S14_bEUlT_E_NS1_11comp_targetILNS1_3genE10ELNS1_11target_archE1201ELNS1_3gpuE5ELNS1_3repE0EEENS1_30default_config_static_selectorELNS0_4arch9wavefront6targetE1EEEvSY_ ; -- Begin function _ZN7rocprim17ROCPRIM_400000_NS6detail17trampoline_kernelINS0_14default_configENS1_27lower_bound_config_selectorIdlEEZNS1_14transform_implILb0ES3_S5_N6thrust23THRUST_200600_302600_NS6detail15normal_iteratorINS8_7pointerIdNS8_11hip_rocprim5par_tENS8_11use_defaultESE_EEEENSA_INSB_IlSD_SE_SE_EEEEZNS1_13binary_searchIS3_S5_NSA_INS8_10device_ptrIdEEEESG_SI_NS1_21lower_bound_search_opENS9_16wrapped_functionINS8_6system6detail7generic6detail18binary_search_lessEbEEEE10hipError_tPvRmT1_T2_T3_mmT4_T5_P12ihipStream_tbEUlRKdE_EESV_SZ_S10_mS11_S14_bEUlT_E_NS1_11comp_targetILNS1_3genE10ELNS1_11target_archE1201ELNS1_3gpuE5ELNS1_3repE0EEENS1_30default_config_static_selectorELNS0_4arch9wavefront6targetE1EEEvSY_
	.globl	_ZN7rocprim17ROCPRIM_400000_NS6detail17trampoline_kernelINS0_14default_configENS1_27lower_bound_config_selectorIdlEEZNS1_14transform_implILb0ES3_S5_N6thrust23THRUST_200600_302600_NS6detail15normal_iteratorINS8_7pointerIdNS8_11hip_rocprim5par_tENS8_11use_defaultESE_EEEENSA_INSB_IlSD_SE_SE_EEEEZNS1_13binary_searchIS3_S5_NSA_INS8_10device_ptrIdEEEESG_SI_NS1_21lower_bound_search_opENS9_16wrapped_functionINS8_6system6detail7generic6detail18binary_search_lessEbEEEE10hipError_tPvRmT1_T2_T3_mmT4_T5_P12ihipStream_tbEUlRKdE_EESV_SZ_S10_mS11_S14_bEUlT_E_NS1_11comp_targetILNS1_3genE10ELNS1_11target_archE1201ELNS1_3gpuE5ELNS1_3repE0EEENS1_30default_config_static_selectorELNS0_4arch9wavefront6targetE1EEEvSY_
	.p2align	8
	.type	_ZN7rocprim17ROCPRIM_400000_NS6detail17trampoline_kernelINS0_14default_configENS1_27lower_bound_config_selectorIdlEEZNS1_14transform_implILb0ES3_S5_N6thrust23THRUST_200600_302600_NS6detail15normal_iteratorINS8_7pointerIdNS8_11hip_rocprim5par_tENS8_11use_defaultESE_EEEENSA_INSB_IlSD_SE_SE_EEEEZNS1_13binary_searchIS3_S5_NSA_INS8_10device_ptrIdEEEESG_SI_NS1_21lower_bound_search_opENS9_16wrapped_functionINS8_6system6detail7generic6detail18binary_search_lessEbEEEE10hipError_tPvRmT1_T2_T3_mmT4_T5_P12ihipStream_tbEUlRKdE_EESV_SZ_S10_mS11_S14_bEUlT_E_NS1_11comp_targetILNS1_3genE10ELNS1_11target_archE1201ELNS1_3gpuE5ELNS1_3repE0EEENS1_30default_config_static_selectorELNS0_4arch9wavefront6targetE1EEEvSY_,@function
_ZN7rocprim17ROCPRIM_400000_NS6detail17trampoline_kernelINS0_14default_configENS1_27lower_bound_config_selectorIdlEEZNS1_14transform_implILb0ES3_S5_N6thrust23THRUST_200600_302600_NS6detail15normal_iteratorINS8_7pointerIdNS8_11hip_rocprim5par_tENS8_11use_defaultESE_EEEENSA_INSB_IlSD_SE_SE_EEEEZNS1_13binary_searchIS3_S5_NSA_INS8_10device_ptrIdEEEESG_SI_NS1_21lower_bound_search_opENS9_16wrapped_functionINS8_6system6detail7generic6detail18binary_search_lessEbEEEE10hipError_tPvRmT1_T2_T3_mmT4_T5_P12ihipStream_tbEUlRKdE_EESV_SZ_S10_mS11_S14_bEUlT_E_NS1_11comp_targetILNS1_3genE10ELNS1_11target_archE1201ELNS1_3gpuE5ELNS1_3repE0EEENS1_30default_config_static_selectorELNS0_4arch9wavefront6targetE1EEEvSY_: ; @_ZN7rocprim17ROCPRIM_400000_NS6detail17trampoline_kernelINS0_14default_configENS1_27lower_bound_config_selectorIdlEEZNS1_14transform_implILb0ES3_S5_N6thrust23THRUST_200600_302600_NS6detail15normal_iteratorINS8_7pointerIdNS8_11hip_rocprim5par_tENS8_11use_defaultESE_EEEENSA_INSB_IlSD_SE_SE_EEEEZNS1_13binary_searchIS3_S5_NSA_INS8_10device_ptrIdEEEESG_SI_NS1_21lower_bound_search_opENS9_16wrapped_functionINS8_6system6detail7generic6detail18binary_search_lessEbEEEE10hipError_tPvRmT1_T2_T3_mmT4_T5_P12ihipStream_tbEUlRKdE_EESV_SZ_S10_mS11_S14_bEUlT_E_NS1_11comp_targetILNS1_3genE10ELNS1_11target_archE1201ELNS1_3gpuE5ELNS1_3repE0EEENS1_30default_config_static_selectorELNS0_4arch9wavefront6targetE1EEEvSY_
; %bb.0:
	.section	.rodata,"a",@progbits
	.p2align	6, 0x0
	.amdhsa_kernel _ZN7rocprim17ROCPRIM_400000_NS6detail17trampoline_kernelINS0_14default_configENS1_27lower_bound_config_selectorIdlEEZNS1_14transform_implILb0ES3_S5_N6thrust23THRUST_200600_302600_NS6detail15normal_iteratorINS8_7pointerIdNS8_11hip_rocprim5par_tENS8_11use_defaultESE_EEEENSA_INSB_IlSD_SE_SE_EEEEZNS1_13binary_searchIS3_S5_NSA_INS8_10device_ptrIdEEEESG_SI_NS1_21lower_bound_search_opENS9_16wrapped_functionINS8_6system6detail7generic6detail18binary_search_lessEbEEEE10hipError_tPvRmT1_T2_T3_mmT4_T5_P12ihipStream_tbEUlRKdE_EESV_SZ_S10_mS11_S14_bEUlT_E_NS1_11comp_targetILNS1_3genE10ELNS1_11target_archE1201ELNS1_3gpuE5ELNS1_3repE0EEENS1_30default_config_static_selectorELNS0_4arch9wavefront6targetE1EEEvSY_
		.amdhsa_group_segment_fixed_size 0
		.amdhsa_private_segment_fixed_size 0
		.amdhsa_kernarg_size 56
		.amdhsa_user_sgpr_count 6
		.amdhsa_user_sgpr_private_segment_buffer 1
		.amdhsa_user_sgpr_dispatch_ptr 0
		.amdhsa_user_sgpr_queue_ptr 0
		.amdhsa_user_sgpr_kernarg_segment_ptr 1
		.amdhsa_user_sgpr_dispatch_id 0
		.amdhsa_user_sgpr_flat_scratch_init 0
		.amdhsa_user_sgpr_private_segment_size 0
		.amdhsa_uses_dynamic_stack 0
		.amdhsa_system_sgpr_private_segment_wavefront_offset 0
		.amdhsa_system_sgpr_workgroup_id_x 1
		.amdhsa_system_sgpr_workgroup_id_y 0
		.amdhsa_system_sgpr_workgroup_id_z 0
		.amdhsa_system_sgpr_workgroup_info 0
		.amdhsa_system_vgpr_workitem_id 0
		.amdhsa_next_free_vgpr 1
		.amdhsa_next_free_sgpr 0
		.amdhsa_reserve_vcc 0
		.amdhsa_reserve_flat_scratch 0
		.amdhsa_float_round_mode_32 0
		.amdhsa_float_round_mode_16_64 0
		.amdhsa_float_denorm_mode_32 3
		.amdhsa_float_denorm_mode_16_64 3
		.amdhsa_dx10_clamp 1
		.amdhsa_ieee_mode 1
		.amdhsa_fp16_overflow 0
		.amdhsa_exception_fp_ieee_invalid_op 0
		.amdhsa_exception_fp_denorm_src 0
		.amdhsa_exception_fp_ieee_div_zero 0
		.amdhsa_exception_fp_ieee_overflow 0
		.amdhsa_exception_fp_ieee_underflow 0
		.amdhsa_exception_fp_ieee_inexact 0
		.amdhsa_exception_int_div_zero 0
	.end_amdhsa_kernel
	.section	.text._ZN7rocprim17ROCPRIM_400000_NS6detail17trampoline_kernelINS0_14default_configENS1_27lower_bound_config_selectorIdlEEZNS1_14transform_implILb0ES3_S5_N6thrust23THRUST_200600_302600_NS6detail15normal_iteratorINS8_7pointerIdNS8_11hip_rocprim5par_tENS8_11use_defaultESE_EEEENSA_INSB_IlSD_SE_SE_EEEEZNS1_13binary_searchIS3_S5_NSA_INS8_10device_ptrIdEEEESG_SI_NS1_21lower_bound_search_opENS9_16wrapped_functionINS8_6system6detail7generic6detail18binary_search_lessEbEEEE10hipError_tPvRmT1_T2_T3_mmT4_T5_P12ihipStream_tbEUlRKdE_EESV_SZ_S10_mS11_S14_bEUlT_E_NS1_11comp_targetILNS1_3genE10ELNS1_11target_archE1201ELNS1_3gpuE5ELNS1_3repE0EEENS1_30default_config_static_selectorELNS0_4arch9wavefront6targetE1EEEvSY_,"axG",@progbits,_ZN7rocprim17ROCPRIM_400000_NS6detail17trampoline_kernelINS0_14default_configENS1_27lower_bound_config_selectorIdlEEZNS1_14transform_implILb0ES3_S5_N6thrust23THRUST_200600_302600_NS6detail15normal_iteratorINS8_7pointerIdNS8_11hip_rocprim5par_tENS8_11use_defaultESE_EEEENSA_INSB_IlSD_SE_SE_EEEEZNS1_13binary_searchIS3_S5_NSA_INS8_10device_ptrIdEEEESG_SI_NS1_21lower_bound_search_opENS9_16wrapped_functionINS8_6system6detail7generic6detail18binary_search_lessEbEEEE10hipError_tPvRmT1_T2_T3_mmT4_T5_P12ihipStream_tbEUlRKdE_EESV_SZ_S10_mS11_S14_bEUlT_E_NS1_11comp_targetILNS1_3genE10ELNS1_11target_archE1201ELNS1_3gpuE5ELNS1_3repE0EEENS1_30default_config_static_selectorELNS0_4arch9wavefront6targetE1EEEvSY_,comdat
.Lfunc_end327:
	.size	_ZN7rocprim17ROCPRIM_400000_NS6detail17trampoline_kernelINS0_14default_configENS1_27lower_bound_config_selectorIdlEEZNS1_14transform_implILb0ES3_S5_N6thrust23THRUST_200600_302600_NS6detail15normal_iteratorINS8_7pointerIdNS8_11hip_rocprim5par_tENS8_11use_defaultESE_EEEENSA_INSB_IlSD_SE_SE_EEEEZNS1_13binary_searchIS3_S5_NSA_INS8_10device_ptrIdEEEESG_SI_NS1_21lower_bound_search_opENS9_16wrapped_functionINS8_6system6detail7generic6detail18binary_search_lessEbEEEE10hipError_tPvRmT1_T2_T3_mmT4_T5_P12ihipStream_tbEUlRKdE_EESV_SZ_S10_mS11_S14_bEUlT_E_NS1_11comp_targetILNS1_3genE10ELNS1_11target_archE1201ELNS1_3gpuE5ELNS1_3repE0EEENS1_30default_config_static_selectorELNS0_4arch9wavefront6targetE1EEEvSY_, .Lfunc_end327-_ZN7rocprim17ROCPRIM_400000_NS6detail17trampoline_kernelINS0_14default_configENS1_27lower_bound_config_selectorIdlEEZNS1_14transform_implILb0ES3_S5_N6thrust23THRUST_200600_302600_NS6detail15normal_iteratorINS8_7pointerIdNS8_11hip_rocprim5par_tENS8_11use_defaultESE_EEEENSA_INSB_IlSD_SE_SE_EEEEZNS1_13binary_searchIS3_S5_NSA_INS8_10device_ptrIdEEEESG_SI_NS1_21lower_bound_search_opENS9_16wrapped_functionINS8_6system6detail7generic6detail18binary_search_lessEbEEEE10hipError_tPvRmT1_T2_T3_mmT4_T5_P12ihipStream_tbEUlRKdE_EESV_SZ_S10_mS11_S14_bEUlT_E_NS1_11comp_targetILNS1_3genE10ELNS1_11target_archE1201ELNS1_3gpuE5ELNS1_3repE0EEENS1_30default_config_static_selectorELNS0_4arch9wavefront6targetE1EEEvSY_
                                        ; -- End function
	.set _ZN7rocprim17ROCPRIM_400000_NS6detail17trampoline_kernelINS0_14default_configENS1_27lower_bound_config_selectorIdlEEZNS1_14transform_implILb0ES3_S5_N6thrust23THRUST_200600_302600_NS6detail15normal_iteratorINS8_7pointerIdNS8_11hip_rocprim5par_tENS8_11use_defaultESE_EEEENSA_INSB_IlSD_SE_SE_EEEEZNS1_13binary_searchIS3_S5_NSA_INS8_10device_ptrIdEEEESG_SI_NS1_21lower_bound_search_opENS9_16wrapped_functionINS8_6system6detail7generic6detail18binary_search_lessEbEEEE10hipError_tPvRmT1_T2_T3_mmT4_T5_P12ihipStream_tbEUlRKdE_EESV_SZ_S10_mS11_S14_bEUlT_E_NS1_11comp_targetILNS1_3genE10ELNS1_11target_archE1201ELNS1_3gpuE5ELNS1_3repE0EEENS1_30default_config_static_selectorELNS0_4arch9wavefront6targetE1EEEvSY_.num_vgpr, 0
	.set _ZN7rocprim17ROCPRIM_400000_NS6detail17trampoline_kernelINS0_14default_configENS1_27lower_bound_config_selectorIdlEEZNS1_14transform_implILb0ES3_S5_N6thrust23THRUST_200600_302600_NS6detail15normal_iteratorINS8_7pointerIdNS8_11hip_rocprim5par_tENS8_11use_defaultESE_EEEENSA_INSB_IlSD_SE_SE_EEEEZNS1_13binary_searchIS3_S5_NSA_INS8_10device_ptrIdEEEESG_SI_NS1_21lower_bound_search_opENS9_16wrapped_functionINS8_6system6detail7generic6detail18binary_search_lessEbEEEE10hipError_tPvRmT1_T2_T3_mmT4_T5_P12ihipStream_tbEUlRKdE_EESV_SZ_S10_mS11_S14_bEUlT_E_NS1_11comp_targetILNS1_3genE10ELNS1_11target_archE1201ELNS1_3gpuE5ELNS1_3repE0EEENS1_30default_config_static_selectorELNS0_4arch9wavefront6targetE1EEEvSY_.num_agpr, 0
	.set _ZN7rocprim17ROCPRIM_400000_NS6detail17trampoline_kernelINS0_14default_configENS1_27lower_bound_config_selectorIdlEEZNS1_14transform_implILb0ES3_S5_N6thrust23THRUST_200600_302600_NS6detail15normal_iteratorINS8_7pointerIdNS8_11hip_rocprim5par_tENS8_11use_defaultESE_EEEENSA_INSB_IlSD_SE_SE_EEEEZNS1_13binary_searchIS3_S5_NSA_INS8_10device_ptrIdEEEESG_SI_NS1_21lower_bound_search_opENS9_16wrapped_functionINS8_6system6detail7generic6detail18binary_search_lessEbEEEE10hipError_tPvRmT1_T2_T3_mmT4_T5_P12ihipStream_tbEUlRKdE_EESV_SZ_S10_mS11_S14_bEUlT_E_NS1_11comp_targetILNS1_3genE10ELNS1_11target_archE1201ELNS1_3gpuE5ELNS1_3repE0EEENS1_30default_config_static_selectorELNS0_4arch9wavefront6targetE1EEEvSY_.numbered_sgpr, 0
	.set _ZN7rocprim17ROCPRIM_400000_NS6detail17trampoline_kernelINS0_14default_configENS1_27lower_bound_config_selectorIdlEEZNS1_14transform_implILb0ES3_S5_N6thrust23THRUST_200600_302600_NS6detail15normal_iteratorINS8_7pointerIdNS8_11hip_rocprim5par_tENS8_11use_defaultESE_EEEENSA_INSB_IlSD_SE_SE_EEEEZNS1_13binary_searchIS3_S5_NSA_INS8_10device_ptrIdEEEESG_SI_NS1_21lower_bound_search_opENS9_16wrapped_functionINS8_6system6detail7generic6detail18binary_search_lessEbEEEE10hipError_tPvRmT1_T2_T3_mmT4_T5_P12ihipStream_tbEUlRKdE_EESV_SZ_S10_mS11_S14_bEUlT_E_NS1_11comp_targetILNS1_3genE10ELNS1_11target_archE1201ELNS1_3gpuE5ELNS1_3repE0EEENS1_30default_config_static_selectorELNS0_4arch9wavefront6targetE1EEEvSY_.num_named_barrier, 0
	.set _ZN7rocprim17ROCPRIM_400000_NS6detail17trampoline_kernelINS0_14default_configENS1_27lower_bound_config_selectorIdlEEZNS1_14transform_implILb0ES3_S5_N6thrust23THRUST_200600_302600_NS6detail15normal_iteratorINS8_7pointerIdNS8_11hip_rocprim5par_tENS8_11use_defaultESE_EEEENSA_INSB_IlSD_SE_SE_EEEEZNS1_13binary_searchIS3_S5_NSA_INS8_10device_ptrIdEEEESG_SI_NS1_21lower_bound_search_opENS9_16wrapped_functionINS8_6system6detail7generic6detail18binary_search_lessEbEEEE10hipError_tPvRmT1_T2_T3_mmT4_T5_P12ihipStream_tbEUlRKdE_EESV_SZ_S10_mS11_S14_bEUlT_E_NS1_11comp_targetILNS1_3genE10ELNS1_11target_archE1201ELNS1_3gpuE5ELNS1_3repE0EEENS1_30default_config_static_selectorELNS0_4arch9wavefront6targetE1EEEvSY_.private_seg_size, 0
	.set _ZN7rocprim17ROCPRIM_400000_NS6detail17trampoline_kernelINS0_14default_configENS1_27lower_bound_config_selectorIdlEEZNS1_14transform_implILb0ES3_S5_N6thrust23THRUST_200600_302600_NS6detail15normal_iteratorINS8_7pointerIdNS8_11hip_rocprim5par_tENS8_11use_defaultESE_EEEENSA_INSB_IlSD_SE_SE_EEEEZNS1_13binary_searchIS3_S5_NSA_INS8_10device_ptrIdEEEESG_SI_NS1_21lower_bound_search_opENS9_16wrapped_functionINS8_6system6detail7generic6detail18binary_search_lessEbEEEE10hipError_tPvRmT1_T2_T3_mmT4_T5_P12ihipStream_tbEUlRKdE_EESV_SZ_S10_mS11_S14_bEUlT_E_NS1_11comp_targetILNS1_3genE10ELNS1_11target_archE1201ELNS1_3gpuE5ELNS1_3repE0EEENS1_30default_config_static_selectorELNS0_4arch9wavefront6targetE1EEEvSY_.uses_vcc, 0
	.set _ZN7rocprim17ROCPRIM_400000_NS6detail17trampoline_kernelINS0_14default_configENS1_27lower_bound_config_selectorIdlEEZNS1_14transform_implILb0ES3_S5_N6thrust23THRUST_200600_302600_NS6detail15normal_iteratorINS8_7pointerIdNS8_11hip_rocprim5par_tENS8_11use_defaultESE_EEEENSA_INSB_IlSD_SE_SE_EEEEZNS1_13binary_searchIS3_S5_NSA_INS8_10device_ptrIdEEEESG_SI_NS1_21lower_bound_search_opENS9_16wrapped_functionINS8_6system6detail7generic6detail18binary_search_lessEbEEEE10hipError_tPvRmT1_T2_T3_mmT4_T5_P12ihipStream_tbEUlRKdE_EESV_SZ_S10_mS11_S14_bEUlT_E_NS1_11comp_targetILNS1_3genE10ELNS1_11target_archE1201ELNS1_3gpuE5ELNS1_3repE0EEENS1_30default_config_static_selectorELNS0_4arch9wavefront6targetE1EEEvSY_.uses_flat_scratch, 0
	.set _ZN7rocprim17ROCPRIM_400000_NS6detail17trampoline_kernelINS0_14default_configENS1_27lower_bound_config_selectorIdlEEZNS1_14transform_implILb0ES3_S5_N6thrust23THRUST_200600_302600_NS6detail15normal_iteratorINS8_7pointerIdNS8_11hip_rocprim5par_tENS8_11use_defaultESE_EEEENSA_INSB_IlSD_SE_SE_EEEEZNS1_13binary_searchIS3_S5_NSA_INS8_10device_ptrIdEEEESG_SI_NS1_21lower_bound_search_opENS9_16wrapped_functionINS8_6system6detail7generic6detail18binary_search_lessEbEEEE10hipError_tPvRmT1_T2_T3_mmT4_T5_P12ihipStream_tbEUlRKdE_EESV_SZ_S10_mS11_S14_bEUlT_E_NS1_11comp_targetILNS1_3genE10ELNS1_11target_archE1201ELNS1_3gpuE5ELNS1_3repE0EEENS1_30default_config_static_selectorELNS0_4arch9wavefront6targetE1EEEvSY_.has_dyn_sized_stack, 0
	.set _ZN7rocprim17ROCPRIM_400000_NS6detail17trampoline_kernelINS0_14default_configENS1_27lower_bound_config_selectorIdlEEZNS1_14transform_implILb0ES3_S5_N6thrust23THRUST_200600_302600_NS6detail15normal_iteratorINS8_7pointerIdNS8_11hip_rocprim5par_tENS8_11use_defaultESE_EEEENSA_INSB_IlSD_SE_SE_EEEEZNS1_13binary_searchIS3_S5_NSA_INS8_10device_ptrIdEEEESG_SI_NS1_21lower_bound_search_opENS9_16wrapped_functionINS8_6system6detail7generic6detail18binary_search_lessEbEEEE10hipError_tPvRmT1_T2_T3_mmT4_T5_P12ihipStream_tbEUlRKdE_EESV_SZ_S10_mS11_S14_bEUlT_E_NS1_11comp_targetILNS1_3genE10ELNS1_11target_archE1201ELNS1_3gpuE5ELNS1_3repE0EEENS1_30default_config_static_selectorELNS0_4arch9wavefront6targetE1EEEvSY_.has_recursion, 0
	.set _ZN7rocprim17ROCPRIM_400000_NS6detail17trampoline_kernelINS0_14default_configENS1_27lower_bound_config_selectorIdlEEZNS1_14transform_implILb0ES3_S5_N6thrust23THRUST_200600_302600_NS6detail15normal_iteratorINS8_7pointerIdNS8_11hip_rocprim5par_tENS8_11use_defaultESE_EEEENSA_INSB_IlSD_SE_SE_EEEEZNS1_13binary_searchIS3_S5_NSA_INS8_10device_ptrIdEEEESG_SI_NS1_21lower_bound_search_opENS9_16wrapped_functionINS8_6system6detail7generic6detail18binary_search_lessEbEEEE10hipError_tPvRmT1_T2_T3_mmT4_T5_P12ihipStream_tbEUlRKdE_EESV_SZ_S10_mS11_S14_bEUlT_E_NS1_11comp_targetILNS1_3genE10ELNS1_11target_archE1201ELNS1_3gpuE5ELNS1_3repE0EEENS1_30default_config_static_selectorELNS0_4arch9wavefront6targetE1EEEvSY_.has_indirect_call, 0
	.section	.AMDGPU.csdata,"",@progbits
; Kernel info:
; codeLenInByte = 0
; TotalNumSgprs: 4
; NumVgprs: 0
; ScratchSize: 0
; MemoryBound: 0
; FloatMode: 240
; IeeeMode: 1
; LDSByteSize: 0 bytes/workgroup (compile time only)
; SGPRBlocks: 0
; VGPRBlocks: 0
; NumSGPRsForWavesPerEU: 4
; NumVGPRsForWavesPerEU: 1
; Occupancy: 10
; WaveLimiterHint : 0
; COMPUTE_PGM_RSRC2:SCRATCH_EN: 0
; COMPUTE_PGM_RSRC2:USER_SGPR: 6
; COMPUTE_PGM_RSRC2:TRAP_HANDLER: 0
; COMPUTE_PGM_RSRC2:TGID_X_EN: 1
; COMPUTE_PGM_RSRC2:TGID_Y_EN: 0
; COMPUTE_PGM_RSRC2:TGID_Z_EN: 0
; COMPUTE_PGM_RSRC2:TIDIG_COMP_CNT: 0
	.section	.text._ZN7rocprim17ROCPRIM_400000_NS6detail17trampoline_kernelINS0_14default_configENS1_27lower_bound_config_selectorIdlEEZNS1_14transform_implILb0ES3_S5_N6thrust23THRUST_200600_302600_NS6detail15normal_iteratorINS8_7pointerIdNS8_11hip_rocprim5par_tENS8_11use_defaultESE_EEEENSA_INSB_IlSD_SE_SE_EEEEZNS1_13binary_searchIS3_S5_NSA_INS8_10device_ptrIdEEEESG_SI_NS1_21lower_bound_search_opENS9_16wrapped_functionINS8_6system6detail7generic6detail18binary_search_lessEbEEEE10hipError_tPvRmT1_T2_T3_mmT4_T5_P12ihipStream_tbEUlRKdE_EESV_SZ_S10_mS11_S14_bEUlT_E_NS1_11comp_targetILNS1_3genE10ELNS1_11target_archE1200ELNS1_3gpuE4ELNS1_3repE0EEENS1_30default_config_static_selectorELNS0_4arch9wavefront6targetE1EEEvSY_,"axG",@progbits,_ZN7rocprim17ROCPRIM_400000_NS6detail17trampoline_kernelINS0_14default_configENS1_27lower_bound_config_selectorIdlEEZNS1_14transform_implILb0ES3_S5_N6thrust23THRUST_200600_302600_NS6detail15normal_iteratorINS8_7pointerIdNS8_11hip_rocprim5par_tENS8_11use_defaultESE_EEEENSA_INSB_IlSD_SE_SE_EEEEZNS1_13binary_searchIS3_S5_NSA_INS8_10device_ptrIdEEEESG_SI_NS1_21lower_bound_search_opENS9_16wrapped_functionINS8_6system6detail7generic6detail18binary_search_lessEbEEEE10hipError_tPvRmT1_T2_T3_mmT4_T5_P12ihipStream_tbEUlRKdE_EESV_SZ_S10_mS11_S14_bEUlT_E_NS1_11comp_targetILNS1_3genE10ELNS1_11target_archE1200ELNS1_3gpuE4ELNS1_3repE0EEENS1_30default_config_static_selectorELNS0_4arch9wavefront6targetE1EEEvSY_,comdat
	.protected	_ZN7rocprim17ROCPRIM_400000_NS6detail17trampoline_kernelINS0_14default_configENS1_27lower_bound_config_selectorIdlEEZNS1_14transform_implILb0ES3_S5_N6thrust23THRUST_200600_302600_NS6detail15normal_iteratorINS8_7pointerIdNS8_11hip_rocprim5par_tENS8_11use_defaultESE_EEEENSA_INSB_IlSD_SE_SE_EEEEZNS1_13binary_searchIS3_S5_NSA_INS8_10device_ptrIdEEEESG_SI_NS1_21lower_bound_search_opENS9_16wrapped_functionINS8_6system6detail7generic6detail18binary_search_lessEbEEEE10hipError_tPvRmT1_T2_T3_mmT4_T5_P12ihipStream_tbEUlRKdE_EESV_SZ_S10_mS11_S14_bEUlT_E_NS1_11comp_targetILNS1_3genE10ELNS1_11target_archE1200ELNS1_3gpuE4ELNS1_3repE0EEENS1_30default_config_static_selectorELNS0_4arch9wavefront6targetE1EEEvSY_ ; -- Begin function _ZN7rocprim17ROCPRIM_400000_NS6detail17trampoline_kernelINS0_14default_configENS1_27lower_bound_config_selectorIdlEEZNS1_14transform_implILb0ES3_S5_N6thrust23THRUST_200600_302600_NS6detail15normal_iteratorINS8_7pointerIdNS8_11hip_rocprim5par_tENS8_11use_defaultESE_EEEENSA_INSB_IlSD_SE_SE_EEEEZNS1_13binary_searchIS3_S5_NSA_INS8_10device_ptrIdEEEESG_SI_NS1_21lower_bound_search_opENS9_16wrapped_functionINS8_6system6detail7generic6detail18binary_search_lessEbEEEE10hipError_tPvRmT1_T2_T3_mmT4_T5_P12ihipStream_tbEUlRKdE_EESV_SZ_S10_mS11_S14_bEUlT_E_NS1_11comp_targetILNS1_3genE10ELNS1_11target_archE1200ELNS1_3gpuE4ELNS1_3repE0EEENS1_30default_config_static_selectorELNS0_4arch9wavefront6targetE1EEEvSY_
	.globl	_ZN7rocprim17ROCPRIM_400000_NS6detail17trampoline_kernelINS0_14default_configENS1_27lower_bound_config_selectorIdlEEZNS1_14transform_implILb0ES3_S5_N6thrust23THRUST_200600_302600_NS6detail15normal_iteratorINS8_7pointerIdNS8_11hip_rocprim5par_tENS8_11use_defaultESE_EEEENSA_INSB_IlSD_SE_SE_EEEEZNS1_13binary_searchIS3_S5_NSA_INS8_10device_ptrIdEEEESG_SI_NS1_21lower_bound_search_opENS9_16wrapped_functionINS8_6system6detail7generic6detail18binary_search_lessEbEEEE10hipError_tPvRmT1_T2_T3_mmT4_T5_P12ihipStream_tbEUlRKdE_EESV_SZ_S10_mS11_S14_bEUlT_E_NS1_11comp_targetILNS1_3genE10ELNS1_11target_archE1200ELNS1_3gpuE4ELNS1_3repE0EEENS1_30default_config_static_selectorELNS0_4arch9wavefront6targetE1EEEvSY_
	.p2align	8
	.type	_ZN7rocprim17ROCPRIM_400000_NS6detail17trampoline_kernelINS0_14default_configENS1_27lower_bound_config_selectorIdlEEZNS1_14transform_implILb0ES3_S5_N6thrust23THRUST_200600_302600_NS6detail15normal_iteratorINS8_7pointerIdNS8_11hip_rocprim5par_tENS8_11use_defaultESE_EEEENSA_INSB_IlSD_SE_SE_EEEEZNS1_13binary_searchIS3_S5_NSA_INS8_10device_ptrIdEEEESG_SI_NS1_21lower_bound_search_opENS9_16wrapped_functionINS8_6system6detail7generic6detail18binary_search_lessEbEEEE10hipError_tPvRmT1_T2_T3_mmT4_T5_P12ihipStream_tbEUlRKdE_EESV_SZ_S10_mS11_S14_bEUlT_E_NS1_11comp_targetILNS1_3genE10ELNS1_11target_archE1200ELNS1_3gpuE4ELNS1_3repE0EEENS1_30default_config_static_selectorELNS0_4arch9wavefront6targetE1EEEvSY_,@function
_ZN7rocprim17ROCPRIM_400000_NS6detail17trampoline_kernelINS0_14default_configENS1_27lower_bound_config_selectorIdlEEZNS1_14transform_implILb0ES3_S5_N6thrust23THRUST_200600_302600_NS6detail15normal_iteratorINS8_7pointerIdNS8_11hip_rocprim5par_tENS8_11use_defaultESE_EEEENSA_INSB_IlSD_SE_SE_EEEEZNS1_13binary_searchIS3_S5_NSA_INS8_10device_ptrIdEEEESG_SI_NS1_21lower_bound_search_opENS9_16wrapped_functionINS8_6system6detail7generic6detail18binary_search_lessEbEEEE10hipError_tPvRmT1_T2_T3_mmT4_T5_P12ihipStream_tbEUlRKdE_EESV_SZ_S10_mS11_S14_bEUlT_E_NS1_11comp_targetILNS1_3genE10ELNS1_11target_archE1200ELNS1_3gpuE4ELNS1_3repE0EEENS1_30default_config_static_selectorELNS0_4arch9wavefront6targetE1EEEvSY_: ; @_ZN7rocprim17ROCPRIM_400000_NS6detail17trampoline_kernelINS0_14default_configENS1_27lower_bound_config_selectorIdlEEZNS1_14transform_implILb0ES3_S5_N6thrust23THRUST_200600_302600_NS6detail15normal_iteratorINS8_7pointerIdNS8_11hip_rocprim5par_tENS8_11use_defaultESE_EEEENSA_INSB_IlSD_SE_SE_EEEEZNS1_13binary_searchIS3_S5_NSA_INS8_10device_ptrIdEEEESG_SI_NS1_21lower_bound_search_opENS9_16wrapped_functionINS8_6system6detail7generic6detail18binary_search_lessEbEEEE10hipError_tPvRmT1_T2_T3_mmT4_T5_P12ihipStream_tbEUlRKdE_EESV_SZ_S10_mS11_S14_bEUlT_E_NS1_11comp_targetILNS1_3genE10ELNS1_11target_archE1200ELNS1_3gpuE4ELNS1_3repE0EEENS1_30default_config_static_selectorELNS0_4arch9wavefront6targetE1EEEvSY_
; %bb.0:
	.section	.rodata,"a",@progbits
	.p2align	6, 0x0
	.amdhsa_kernel _ZN7rocprim17ROCPRIM_400000_NS6detail17trampoline_kernelINS0_14default_configENS1_27lower_bound_config_selectorIdlEEZNS1_14transform_implILb0ES3_S5_N6thrust23THRUST_200600_302600_NS6detail15normal_iteratorINS8_7pointerIdNS8_11hip_rocprim5par_tENS8_11use_defaultESE_EEEENSA_INSB_IlSD_SE_SE_EEEEZNS1_13binary_searchIS3_S5_NSA_INS8_10device_ptrIdEEEESG_SI_NS1_21lower_bound_search_opENS9_16wrapped_functionINS8_6system6detail7generic6detail18binary_search_lessEbEEEE10hipError_tPvRmT1_T2_T3_mmT4_T5_P12ihipStream_tbEUlRKdE_EESV_SZ_S10_mS11_S14_bEUlT_E_NS1_11comp_targetILNS1_3genE10ELNS1_11target_archE1200ELNS1_3gpuE4ELNS1_3repE0EEENS1_30default_config_static_selectorELNS0_4arch9wavefront6targetE1EEEvSY_
		.amdhsa_group_segment_fixed_size 0
		.amdhsa_private_segment_fixed_size 0
		.amdhsa_kernarg_size 56
		.amdhsa_user_sgpr_count 6
		.amdhsa_user_sgpr_private_segment_buffer 1
		.amdhsa_user_sgpr_dispatch_ptr 0
		.amdhsa_user_sgpr_queue_ptr 0
		.amdhsa_user_sgpr_kernarg_segment_ptr 1
		.amdhsa_user_sgpr_dispatch_id 0
		.amdhsa_user_sgpr_flat_scratch_init 0
		.amdhsa_user_sgpr_private_segment_size 0
		.amdhsa_uses_dynamic_stack 0
		.amdhsa_system_sgpr_private_segment_wavefront_offset 0
		.amdhsa_system_sgpr_workgroup_id_x 1
		.amdhsa_system_sgpr_workgroup_id_y 0
		.amdhsa_system_sgpr_workgroup_id_z 0
		.amdhsa_system_sgpr_workgroup_info 0
		.amdhsa_system_vgpr_workitem_id 0
		.amdhsa_next_free_vgpr 1
		.amdhsa_next_free_sgpr 0
		.amdhsa_reserve_vcc 0
		.amdhsa_reserve_flat_scratch 0
		.amdhsa_float_round_mode_32 0
		.amdhsa_float_round_mode_16_64 0
		.amdhsa_float_denorm_mode_32 3
		.amdhsa_float_denorm_mode_16_64 3
		.amdhsa_dx10_clamp 1
		.amdhsa_ieee_mode 1
		.amdhsa_fp16_overflow 0
		.amdhsa_exception_fp_ieee_invalid_op 0
		.amdhsa_exception_fp_denorm_src 0
		.amdhsa_exception_fp_ieee_div_zero 0
		.amdhsa_exception_fp_ieee_overflow 0
		.amdhsa_exception_fp_ieee_underflow 0
		.amdhsa_exception_fp_ieee_inexact 0
		.amdhsa_exception_int_div_zero 0
	.end_amdhsa_kernel
	.section	.text._ZN7rocprim17ROCPRIM_400000_NS6detail17trampoline_kernelINS0_14default_configENS1_27lower_bound_config_selectorIdlEEZNS1_14transform_implILb0ES3_S5_N6thrust23THRUST_200600_302600_NS6detail15normal_iteratorINS8_7pointerIdNS8_11hip_rocprim5par_tENS8_11use_defaultESE_EEEENSA_INSB_IlSD_SE_SE_EEEEZNS1_13binary_searchIS3_S5_NSA_INS8_10device_ptrIdEEEESG_SI_NS1_21lower_bound_search_opENS9_16wrapped_functionINS8_6system6detail7generic6detail18binary_search_lessEbEEEE10hipError_tPvRmT1_T2_T3_mmT4_T5_P12ihipStream_tbEUlRKdE_EESV_SZ_S10_mS11_S14_bEUlT_E_NS1_11comp_targetILNS1_3genE10ELNS1_11target_archE1200ELNS1_3gpuE4ELNS1_3repE0EEENS1_30default_config_static_selectorELNS0_4arch9wavefront6targetE1EEEvSY_,"axG",@progbits,_ZN7rocprim17ROCPRIM_400000_NS6detail17trampoline_kernelINS0_14default_configENS1_27lower_bound_config_selectorIdlEEZNS1_14transform_implILb0ES3_S5_N6thrust23THRUST_200600_302600_NS6detail15normal_iteratorINS8_7pointerIdNS8_11hip_rocprim5par_tENS8_11use_defaultESE_EEEENSA_INSB_IlSD_SE_SE_EEEEZNS1_13binary_searchIS3_S5_NSA_INS8_10device_ptrIdEEEESG_SI_NS1_21lower_bound_search_opENS9_16wrapped_functionINS8_6system6detail7generic6detail18binary_search_lessEbEEEE10hipError_tPvRmT1_T2_T3_mmT4_T5_P12ihipStream_tbEUlRKdE_EESV_SZ_S10_mS11_S14_bEUlT_E_NS1_11comp_targetILNS1_3genE10ELNS1_11target_archE1200ELNS1_3gpuE4ELNS1_3repE0EEENS1_30default_config_static_selectorELNS0_4arch9wavefront6targetE1EEEvSY_,comdat
.Lfunc_end328:
	.size	_ZN7rocprim17ROCPRIM_400000_NS6detail17trampoline_kernelINS0_14default_configENS1_27lower_bound_config_selectorIdlEEZNS1_14transform_implILb0ES3_S5_N6thrust23THRUST_200600_302600_NS6detail15normal_iteratorINS8_7pointerIdNS8_11hip_rocprim5par_tENS8_11use_defaultESE_EEEENSA_INSB_IlSD_SE_SE_EEEEZNS1_13binary_searchIS3_S5_NSA_INS8_10device_ptrIdEEEESG_SI_NS1_21lower_bound_search_opENS9_16wrapped_functionINS8_6system6detail7generic6detail18binary_search_lessEbEEEE10hipError_tPvRmT1_T2_T3_mmT4_T5_P12ihipStream_tbEUlRKdE_EESV_SZ_S10_mS11_S14_bEUlT_E_NS1_11comp_targetILNS1_3genE10ELNS1_11target_archE1200ELNS1_3gpuE4ELNS1_3repE0EEENS1_30default_config_static_selectorELNS0_4arch9wavefront6targetE1EEEvSY_, .Lfunc_end328-_ZN7rocprim17ROCPRIM_400000_NS6detail17trampoline_kernelINS0_14default_configENS1_27lower_bound_config_selectorIdlEEZNS1_14transform_implILb0ES3_S5_N6thrust23THRUST_200600_302600_NS6detail15normal_iteratorINS8_7pointerIdNS8_11hip_rocprim5par_tENS8_11use_defaultESE_EEEENSA_INSB_IlSD_SE_SE_EEEEZNS1_13binary_searchIS3_S5_NSA_INS8_10device_ptrIdEEEESG_SI_NS1_21lower_bound_search_opENS9_16wrapped_functionINS8_6system6detail7generic6detail18binary_search_lessEbEEEE10hipError_tPvRmT1_T2_T3_mmT4_T5_P12ihipStream_tbEUlRKdE_EESV_SZ_S10_mS11_S14_bEUlT_E_NS1_11comp_targetILNS1_3genE10ELNS1_11target_archE1200ELNS1_3gpuE4ELNS1_3repE0EEENS1_30default_config_static_selectorELNS0_4arch9wavefront6targetE1EEEvSY_
                                        ; -- End function
	.set _ZN7rocprim17ROCPRIM_400000_NS6detail17trampoline_kernelINS0_14default_configENS1_27lower_bound_config_selectorIdlEEZNS1_14transform_implILb0ES3_S5_N6thrust23THRUST_200600_302600_NS6detail15normal_iteratorINS8_7pointerIdNS8_11hip_rocprim5par_tENS8_11use_defaultESE_EEEENSA_INSB_IlSD_SE_SE_EEEEZNS1_13binary_searchIS3_S5_NSA_INS8_10device_ptrIdEEEESG_SI_NS1_21lower_bound_search_opENS9_16wrapped_functionINS8_6system6detail7generic6detail18binary_search_lessEbEEEE10hipError_tPvRmT1_T2_T3_mmT4_T5_P12ihipStream_tbEUlRKdE_EESV_SZ_S10_mS11_S14_bEUlT_E_NS1_11comp_targetILNS1_3genE10ELNS1_11target_archE1200ELNS1_3gpuE4ELNS1_3repE0EEENS1_30default_config_static_selectorELNS0_4arch9wavefront6targetE1EEEvSY_.num_vgpr, 0
	.set _ZN7rocprim17ROCPRIM_400000_NS6detail17trampoline_kernelINS0_14default_configENS1_27lower_bound_config_selectorIdlEEZNS1_14transform_implILb0ES3_S5_N6thrust23THRUST_200600_302600_NS6detail15normal_iteratorINS8_7pointerIdNS8_11hip_rocprim5par_tENS8_11use_defaultESE_EEEENSA_INSB_IlSD_SE_SE_EEEEZNS1_13binary_searchIS3_S5_NSA_INS8_10device_ptrIdEEEESG_SI_NS1_21lower_bound_search_opENS9_16wrapped_functionINS8_6system6detail7generic6detail18binary_search_lessEbEEEE10hipError_tPvRmT1_T2_T3_mmT4_T5_P12ihipStream_tbEUlRKdE_EESV_SZ_S10_mS11_S14_bEUlT_E_NS1_11comp_targetILNS1_3genE10ELNS1_11target_archE1200ELNS1_3gpuE4ELNS1_3repE0EEENS1_30default_config_static_selectorELNS0_4arch9wavefront6targetE1EEEvSY_.num_agpr, 0
	.set _ZN7rocprim17ROCPRIM_400000_NS6detail17trampoline_kernelINS0_14default_configENS1_27lower_bound_config_selectorIdlEEZNS1_14transform_implILb0ES3_S5_N6thrust23THRUST_200600_302600_NS6detail15normal_iteratorINS8_7pointerIdNS8_11hip_rocprim5par_tENS8_11use_defaultESE_EEEENSA_INSB_IlSD_SE_SE_EEEEZNS1_13binary_searchIS3_S5_NSA_INS8_10device_ptrIdEEEESG_SI_NS1_21lower_bound_search_opENS9_16wrapped_functionINS8_6system6detail7generic6detail18binary_search_lessEbEEEE10hipError_tPvRmT1_T2_T3_mmT4_T5_P12ihipStream_tbEUlRKdE_EESV_SZ_S10_mS11_S14_bEUlT_E_NS1_11comp_targetILNS1_3genE10ELNS1_11target_archE1200ELNS1_3gpuE4ELNS1_3repE0EEENS1_30default_config_static_selectorELNS0_4arch9wavefront6targetE1EEEvSY_.numbered_sgpr, 0
	.set _ZN7rocprim17ROCPRIM_400000_NS6detail17trampoline_kernelINS0_14default_configENS1_27lower_bound_config_selectorIdlEEZNS1_14transform_implILb0ES3_S5_N6thrust23THRUST_200600_302600_NS6detail15normal_iteratorINS8_7pointerIdNS8_11hip_rocprim5par_tENS8_11use_defaultESE_EEEENSA_INSB_IlSD_SE_SE_EEEEZNS1_13binary_searchIS3_S5_NSA_INS8_10device_ptrIdEEEESG_SI_NS1_21lower_bound_search_opENS9_16wrapped_functionINS8_6system6detail7generic6detail18binary_search_lessEbEEEE10hipError_tPvRmT1_T2_T3_mmT4_T5_P12ihipStream_tbEUlRKdE_EESV_SZ_S10_mS11_S14_bEUlT_E_NS1_11comp_targetILNS1_3genE10ELNS1_11target_archE1200ELNS1_3gpuE4ELNS1_3repE0EEENS1_30default_config_static_selectorELNS0_4arch9wavefront6targetE1EEEvSY_.num_named_barrier, 0
	.set _ZN7rocprim17ROCPRIM_400000_NS6detail17trampoline_kernelINS0_14default_configENS1_27lower_bound_config_selectorIdlEEZNS1_14transform_implILb0ES3_S5_N6thrust23THRUST_200600_302600_NS6detail15normal_iteratorINS8_7pointerIdNS8_11hip_rocprim5par_tENS8_11use_defaultESE_EEEENSA_INSB_IlSD_SE_SE_EEEEZNS1_13binary_searchIS3_S5_NSA_INS8_10device_ptrIdEEEESG_SI_NS1_21lower_bound_search_opENS9_16wrapped_functionINS8_6system6detail7generic6detail18binary_search_lessEbEEEE10hipError_tPvRmT1_T2_T3_mmT4_T5_P12ihipStream_tbEUlRKdE_EESV_SZ_S10_mS11_S14_bEUlT_E_NS1_11comp_targetILNS1_3genE10ELNS1_11target_archE1200ELNS1_3gpuE4ELNS1_3repE0EEENS1_30default_config_static_selectorELNS0_4arch9wavefront6targetE1EEEvSY_.private_seg_size, 0
	.set _ZN7rocprim17ROCPRIM_400000_NS6detail17trampoline_kernelINS0_14default_configENS1_27lower_bound_config_selectorIdlEEZNS1_14transform_implILb0ES3_S5_N6thrust23THRUST_200600_302600_NS6detail15normal_iteratorINS8_7pointerIdNS8_11hip_rocprim5par_tENS8_11use_defaultESE_EEEENSA_INSB_IlSD_SE_SE_EEEEZNS1_13binary_searchIS3_S5_NSA_INS8_10device_ptrIdEEEESG_SI_NS1_21lower_bound_search_opENS9_16wrapped_functionINS8_6system6detail7generic6detail18binary_search_lessEbEEEE10hipError_tPvRmT1_T2_T3_mmT4_T5_P12ihipStream_tbEUlRKdE_EESV_SZ_S10_mS11_S14_bEUlT_E_NS1_11comp_targetILNS1_3genE10ELNS1_11target_archE1200ELNS1_3gpuE4ELNS1_3repE0EEENS1_30default_config_static_selectorELNS0_4arch9wavefront6targetE1EEEvSY_.uses_vcc, 0
	.set _ZN7rocprim17ROCPRIM_400000_NS6detail17trampoline_kernelINS0_14default_configENS1_27lower_bound_config_selectorIdlEEZNS1_14transform_implILb0ES3_S5_N6thrust23THRUST_200600_302600_NS6detail15normal_iteratorINS8_7pointerIdNS8_11hip_rocprim5par_tENS8_11use_defaultESE_EEEENSA_INSB_IlSD_SE_SE_EEEEZNS1_13binary_searchIS3_S5_NSA_INS8_10device_ptrIdEEEESG_SI_NS1_21lower_bound_search_opENS9_16wrapped_functionINS8_6system6detail7generic6detail18binary_search_lessEbEEEE10hipError_tPvRmT1_T2_T3_mmT4_T5_P12ihipStream_tbEUlRKdE_EESV_SZ_S10_mS11_S14_bEUlT_E_NS1_11comp_targetILNS1_3genE10ELNS1_11target_archE1200ELNS1_3gpuE4ELNS1_3repE0EEENS1_30default_config_static_selectorELNS0_4arch9wavefront6targetE1EEEvSY_.uses_flat_scratch, 0
	.set _ZN7rocprim17ROCPRIM_400000_NS6detail17trampoline_kernelINS0_14default_configENS1_27lower_bound_config_selectorIdlEEZNS1_14transform_implILb0ES3_S5_N6thrust23THRUST_200600_302600_NS6detail15normal_iteratorINS8_7pointerIdNS8_11hip_rocprim5par_tENS8_11use_defaultESE_EEEENSA_INSB_IlSD_SE_SE_EEEEZNS1_13binary_searchIS3_S5_NSA_INS8_10device_ptrIdEEEESG_SI_NS1_21lower_bound_search_opENS9_16wrapped_functionINS8_6system6detail7generic6detail18binary_search_lessEbEEEE10hipError_tPvRmT1_T2_T3_mmT4_T5_P12ihipStream_tbEUlRKdE_EESV_SZ_S10_mS11_S14_bEUlT_E_NS1_11comp_targetILNS1_3genE10ELNS1_11target_archE1200ELNS1_3gpuE4ELNS1_3repE0EEENS1_30default_config_static_selectorELNS0_4arch9wavefront6targetE1EEEvSY_.has_dyn_sized_stack, 0
	.set _ZN7rocprim17ROCPRIM_400000_NS6detail17trampoline_kernelINS0_14default_configENS1_27lower_bound_config_selectorIdlEEZNS1_14transform_implILb0ES3_S5_N6thrust23THRUST_200600_302600_NS6detail15normal_iteratorINS8_7pointerIdNS8_11hip_rocprim5par_tENS8_11use_defaultESE_EEEENSA_INSB_IlSD_SE_SE_EEEEZNS1_13binary_searchIS3_S5_NSA_INS8_10device_ptrIdEEEESG_SI_NS1_21lower_bound_search_opENS9_16wrapped_functionINS8_6system6detail7generic6detail18binary_search_lessEbEEEE10hipError_tPvRmT1_T2_T3_mmT4_T5_P12ihipStream_tbEUlRKdE_EESV_SZ_S10_mS11_S14_bEUlT_E_NS1_11comp_targetILNS1_3genE10ELNS1_11target_archE1200ELNS1_3gpuE4ELNS1_3repE0EEENS1_30default_config_static_selectorELNS0_4arch9wavefront6targetE1EEEvSY_.has_recursion, 0
	.set _ZN7rocprim17ROCPRIM_400000_NS6detail17trampoline_kernelINS0_14default_configENS1_27lower_bound_config_selectorIdlEEZNS1_14transform_implILb0ES3_S5_N6thrust23THRUST_200600_302600_NS6detail15normal_iteratorINS8_7pointerIdNS8_11hip_rocprim5par_tENS8_11use_defaultESE_EEEENSA_INSB_IlSD_SE_SE_EEEEZNS1_13binary_searchIS3_S5_NSA_INS8_10device_ptrIdEEEESG_SI_NS1_21lower_bound_search_opENS9_16wrapped_functionINS8_6system6detail7generic6detail18binary_search_lessEbEEEE10hipError_tPvRmT1_T2_T3_mmT4_T5_P12ihipStream_tbEUlRKdE_EESV_SZ_S10_mS11_S14_bEUlT_E_NS1_11comp_targetILNS1_3genE10ELNS1_11target_archE1200ELNS1_3gpuE4ELNS1_3repE0EEENS1_30default_config_static_selectorELNS0_4arch9wavefront6targetE1EEEvSY_.has_indirect_call, 0
	.section	.AMDGPU.csdata,"",@progbits
; Kernel info:
; codeLenInByte = 0
; TotalNumSgprs: 4
; NumVgprs: 0
; ScratchSize: 0
; MemoryBound: 0
; FloatMode: 240
; IeeeMode: 1
; LDSByteSize: 0 bytes/workgroup (compile time only)
; SGPRBlocks: 0
; VGPRBlocks: 0
; NumSGPRsForWavesPerEU: 4
; NumVGPRsForWavesPerEU: 1
; Occupancy: 10
; WaveLimiterHint : 0
; COMPUTE_PGM_RSRC2:SCRATCH_EN: 0
; COMPUTE_PGM_RSRC2:USER_SGPR: 6
; COMPUTE_PGM_RSRC2:TRAP_HANDLER: 0
; COMPUTE_PGM_RSRC2:TGID_X_EN: 1
; COMPUTE_PGM_RSRC2:TGID_Y_EN: 0
; COMPUTE_PGM_RSRC2:TGID_Z_EN: 0
; COMPUTE_PGM_RSRC2:TIDIG_COMP_CNT: 0
	.section	.text._ZN7rocprim17ROCPRIM_400000_NS6detail17trampoline_kernelINS0_14default_configENS1_27lower_bound_config_selectorIdlEEZNS1_14transform_implILb0ES3_S5_N6thrust23THRUST_200600_302600_NS6detail15normal_iteratorINS8_7pointerIdNS8_11hip_rocprim5par_tENS8_11use_defaultESE_EEEENSA_INSB_IlSD_SE_SE_EEEEZNS1_13binary_searchIS3_S5_NSA_INS8_10device_ptrIdEEEESG_SI_NS1_21lower_bound_search_opENS9_16wrapped_functionINS8_6system6detail7generic6detail18binary_search_lessEbEEEE10hipError_tPvRmT1_T2_T3_mmT4_T5_P12ihipStream_tbEUlRKdE_EESV_SZ_S10_mS11_S14_bEUlT_E_NS1_11comp_targetILNS1_3genE9ELNS1_11target_archE1100ELNS1_3gpuE3ELNS1_3repE0EEENS1_30default_config_static_selectorELNS0_4arch9wavefront6targetE1EEEvSY_,"axG",@progbits,_ZN7rocprim17ROCPRIM_400000_NS6detail17trampoline_kernelINS0_14default_configENS1_27lower_bound_config_selectorIdlEEZNS1_14transform_implILb0ES3_S5_N6thrust23THRUST_200600_302600_NS6detail15normal_iteratorINS8_7pointerIdNS8_11hip_rocprim5par_tENS8_11use_defaultESE_EEEENSA_INSB_IlSD_SE_SE_EEEEZNS1_13binary_searchIS3_S5_NSA_INS8_10device_ptrIdEEEESG_SI_NS1_21lower_bound_search_opENS9_16wrapped_functionINS8_6system6detail7generic6detail18binary_search_lessEbEEEE10hipError_tPvRmT1_T2_T3_mmT4_T5_P12ihipStream_tbEUlRKdE_EESV_SZ_S10_mS11_S14_bEUlT_E_NS1_11comp_targetILNS1_3genE9ELNS1_11target_archE1100ELNS1_3gpuE3ELNS1_3repE0EEENS1_30default_config_static_selectorELNS0_4arch9wavefront6targetE1EEEvSY_,comdat
	.protected	_ZN7rocprim17ROCPRIM_400000_NS6detail17trampoline_kernelINS0_14default_configENS1_27lower_bound_config_selectorIdlEEZNS1_14transform_implILb0ES3_S5_N6thrust23THRUST_200600_302600_NS6detail15normal_iteratorINS8_7pointerIdNS8_11hip_rocprim5par_tENS8_11use_defaultESE_EEEENSA_INSB_IlSD_SE_SE_EEEEZNS1_13binary_searchIS3_S5_NSA_INS8_10device_ptrIdEEEESG_SI_NS1_21lower_bound_search_opENS9_16wrapped_functionINS8_6system6detail7generic6detail18binary_search_lessEbEEEE10hipError_tPvRmT1_T2_T3_mmT4_T5_P12ihipStream_tbEUlRKdE_EESV_SZ_S10_mS11_S14_bEUlT_E_NS1_11comp_targetILNS1_3genE9ELNS1_11target_archE1100ELNS1_3gpuE3ELNS1_3repE0EEENS1_30default_config_static_selectorELNS0_4arch9wavefront6targetE1EEEvSY_ ; -- Begin function _ZN7rocprim17ROCPRIM_400000_NS6detail17trampoline_kernelINS0_14default_configENS1_27lower_bound_config_selectorIdlEEZNS1_14transform_implILb0ES3_S5_N6thrust23THRUST_200600_302600_NS6detail15normal_iteratorINS8_7pointerIdNS8_11hip_rocprim5par_tENS8_11use_defaultESE_EEEENSA_INSB_IlSD_SE_SE_EEEEZNS1_13binary_searchIS3_S5_NSA_INS8_10device_ptrIdEEEESG_SI_NS1_21lower_bound_search_opENS9_16wrapped_functionINS8_6system6detail7generic6detail18binary_search_lessEbEEEE10hipError_tPvRmT1_T2_T3_mmT4_T5_P12ihipStream_tbEUlRKdE_EESV_SZ_S10_mS11_S14_bEUlT_E_NS1_11comp_targetILNS1_3genE9ELNS1_11target_archE1100ELNS1_3gpuE3ELNS1_3repE0EEENS1_30default_config_static_selectorELNS0_4arch9wavefront6targetE1EEEvSY_
	.globl	_ZN7rocprim17ROCPRIM_400000_NS6detail17trampoline_kernelINS0_14default_configENS1_27lower_bound_config_selectorIdlEEZNS1_14transform_implILb0ES3_S5_N6thrust23THRUST_200600_302600_NS6detail15normal_iteratorINS8_7pointerIdNS8_11hip_rocprim5par_tENS8_11use_defaultESE_EEEENSA_INSB_IlSD_SE_SE_EEEEZNS1_13binary_searchIS3_S5_NSA_INS8_10device_ptrIdEEEESG_SI_NS1_21lower_bound_search_opENS9_16wrapped_functionINS8_6system6detail7generic6detail18binary_search_lessEbEEEE10hipError_tPvRmT1_T2_T3_mmT4_T5_P12ihipStream_tbEUlRKdE_EESV_SZ_S10_mS11_S14_bEUlT_E_NS1_11comp_targetILNS1_3genE9ELNS1_11target_archE1100ELNS1_3gpuE3ELNS1_3repE0EEENS1_30default_config_static_selectorELNS0_4arch9wavefront6targetE1EEEvSY_
	.p2align	8
	.type	_ZN7rocprim17ROCPRIM_400000_NS6detail17trampoline_kernelINS0_14default_configENS1_27lower_bound_config_selectorIdlEEZNS1_14transform_implILb0ES3_S5_N6thrust23THRUST_200600_302600_NS6detail15normal_iteratorINS8_7pointerIdNS8_11hip_rocprim5par_tENS8_11use_defaultESE_EEEENSA_INSB_IlSD_SE_SE_EEEEZNS1_13binary_searchIS3_S5_NSA_INS8_10device_ptrIdEEEESG_SI_NS1_21lower_bound_search_opENS9_16wrapped_functionINS8_6system6detail7generic6detail18binary_search_lessEbEEEE10hipError_tPvRmT1_T2_T3_mmT4_T5_P12ihipStream_tbEUlRKdE_EESV_SZ_S10_mS11_S14_bEUlT_E_NS1_11comp_targetILNS1_3genE9ELNS1_11target_archE1100ELNS1_3gpuE3ELNS1_3repE0EEENS1_30default_config_static_selectorELNS0_4arch9wavefront6targetE1EEEvSY_,@function
_ZN7rocprim17ROCPRIM_400000_NS6detail17trampoline_kernelINS0_14default_configENS1_27lower_bound_config_selectorIdlEEZNS1_14transform_implILb0ES3_S5_N6thrust23THRUST_200600_302600_NS6detail15normal_iteratorINS8_7pointerIdNS8_11hip_rocprim5par_tENS8_11use_defaultESE_EEEENSA_INSB_IlSD_SE_SE_EEEEZNS1_13binary_searchIS3_S5_NSA_INS8_10device_ptrIdEEEESG_SI_NS1_21lower_bound_search_opENS9_16wrapped_functionINS8_6system6detail7generic6detail18binary_search_lessEbEEEE10hipError_tPvRmT1_T2_T3_mmT4_T5_P12ihipStream_tbEUlRKdE_EESV_SZ_S10_mS11_S14_bEUlT_E_NS1_11comp_targetILNS1_3genE9ELNS1_11target_archE1100ELNS1_3gpuE3ELNS1_3repE0EEENS1_30default_config_static_selectorELNS0_4arch9wavefront6targetE1EEEvSY_: ; @_ZN7rocprim17ROCPRIM_400000_NS6detail17trampoline_kernelINS0_14default_configENS1_27lower_bound_config_selectorIdlEEZNS1_14transform_implILb0ES3_S5_N6thrust23THRUST_200600_302600_NS6detail15normal_iteratorINS8_7pointerIdNS8_11hip_rocprim5par_tENS8_11use_defaultESE_EEEENSA_INSB_IlSD_SE_SE_EEEEZNS1_13binary_searchIS3_S5_NSA_INS8_10device_ptrIdEEEESG_SI_NS1_21lower_bound_search_opENS9_16wrapped_functionINS8_6system6detail7generic6detail18binary_search_lessEbEEEE10hipError_tPvRmT1_T2_T3_mmT4_T5_P12ihipStream_tbEUlRKdE_EESV_SZ_S10_mS11_S14_bEUlT_E_NS1_11comp_targetILNS1_3genE9ELNS1_11target_archE1100ELNS1_3gpuE3ELNS1_3repE0EEENS1_30default_config_static_selectorELNS0_4arch9wavefront6targetE1EEEvSY_
; %bb.0:
	.section	.rodata,"a",@progbits
	.p2align	6, 0x0
	.amdhsa_kernel _ZN7rocprim17ROCPRIM_400000_NS6detail17trampoline_kernelINS0_14default_configENS1_27lower_bound_config_selectorIdlEEZNS1_14transform_implILb0ES3_S5_N6thrust23THRUST_200600_302600_NS6detail15normal_iteratorINS8_7pointerIdNS8_11hip_rocprim5par_tENS8_11use_defaultESE_EEEENSA_INSB_IlSD_SE_SE_EEEEZNS1_13binary_searchIS3_S5_NSA_INS8_10device_ptrIdEEEESG_SI_NS1_21lower_bound_search_opENS9_16wrapped_functionINS8_6system6detail7generic6detail18binary_search_lessEbEEEE10hipError_tPvRmT1_T2_T3_mmT4_T5_P12ihipStream_tbEUlRKdE_EESV_SZ_S10_mS11_S14_bEUlT_E_NS1_11comp_targetILNS1_3genE9ELNS1_11target_archE1100ELNS1_3gpuE3ELNS1_3repE0EEENS1_30default_config_static_selectorELNS0_4arch9wavefront6targetE1EEEvSY_
		.amdhsa_group_segment_fixed_size 0
		.amdhsa_private_segment_fixed_size 0
		.amdhsa_kernarg_size 56
		.amdhsa_user_sgpr_count 6
		.amdhsa_user_sgpr_private_segment_buffer 1
		.amdhsa_user_sgpr_dispatch_ptr 0
		.amdhsa_user_sgpr_queue_ptr 0
		.amdhsa_user_sgpr_kernarg_segment_ptr 1
		.amdhsa_user_sgpr_dispatch_id 0
		.amdhsa_user_sgpr_flat_scratch_init 0
		.amdhsa_user_sgpr_private_segment_size 0
		.amdhsa_uses_dynamic_stack 0
		.amdhsa_system_sgpr_private_segment_wavefront_offset 0
		.amdhsa_system_sgpr_workgroup_id_x 1
		.amdhsa_system_sgpr_workgroup_id_y 0
		.amdhsa_system_sgpr_workgroup_id_z 0
		.amdhsa_system_sgpr_workgroup_info 0
		.amdhsa_system_vgpr_workitem_id 0
		.amdhsa_next_free_vgpr 1
		.amdhsa_next_free_sgpr 0
		.amdhsa_reserve_vcc 0
		.amdhsa_reserve_flat_scratch 0
		.amdhsa_float_round_mode_32 0
		.amdhsa_float_round_mode_16_64 0
		.amdhsa_float_denorm_mode_32 3
		.amdhsa_float_denorm_mode_16_64 3
		.amdhsa_dx10_clamp 1
		.amdhsa_ieee_mode 1
		.amdhsa_fp16_overflow 0
		.amdhsa_exception_fp_ieee_invalid_op 0
		.amdhsa_exception_fp_denorm_src 0
		.amdhsa_exception_fp_ieee_div_zero 0
		.amdhsa_exception_fp_ieee_overflow 0
		.amdhsa_exception_fp_ieee_underflow 0
		.amdhsa_exception_fp_ieee_inexact 0
		.amdhsa_exception_int_div_zero 0
	.end_amdhsa_kernel
	.section	.text._ZN7rocprim17ROCPRIM_400000_NS6detail17trampoline_kernelINS0_14default_configENS1_27lower_bound_config_selectorIdlEEZNS1_14transform_implILb0ES3_S5_N6thrust23THRUST_200600_302600_NS6detail15normal_iteratorINS8_7pointerIdNS8_11hip_rocprim5par_tENS8_11use_defaultESE_EEEENSA_INSB_IlSD_SE_SE_EEEEZNS1_13binary_searchIS3_S5_NSA_INS8_10device_ptrIdEEEESG_SI_NS1_21lower_bound_search_opENS9_16wrapped_functionINS8_6system6detail7generic6detail18binary_search_lessEbEEEE10hipError_tPvRmT1_T2_T3_mmT4_T5_P12ihipStream_tbEUlRKdE_EESV_SZ_S10_mS11_S14_bEUlT_E_NS1_11comp_targetILNS1_3genE9ELNS1_11target_archE1100ELNS1_3gpuE3ELNS1_3repE0EEENS1_30default_config_static_selectorELNS0_4arch9wavefront6targetE1EEEvSY_,"axG",@progbits,_ZN7rocprim17ROCPRIM_400000_NS6detail17trampoline_kernelINS0_14default_configENS1_27lower_bound_config_selectorIdlEEZNS1_14transform_implILb0ES3_S5_N6thrust23THRUST_200600_302600_NS6detail15normal_iteratorINS8_7pointerIdNS8_11hip_rocprim5par_tENS8_11use_defaultESE_EEEENSA_INSB_IlSD_SE_SE_EEEEZNS1_13binary_searchIS3_S5_NSA_INS8_10device_ptrIdEEEESG_SI_NS1_21lower_bound_search_opENS9_16wrapped_functionINS8_6system6detail7generic6detail18binary_search_lessEbEEEE10hipError_tPvRmT1_T2_T3_mmT4_T5_P12ihipStream_tbEUlRKdE_EESV_SZ_S10_mS11_S14_bEUlT_E_NS1_11comp_targetILNS1_3genE9ELNS1_11target_archE1100ELNS1_3gpuE3ELNS1_3repE0EEENS1_30default_config_static_selectorELNS0_4arch9wavefront6targetE1EEEvSY_,comdat
.Lfunc_end329:
	.size	_ZN7rocprim17ROCPRIM_400000_NS6detail17trampoline_kernelINS0_14default_configENS1_27lower_bound_config_selectorIdlEEZNS1_14transform_implILb0ES3_S5_N6thrust23THRUST_200600_302600_NS6detail15normal_iteratorINS8_7pointerIdNS8_11hip_rocprim5par_tENS8_11use_defaultESE_EEEENSA_INSB_IlSD_SE_SE_EEEEZNS1_13binary_searchIS3_S5_NSA_INS8_10device_ptrIdEEEESG_SI_NS1_21lower_bound_search_opENS9_16wrapped_functionINS8_6system6detail7generic6detail18binary_search_lessEbEEEE10hipError_tPvRmT1_T2_T3_mmT4_T5_P12ihipStream_tbEUlRKdE_EESV_SZ_S10_mS11_S14_bEUlT_E_NS1_11comp_targetILNS1_3genE9ELNS1_11target_archE1100ELNS1_3gpuE3ELNS1_3repE0EEENS1_30default_config_static_selectorELNS0_4arch9wavefront6targetE1EEEvSY_, .Lfunc_end329-_ZN7rocprim17ROCPRIM_400000_NS6detail17trampoline_kernelINS0_14default_configENS1_27lower_bound_config_selectorIdlEEZNS1_14transform_implILb0ES3_S5_N6thrust23THRUST_200600_302600_NS6detail15normal_iteratorINS8_7pointerIdNS8_11hip_rocprim5par_tENS8_11use_defaultESE_EEEENSA_INSB_IlSD_SE_SE_EEEEZNS1_13binary_searchIS3_S5_NSA_INS8_10device_ptrIdEEEESG_SI_NS1_21lower_bound_search_opENS9_16wrapped_functionINS8_6system6detail7generic6detail18binary_search_lessEbEEEE10hipError_tPvRmT1_T2_T3_mmT4_T5_P12ihipStream_tbEUlRKdE_EESV_SZ_S10_mS11_S14_bEUlT_E_NS1_11comp_targetILNS1_3genE9ELNS1_11target_archE1100ELNS1_3gpuE3ELNS1_3repE0EEENS1_30default_config_static_selectorELNS0_4arch9wavefront6targetE1EEEvSY_
                                        ; -- End function
	.set _ZN7rocprim17ROCPRIM_400000_NS6detail17trampoline_kernelINS0_14default_configENS1_27lower_bound_config_selectorIdlEEZNS1_14transform_implILb0ES3_S5_N6thrust23THRUST_200600_302600_NS6detail15normal_iteratorINS8_7pointerIdNS8_11hip_rocprim5par_tENS8_11use_defaultESE_EEEENSA_INSB_IlSD_SE_SE_EEEEZNS1_13binary_searchIS3_S5_NSA_INS8_10device_ptrIdEEEESG_SI_NS1_21lower_bound_search_opENS9_16wrapped_functionINS8_6system6detail7generic6detail18binary_search_lessEbEEEE10hipError_tPvRmT1_T2_T3_mmT4_T5_P12ihipStream_tbEUlRKdE_EESV_SZ_S10_mS11_S14_bEUlT_E_NS1_11comp_targetILNS1_3genE9ELNS1_11target_archE1100ELNS1_3gpuE3ELNS1_3repE0EEENS1_30default_config_static_selectorELNS0_4arch9wavefront6targetE1EEEvSY_.num_vgpr, 0
	.set _ZN7rocprim17ROCPRIM_400000_NS6detail17trampoline_kernelINS0_14default_configENS1_27lower_bound_config_selectorIdlEEZNS1_14transform_implILb0ES3_S5_N6thrust23THRUST_200600_302600_NS6detail15normal_iteratorINS8_7pointerIdNS8_11hip_rocprim5par_tENS8_11use_defaultESE_EEEENSA_INSB_IlSD_SE_SE_EEEEZNS1_13binary_searchIS3_S5_NSA_INS8_10device_ptrIdEEEESG_SI_NS1_21lower_bound_search_opENS9_16wrapped_functionINS8_6system6detail7generic6detail18binary_search_lessEbEEEE10hipError_tPvRmT1_T2_T3_mmT4_T5_P12ihipStream_tbEUlRKdE_EESV_SZ_S10_mS11_S14_bEUlT_E_NS1_11comp_targetILNS1_3genE9ELNS1_11target_archE1100ELNS1_3gpuE3ELNS1_3repE0EEENS1_30default_config_static_selectorELNS0_4arch9wavefront6targetE1EEEvSY_.num_agpr, 0
	.set _ZN7rocprim17ROCPRIM_400000_NS6detail17trampoline_kernelINS0_14default_configENS1_27lower_bound_config_selectorIdlEEZNS1_14transform_implILb0ES3_S5_N6thrust23THRUST_200600_302600_NS6detail15normal_iteratorINS8_7pointerIdNS8_11hip_rocprim5par_tENS8_11use_defaultESE_EEEENSA_INSB_IlSD_SE_SE_EEEEZNS1_13binary_searchIS3_S5_NSA_INS8_10device_ptrIdEEEESG_SI_NS1_21lower_bound_search_opENS9_16wrapped_functionINS8_6system6detail7generic6detail18binary_search_lessEbEEEE10hipError_tPvRmT1_T2_T3_mmT4_T5_P12ihipStream_tbEUlRKdE_EESV_SZ_S10_mS11_S14_bEUlT_E_NS1_11comp_targetILNS1_3genE9ELNS1_11target_archE1100ELNS1_3gpuE3ELNS1_3repE0EEENS1_30default_config_static_selectorELNS0_4arch9wavefront6targetE1EEEvSY_.numbered_sgpr, 0
	.set _ZN7rocprim17ROCPRIM_400000_NS6detail17trampoline_kernelINS0_14default_configENS1_27lower_bound_config_selectorIdlEEZNS1_14transform_implILb0ES3_S5_N6thrust23THRUST_200600_302600_NS6detail15normal_iteratorINS8_7pointerIdNS8_11hip_rocprim5par_tENS8_11use_defaultESE_EEEENSA_INSB_IlSD_SE_SE_EEEEZNS1_13binary_searchIS3_S5_NSA_INS8_10device_ptrIdEEEESG_SI_NS1_21lower_bound_search_opENS9_16wrapped_functionINS8_6system6detail7generic6detail18binary_search_lessEbEEEE10hipError_tPvRmT1_T2_T3_mmT4_T5_P12ihipStream_tbEUlRKdE_EESV_SZ_S10_mS11_S14_bEUlT_E_NS1_11comp_targetILNS1_3genE9ELNS1_11target_archE1100ELNS1_3gpuE3ELNS1_3repE0EEENS1_30default_config_static_selectorELNS0_4arch9wavefront6targetE1EEEvSY_.num_named_barrier, 0
	.set _ZN7rocprim17ROCPRIM_400000_NS6detail17trampoline_kernelINS0_14default_configENS1_27lower_bound_config_selectorIdlEEZNS1_14transform_implILb0ES3_S5_N6thrust23THRUST_200600_302600_NS6detail15normal_iteratorINS8_7pointerIdNS8_11hip_rocprim5par_tENS8_11use_defaultESE_EEEENSA_INSB_IlSD_SE_SE_EEEEZNS1_13binary_searchIS3_S5_NSA_INS8_10device_ptrIdEEEESG_SI_NS1_21lower_bound_search_opENS9_16wrapped_functionINS8_6system6detail7generic6detail18binary_search_lessEbEEEE10hipError_tPvRmT1_T2_T3_mmT4_T5_P12ihipStream_tbEUlRKdE_EESV_SZ_S10_mS11_S14_bEUlT_E_NS1_11comp_targetILNS1_3genE9ELNS1_11target_archE1100ELNS1_3gpuE3ELNS1_3repE0EEENS1_30default_config_static_selectorELNS0_4arch9wavefront6targetE1EEEvSY_.private_seg_size, 0
	.set _ZN7rocprim17ROCPRIM_400000_NS6detail17trampoline_kernelINS0_14default_configENS1_27lower_bound_config_selectorIdlEEZNS1_14transform_implILb0ES3_S5_N6thrust23THRUST_200600_302600_NS6detail15normal_iteratorINS8_7pointerIdNS8_11hip_rocprim5par_tENS8_11use_defaultESE_EEEENSA_INSB_IlSD_SE_SE_EEEEZNS1_13binary_searchIS3_S5_NSA_INS8_10device_ptrIdEEEESG_SI_NS1_21lower_bound_search_opENS9_16wrapped_functionINS8_6system6detail7generic6detail18binary_search_lessEbEEEE10hipError_tPvRmT1_T2_T3_mmT4_T5_P12ihipStream_tbEUlRKdE_EESV_SZ_S10_mS11_S14_bEUlT_E_NS1_11comp_targetILNS1_3genE9ELNS1_11target_archE1100ELNS1_3gpuE3ELNS1_3repE0EEENS1_30default_config_static_selectorELNS0_4arch9wavefront6targetE1EEEvSY_.uses_vcc, 0
	.set _ZN7rocprim17ROCPRIM_400000_NS6detail17trampoline_kernelINS0_14default_configENS1_27lower_bound_config_selectorIdlEEZNS1_14transform_implILb0ES3_S5_N6thrust23THRUST_200600_302600_NS6detail15normal_iteratorINS8_7pointerIdNS8_11hip_rocprim5par_tENS8_11use_defaultESE_EEEENSA_INSB_IlSD_SE_SE_EEEEZNS1_13binary_searchIS3_S5_NSA_INS8_10device_ptrIdEEEESG_SI_NS1_21lower_bound_search_opENS9_16wrapped_functionINS8_6system6detail7generic6detail18binary_search_lessEbEEEE10hipError_tPvRmT1_T2_T3_mmT4_T5_P12ihipStream_tbEUlRKdE_EESV_SZ_S10_mS11_S14_bEUlT_E_NS1_11comp_targetILNS1_3genE9ELNS1_11target_archE1100ELNS1_3gpuE3ELNS1_3repE0EEENS1_30default_config_static_selectorELNS0_4arch9wavefront6targetE1EEEvSY_.uses_flat_scratch, 0
	.set _ZN7rocprim17ROCPRIM_400000_NS6detail17trampoline_kernelINS0_14default_configENS1_27lower_bound_config_selectorIdlEEZNS1_14transform_implILb0ES3_S5_N6thrust23THRUST_200600_302600_NS6detail15normal_iteratorINS8_7pointerIdNS8_11hip_rocprim5par_tENS8_11use_defaultESE_EEEENSA_INSB_IlSD_SE_SE_EEEEZNS1_13binary_searchIS3_S5_NSA_INS8_10device_ptrIdEEEESG_SI_NS1_21lower_bound_search_opENS9_16wrapped_functionINS8_6system6detail7generic6detail18binary_search_lessEbEEEE10hipError_tPvRmT1_T2_T3_mmT4_T5_P12ihipStream_tbEUlRKdE_EESV_SZ_S10_mS11_S14_bEUlT_E_NS1_11comp_targetILNS1_3genE9ELNS1_11target_archE1100ELNS1_3gpuE3ELNS1_3repE0EEENS1_30default_config_static_selectorELNS0_4arch9wavefront6targetE1EEEvSY_.has_dyn_sized_stack, 0
	.set _ZN7rocprim17ROCPRIM_400000_NS6detail17trampoline_kernelINS0_14default_configENS1_27lower_bound_config_selectorIdlEEZNS1_14transform_implILb0ES3_S5_N6thrust23THRUST_200600_302600_NS6detail15normal_iteratorINS8_7pointerIdNS8_11hip_rocprim5par_tENS8_11use_defaultESE_EEEENSA_INSB_IlSD_SE_SE_EEEEZNS1_13binary_searchIS3_S5_NSA_INS8_10device_ptrIdEEEESG_SI_NS1_21lower_bound_search_opENS9_16wrapped_functionINS8_6system6detail7generic6detail18binary_search_lessEbEEEE10hipError_tPvRmT1_T2_T3_mmT4_T5_P12ihipStream_tbEUlRKdE_EESV_SZ_S10_mS11_S14_bEUlT_E_NS1_11comp_targetILNS1_3genE9ELNS1_11target_archE1100ELNS1_3gpuE3ELNS1_3repE0EEENS1_30default_config_static_selectorELNS0_4arch9wavefront6targetE1EEEvSY_.has_recursion, 0
	.set _ZN7rocprim17ROCPRIM_400000_NS6detail17trampoline_kernelINS0_14default_configENS1_27lower_bound_config_selectorIdlEEZNS1_14transform_implILb0ES3_S5_N6thrust23THRUST_200600_302600_NS6detail15normal_iteratorINS8_7pointerIdNS8_11hip_rocprim5par_tENS8_11use_defaultESE_EEEENSA_INSB_IlSD_SE_SE_EEEEZNS1_13binary_searchIS3_S5_NSA_INS8_10device_ptrIdEEEESG_SI_NS1_21lower_bound_search_opENS9_16wrapped_functionINS8_6system6detail7generic6detail18binary_search_lessEbEEEE10hipError_tPvRmT1_T2_T3_mmT4_T5_P12ihipStream_tbEUlRKdE_EESV_SZ_S10_mS11_S14_bEUlT_E_NS1_11comp_targetILNS1_3genE9ELNS1_11target_archE1100ELNS1_3gpuE3ELNS1_3repE0EEENS1_30default_config_static_selectorELNS0_4arch9wavefront6targetE1EEEvSY_.has_indirect_call, 0
	.section	.AMDGPU.csdata,"",@progbits
; Kernel info:
; codeLenInByte = 0
; TotalNumSgprs: 4
; NumVgprs: 0
; ScratchSize: 0
; MemoryBound: 0
; FloatMode: 240
; IeeeMode: 1
; LDSByteSize: 0 bytes/workgroup (compile time only)
; SGPRBlocks: 0
; VGPRBlocks: 0
; NumSGPRsForWavesPerEU: 4
; NumVGPRsForWavesPerEU: 1
; Occupancy: 10
; WaveLimiterHint : 0
; COMPUTE_PGM_RSRC2:SCRATCH_EN: 0
; COMPUTE_PGM_RSRC2:USER_SGPR: 6
; COMPUTE_PGM_RSRC2:TRAP_HANDLER: 0
; COMPUTE_PGM_RSRC2:TGID_X_EN: 1
; COMPUTE_PGM_RSRC2:TGID_Y_EN: 0
; COMPUTE_PGM_RSRC2:TGID_Z_EN: 0
; COMPUTE_PGM_RSRC2:TIDIG_COMP_CNT: 0
	.section	.text._ZN7rocprim17ROCPRIM_400000_NS6detail17trampoline_kernelINS0_14default_configENS1_27lower_bound_config_selectorIdlEEZNS1_14transform_implILb0ES3_S5_N6thrust23THRUST_200600_302600_NS6detail15normal_iteratorINS8_7pointerIdNS8_11hip_rocprim5par_tENS8_11use_defaultESE_EEEENSA_INSB_IlSD_SE_SE_EEEEZNS1_13binary_searchIS3_S5_NSA_INS8_10device_ptrIdEEEESG_SI_NS1_21lower_bound_search_opENS9_16wrapped_functionINS8_6system6detail7generic6detail18binary_search_lessEbEEEE10hipError_tPvRmT1_T2_T3_mmT4_T5_P12ihipStream_tbEUlRKdE_EESV_SZ_S10_mS11_S14_bEUlT_E_NS1_11comp_targetILNS1_3genE8ELNS1_11target_archE1030ELNS1_3gpuE2ELNS1_3repE0EEENS1_30default_config_static_selectorELNS0_4arch9wavefront6targetE1EEEvSY_,"axG",@progbits,_ZN7rocprim17ROCPRIM_400000_NS6detail17trampoline_kernelINS0_14default_configENS1_27lower_bound_config_selectorIdlEEZNS1_14transform_implILb0ES3_S5_N6thrust23THRUST_200600_302600_NS6detail15normal_iteratorINS8_7pointerIdNS8_11hip_rocprim5par_tENS8_11use_defaultESE_EEEENSA_INSB_IlSD_SE_SE_EEEEZNS1_13binary_searchIS3_S5_NSA_INS8_10device_ptrIdEEEESG_SI_NS1_21lower_bound_search_opENS9_16wrapped_functionINS8_6system6detail7generic6detail18binary_search_lessEbEEEE10hipError_tPvRmT1_T2_T3_mmT4_T5_P12ihipStream_tbEUlRKdE_EESV_SZ_S10_mS11_S14_bEUlT_E_NS1_11comp_targetILNS1_3genE8ELNS1_11target_archE1030ELNS1_3gpuE2ELNS1_3repE0EEENS1_30default_config_static_selectorELNS0_4arch9wavefront6targetE1EEEvSY_,comdat
	.protected	_ZN7rocprim17ROCPRIM_400000_NS6detail17trampoline_kernelINS0_14default_configENS1_27lower_bound_config_selectorIdlEEZNS1_14transform_implILb0ES3_S5_N6thrust23THRUST_200600_302600_NS6detail15normal_iteratorINS8_7pointerIdNS8_11hip_rocprim5par_tENS8_11use_defaultESE_EEEENSA_INSB_IlSD_SE_SE_EEEEZNS1_13binary_searchIS3_S5_NSA_INS8_10device_ptrIdEEEESG_SI_NS1_21lower_bound_search_opENS9_16wrapped_functionINS8_6system6detail7generic6detail18binary_search_lessEbEEEE10hipError_tPvRmT1_T2_T3_mmT4_T5_P12ihipStream_tbEUlRKdE_EESV_SZ_S10_mS11_S14_bEUlT_E_NS1_11comp_targetILNS1_3genE8ELNS1_11target_archE1030ELNS1_3gpuE2ELNS1_3repE0EEENS1_30default_config_static_selectorELNS0_4arch9wavefront6targetE1EEEvSY_ ; -- Begin function _ZN7rocprim17ROCPRIM_400000_NS6detail17trampoline_kernelINS0_14default_configENS1_27lower_bound_config_selectorIdlEEZNS1_14transform_implILb0ES3_S5_N6thrust23THRUST_200600_302600_NS6detail15normal_iteratorINS8_7pointerIdNS8_11hip_rocprim5par_tENS8_11use_defaultESE_EEEENSA_INSB_IlSD_SE_SE_EEEEZNS1_13binary_searchIS3_S5_NSA_INS8_10device_ptrIdEEEESG_SI_NS1_21lower_bound_search_opENS9_16wrapped_functionINS8_6system6detail7generic6detail18binary_search_lessEbEEEE10hipError_tPvRmT1_T2_T3_mmT4_T5_P12ihipStream_tbEUlRKdE_EESV_SZ_S10_mS11_S14_bEUlT_E_NS1_11comp_targetILNS1_3genE8ELNS1_11target_archE1030ELNS1_3gpuE2ELNS1_3repE0EEENS1_30default_config_static_selectorELNS0_4arch9wavefront6targetE1EEEvSY_
	.globl	_ZN7rocprim17ROCPRIM_400000_NS6detail17trampoline_kernelINS0_14default_configENS1_27lower_bound_config_selectorIdlEEZNS1_14transform_implILb0ES3_S5_N6thrust23THRUST_200600_302600_NS6detail15normal_iteratorINS8_7pointerIdNS8_11hip_rocprim5par_tENS8_11use_defaultESE_EEEENSA_INSB_IlSD_SE_SE_EEEEZNS1_13binary_searchIS3_S5_NSA_INS8_10device_ptrIdEEEESG_SI_NS1_21lower_bound_search_opENS9_16wrapped_functionINS8_6system6detail7generic6detail18binary_search_lessEbEEEE10hipError_tPvRmT1_T2_T3_mmT4_T5_P12ihipStream_tbEUlRKdE_EESV_SZ_S10_mS11_S14_bEUlT_E_NS1_11comp_targetILNS1_3genE8ELNS1_11target_archE1030ELNS1_3gpuE2ELNS1_3repE0EEENS1_30default_config_static_selectorELNS0_4arch9wavefront6targetE1EEEvSY_
	.p2align	8
	.type	_ZN7rocprim17ROCPRIM_400000_NS6detail17trampoline_kernelINS0_14default_configENS1_27lower_bound_config_selectorIdlEEZNS1_14transform_implILb0ES3_S5_N6thrust23THRUST_200600_302600_NS6detail15normal_iteratorINS8_7pointerIdNS8_11hip_rocprim5par_tENS8_11use_defaultESE_EEEENSA_INSB_IlSD_SE_SE_EEEEZNS1_13binary_searchIS3_S5_NSA_INS8_10device_ptrIdEEEESG_SI_NS1_21lower_bound_search_opENS9_16wrapped_functionINS8_6system6detail7generic6detail18binary_search_lessEbEEEE10hipError_tPvRmT1_T2_T3_mmT4_T5_P12ihipStream_tbEUlRKdE_EESV_SZ_S10_mS11_S14_bEUlT_E_NS1_11comp_targetILNS1_3genE8ELNS1_11target_archE1030ELNS1_3gpuE2ELNS1_3repE0EEENS1_30default_config_static_selectorELNS0_4arch9wavefront6targetE1EEEvSY_,@function
_ZN7rocprim17ROCPRIM_400000_NS6detail17trampoline_kernelINS0_14default_configENS1_27lower_bound_config_selectorIdlEEZNS1_14transform_implILb0ES3_S5_N6thrust23THRUST_200600_302600_NS6detail15normal_iteratorINS8_7pointerIdNS8_11hip_rocprim5par_tENS8_11use_defaultESE_EEEENSA_INSB_IlSD_SE_SE_EEEEZNS1_13binary_searchIS3_S5_NSA_INS8_10device_ptrIdEEEESG_SI_NS1_21lower_bound_search_opENS9_16wrapped_functionINS8_6system6detail7generic6detail18binary_search_lessEbEEEE10hipError_tPvRmT1_T2_T3_mmT4_T5_P12ihipStream_tbEUlRKdE_EESV_SZ_S10_mS11_S14_bEUlT_E_NS1_11comp_targetILNS1_3genE8ELNS1_11target_archE1030ELNS1_3gpuE2ELNS1_3repE0EEENS1_30default_config_static_selectorELNS0_4arch9wavefront6targetE1EEEvSY_: ; @_ZN7rocprim17ROCPRIM_400000_NS6detail17trampoline_kernelINS0_14default_configENS1_27lower_bound_config_selectorIdlEEZNS1_14transform_implILb0ES3_S5_N6thrust23THRUST_200600_302600_NS6detail15normal_iteratorINS8_7pointerIdNS8_11hip_rocprim5par_tENS8_11use_defaultESE_EEEENSA_INSB_IlSD_SE_SE_EEEEZNS1_13binary_searchIS3_S5_NSA_INS8_10device_ptrIdEEEESG_SI_NS1_21lower_bound_search_opENS9_16wrapped_functionINS8_6system6detail7generic6detail18binary_search_lessEbEEEE10hipError_tPvRmT1_T2_T3_mmT4_T5_P12ihipStream_tbEUlRKdE_EESV_SZ_S10_mS11_S14_bEUlT_E_NS1_11comp_targetILNS1_3genE8ELNS1_11target_archE1030ELNS1_3gpuE2ELNS1_3repE0EEENS1_30default_config_static_selectorELNS0_4arch9wavefront6targetE1EEEvSY_
; %bb.0:
	.section	.rodata,"a",@progbits
	.p2align	6, 0x0
	.amdhsa_kernel _ZN7rocprim17ROCPRIM_400000_NS6detail17trampoline_kernelINS0_14default_configENS1_27lower_bound_config_selectorIdlEEZNS1_14transform_implILb0ES3_S5_N6thrust23THRUST_200600_302600_NS6detail15normal_iteratorINS8_7pointerIdNS8_11hip_rocprim5par_tENS8_11use_defaultESE_EEEENSA_INSB_IlSD_SE_SE_EEEEZNS1_13binary_searchIS3_S5_NSA_INS8_10device_ptrIdEEEESG_SI_NS1_21lower_bound_search_opENS9_16wrapped_functionINS8_6system6detail7generic6detail18binary_search_lessEbEEEE10hipError_tPvRmT1_T2_T3_mmT4_T5_P12ihipStream_tbEUlRKdE_EESV_SZ_S10_mS11_S14_bEUlT_E_NS1_11comp_targetILNS1_3genE8ELNS1_11target_archE1030ELNS1_3gpuE2ELNS1_3repE0EEENS1_30default_config_static_selectorELNS0_4arch9wavefront6targetE1EEEvSY_
		.amdhsa_group_segment_fixed_size 0
		.amdhsa_private_segment_fixed_size 0
		.amdhsa_kernarg_size 56
		.amdhsa_user_sgpr_count 6
		.amdhsa_user_sgpr_private_segment_buffer 1
		.amdhsa_user_sgpr_dispatch_ptr 0
		.amdhsa_user_sgpr_queue_ptr 0
		.amdhsa_user_sgpr_kernarg_segment_ptr 1
		.amdhsa_user_sgpr_dispatch_id 0
		.amdhsa_user_sgpr_flat_scratch_init 0
		.amdhsa_user_sgpr_private_segment_size 0
		.amdhsa_uses_dynamic_stack 0
		.amdhsa_system_sgpr_private_segment_wavefront_offset 0
		.amdhsa_system_sgpr_workgroup_id_x 1
		.amdhsa_system_sgpr_workgroup_id_y 0
		.amdhsa_system_sgpr_workgroup_id_z 0
		.amdhsa_system_sgpr_workgroup_info 0
		.amdhsa_system_vgpr_workitem_id 0
		.amdhsa_next_free_vgpr 1
		.amdhsa_next_free_sgpr 0
		.amdhsa_reserve_vcc 0
		.amdhsa_reserve_flat_scratch 0
		.amdhsa_float_round_mode_32 0
		.amdhsa_float_round_mode_16_64 0
		.amdhsa_float_denorm_mode_32 3
		.amdhsa_float_denorm_mode_16_64 3
		.amdhsa_dx10_clamp 1
		.amdhsa_ieee_mode 1
		.amdhsa_fp16_overflow 0
		.amdhsa_exception_fp_ieee_invalid_op 0
		.amdhsa_exception_fp_denorm_src 0
		.amdhsa_exception_fp_ieee_div_zero 0
		.amdhsa_exception_fp_ieee_overflow 0
		.amdhsa_exception_fp_ieee_underflow 0
		.amdhsa_exception_fp_ieee_inexact 0
		.amdhsa_exception_int_div_zero 0
	.end_amdhsa_kernel
	.section	.text._ZN7rocprim17ROCPRIM_400000_NS6detail17trampoline_kernelINS0_14default_configENS1_27lower_bound_config_selectorIdlEEZNS1_14transform_implILb0ES3_S5_N6thrust23THRUST_200600_302600_NS6detail15normal_iteratorINS8_7pointerIdNS8_11hip_rocprim5par_tENS8_11use_defaultESE_EEEENSA_INSB_IlSD_SE_SE_EEEEZNS1_13binary_searchIS3_S5_NSA_INS8_10device_ptrIdEEEESG_SI_NS1_21lower_bound_search_opENS9_16wrapped_functionINS8_6system6detail7generic6detail18binary_search_lessEbEEEE10hipError_tPvRmT1_T2_T3_mmT4_T5_P12ihipStream_tbEUlRKdE_EESV_SZ_S10_mS11_S14_bEUlT_E_NS1_11comp_targetILNS1_3genE8ELNS1_11target_archE1030ELNS1_3gpuE2ELNS1_3repE0EEENS1_30default_config_static_selectorELNS0_4arch9wavefront6targetE1EEEvSY_,"axG",@progbits,_ZN7rocprim17ROCPRIM_400000_NS6detail17trampoline_kernelINS0_14default_configENS1_27lower_bound_config_selectorIdlEEZNS1_14transform_implILb0ES3_S5_N6thrust23THRUST_200600_302600_NS6detail15normal_iteratorINS8_7pointerIdNS8_11hip_rocprim5par_tENS8_11use_defaultESE_EEEENSA_INSB_IlSD_SE_SE_EEEEZNS1_13binary_searchIS3_S5_NSA_INS8_10device_ptrIdEEEESG_SI_NS1_21lower_bound_search_opENS9_16wrapped_functionINS8_6system6detail7generic6detail18binary_search_lessEbEEEE10hipError_tPvRmT1_T2_T3_mmT4_T5_P12ihipStream_tbEUlRKdE_EESV_SZ_S10_mS11_S14_bEUlT_E_NS1_11comp_targetILNS1_3genE8ELNS1_11target_archE1030ELNS1_3gpuE2ELNS1_3repE0EEENS1_30default_config_static_selectorELNS0_4arch9wavefront6targetE1EEEvSY_,comdat
.Lfunc_end330:
	.size	_ZN7rocprim17ROCPRIM_400000_NS6detail17trampoline_kernelINS0_14default_configENS1_27lower_bound_config_selectorIdlEEZNS1_14transform_implILb0ES3_S5_N6thrust23THRUST_200600_302600_NS6detail15normal_iteratorINS8_7pointerIdNS8_11hip_rocprim5par_tENS8_11use_defaultESE_EEEENSA_INSB_IlSD_SE_SE_EEEEZNS1_13binary_searchIS3_S5_NSA_INS8_10device_ptrIdEEEESG_SI_NS1_21lower_bound_search_opENS9_16wrapped_functionINS8_6system6detail7generic6detail18binary_search_lessEbEEEE10hipError_tPvRmT1_T2_T3_mmT4_T5_P12ihipStream_tbEUlRKdE_EESV_SZ_S10_mS11_S14_bEUlT_E_NS1_11comp_targetILNS1_3genE8ELNS1_11target_archE1030ELNS1_3gpuE2ELNS1_3repE0EEENS1_30default_config_static_selectorELNS0_4arch9wavefront6targetE1EEEvSY_, .Lfunc_end330-_ZN7rocprim17ROCPRIM_400000_NS6detail17trampoline_kernelINS0_14default_configENS1_27lower_bound_config_selectorIdlEEZNS1_14transform_implILb0ES3_S5_N6thrust23THRUST_200600_302600_NS6detail15normal_iteratorINS8_7pointerIdNS8_11hip_rocprim5par_tENS8_11use_defaultESE_EEEENSA_INSB_IlSD_SE_SE_EEEEZNS1_13binary_searchIS3_S5_NSA_INS8_10device_ptrIdEEEESG_SI_NS1_21lower_bound_search_opENS9_16wrapped_functionINS8_6system6detail7generic6detail18binary_search_lessEbEEEE10hipError_tPvRmT1_T2_T3_mmT4_T5_P12ihipStream_tbEUlRKdE_EESV_SZ_S10_mS11_S14_bEUlT_E_NS1_11comp_targetILNS1_3genE8ELNS1_11target_archE1030ELNS1_3gpuE2ELNS1_3repE0EEENS1_30default_config_static_selectorELNS0_4arch9wavefront6targetE1EEEvSY_
                                        ; -- End function
	.set _ZN7rocprim17ROCPRIM_400000_NS6detail17trampoline_kernelINS0_14default_configENS1_27lower_bound_config_selectorIdlEEZNS1_14transform_implILb0ES3_S5_N6thrust23THRUST_200600_302600_NS6detail15normal_iteratorINS8_7pointerIdNS8_11hip_rocprim5par_tENS8_11use_defaultESE_EEEENSA_INSB_IlSD_SE_SE_EEEEZNS1_13binary_searchIS3_S5_NSA_INS8_10device_ptrIdEEEESG_SI_NS1_21lower_bound_search_opENS9_16wrapped_functionINS8_6system6detail7generic6detail18binary_search_lessEbEEEE10hipError_tPvRmT1_T2_T3_mmT4_T5_P12ihipStream_tbEUlRKdE_EESV_SZ_S10_mS11_S14_bEUlT_E_NS1_11comp_targetILNS1_3genE8ELNS1_11target_archE1030ELNS1_3gpuE2ELNS1_3repE0EEENS1_30default_config_static_selectorELNS0_4arch9wavefront6targetE1EEEvSY_.num_vgpr, 0
	.set _ZN7rocprim17ROCPRIM_400000_NS6detail17trampoline_kernelINS0_14default_configENS1_27lower_bound_config_selectorIdlEEZNS1_14transform_implILb0ES3_S5_N6thrust23THRUST_200600_302600_NS6detail15normal_iteratorINS8_7pointerIdNS8_11hip_rocprim5par_tENS8_11use_defaultESE_EEEENSA_INSB_IlSD_SE_SE_EEEEZNS1_13binary_searchIS3_S5_NSA_INS8_10device_ptrIdEEEESG_SI_NS1_21lower_bound_search_opENS9_16wrapped_functionINS8_6system6detail7generic6detail18binary_search_lessEbEEEE10hipError_tPvRmT1_T2_T3_mmT4_T5_P12ihipStream_tbEUlRKdE_EESV_SZ_S10_mS11_S14_bEUlT_E_NS1_11comp_targetILNS1_3genE8ELNS1_11target_archE1030ELNS1_3gpuE2ELNS1_3repE0EEENS1_30default_config_static_selectorELNS0_4arch9wavefront6targetE1EEEvSY_.num_agpr, 0
	.set _ZN7rocprim17ROCPRIM_400000_NS6detail17trampoline_kernelINS0_14default_configENS1_27lower_bound_config_selectorIdlEEZNS1_14transform_implILb0ES3_S5_N6thrust23THRUST_200600_302600_NS6detail15normal_iteratorINS8_7pointerIdNS8_11hip_rocprim5par_tENS8_11use_defaultESE_EEEENSA_INSB_IlSD_SE_SE_EEEEZNS1_13binary_searchIS3_S5_NSA_INS8_10device_ptrIdEEEESG_SI_NS1_21lower_bound_search_opENS9_16wrapped_functionINS8_6system6detail7generic6detail18binary_search_lessEbEEEE10hipError_tPvRmT1_T2_T3_mmT4_T5_P12ihipStream_tbEUlRKdE_EESV_SZ_S10_mS11_S14_bEUlT_E_NS1_11comp_targetILNS1_3genE8ELNS1_11target_archE1030ELNS1_3gpuE2ELNS1_3repE0EEENS1_30default_config_static_selectorELNS0_4arch9wavefront6targetE1EEEvSY_.numbered_sgpr, 0
	.set _ZN7rocprim17ROCPRIM_400000_NS6detail17trampoline_kernelINS0_14default_configENS1_27lower_bound_config_selectorIdlEEZNS1_14transform_implILb0ES3_S5_N6thrust23THRUST_200600_302600_NS6detail15normal_iteratorINS8_7pointerIdNS8_11hip_rocprim5par_tENS8_11use_defaultESE_EEEENSA_INSB_IlSD_SE_SE_EEEEZNS1_13binary_searchIS3_S5_NSA_INS8_10device_ptrIdEEEESG_SI_NS1_21lower_bound_search_opENS9_16wrapped_functionINS8_6system6detail7generic6detail18binary_search_lessEbEEEE10hipError_tPvRmT1_T2_T3_mmT4_T5_P12ihipStream_tbEUlRKdE_EESV_SZ_S10_mS11_S14_bEUlT_E_NS1_11comp_targetILNS1_3genE8ELNS1_11target_archE1030ELNS1_3gpuE2ELNS1_3repE0EEENS1_30default_config_static_selectorELNS0_4arch9wavefront6targetE1EEEvSY_.num_named_barrier, 0
	.set _ZN7rocprim17ROCPRIM_400000_NS6detail17trampoline_kernelINS0_14default_configENS1_27lower_bound_config_selectorIdlEEZNS1_14transform_implILb0ES3_S5_N6thrust23THRUST_200600_302600_NS6detail15normal_iteratorINS8_7pointerIdNS8_11hip_rocprim5par_tENS8_11use_defaultESE_EEEENSA_INSB_IlSD_SE_SE_EEEEZNS1_13binary_searchIS3_S5_NSA_INS8_10device_ptrIdEEEESG_SI_NS1_21lower_bound_search_opENS9_16wrapped_functionINS8_6system6detail7generic6detail18binary_search_lessEbEEEE10hipError_tPvRmT1_T2_T3_mmT4_T5_P12ihipStream_tbEUlRKdE_EESV_SZ_S10_mS11_S14_bEUlT_E_NS1_11comp_targetILNS1_3genE8ELNS1_11target_archE1030ELNS1_3gpuE2ELNS1_3repE0EEENS1_30default_config_static_selectorELNS0_4arch9wavefront6targetE1EEEvSY_.private_seg_size, 0
	.set _ZN7rocprim17ROCPRIM_400000_NS6detail17trampoline_kernelINS0_14default_configENS1_27lower_bound_config_selectorIdlEEZNS1_14transform_implILb0ES3_S5_N6thrust23THRUST_200600_302600_NS6detail15normal_iteratorINS8_7pointerIdNS8_11hip_rocprim5par_tENS8_11use_defaultESE_EEEENSA_INSB_IlSD_SE_SE_EEEEZNS1_13binary_searchIS3_S5_NSA_INS8_10device_ptrIdEEEESG_SI_NS1_21lower_bound_search_opENS9_16wrapped_functionINS8_6system6detail7generic6detail18binary_search_lessEbEEEE10hipError_tPvRmT1_T2_T3_mmT4_T5_P12ihipStream_tbEUlRKdE_EESV_SZ_S10_mS11_S14_bEUlT_E_NS1_11comp_targetILNS1_3genE8ELNS1_11target_archE1030ELNS1_3gpuE2ELNS1_3repE0EEENS1_30default_config_static_selectorELNS0_4arch9wavefront6targetE1EEEvSY_.uses_vcc, 0
	.set _ZN7rocprim17ROCPRIM_400000_NS6detail17trampoline_kernelINS0_14default_configENS1_27lower_bound_config_selectorIdlEEZNS1_14transform_implILb0ES3_S5_N6thrust23THRUST_200600_302600_NS6detail15normal_iteratorINS8_7pointerIdNS8_11hip_rocprim5par_tENS8_11use_defaultESE_EEEENSA_INSB_IlSD_SE_SE_EEEEZNS1_13binary_searchIS3_S5_NSA_INS8_10device_ptrIdEEEESG_SI_NS1_21lower_bound_search_opENS9_16wrapped_functionINS8_6system6detail7generic6detail18binary_search_lessEbEEEE10hipError_tPvRmT1_T2_T3_mmT4_T5_P12ihipStream_tbEUlRKdE_EESV_SZ_S10_mS11_S14_bEUlT_E_NS1_11comp_targetILNS1_3genE8ELNS1_11target_archE1030ELNS1_3gpuE2ELNS1_3repE0EEENS1_30default_config_static_selectorELNS0_4arch9wavefront6targetE1EEEvSY_.uses_flat_scratch, 0
	.set _ZN7rocprim17ROCPRIM_400000_NS6detail17trampoline_kernelINS0_14default_configENS1_27lower_bound_config_selectorIdlEEZNS1_14transform_implILb0ES3_S5_N6thrust23THRUST_200600_302600_NS6detail15normal_iteratorINS8_7pointerIdNS8_11hip_rocprim5par_tENS8_11use_defaultESE_EEEENSA_INSB_IlSD_SE_SE_EEEEZNS1_13binary_searchIS3_S5_NSA_INS8_10device_ptrIdEEEESG_SI_NS1_21lower_bound_search_opENS9_16wrapped_functionINS8_6system6detail7generic6detail18binary_search_lessEbEEEE10hipError_tPvRmT1_T2_T3_mmT4_T5_P12ihipStream_tbEUlRKdE_EESV_SZ_S10_mS11_S14_bEUlT_E_NS1_11comp_targetILNS1_3genE8ELNS1_11target_archE1030ELNS1_3gpuE2ELNS1_3repE0EEENS1_30default_config_static_selectorELNS0_4arch9wavefront6targetE1EEEvSY_.has_dyn_sized_stack, 0
	.set _ZN7rocprim17ROCPRIM_400000_NS6detail17trampoline_kernelINS0_14default_configENS1_27lower_bound_config_selectorIdlEEZNS1_14transform_implILb0ES3_S5_N6thrust23THRUST_200600_302600_NS6detail15normal_iteratorINS8_7pointerIdNS8_11hip_rocprim5par_tENS8_11use_defaultESE_EEEENSA_INSB_IlSD_SE_SE_EEEEZNS1_13binary_searchIS3_S5_NSA_INS8_10device_ptrIdEEEESG_SI_NS1_21lower_bound_search_opENS9_16wrapped_functionINS8_6system6detail7generic6detail18binary_search_lessEbEEEE10hipError_tPvRmT1_T2_T3_mmT4_T5_P12ihipStream_tbEUlRKdE_EESV_SZ_S10_mS11_S14_bEUlT_E_NS1_11comp_targetILNS1_3genE8ELNS1_11target_archE1030ELNS1_3gpuE2ELNS1_3repE0EEENS1_30default_config_static_selectorELNS0_4arch9wavefront6targetE1EEEvSY_.has_recursion, 0
	.set _ZN7rocprim17ROCPRIM_400000_NS6detail17trampoline_kernelINS0_14default_configENS1_27lower_bound_config_selectorIdlEEZNS1_14transform_implILb0ES3_S5_N6thrust23THRUST_200600_302600_NS6detail15normal_iteratorINS8_7pointerIdNS8_11hip_rocprim5par_tENS8_11use_defaultESE_EEEENSA_INSB_IlSD_SE_SE_EEEEZNS1_13binary_searchIS3_S5_NSA_INS8_10device_ptrIdEEEESG_SI_NS1_21lower_bound_search_opENS9_16wrapped_functionINS8_6system6detail7generic6detail18binary_search_lessEbEEEE10hipError_tPvRmT1_T2_T3_mmT4_T5_P12ihipStream_tbEUlRKdE_EESV_SZ_S10_mS11_S14_bEUlT_E_NS1_11comp_targetILNS1_3genE8ELNS1_11target_archE1030ELNS1_3gpuE2ELNS1_3repE0EEENS1_30default_config_static_selectorELNS0_4arch9wavefront6targetE1EEEvSY_.has_indirect_call, 0
	.section	.AMDGPU.csdata,"",@progbits
; Kernel info:
; codeLenInByte = 0
; TotalNumSgprs: 4
; NumVgprs: 0
; ScratchSize: 0
; MemoryBound: 0
; FloatMode: 240
; IeeeMode: 1
; LDSByteSize: 0 bytes/workgroup (compile time only)
; SGPRBlocks: 0
; VGPRBlocks: 0
; NumSGPRsForWavesPerEU: 4
; NumVGPRsForWavesPerEU: 1
; Occupancy: 10
; WaveLimiterHint : 0
; COMPUTE_PGM_RSRC2:SCRATCH_EN: 0
; COMPUTE_PGM_RSRC2:USER_SGPR: 6
; COMPUTE_PGM_RSRC2:TRAP_HANDLER: 0
; COMPUTE_PGM_RSRC2:TGID_X_EN: 1
; COMPUTE_PGM_RSRC2:TGID_Y_EN: 0
; COMPUTE_PGM_RSRC2:TGID_Z_EN: 0
; COMPUTE_PGM_RSRC2:TIDIG_COMP_CNT: 0
	.section	.text._ZN7rocprim17ROCPRIM_400000_NS6detail17trampoline_kernelINS0_14default_configENS1_27lower_bound_config_selectorIflEEZNS1_14transform_implILb0ES3_S5_N6thrust23THRUST_200600_302600_NS6detail15normal_iteratorINS8_7pointerIfNS8_11hip_rocprim16par_det_nosync_tENS8_11use_defaultESE_EEEENSA_INSB_IlSD_SE_SE_EEEEZNS1_13binary_searchIS3_S5_NSA_INS8_10device_ptrIfEEEESG_SI_NS1_21lower_bound_search_opENS9_16wrapped_functionINS8_6system6detail7generic6detail18binary_search_lessEbEEEE10hipError_tPvRmT1_T2_T3_mmT4_T5_P12ihipStream_tbEUlRKfE_EESV_SZ_S10_mS11_S14_bEUlT_E_NS1_11comp_targetILNS1_3genE0ELNS1_11target_archE4294967295ELNS1_3gpuE0ELNS1_3repE0EEENS1_30default_config_static_selectorELNS0_4arch9wavefront6targetE1EEEvSY_,"axG",@progbits,_ZN7rocprim17ROCPRIM_400000_NS6detail17trampoline_kernelINS0_14default_configENS1_27lower_bound_config_selectorIflEEZNS1_14transform_implILb0ES3_S5_N6thrust23THRUST_200600_302600_NS6detail15normal_iteratorINS8_7pointerIfNS8_11hip_rocprim16par_det_nosync_tENS8_11use_defaultESE_EEEENSA_INSB_IlSD_SE_SE_EEEEZNS1_13binary_searchIS3_S5_NSA_INS8_10device_ptrIfEEEESG_SI_NS1_21lower_bound_search_opENS9_16wrapped_functionINS8_6system6detail7generic6detail18binary_search_lessEbEEEE10hipError_tPvRmT1_T2_T3_mmT4_T5_P12ihipStream_tbEUlRKfE_EESV_SZ_S10_mS11_S14_bEUlT_E_NS1_11comp_targetILNS1_3genE0ELNS1_11target_archE4294967295ELNS1_3gpuE0ELNS1_3repE0EEENS1_30default_config_static_selectorELNS0_4arch9wavefront6targetE1EEEvSY_,comdat
	.protected	_ZN7rocprim17ROCPRIM_400000_NS6detail17trampoline_kernelINS0_14default_configENS1_27lower_bound_config_selectorIflEEZNS1_14transform_implILb0ES3_S5_N6thrust23THRUST_200600_302600_NS6detail15normal_iteratorINS8_7pointerIfNS8_11hip_rocprim16par_det_nosync_tENS8_11use_defaultESE_EEEENSA_INSB_IlSD_SE_SE_EEEEZNS1_13binary_searchIS3_S5_NSA_INS8_10device_ptrIfEEEESG_SI_NS1_21lower_bound_search_opENS9_16wrapped_functionINS8_6system6detail7generic6detail18binary_search_lessEbEEEE10hipError_tPvRmT1_T2_T3_mmT4_T5_P12ihipStream_tbEUlRKfE_EESV_SZ_S10_mS11_S14_bEUlT_E_NS1_11comp_targetILNS1_3genE0ELNS1_11target_archE4294967295ELNS1_3gpuE0ELNS1_3repE0EEENS1_30default_config_static_selectorELNS0_4arch9wavefront6targetE1EEEvSY_ ; -- Begin function _ZN7rocprim17ROCPRIM_400000_NS6detail17trampoline_kernelINS0_14default_configENS1_27lower_bound_config_selectorIflEEZNS1_14transform_implILb0ES3_S5_N6thrust23THRUST_200600_302600_NS6detail15normal_iteratorINS8_7pointerIfNS8_11hip_rocprim16par_det_nosync_tENS8_11use_defaultESE_EEEENSA_INSB_IlSD_SE_SE_EEEEZNS1_13binary_searchIS3_S5_NSA_INS8_10device_ptrIfEEEESG_SI_NS1_21lower_bound_search_opENS9_16wrapped_functionINS8_6system6detail7generic6detail18binary_search_lessEbEEEE10hipError_tPvRmT1_T2_T3_mmT4_T5_P12ihipStream_tbEUlRKfE_EESV_SZ_S10_mS11_S14_bEUlT_E_NS1_11comp_targetILNS1_3genE0ELNS1_11target_archE4294967295ELNS1_3gpuE0ELNS1_3repE0EEENS1_30default_config_static_selectorELNS0_4arch9wavefront6targetE1EEEvSY_
	.globl	_ZN7rocprim17ROCPRIM_400000_NS6detail17trampoline_kernelINS0_14default_configENS1_27lower_bound_config_selectorIflEEZNS1_14transform_implILb0ES3_S5_N6thrust23THRUST_200600_302600_NS6detail15normal_iteratorINS8_7pointerIfNS8_11hip_rocprim16par_det_nosync_tENS8_11use_defaultESE_EEEENSA_INSB_IlSD_SE_SE_EEEEZNS1_13binary_searchIS3_S5_NSA_INS8_10device_ptrIfEEEESG_SI_NS1_21lower_bound_search_opENS9_16wrapped_functionINS8_6system6detail7generic6detail18binary_search_lessEbEEEE10hipError_tPvRmT1_T2_T3_mmT4_T5_P12ihipStream_tbEUlRKfE_EESV_SZ_S10_mS11_S14_bEUlT_E_NS1_11comp_targetILNS1_3genE0ELNS1_11target_archE4294967295ELNS1_3gpuE0ELNS1_3repE0EEENS1_30default_config_static_selectorELNS0_4arch9wavefront6targetE1EEEvSY_
	.p2align	8
	.type	_ZN7rocprim17ROCPRIM_400000_NS6detail17trampoline_kernelINS0_14default_configENS1_27lower_bound_config_selectorIflEEZNS1_14transform_implILb0ES3_S5_N6thrust23THRUST_200600_302600_NS6detail15normal_iteratorINS8_7pointerIfNS8_11hip_rocprim16par_det_nosync_tENS8_11use_defaultESE_EEEENSA_INSB_IlSD_SE_SE_EEEEZNS1_13binary_searchIS3_S5_NSA_INS8_10device_ptrIfEEEESG_SI_NS1_21lower_bound_search_opENS9_16wrapped_functionINS8_6system6detail7generic6detail18binary_search_lessEbEEEE10hipError_tPvRmT1_T2_T3_mmT4_T5_P12ihipStream_tbEUlRKfE_EESV_SZ_S10_mS11_S14_bEUlT_E_NS1_11comp_targetILNS1_3genE0ELNS1_11target_archE4294967295ELNS1_3gpuE0ELNS1_3repE0EEENS1_30default_config_static_selectorELNS0_4arch9wavefront6targetE1EEEvSY_,@function
_ZN7rocprim17ROCPRIM_400000_NS6detail17trampoline_kernelINS0_14default_configENS1_27lower_bound_config_selectorIflEEZNS1_14transform_implILb0ES3_S5_N6thrust23THRUST_200600_302600_NS6detail15normal_iteratorINS8_7pointerIfNS8_11hip_rocprim16par_det_nosync_tENS8_11use_defaultESE_EEEENSA_INSB_IlSD_SE_SE_EEEEZNS1_13binary_searchIS3_S5_NSA_INS8_10device_ptrIfEEEESG_SI_NS1_21lower_bound_search_opENS9_16wrapped_functionINS8_6system6detail7generic6detail18binary_search_lessEbEEEE10hipError_tPvRmT1_T2_T3_mmT4_T5_P12ihipStream_tbEUlRKfE_EESV_SZ_S10_mS11_S14_bEUlT_E_NS1_11comp_targetILNS1_3genE0ELNS1_11target_archE4294967295ELNS1_3gpuE0ELNS1_3repE0EEENS1_30default_config_static_selectorELNS0_4arch9wavefront6targetE1EEEvSY_: ; @_ZN7rocprim17ROCPRIM_400000_NS6detail17trampoline_kernelINS0_14default_configENS1_27lower_bound_config_selectorIflEEZNS1_14transform_implILb0ES3_S5_N6thrust23THRUST_200600_302600_NS6detail15normal_iteratorINS8_7pointerIfNS8_11hip_rocprim16par_det_nosync_tENS8_11use_defaultESE_EEEENSA_INSB_IlSD_SE_SE_EEEEZNS1_13binary_searchIS3_S5_NSA_INS8_10device_ptrIfEEEESG_SI_NS1_21lower_bound_search_opENS9_16wrapped_functionINS8_6system6detail7generic6detail18binary_search_lessEbEEEE10hipError_tPvRmT1_T2_T3_mmT4_T5_P12ihipStream_tbEUlRKfE_EESV_SZ_S10_mS11_S14_bEUlT_E_NS1_11comp_targetILNS1_3genE0ELNS1_11target_archE4294967295ELNS1_3gpuE0ELNS1_3repE0EEENS1_30default_config_static_selectorELNS0_4arch9wavefront6targetE1EEEvSY_
; %bb.0:
	.section	.rodata,"a",@progbits
	.p2align	6, 0x0
	.amdhsa_kernel _ZN7rocprim17ROCPRIM_400000_NS6detail17trampoline_kernelINS0_14default_configENS1_27lower_bound_config_selectorIflEEZNS1_14transform_implILb0ES3_S5_N6thrust23THRUST_200600_302600_NS6detail15normal_iteratorINS8_7pointerIfNS8_11hip_rocprim16par_det_nosync_tENS8_11use_defaultESE_EEEENSA_INSB_IlSD_SE_SE_EEEEZNS1_13binary_searchIS3_S5_NSA_INS8_10device_ptrIfEEEESG_SI_NS1_21lower_bound_search_opENS9_16wrapped_functionINS8_6system6detail7generic6detail18binary_search_lessEbEEEE10hipError_tPvRmT1_T2_T3_mmT4_T5_P12ihipStream_tbEUlRKfE_EESV_SZ_S10_mS11_S14_bEUlT_E_NS1_11comp_targetILNS1_3genE0ELNS1_11target_archE4294967295ELNS1_3gpuE0ELNS1_3repE0EEENS1_30default_config_static_selectorELNS0_4arch9wavefront6targetE1EEEvSY_
		.amdhsa_group_segment_fixed_size 0
		.amdhsa_private_segment_fixed_size 0
		.amdhsa_kernarg_size 56
		.amdhsa_user_sgpr_count 6
		.amdhsa_user_sgpr_private_segment_buffer 1
		.amdhsa_user_sgpr_dispatch_ptr 0
		.amdhsa_user_sgpr_queue_ptr 0
		.amdhsa_user_sgpr_kernarg_segment_ptr 1
		.amdhsa_user_sgpr_dispatch_id 0
		.amdhsa_user_sgpr_flat_scratch_init 0
		.amdhsa_user_sgpr_private_segment_size 0
		.amdhsa_uses_dynamic_stack 0
		.amdhsa_system_sgpr_private_segment_wavefront_offset 0
		.amdhsa_system_sgpr_workgroup_id_x 1
		.amdhsa_system_sgpr_workgroup_id_y 0
		.amdhsa_system_sgpr_workgroup_id_z 0
		.amdhsa_system_sgpr_workgroup_info 0
		.amdhsa_system_vgpr_workitem_id 0
		.amdhsa_next_free_vgpr 1
		.amdhsa_next_free_sgpr 0
		.amdhsa_reserve_vcc 0
		.amdhsa_reserve_flat_scratch 0
		.amdhsa_float_round_mode_32 0
		.amdhsa_float_round_mode_16_64 0
		.amdhsa_float_denorm_mode_32 3
		.amdhsa_float_denorm_mode_16_64 3
		.amdhsa_dx10_clamp 1
		.amdhsa_ieee_mode 1
		.amdhsa_fp16_overflow 0
		.amdhsa_exception_fp_ieee_invalid_op 0
		.amdhsa_exception_fp_denorm_src 0
		.amdhsa_exception_fp_ieee_div_zero 0
		.amdhsa_exception_fp_ieee_overflow 0
		.amdhsa_exception_fp_ieee_underflow 0
		.amdhsa_exception_fp_ieee_inexact 0
		.amdhsa_exception_int_div_zero 0
	.end_amdhsa_kernel
	.section	.text._ZN7rocprim17ROCPRIM_400000_NS6detail17trampoline_kernelINS0_14default_configENS1_27lower_bound_config_selectorIflEEZNS1_14transform_implILb0ES3_S5_N6thrust23THRUST_200600_302600_NS6detail15normal_iteratorINS8_7pointerIfNS8_11hip_rocprim16par_det_nosync_tENS8_11use_defaultESE_EEEENSA_INSB_IlSD_SE_SE_EEEEZNS1_13binary_searchIS3_S5_NSA_INS8_10device_ptrIfEEEESG_SI_NS1_21lower_bound_search_opENS9_16wrapped_functionINS8_6system6detail7generic6detail18binary_search_lessEbEEEE10hipError_tPvRmT1_T2_T3_mmT4_T5_P12ihipStream_tbEUlRKfE_EESV_SZ_S10_mS11_S14_bEUlT_E_NS1_11comp_targetILNS1_3genE0ELNS1_11target_archE4294967295ELNS1_3gpuE0ELNS1_3repE0EEENS1_30default_config_static_selectorELNS0_4arch9wavefront6targetE1EEEvSY_,"axG",@progbits,_ZN7rocprim17ROCPRIM_400000_NS6detail17trampoline_kernelINS0_14default_configENS1_27lower_bound_config_selectorIflEEZNS1_14transform_implILb0ES3_S5_N6thrust23THRUST_200600_302600_NS6detail15normal_iteratorINS8_7pointerIfNS8_11hip_rocprim16par_det_nosync_tENS8_11use_defaultESE_EEEENSA_INSB_IlSD_SE_SE_EEEEZNS1_13binary_searchIS3_S5_NSA_INS8_10device_ptrIfEEEESG_SI_NS1_21lower_bound_search_opENS9_16wrapped_functionINS8_6system6detail7generic6detail18binary_search_lessEbEEEE10hipError_tPvRmT1_T2_T3_mmT4_T5_P12ihipStream_tbEUlRKfE_EESV_SZ_S10_mS11_S14_bEUlT_E_NS1_11comp_targetILNS1_3genE0ELNS1_11target_archE4294967295ELNS1_3gpuE0ELNS1_3repE0EEENS1_30default_config_static_selectorELNS0_4arch9wavefront6targetE1EEEvSY_,comdat
.Lfunc_end331:
	.size	_ZN7rocprim17ROCPRIM_400000_NS6detail17trampoline_kernelINS0_14default_configENS1_27lower_bound_config_selectorIflEEZNS1_14transform_implILb0ES3_S5_N6thrust23THRUST_200600_302600_NS6detail15normal_iteratorINS8_7pointerIfNS8_11hip_rocprim16par_det_nosync_tENS8_11use_defaultESE_EEEENSA_INSB_IlSD_SE_SE_EEEEZNS1_13binary_searchIS3_S5_NSA_INS8_10device_ptrIfEEEESG_SI_NS1_21lower_bound_search_opENS9_16wrapped_functionINS8_6system6detail7generic6detail18binary_search_lessEbEEEE10hipError_tPvRmT1_T2_T3_mmT4_T5_P12ihipStream_tbEUlRKfE_EESV_SZ_S10_mS11_S14_bEUlT_E_NS1_11comp_targetILNS1_3genE0ELNS1_11target_archE4294967295ELNS1_3gpuE0ELNS1_3repE0EEENS1_30default_config_static_selectorELNS0_4arch9wavefront6targetE1EEEvSY_, .Lfunc_end331-_ZN7rocprim17ROCPRIM_400000_NS6detail17trampoline_kernelINS0_14default_configENS1_27lower_bound_config_selectorIflEEZNS1_14transform_implILb0ES3_S5_N6thrust23THRUST_200600_302600_NS6detail15normal_iteratorINS8_7pointerIfNS8_11hip_rocprim16par_det_nosync_tENS8_11use_defaultESE_EEEENSA_INSB_IlSD_SE_SE_EEEEZNS1_13binary_searchIS3_S5_NSA_INS8_10device_ptrIfEEEESG_SI_NS1_21lower_bound_search_opENS9_16wrapped_functionINS8_6system6detail7generic6detail18binary_search_lessEbEEEE10hipError_tPvRmT1_T2_T3_mmT4_T5_P12ihipStream_tbEUlRKfE_EESV_SZ_S10_mS11_S14_bEUlT_E_NS1_11comp_targetILNS1_3genE0ELNS1_11target_archE4294967295ELNS1_3gpuE0ELNS1_3repE0EEENS1_30default_config_static_selectorELNS0_4arch9wavefront6targetE1EEEvSY_
                                        ; -- End function
	.set _ZN7rocprim17ROCPRIM_400000_NS6detail17trampoline_kernelINS0_14default_configENS1_27lower_bound_config_selectorIflEEZNS1_14transform_implILb0ES3_S5_N6thrust23THRUST_200600_302600_NS6detail15normal_iteratorINS8_7pointerIfNS8_11hip_rocprim16par_det_nosync_tENS8_11use_defaultESE_EEEENSA_INSB_IlSD_SE_SE_EEEEZNS1_13binary_searchIS3_S5_NSA_INS8_10device_ptrIfEEEESG_SI_NS1_21lower_bound_search_opENS9_16wrapped_functionINS8_6system6detail7generic6detail18binary_search_lessEbEEEE10hipError_tPvRmT1_T2_T3_mmT4_T5_P12ihipStream_tbEUlRKfE_EESV_SZ_S10_mS11_S14_bEUlT_E_NS1_11comp_targetILNS1_3genE0ELNS1_11target_archE4294967295ELNS1_3gpuE0ELNS1_3repE0EEENS1_30default_config_static_selectorELNS0_4arch9wavefront6targetE1EEEvSY_.num_vgpr, 0
	.set _ZN7rocprim17ROCPRIM_400000_NS6detail17trampoline_kernelINS0_14default_configENS1_27lower_bound_config_selectorIflEEZNS1_14transform_implILb0ES3_S5_N6thrust23THRUST_200600_302600_NS6detail15normal_iteratorINS8_7pointerIfNS8_11hip_rocprim16par_det_nosync_tENS8_11use_defaultESE_EEEENSA_INSB_IlSD_SE_SE_EEEEZNS1_13binary_searchIS3_S5_NSA_INS8_10device_ptrIfEEEESG_SI_NS1_21lower_bound_search_opENS9_16wrapped_functionINS8_6system6detail7generic6detail18binary_search_lessEbEEEE10hipError_tPvRmT1_T2_T3_mmT4_T5_P12ihipStream_tbEUlRKfE_EESV_SZ_S10_mS11_S14_bEUlT_E_NS1_11comp_targetILNS1_3genE0ELNS1_11target_archE4294967295ELNS1_3gpuE0ELNS1_3repE0EEENS1_30default_config_static_selectorELNS0_4arch9wavefront6targetE1EEEvSY_.num_agpr, 0
	.set _ZN7rocprim17ROCPRIM_400000_NS6detail17trampoline_kernelINS0_14default_configENS1_27lower_bound_config_selectorIflEEZNS1_14transform_implILb0ES3_S5_N6thrust23THRUST_200600_302600_NS6detail15normal_iteratorINS8_7pointerIfNS8_11hip_rocprim16par_det_nosync_tENS8_11use_defaultESE_EEEENSA_INSB_IlSD_SE_SE_EEEEZNS1_13binary_searchIS3_S5_NSA_INS8_10device_ptrIfEEEESG_SI_NS1_21lower_bound_search_opENS9_16wrapped_functionINS8_6system6detail7generic6detail18binary_search_lessEbEEEE10hipError_tPvRmT1_T2_T3_mmT4_T5_P12ihipStream_tbEUlRKfE_EESV_SZ_S10_mS11_S14_bEUlT_E_NS1_11comp_targetILNS1_3genE0ELNS1_11target_archE4294967295ELNS1_3gpuE0ELNS1_3repE0EEENS1_30default_config_static_selectorELNS0_4arch9wavefront6targetE1EEEvSY_.numbered_sgpr, 0
	.set _ZN7rocprim17ROCPRIM_400000_NS6detail17trampoline_kernelINS0_14default_configENS1_27lower_bound_config_selectorIflEEZNS1_14transform_implILb0ES3_S5_N6thrust23THRUST_200600_302600_NS6detail15normal_iteratorINS8_7pointerIfNS8_11hip_rocprim16par_det_nosync_tENS8_11use_defaultESE_EEEENSA_INSB_IlSD_SE_SE_EEEEZNS1_13binary_searchIS3_S5_NSA_INS8_10device_ptrIfEEEESG_SI_NS1_21lower_bound_search_opENS9_16wrapped_functionINS8_6system6detail7generic6detail18binary_search_lessEbEEEE10hipError_tPvRmT1_T2_T3_mmT4_T5_P12ihipStream_tbEUlRKfE_EESV_SZ_S10_mS11_S14_bEUlT_E_NS1_11comp_targetILNS1_3genE0ELNS1_11target_archE4294967295ELNS1_3gpuE0ELNS1_3repE0EEENS1_30default_config_static_selectorELNS0_4arch9wavefront6targetE1EEEvSY_.num_named_barrier, 0
	.set _ZN7rocprim17ROCPRIM_400000_NS6detail17trampoline_kernelINS0_14default_configENS1_27lower_bound_config_selectorIflEEZNS1_14transform_implILb0ES3_S5_N6thrust23THRUST_200600_302600_NS6detail15normal_iteratorINS8_7pointerIfNS8_11hip_rocprim16par_det_nosync_tENS8_11use_defaultESE_EEEENSA_INSB_IlSD_SE_SE_EEEEZNS1_13binary_searchIS3_S5_NSA_INS8_10device_ptrIfEEEESG_SI_NS1_21lower_bound_search_opENS9_16wrapped_functionINS8_6system6detail7generic6detail18binary_search_lessEbEEEE10hipError_tPvRmT1_T2_T3_mmT4_T5_P12ihipStream_tbEUlRKfE_EESV_SZ_S10_mS11_S14_bEUlT_E_NS1_11comp_targetILNS1_3genE0ELNS1_11target_archE4294967295ELNS1_3gpuE0ELNS1_3repE0EEENS1_30default_config_static_selectorELNS0_4arch9wavefront6targetE1EEEvSY_.private_seg_size, 0
	.set _ZN7rocprim17ROCPRIM_400000_NS6detail17trampoline_kernelINS0_14default_configENS1_27lower_bound_config_selectorIflEEZNS1_14transform_implILb0ES3_S5_N6thrust23THRUST_200600_302600_NS6detail15normal_iteratorINS8_7pointerIfNS8_11hip_rocprim16par_det_nosync_tENS8_11use_defaultESE_EEEENSA_INSB_IlSD_SE_SE_EEEEZNS1_13binary_searchIS3_S5_NSA_INS8_10device_ptrIfEEEESG_SI_NS1_21lower_bound_search_opENS9_16wrapped_functionINS8_6system6detail7generic6detail18binary_search_lessEbEEEE10hipError_tPvRmT1_T2_T3_mmT4_T5_P12ihipStream_tbEUlRKfE_EESV_SZ_S10_mS11_S14_bEUlT_E_NS1_11comp_targetILNS1_3genE0ELNS1_11target_archE4294967295ELNS1_3gpuE0ELNS1_3repE0EEENS1_30default_config_static_selectorELNS0_4arch9wavefront6targetE1EEEvSY_.uses_vcc, 0
	.set _ZN7rocprim17ROCPRIM_400000_NS6detail17trampoline_kernelINS0_14default_configENS1_27lower_bound_config_selectorIflEEZNS1_14transform_implILb0ES3_S5_N6thrust23THRUST_200600_302600_NS6detail15normal_iteratorINS8_7pointerIfNS8_11hip_rocprim16par_det_nosync_tENS8_11use_defaultESE_EEEENSA_INSB_IlSD_SE_SE_EEEEZNS1_13binary_searchIS3_S5_NSA_INS8_10device_ptrIfEEEESG_SI_NS1_21lower_bound_search_opENS9_16wrapped_functionINS8_6system6detail7generic6detail18binary_search_lessEbEEEE10hipError_tPvRmT1_T2_T3_mmT4_T5_P12ihipStream_tbEUlRKfE_EESV_SZ_S10_mS11_S14_bEUlT_E_NS1_11comp_targetILNS1_3genE0ELNS1_11target_archE4294967295ELNS1_3gpuE0ELNS1_3repE0EEENS1_30default_config_static_selectorELNS0_4arch9wavefront6targetE1EEEvSY_.uses_flat_scratch, 0
	.set _ZN7rocprim17ROCPRIM_400000_NS6detail17trampoline_kernelINS0_14default_configENS1_27lower_bound_config_selectorIflEEZNS1_14transform_implILb0ES3_S5_N6thrust23THRUST_200600_302600_NS6detail15normal_iteratorINS8_7pointerIfNS8_11hip_rocprim16par_det_nosync_tENS8_11use_defaultESE_EEEENSA_INSB_IlSD_SE_SE_EEEEZNS1_13binary_searchIS3_S5_NSA_INS8_10device_ptrIfEEEESG_SI_NS1_21lower_bound_search_opENS9_16wrapped_functionINS8_6system6detail7generic6detail18binary_search_lessEbEEEE10hipError_tPvRmT1_T2_T3_mmT4_T5_P12ihipStream_tbEUlRKfE_EESV_SZ_S10_mS11_S14_bEUlT_E_NS1_11comp_targetILNS1_3genE0ELNS1_11target_archE4294967295ELNS1_3gpuE0ELNS1_3repE0EEENS1_30default_config_static_selectorELNS0_4arch9wavefront6targetE1EEEvSY_.has_dyn_sized_stack, 0
	.set _ZN7rocprim17ROCPRIM_400000_NS6detail17trampoline_kernelINS0_14default_configENS1_27lower_bound_config_selectorIflEEZNS1_14transform_implILb0ES3_S5_N6thrust23THRUST_200600_302600_NS6detail15normal_iteratorINS8_7pointerIfNS8_11hip_rocprim16par_det_nosync_tENS8_11use_defaultESE_EEEENSA_INSB_IlSD_SE_SE_EEEEZNS1_13binary_searchIS3_S5_NSA_INS8_10device_ptrIfEEEESG_SI_NS1_21lower_bound_search_opENS9_16wrapped_functionINS8_6system6detail7generic6detail18binary_search_lessEbEEEE10hipError_tPvRmT1_T2_T3_mmT4_T5_P12ihipStream_tbEUlRKfE_EESV_SZ_S10_mS11_S14_bEUlT_E_NS1_11comp_targetILNS1_3genE0ELNS1_11target_archE4294967295ELNS1_3gpuE0ELNS1_3repE0EEENS1_30default_config_static_selectorELNS0_4arch9wavefront6targetE1EEEvSY_.has_recursion, 0
	.set _ZN7rocprim17ROCPRIM_400000_NS6detail17trampoline_kernelINS0_14default_configENS1_27lower_bound_config_selectorIflEEZNS1_14transform_implILb0ES3_S5_N6thrust23THRUST_200600_302600_NS6detail15normal_iteratorINS8_7pointerIfNS8_11hip_rocprim16par_det_nosync_tENS8_11use_defaultESE_EEEENSA_INSB_IlSD_SE_SE_EEEEZNS1_13binary_searchIS3_S5_NSA_INS8_10device_ptrIfEEEESG_SI_NS1_21lower_bound_search_opENS9_16wrapped_functionINS8_6system6detail7generic6detail18binary_search_lessEbEEEE10hipError_tPvRmT1_T2_T3_mmT4_T5_P12ihipStream_tbEUlRKfE_EESV_SZ_S10_mS11_S14_bEUlT_E_NS1_11comp_targetILNS1_3genE0ELNS1_11target_archE4294967295ELNS1_3gpuE0ELNS1_3repE0EEENS1_30default_config_static_selectorELNS0_4arch9wavefront6targetE1EEEvSY_.has_indirect_call, 0
	.section	.AMDGPU.csdata,"",@progbits
; Kernel info:
; codeLenInByte = 0
; TotalNumSgprs: 4
; NumVgprs: 0
; ScratchSize: 0
; MemoryBound: 0
; FloatMode: 240
; IeeeMode: 1
; LDSByteSize: 0 bytes/workgroup (compile time only)
; SGPRBlocks: 0
; VGPRBlocks: 0
; NumSGPRsForWavesPerEU: 4
; NumVGPRsForWavesPerEU: 1
; Occupancy: 10
; WaveLimiterHint : 0
; COMPUTE_PGM_RSRC2:SCRATCH_EN: 0
; COMPUTE_PGM_RSRC2:USER_SGPR: 6
; COMPUTE_PGM_RSRC2:TRAP_HANDLER: 0
; COMPUTE_PGM_RSRC2:TGID_X_EN: 1
; COMPUTE_PGM_RSRC2:TGID_Y_EN: 0
; COMPUTE_PGM_RSRC2:TGID_Z_EN: 0
; COMPUTE_PGM_RSRC2:TIDIG_COMP_CNT: 0
	.section	.text._ZN7rocprim17ROCPRIM_400000_NS6detail17trampoline_kernelINS0_14default_configENS1_27lower_bound_config_selectorIflEEZNS1_14transform_implILb0ES3_S5_N6thrust23THRUST_200600_302600_NS6detail15normal_iteratorINS8_7pointerIfNS8_11hip_rocprim16par_det_nosync_tENS8_11use_defaultESE_EEEENSA_INSB_IlSD_SE_SE_EEEEZNS1_13binary_searchIS3_S5_NSA_INS8_10device_ptrIfEEEESG_SI_NS1_21lower_bound_search_opENS9_16wrapped_functionINS8_6system6detail7generic6detail18binary_search_lessEbEEEE10hipError_tPvRmT1_T2_T3_mmT4_T5_P12ihipStream_tbEUlRKfE_EESV_SZ_S10_mS11_S14_bEUlT_E_NS1_11comp_targetILNS1_3genE5ELNS1_11target_archE942ELNS1_3gpuE9ELNS1_3repE0EEENS1_30default_config_static_selectorELNS0_4arch9wavefront6targetE1EEEvSY_,"axG",@progbits,_ZN7rocprim17ROCPRIM_400000_NS6detail17trampoline_kernelINS0_14default_configENS1_27lower_bound_config_selectorIflEEZNS1_14transform_implILb0ES3_S5_N6thrust23THRUST_200600_302600_NS6detail15normal_iteratorINS8_7pointerIfNS8_11hip_rocprim16par_det_nosync_tENS8_11use_defaultESE_EEEENSA_INSB_IlSD_SE_SE_EEEEZNS1_13binary_searchIS3_S5_NSA_INS8_10device_ptrIfEEEESG_SI_NS1_21lower_bound_search_opENS9_16wrapped_functionINS8_6system6detail7generic6detail18binary_search_lessEbEEEE10hipError_tPvRmT1_T2_T3_mmT4_T5_P12ihipStream_tbEUlRKfE_EESV_SZ_S10_mS11_S14_bEUlT_E_NS1_11comp_targetILNS1_3genE5ELNS1_11target_archE942ELNS1_3gpuE9ELNS1_3repE0EEENS1_30default_config_static_selectorELNS0_4arch9wavefront6targetE1EEEvSY_,comdat
	.protected	_ZN7rocprim17ROCPRIM_400000_NS6detail17trampoline_kernelINS0_14default_configENS1_27lower_bound_config_selectorIflEEZNS1_14transform_implILb0ES3_S5_N6thrust23THRUST_200600_302600_NS6detail15normal_iteratorINS8_7pointerIfNS8_11hip_rocprim16par_det_nosync_tENS8_11use_defaultESE_EEEENSA_INSB_IlSD_SE_SE_EEEEZNS1_13binary_searchIS3_S5_NSA_INS8_10device_ptrIfEEEESG_SI_NS1_21lower_bound_search_opENS9_16wrapped_functionINS8_6system6detail7generic6detail18binary_search_lessEbEEEE10hipError_tPvRmT1_T2_T3_mmT4_T5_P12ihipStream_tbEUlRKfE_EESV_SZ_S10_mS11_S14_bEUlT_E_NS1_11comp_targetILNS1_3genE5ELNS1_11target_archE942ELNS1_3gpuE9ELNS1_3repE0EEENS1_30default_config_static_selectorELNS0_4arch9wavefront6targetE1EEEvSY_ ; -- Begin function _ZN7rocprim17ROCPRIM_400000_NS6detail17trampoline_kernelINS0_14default_configENS1_27lower_bound_config_selectorIflEEZNS1_14transform_implILb0ES3_S5_N6thrust23THRUST_200600_302600_NS6detail15normal_iteratorINS8_7pointerIfNS8_11hip_rocprim16par_det_nosync_tENS8_11use_defaultESE_EEEENSA_INSB_IlSD_SE_SE_EEEEZNS1_13binary_searchIS3_S5_NSA_INS8_10device_ptrIfEEEESG_SI_NS1_21lower_bound_search_opENS9_16wrapped_functionINS8_6system6detail7generic6detail18binary_search_lessEbEEEE10hipError_tPvRmT1_T2_T3_mmT4_T5_P12ihipStream_tbEUlRKfE_EESV_SZ_S10_mS11_S14_bEUlT_E_NS1_11comp_targetILNS1_3genE5ELNS1_11target_archE942ELNS1_3gpuE9ELNS1_3repE0EEENS1_30default_config_static_selectorELNS0_4arch9wavefront6targetE1EEEvSY_
	.globl	_ZN7rocprim17ROCPRIM_400000_NS6detail17trampoline_kernelINS0_14default_configENS1_27lower_bound_config_selectorIflEEZNS1_14transform_implILb0ES3_S5_N6thrust23THRUST_200600_302600_NS6detail15normal_iteratorINS8_7pointerIfNS8_11hip_rocprim16par_det_nosync_tENS8_11use_defaultESE_EEEENSA_INSB_IlSD_SE_SE_EEEEZNS1_13binary_searchIS3_S5_NSA_INS8_10device_ptrIfEEEESG_SI_NS1_21lower_bound_search_opENS9_16wrapped_functionINS8_6system6detail7generic6detail18binary_search_lessEbEEEE10hipError_tPvRmT1_T2_T3_mmT4_T5_P12ihipStream_tbEUlRKfE_EESV_SZ_S10_mS11_S14_bEUlT_E_NS1_11comp_targetILNS1_3genE5ELNS1_11target_archE942ELNS1_3gpuE9ELNS1_3repE0EEENS1_30default_config_static_selectorELNS0_4arch9wavefront6targetE1EEEvSY_
	.p2align	8
	.type	_ZN7rocprim17ROCPRIM_400000_NS6detail17trampoline_kernelINS0_14default_configENS1_27lower_bound_config_selectorIflEEZNS1_14transform_implILb0ES3_S5_N6thrust23THRUST_200600_302600_NS6detail15normal_iteratorINS8_7pointerIfNS8_11hip_rocprim16par_det_nosync_tENS8_11use_defaultESE_EEEENSA_INSB_IlSD_SE_SE_EEEEZNS1_13binary_searchIS3_S5_NSA_INS8_10device_ptrIfEEEESG_SI_NS1_21lower_bound_search_opENS9_16wrapped_functionINS8_6system6detail7generic6detail18binary_search_lessEbEEEE10hipError_tPvRmT1_T2_T3_mmT4_T5_P12ihipStream_tbEUlRKfE_EESV_SZ_S10_mS11_S14_bEUlT_E_NS1_11comp_targetILNS1_3genE5ELNS1_11target_archE942ELNS1_3gpuE9ELNS1_3repE0EEENS1_30default_config_static_selectorELNS0_4arch9wavefront6targetE1EEEvSY_,@function
_ZN7rocprim17ROCPRIM_400000_NS6detail17trampoline_kernelINS0_14default_configENS1_27lower_bound_config_selectorIflEEZNS1_14transform_implILb0ES3_S5_N6thrust23THRUST_200600_302600_NS6detail15normal_iteratorINS8_7pointerIfNS8_11hip_rocprim16par_det_nosync_tENS8_11use_defaultESE_EEEENSA_INSB_IlSD_SE_SE_EEEEZNS1_13binary_searchIS3_S5_NSA_INS8_10device_ptrIfEEEESG_SI_NS1_21lower_bound_search_opENS9_16wrapped_functionINS8_6system6detail7generic6detail18binary_search_lessEbEEEE10hipError_tPvRmT1_T2_T3_mmT4_T5_P12ihipStream_tbEUlRKfE_EESV_SZ_S10_mS11_S14_bEUlT_E_NS1_11comp_targetILNS1_3genE5ELNS1_11target_archE942ELNS1_3gpuE9ELNS1_3repE0EEENS1_30default_config_static_selectorELNS0_4arch9wavefront6targetE1EEEvSY_: ; @_ZN7rocprim17ROCPRIM_400000_NS6detail17trampoline_kernelINS0_14default_configENS1_27lower_bound_config_selectorIflEEZNS1_14transform_implILb0ES3_S5_N6thrust23THRUST_200600_302600_NS6detail15normal_iteratorINS8_7pointerIfNS8_11hip_rocprim16par_det_nosync_tENS8_11use_defaultESE_EEEENSA_INSB_IlSD_SE_SE_EEEEZNS1_13binary_searchIS3_S5_NSA_INS8_10device_ptrIfEEEESG_SI_NS1_21lower_bound_search_opENS9_16wrapped_functionINS8_6system6detail7generic6detail18binary_search_lessEbEEEE10hipError_tPvRmT1_T2_T3_mmT4_T5_P12ihipStream_tbEUlRKfE_EESV_SZ_S10_mS11_S14_bEUlT_E_NS1_11comp_targetILNS1_3genE5ELNS1_11target_archE942ELNS1_3gpuE9ELNS1_3repE0EEENS1_30default_config_static_selectorELNS0_4arch9wavefront6targetE1EEEvSY_
; %bb.0:
	.section	.rodata,"a",@progbits
	.p2align	6, 0x0
	.amdhsa_kernel _ZN7rocprim17ROCPRIM_400000_NS6detail17trampoline_kernelINS0_14default_configENS1_27lower_bound_config_selectorIflEEZNS1_14transform_implILb0ES3_S5_N6thrust23THRUST_200600_302600_NS6detail15normal_iteratorINS8_7pointerIfNS8_11hip_rocprim16par_det_nosync_tENS8_11use_defaultESE_EEEENSA_INSB_IlSD_SE_SE_EEEEZNS1_13binary_searchIS3_S5_NSA_INS8_10device_ptrIfEEEESG_SI_NS1_21lower_bound_search_opENS9_16wrapped_functionINS8_6system6detail7generic6detail18binary_search_lessEbEEEE10hipError_tPvRmT1_T2_T3_mmT4_T5_P12ihipStream_tbEUlRKfE_EESV_SZ_S10_mS11_S14_bEUlT_E_NS1_11comp_targetILNS1_3genE5ELNS1_11target_archE942ELNS1_3gpuE9ELNS1_3repE0EEENS1_30default_config_static_selectorELNS0_4arch9wavefront6targetE1EEEvSY_
		.amdhsa_group_segment_fixed_size 0
		.amdhsa_private_segment_fixed_size 0
		.amdhsa_kernarg_size 56
		.amdhsa_user_sgpr_count 6
		.amdhsa_user_sgpr_private_segment_buffer 1
		.amdhsa_user_sgpr_dispatch_ptr 0
		.amdhsa_user_sgpr_queue_ptr 0
		.amdhsa_user_sgpr_kernarg_segment_ptr 1
		.amdhsa_user_sgpr_dispatch_id 0
		.amdhsa_user_sgpr_flat_scratch_init 0
		.amdhsa_user_sgpr_private_segment_size 0
		.amdhsa_uses_dynamic_stack 0
		.amdhsa_system_sgpr_private_segment_wavefront_offset 0
		.amdhsa_system_sgpr_workgroup_id_x 1
		.amdhsa_system_sgpr_workgroup_id_y 0
		.amdhsa_system_sgpr_workgroup_id_z 0
		.amdhsa_system_sgpr_workgroup_info 0
		.amdhsa_system_vgpr_workitem_id 0
		.amdhsa_next_free_vgpr 1
		.amdhsa_next_free_sgpr 0
		.amdhsa_reserve_vcc 0
		.amdhsa_reserve_flat_scratch 0
		.amdhsa_float_round_mode_32 0
		.amdhsa_float_round_mode_16_64 0
		.amdhsa_float_denorm_mode_32 3
		.amdhsa_float_denorm_mode_16_64 3
		.amdhsa_dx10_clamp 1
		.amdhsa_ieee_mode 1
		.amdhsa_fp16_overflow 0
		.amdhsa_exception_fp_ieee_invalid_op 0
		.amdhsa_exception_fp_denorm_src 0
		.amdhsa_exception_fp_ieee_div_zero 0
		.amdhsa_exception_fp_ieee_overflow 0
		.amdhsa_exception_fp_ieee_underflow 0
		.amdhsa_exception_fp_ieee_inexact 0
		.amdhsa_exception_int_div_zero 0
	.end_amdhsa_kernel
	.section	.text._ZN7rocprim17ROCPRIM_400000_NS6detail17trampoline_kernelINS0_14default_configENS1_27lower_bound_config_selectorIflEEZNS1_14transform_implILb0ES3_S5_N6thrust23THRUST_200600_302600_NS6detail15normal_iteratorINS8_7pointerIfNS8_11hip_rocprim16par_det_nosync_tENS8_11use_defaultESE_EEEENSA_INSB_IlSD_SE_SE_EEEEZNS1_13binary_searchIS3_S5_NSA_INS8_10device_ptrIfEEEESG_SI_NS1_21lower_bound_search_opENS9_16wrapped_functionINS8_6system6detail7generic6detail18binary_search_lessEbEEEE10hipError_tPvRmT1_T2_T3_mmT4_T5_P12ihipStream_tbEUlRKfE_EESV_SZ_S10_mS11_S14_bEUlT_E_NS1_11comp_targetILNS1_3genE5ELNS1_11target_archE942ELNS1_3gpuE9ELNS1_3repE0EEENS1_30default_config_static_selectorELNS0_4arch9wavefront6targetE1EEEvSY_,"axG",@progbits,_ZN7rocprim17ROCPRIM_400000_NS6detail17trampoline_kernelINS0_14default_configENS1_27lower_bound_config_selectorIflEEZNS1_14transform_implILb0ES3_S5_N6thrust23THRUST_200600_302600_NS6detail15normal_iteratorINS8_7pointerIfNS8_11hip_rocprim16par_det_nosync_tENS8_11use_defaultESE_EEEENSA_INSB_IlSD_SE_SE_EEEEZNS1_13binary_searchIS3_S5_NSA_INS8_10device_ptrIfEEEESG_SI_NS1_21lower_bound_search_opENS9_16wrapped_functionINS8_6system6detail7generic6detail18binary_search_lessEbEEEE10hipError_tPvRmT1_T2_T3_mmT4_T5_P12ihipStream_tbEUlRKfE_EESV_SZ_S10_mS11_S14_bEUlT_E_NS1_11comp_targetILNS1_3genE5ELNS1_11target_archE942ELNS1_3gpuE9ELNS1_3repE0EEENS1_30default_config_static_selectorELNS0_4arch9wavefront6targetE1EEEvSY_,comdat
.Lfunc_end332:
	.size	_ZN7rocprim17ROCPRIM_400000_NS6detail17trampoline_kernelINS0_14default_configENS1_27lower_bound_config_selectorIflEEZNS1_14transform_implILb0ES3_S5_N6thrust23THRUST_200600_302600_NS6detail15normal_iteratorINS8_7pointerIfNS8_11hip_rocprim16par_det_nosync_tENS8_11use_defaultESE_EEEENSA_INSB_IlSD_SE_SE_EEEEZNS1_13binary_searchIS3_S5_NSA_INS8_10device_ptrIfEEEESG_SI_NS1_21lower_bound_search_opENS9_16wrapped_functionINS8_6system6detail7generic6detail18binary_search_lessEbEEEE10hipError_tPvRmT1_T2_T3_mmT4_T5_P12ihipStream_tbEUlRKfE_EESV_SZ_S10_mS11_S14_bEUlT_E_NS1_11comp_targetILNS1_3genE5ELNS1_11target_archE942ELNS1_3gpuE9ELNS1_3repE0EEENS1_30default_config_static_selectorELNS0_4arch9wavefront6targetE1EEEvSY_, .Lfunc_end332-_ZN7rocprim17ROCPRIM_400000_NS6detail17trampoline_kernelINS0_14default_configENS1_27lower_bound_config_selectorIflEEZNS1_14transform_implILb0ES3_S5_N6thrust23THRUST_200600_302600_NS6detail15normal_iteratorINS8_7pointerIfNS8_11hip_rocprim16par_det_nosync_tENS8_11use_defaultESE_EEEENSA_INSB_IlSD_SE_SE_EEEEZNS1_13binary_searchIS3_S5_NSA_INS8_10device_ptrIfEEEESG_SI_NS1_21lower_bound_search_opENS9_16wrapped_functionINS8_6system6detail7generic6detail18binary_search_lessEbEEEE10hipError_tPvRmT1_T2_T3_mmT4_T5_P12ihipStream_tbEUlRKfE_EESV_SZ_S10_mS11_S14_bEUlT_E_NS1_11comp_targetILNS1_3genE5ELNS1_11target_archE942ELNS1_3gpuE9ELNS1_3repE0EEENS1_30default_config_static_selectorELNS0_4arch9wavefront6targetE1EEEvSY_
                                        ; -- End function
	.set _ZN7rocprim17ROCPRIM_400000_NS6detail17trampoline_kernelINS0_14default_configENS1_27lower_bound_config_selectorIflEEZNS1_14transform_implILb0ES3_S5_N6thrust23THRUST_200600_302600_NS6detail15normal_iteratorINS8_7pointerIfNS8_11hip_rocprim16par_det_nosync_tENS8_11use_defaultESE_EEEENSA_INSB_IlSD_SE_SE_EEEEZNS1_13binary_searchIS3_S5_NSA_INS8_10device_ptrIfEEEESG_SI_NS1_21lower_bound_search_opENS9_16wrapped_functionINS8_6system6detail7generic6detail18binary_search_lessEbEEEE10hipError_tPvRmT1_T2_T3_mmT4_T5_P12ihipStream_tbEUlRKfE_EESV_SZ_S10_mS11_S14_bEUlT_E_NS1_11comp_targetILNS1_3genE5ELNS1_11target_archE942ELNS1_3gpuE9ELNS1_3repE0EEENS1_30default_config_static_selectorELNS0_4arch9wavefront6targetE1EEEvSY_.num_vgpr, 0
	.set _ZN7rocprim17ROCPRIM_400000_NS6detail17trampoline_kernelINS0_14default_configENS1_27lower_bound_config_selectorIflEEZNS1_14transform_implILb0ES3_S5_N6thrust23THRUST_200600_302600_NS6detail15normal_iteratorINS8_7pointerIfNS8_11hip_rocprim16par_det_nosync_tENS8_11use_defaultESE_EEEENSA_INSB_IlSD_SE_SE_EEEEZNS1_13binary_searchIS3_S5_NSA_INS8_10device_ptrIfEEEESG_SI_NS1_21lower_bound_search_opENS9_16wrapped_functionINS8_6system6detail7generic6detail18binary_search_lessEbEEEE10hipError_tPvRmT1_T2_T3_mmT4_T5_P12ihipStream_tbEUlRKfE_EESV_SZ_S10_mS11_S14_bEUlT_E_NS1_11comp_targetILNS1_3genE5ELNS1_11target_archE942ELNS1_3gpuE9ELNS1_3repE0EEENS1_30default_config_static_selectorELNS0_4arch9wavefront6targetE1EEEvSY_.num_agpr, 0
	.set _ZN7rocprim17ROCPRIM_400000_NS6detail17trampoline_kernelINS0_14default_configENS1_27lower_bound_config_selectorIflEEZNS1_14transform_implILb0ES3_S5_N6thrust23THRUST_200600_302600_NS6detail15normal_iteratorINS8_7pointerIfNS8_11hip_rocprim16par_det_nosync_tENS8_11use_defaultESE_EEEENSA_INSB_IlSD_SE_SE_EEEEZNS1_13binary_searchIS3_S5_NSA_INS8_10device_ptrIfEEEESG_SI_NS1_21lower_bound_search_opENS9_16wrapped_functionINS8_6system6detail7generic6detail18binary_search_lessEbEEEE10hipError_tPvRmT1_T2_T3_mmT4_T5_P12ihipStream_tbEUlRKfE_EESV_SZ_S10_mS11_S14_bEUlT_E_NS1_11comp_targetILNS1_3genE5ELNS1_11target_archE942ELNS1_3gpuE9ELNS1_3repE0EEENS1_30default_config_static_selectorELNS0_4arch9wavefront6targetE1EEEvSY_.numbered_sgpr, 0
	.set _ZN7rocprim17ROCPRIM_400000_NS6detail17trampoline_kernelINS0_14default_configENS1_27lower_bound_config_selectorIflEEZNS1_14transform_implILb0ES3_S5_N6thrust23THRUST_200600_302600_NS6detail15normal_iteratorINS8_7pointerIfNS8_11hip_rocprim16par_det_nosync_tENS8_11use_defaultESE_EEEENSA_INSB_IlSD_SE_SE_EEEEZNS1_13binary_searchIS3_S5_NSA_INS8_10device_ptrIfEEEESG_SI_NS1_21lower_bound_search_opENS9_16wrapped_functionINS8_6system6detail7generic6detail18binary_search_lessEbEEEE10hipError_tPvRmT1_T2_T3_mmT4_T5_P12ihipStream_tbEUlRKfE_EESV_SZ_S10_mS11_S14_bEUlT_E_NS1_11comp_targetILNS1_3genE5ELNS1_11target_archE942ELNS1_3gpuE9ELNS1_3repE0EEENS1_30default_config_static_selectorELNS0_4arch9wavefront6targetE1EEEvSY_.num_named_barrier, 0
	.set _ZN7rocprim17ROCPRIM_400000_NS6detail17trampoline_kernelINS0_14default_configENS1_27lower_bound_config_selectorIflEEZNS1_14transform_implILb0ES3_S5_N6thrust23THRUST_200600_302600_NS6detail15normal_iteratorINS8_7pointerIfNS8_11hip_rocprim16par_det_nosync_tENS8_11use_defaultESE_EEEENSA_INSB_IlSD_SE_SE_EEEEZNS1_13binary_searchIS3_S5_NSA_INS8_10device_ptrIfEEEESG_SI_NS1_21lower_bound_search_opENS9_16wrapped_functionINS8_6system6detail7generic6detail18binary_search_lessEbEEEE10hipError_tPvRmT1_T2_T3_mmT4_T5_P12ihipStream_tbEUlRKfE_EESV_SZ_S10_mS11_S14_bEUlT_E_NS1_11comp_targetILNS1_3genE5ELNS1_11target_archE942ELNS1_3gpuE9ELNS1_3repE0EEENS1_30default_config_static_selectorELNS0_4arch9wavefront6targetE1EEEvSY_.private_seg_size, 0
	.set _ZN7rocprim17ROCPRIM_400000_NS6detail17trampoline_kernelINS0_14default_configENS1_27lower_bound_config_selectorIflEEZNS1_14transform_implILb0ES3_S5_N6thrust23THRUST_200600_302600_NS6detail15normal_iteratorINS8_7pointerIfNS8_11hip_rocprim16par_det_nosync_tENS8_11use_defaultESE_EEEENSA_INSB_IlSD_SE_SE_EEEEZNS1_13binary_searchIS3_S5_NSA_INS8_10device_ptrIfEEEESG_SI_NS1_21lower_bound_search_opENS9_16wrapped_functionINS8_6system6detail7generic6detail18binary_search_lessEbEEEE10hipError_tPvRmT1_T2_T3_mmT4_T5_P12ihipStream_tbEUlRKfE_EESV_SZ_S10_mS11_S14_bEUlT_E_NS1_11comp_targetILNS1_3genE5ELNS1_11target_archE942ELNS1_3gpuE9ELNS1_3repE0EEENS1_30default_config_static_selectorELNS0_4arch9wavefront6targetE1EEEvSY_.uses_vcc, 0
	.set _ZN7rocprim17ROCPRIM_400000_NS6detail17trampoline_kernelINS0_14default_configENS1_27lower_bound_config_selectorIflEEZNS1_14transform_implILb0ES3_S5_N6thrust23THRUST_200600_302600_NS6detail15normal_iteratorINS8_7pointerIfNS8_11hip_rocprim16par_det_nosync_tENS8_11use_defaultESE_EEEENSA_INSB_IlSD_SE_SE_EEEEZNS1_13binary_searchIS3_S5_NSA_INS8_10device_ptrIfEEEESG_SI_NS1_21lower_bound_search_opENS9_16wrapped_functionINS8_6system6detail7generic6detail18binary_search_lessEbEEEE10hipError_tPvRmT1_T2_T3_mmT4_T5_P12ihipStream_tbEUlRKfE_EESV_SZ_S10_mS11_S14_bEUlT_E_NS1_11comp_targetILNS1_3genE5ELNS1_11target_archE942ELNS1_3gpuE9ELNS1_3repE0EEENS1_30default_config_static_selectorELNS0_4arch9wavefront6targetE1EEEvSY_.uses_flat_scratch, 0
	.set _ZN7rocprim17ROCPRIM_400000_NS6detail17trampoline_kernelINS0_14default_configENS1_27lower_bound_config_selectorIflEEZNS1_14transform_implILb0ES3_S5_N6thrust23THRUST_200600_302600_NS6detail15normal_iteratorINS8_7pointerIfNS8_11hip_rocprim16par_det_nosync_tENS8_11use_defaultESE_EEEENSA_INSB_IlSD_SE_SE_EEEEZNS1_13binary_searchIS3_S5_NSA_INS8_10device_ptrIfEEEESG_SI_NS1_21lower_bound_search_opENS9_16wrapped_functionINS8_6system6detail7generic6detail18binary_search_lessEbEEEE10hipError_tPvRmT1_T2_T3_mmT4_T5_P12ihipStream_tbEUlRKfE_EESV_SZ_S10_mS11_S14_bEUlT_E_NS1_11comp_targetILNS1_3genE5ELNS1_11target_archE942ELNS1_3gpuE9ELNS1_3repE0EEENS1_30default_config_static_selectorELNS0_4arch9wavefront6targetE1EEEvSY_.has_dyn_sized_stack, 0
	.set _ZN7rocprim17ROCPRIM_400000_NS6detail17trampoline_kernelINS0_14default_configENS1_27lower_bound_config_selectorIflEEZNS1_14transform_implILb0ES3_S5_N6thrust23THRUST_200600_302600_NS6detail15normal_iteratorINS8_7pointerIfNS8_11hip_rocprim16par_det_nosync_tENS8_11use_defaultESE_EEEENSA_INSB_IlSD_SE_SE_EEEEZNS1_13binary_searchIS3_S5_NSA_INS8_10device_ptrIfEEEESG_SI_NS1_21lower_bound_search_opENS9_16wrapped_functionINS8_6system6detail7generic6detail18binary_search_lessEbEEEE10hipError_tPvRmT1_T2_T3_mmT4_T5_P12ihipStream_tbEUlRKfE_EESV_SZ_S10_mS11_S14_bEUlT_E_NS1_11comp_targetILNS1_3genE5ELNS1_11target_archE942ELNS1_3gpuE9ELNS1_3repE0EEENS1_30default_config_static_selectorELNS0_4arch9wavefront6targetE1EEEvSY_.has_recursion, 0
	.set _ZN7rocprim17ROCPRIM_400000_NS6detail17trampoline_kernelINS0_14default_configENS1_27lower_bound_config_selectorIflEEZNS1_14transform_implILb0ES3_S5_N6thrust23THRUST_200600_302600_NS6detail15normal_iteratorINS8_7pointerIfNS8_11hip_rocprim16par_det_nosync_tENS8_11use_defaultESE_EEEENSA_INSB_IlSD_SE_SE_EEEEZNS1_13binary_searchIS3_S5_NSA_INS8_10device_ptrIfEEEESG_SI_NS1_21lower_bound_search_opENS9_16wrapped_functionINS8_6system6detail7generic6detail18binary_search_lessEbEEEE10hipError_tPvRmT1_T2_T3_mmT4_T5_P12ihipStream_tbEUlRKfE_EESV_SZ_S10_mS11_S14_bEUlT_E_NS1_11comp_targetILNS1_3genE5ELNS1_11target_archE942ELNS1_3gpuE9ELNS1_3repE0EEENS1_30default_config_static_selectorELNS0_4arch9wavefront6targetE1EEEvSY_.has_indirect_call, 0
	.section	.AMDGPU.csdata,"",@progbits
; Kernel info:
; codeLenInByte = 0
; TotalNumSgprs: 4
; NumVgprs: 0
; ScratchSize: 0
; MemoryBound: 0
; FloatMode: 240
; IeeeMode: 1
; LDSByteSize: 0 bytes/workgroup (compile time only)
; SGPRBlocks: 0
; VGPRBlocks: 0
; NumSGPRsForWavesPerEU: 4
; NumVGPRsForWavesPerEU: 1
; Occupancy: 10
; WaveLimiterHint : 0
; COMPUTE_PGM_RSRC2:SCRATCH_EN: 0
; COMPUTE_PGM_RSRC2:USER_SGPR: 6
; COMPUTE_PGM_RSRC2:TRAP_HANDLER: 0
; COMPUTE_PGM_RSRC2:TGID_X_EN: 1
; COMPUTE_PGM_RSRC2:TGID_Y_EN: 0
; COMPUTE_PGM_RSRC2:TGID_Z_EN: 0
; COMPUTE_PGM_RSRC2:TIDIG_COMP_CNT: 0
	.section	.text._ZN7rocprim17ROCPRIM_400000_NS6detail17trampoline_kernelINS0_14default_configENS1_27lower_bound_config_selectorIflEEZNS1_14transform_implILb0ES3_S5_N6thrust23THRUST_200600_302600_NS6detail15normal_iteratorINS8_7pointerIfNS8_11hip_rocprim16par_det_nosync_tENS8_11use_defaultESE_EEEENSA_INSB_IlSD_SE_SE_EEEEZNS1_13binary_searchIS3_S5_NSA_INS8_10device_ptrIfEEEESG_SI_NS1_21lower_bound_search_opENS9_16wrapped_functionINS8_6system6detail7generic6detail18binary_search_lessEbEEEE10hipError_tPvRmT1_T2_T3_mmT4_T5_P12ihipStream_tbEUlRKfE_EESV_SZ_S10_mS11_S14_bEUlT_E_NS1_11comp_targetILNS1_3genE4ELNS1_11target_archE910ELNS1_3gpuE8ELNS1_3repE0EEENS1_30default_config_static_selectorELNS0_4arch9wavefront6targetE1EEEvSY_,"axG",@progbits,_ZN7rocprim17ROCPRIM_400000_NS6detail17trampoline_kernelINS0_14default_configENS1_27lower_bound_config_selectorIflEEZNS1_14transform_implILb0ES3_S5_N6thrust23THRUST_200600_302600_NS6detail15normal_iteratorINS8_7pointerIfNS8_11hip_rocprim16par_det_nosync_tENS8_11use_defaultESE_EEEENSA_INSB_IlSD_SE_SE_EEEEZNS1_13binary_searchIS3_S5_NSA_INS8_10device_ptrIfEEEESG_SI_NS1_21lower_bound_search_opENS9_16wrapped_functionINS8_6system6detail7generic6detail18binary_search_lessEbEEEE10hipError_tPvRmT1_T2_T3_mmT4_T5_P12ihipStream_tbEUlRKfE_EESV_SZ_S10_mS11_S14_bEUlT_E_NS1_11comp_targetILNS1_3genE4ELNS1_11target_archE910ELNS1_3gpuE8ELNS1_3repE0EEENS1_30default_config_static_selectorELNS0_4arch9wavefront6targetE1EEEvSY_,comdat
	.protected	_ZN7rocprim17ROCPRIM_400000_NS6detail17trampoline_kernelINS0_14default_configENS1_27lower_bound_config_selectorIflEEZNS1_14transform_implILb0ES3_S5_N6thrust23THRUST_200600_302600_NS6detail15normal_iteratorINS8_7pointerIfNS8_11hip_rocprim16par_det_nosync_tENS8_11use_defaultESE_EEEENSA_INSB_IlSD_SE_SE_EEEEZNS1_13binary_searchIS3_S5_NSA_INS8_10device_ptrIfEEEESG_SI_NS1_21lower_bound_search_opENS9_16wrapped_functionINS8_6system6detail7generic6detail18binary_search_lessEbEEEE10hipError_tPvRmT1_T2_T3_mmT4_T5_P12ihipStream_tbEUlRKfE_EESV_SZ_S10_mS11_S14_bEUlT_E_NS1_11comp_targetILNS1_3genE4ELNS1_11target_archE910ELNS1_3gpuE8ELNS1_3repE0EEENS1_30default_config_static_selectorELNS0_4arch9wavefront6targetE1EEEvSY_ ; -- Begin function _ZN7rocprim17ROCPRIM_400000_NS6detail17trampoline_kernelINS0_14default_configENS1_27lower_bound_config_selectorIflEEZNS1_14transform_implILb0ES3_S5_N6thrust23THRUST_200600_302600_NS6detail15normal_iteratorINS8_7pointerIfNS8_11hip_rocprim16par_det_nosync_tENS8_11use_defaultESE_EEEENSA_INSB_IlSD_SE_SE_EEEEZNS1_13binary_searchIS3_S5_NSA_INS8_10device_ptrIfEEEESG_SI_NS1_21lower_bound_search_opENS9_16wrapped_functionINS8_6system6detail7generic6detail18binary_search_lessEbEEEE10hipError_tPvRmT1_T2_T3_mmT4_T5_P12ihipStream_tbEUlRKfE_EESV_SZ_S10_mS11_S14_bEUlT_E_NS1_11comp_targetILNS1_3genE4ELNS1_11target_archE910ELNS1_3gpuE8ELNS1_3repE0EEENS1_30default_config_static_selectorELNS0_4arch9wavefront6targetE1EEEvSY_
	.globl	_ZN7rocprim17ROCPRIM_400000_NS6detail17trampoline_kernelINS0_14default_configENS1_27lower_bound_config_selectorIflEEZNS1_14transform_implILb0ES3_S5_N6thrust23THRUST_200600_302600_NS6detail15normal_iteratorINS8_7pointerIfNS8_11hip_rocprim16par_det_nosync_tENS8_11use_defaultESE_EEEENSA_INSB_IlSD_SE_SE_EEEEZNS1_13binary_searchIS3_S5_NSA_INS8_10device_ptrIfEEEESG_SI_NS1_21lower_bound_search_opENS9_16wrapped_functionINS8_6system6detail7generic6detail18binary_search_lessEbEEEE10hipError_tPvRmT1_T2_T3_mmT4_T5_P12ihipStream_tbEUlRKfE_EESV_SZ_S10_mS11_S14_bEUlT_E_NS1_11comp_targetILNS1_3genE4ELNS1_11target_archE910ELNS1_3gpuE8ELNS1_3repE0EEENS1_30default_config_static_selectorELNS0_4arch9wavefront6targetE1EEEvSY_
	.p2align	8
	.type	_ZN7rocprim17ROCPRIM_400000_NS6detail17trampoline_kernelINS0_14default_configENS1_27lower_bound_config_selectorIflEEZNS1_14transform_implILb0ES3_S5_N6thrust23THRUST_200600_302600_NS6detail15normal_iteratorINS8_7pointerIfNS8_11hip_rocprim16par_det_nosync_tENS8_11use_defaultESE_EEEENSA_INSB_IlSD_SE_SE_EEEEZNS1_13binary_searchIS3_S5_NSA_INS8_10device_ptrIfEEEESG_SI_NS1_21lower_bound_search_opENS9_16wrapped_functionINS8_6system6detail7generic6detail18binary_search_lessEbEEEE10hipError_tPvRmT1_T2_T3_mmT4_T5_P12ihipStream_tbEUlRKfE_EESV_SZ_S10_mS11_S14_bEUlT_E_NS1_11comp_targetILNS1_3genE4ELNS1_11target_archE910ELNS1_3gpuE8ELNS1_3repE0EEENS1_30default_config_static_selectorELNS0_4arch9wavefront6targetE1EEEvSY_,@function
_ZN7rocprim17ROCPRIM_400000_NS6detail17trampoline_kernelINS0_14default_configENS1_27lower_bound_config_selectorIflEEZNS1_14transform_implILb0ES3_S5_N6thrust23THRUST_200600_302600_NS6detail15normal_iteratorINS8_7pointerIfNS8_11hip_rocprim16par_det_nosync_tENS8_11use_defaultESE_EEEENSA_INSB_IlSD_SE_SE_EEEEZNS1_13binary_searchIS3_S5_NSA_INS8_10device_ptrIfEEEESG_SI_NS1_21lower_bound_search_opENS9_16wrapped_functionINS8_6system6detail7generic6detail18binary_search_lessEbEEEE10hipError_tPvRmT1_T2_T3_mmT4_T5_P12ihipStream_tbEUlRKfE_EESV_SZ_S10_mS11_S14_bEUlT_E_NS1_11comp_targetILNS1_3genE4ELNS1_11target_archE910ELNS1_3gpuE8ELNS1_3repE0EEENS1_30default_config_static_selectorELNS0_4arch9wavefront6targetE1EEEvSY_: ; @_ZN7rocprim17ROCPRIM_400000_NS6detail17trampoline_kernelINS0_14default_configENS1_27lower_bound_config_selectorIflEEZNS1_14transform_implILb0ES3_S5_N6thrust23THRUST_200600_302600_NS6detail15normal_iteratorINS8_7pointerIfNS8_11hip_rocprim16par_det_nosync_tENS8_11use_defaultESE_EEEENSA_INSB_IlSD_SE_SE_EEEEZNS1_13binary_searchIS3_S5_NSA_INS8_10device_ptrIfEEEESG_SI_NS1_21lower_bound_search_opENS9_16wrapped_functionINS8_6system6detail7generic6detail18binary_search_lessEbEEEE10hipError_tPvRmT1_T2_T3_mmT4_T5_P12ihipStream_tbEUlRKfE_EESV_SZ_S10_mS11_S14_bEUlT_E_NS1_11comp_targetILNS1_3genE4ELNS1_11target_archE910ELNS1_3gpuE8ELNS1_3repE0EEENS1_30default_config_static_selectorELNS0_4arch9wavefront6targetE1EEEvSY_
; %bb.0:
	.section	.rodata,"a",@progbits
	.p2align	6, 0x0
	.amdhsa_kernel _ZN7rocprim17ROCPRIM_400000_NS6detail17trampoline_kernelINS0_14default_configENS1_27lower_bound_config_selectorIflEEZNS1_14transform_implILb0ES3_S5_N6thrust23THRUST_200600_302600_NS6detail15normal_iteratorINS8_7pointerIfNS8_11hip_rocprim16par_det_nosync_tENS8_11use_defaultESE_EEEENSA_INSB_IlSD_SE_SE_EEEEZNS1_13binary_searchIS3_S5_NSA_INS8_10device_ptrIfEEEESG_SI_NS1_21lower_bound_search_opENS9_16wrapped_functionINS8_6system6detail7generic6detail18binary_search_lessEbEEEE10hipError_tPvRmT1_T2_T3_mmT4_T5_P12ihipStream_tbEUlRKfE_EESV_SZ_S10_mS11_S14_bEUlT_E_NS1_11comp_targetILNS1_3genE4ELNS1_11target_archE910ELNS1_3gpuE8ELNS1_3repE0EEENS1_30default_config_static_selectorELNS0_4arch9wavefront6targetE1EEEvSY_
		.amdhsa_group_segment_fixed_size 0
		.amdhsa_private_segment_fixed_size 0
		.amdhsa_kernarg_size 56
		.amdhsa_user_sgpr_count 6
		.amdhsa_user_sgpr_private_segment_buffer 1
		.amdhsa_user_sgpr_dispatch_ptr 0
		.amdhsa_user_sgpr_queue_ptr 0
		.amdhsa_user_sgpr_kernarg_segment_ptr 1
		.amdhsa_user_sgpr_dispatch_id 0
		.amdhsa_user_sgpr_flat_scratch_init 0
		.amdhsa_user_sgpr_private_segment_size 0
		.amdhsa_uses_dynamic_stack 0
		.amdhsa_system_sgpr_private_segment_wavefront_offset 0
		.amdhsa_system_sgpr_workgroup_id_x 1
		.amdhsa_system_sgpr_workgroup_id_y 0
		.amdhsa_system_sgpr_workgroup_id_z 0
		.amdhsa_system_sgpr_workgroup_info 0
		.amdhsa_system_vgpr_workitem_id 0
		.amdhsa_next_free_vgpr 1
		.amdhsa_next_free_sgpr 0
		.amdhsa_reserve_vcc 0
		.amdhsa_reserve_flat_scratch 0
		.amdhsa_float_round_mode_32 0
		.amdhsa_float_round_mode_16_64 0
		.amdhsa_float_denorm_mode_32 3
		.amdhsa_float_denorm_mode_16_64 3
		.amdhsa_dx10_clamp 1
		.amdhsa_ieee_mode 1
		.amdhsa_fp16_overflow 0
		.amdhsa_exception_fp_ieee_invalid_op 0
		.amdhsa_exception_fp_denorm_src 0
		.amdhsa_exception_fp_ieee_div_zero 0
		.amdhsa_exception_fp_ieee_overflow 0
		.amdhsa_exception_fp_ieee_underflow 0
		.amdhsa_exception_fp_ieee_inexact 0
		.amdhsa_exception_int_div_zero 0
	.end_amdhsa_kernel
	.section	.text._ZN7rocprim17ROCPRIM_400000_NS6detail17trampoline_kernelINS0_14default_configENS1_27lower_bound_config_selectorIflEEZNS1_14transform_implILb0ES3_S5_N6thrust23THRUST_200600_302600_NS6detail15normal_iteratorINS8_7pointerIfNS8_11hip_rocprim16par_det_nosync_tENS8_11use_defaultESE_EEEENSA_INSB_IlSD_SE_SE_EEEEZNS1_13binary_searchIS3_S5_NSA_INS8_10device_ptrIfEEEESG_SI_NS1_21lower_bound_search_opENS9_16wrapped_functionINS8_6system6detail7generic6detail18binary_search_lessEbEEEE10hipError_tPvRmT1_T2_T3_mmT4_T5_P12ihipStream_tbEUlRKfE_EESV_SZ_S10_mS11_S14_bEUlT_E_NS1_11comp_targetILNS1_3genE4ELNS1_11target_archE910ELNS1_3gpuE8ELNS1_3repE0EEENS1_30default_config_static_selectorELNS0_4arch9wavefront6targetE1EEEvSY_,"axG",@progbits,_ZN7rocprim17ROCPRIM_400000_NS6detail17trampoline_kernelINS0_14default_configENS1_27lower_bound_config_selectorIflEEZNS1_14transform_implILb0ES3_S5_N6thrust23THRUST_200600_302600_NS6detail15normal_iteratorINS8_7pointerIfNS8_11hip_rocprim16par_det_nosync_tENS8_11use_defaultESE_EEEENSA_INSB_IlSD_SE_SE_EEEEZNS1_13binary_searchIS3_S5_NSA_INS8_10device_ptrIfEEEESG_SI_NS1_21lower_bound_search_opENS9_16wrapped_functionINS8_6system6detail7generic6detail18binary_search_lessEbEEEE10hipError_tPvRmT1_T2_T3_mmT4_T5_P12ihipStream_tbEUlRKfE_EESV_SZ_S10_mS11_S14_bEUlT_E_NS1_11comp_targetILNS1_3genE4ELNS1_11target_archE910ELNS1_3gpuE8ELNS1_3repE0EEENS1_30default_config_static_selectorELNS0_4arch9wavefront6targetE1EEEvSY_,comdat
.Lfunc_end333:
	.size	_ZN7rocprim17ROCPRIM_400000_NS6detail17trampoline_kernelINS0_14default_configENS1_27lower_bound_config_selectorIflEEZNS1_14transform_implILb0ES3_S5_N6thrust23THRUST_200600_302600_NS6detail15normal_iteratorINS8_7pointerIfNS8_11hip_rocprim16par_det_nosync_tENS8_11use_defaultESE_EEEENSA_INSB_IlSD_SE_SE_EEEEZNS1_13binary_searchIS3_S5_NSA_INS8_10device_ptrIfEEEESG_SI_NS1_21lower_bound_search_opENS9_16wrapped_functionINS8_6system6detail7generic6detail18binary_search_lessEbEEEE10hipError_tPvRmT1_T2_T3_mmT4_T5_P12ihipStream_tbEUlRKfE_EESV_SZ_S10_mS11_S14_bEUlT_E_NS1_11comp_targetILNS1_3genE4ELNS1_11target_archE910ELNS1_3gpuE8ELNS1_3repE0EEENS1_30default_config_static_selectorELNS0_4arch9wavefront6targetE1EEEvSY_, .Lfunc_end333-_ZN7rocprim17ROCPRIM_400000_NS6detail17trampoline_kernelINS0_14default_configENS1_27lower_bound_config_selectorIflEEZNS1_14transform_implILb0ES3_S5_N6thrust23THRUST_200600_302600_NS6detail15normal_iteratorINS8_7pointerIfNS8_11hip_rocprim16par_det_nosync_tENS8_11use_defaultESE_EEEENSA_INSB_IlSD_SE_SE_EEEEZNS1_13binary_searchIS3_S5_NSA_INS8_10device_ptrIfEEEESG_SI_NS1_21lower_bound_search_opENS9_16wrapped_functionINS8_6system6detail7generic6detail18binary_search_lessEbEEEE10hipError_tPvRmT1_T2_T3_mmT4_T5_P12ihipStream_tbEUlRKfE_EESV_SZ_S10_mS11_S14_bEUlT_E_NS1_11comp_targetILNS1_3genE4ELNS1_11target_archE910ELNS1_3gpuE8ELNS1_3repE0EEENS1_30default_config_static_selectorELNS0_4arch9wavefront6targetE1EEEvSY_
                                        ; -- End function
	.set _ZN7rocprim17ROCPRIM_400000_NS6detail17trampoline_kernelINS0_14default_configENS1_27lower_bound_config_selectorIflEEZNS1_14transform_implILb0ES3_S5_N6thrust23THRUST_200600_302600_NS6detail15normal_iteratorINS8_7pointerIfNS8_11hip_rocprim16par_det_nosync_tENS8_11use_defaultESE_EEEENSA_INSB_IlSD_SE_SE_EEEEZNS1_13binary_searchIS3_S5_NSA_INS8_10device_ptrIfEEEESG_SI_NS1_21lower_bound_search_opENS9_16wrapped_functionINS8_6system6detail7generic6detail18binary_search_lessEbEEEE10hipError_tPvRmT1_T2_T3_mmT4_T5_P12ihipStream_tbEUlRKfE_EESV_SZ_S10_mS11_S14_bEUlT_E_NS1_11comp_targetILNS1_3genE4ELNS1_11target_archE910ELNS1_3gpuE8ELNS1_3repE0EEENS1_30default_config_static_selectorELNS0_4arch9wavefront6targetE1EEEvSY_.num_vgpr, 0
	.set _ZN7rocprim17ROCPRIM_400000_NS6detail17trampoline_kernelINS0_14default_configENS1_27lower_bound_config_selectorIflEEZNS1_14transform_implILb0ES3_S5_N6thrust23THRUST_200600_302600_NS6detail15normal_iteratorINS8_7pointerIfNS8_11hip_rocprim16par_det_nosync_tENS8_11use_defaultESE_EEEENSA_INSB_IlSD_SE_SE_EEEEZNS1_13binary_searchIS3_S5_NSA_INS8_10device_ptrIfEEEESG_SI_NS1_21lower_bound_search_opENS9_16wrapped_functionINS8_6system6detail7generic6detail18binary_search_lessEbEEEE10hipError_tPvRmT1_T2_T3_mmT4_T5_P12ihipStream_tbEUlRKfE_EESV_SZ_S10_mS11_S14_bEUlT_E_NS1_11comp_targetILNS1_3genE4ELNS1_11target_archE910ELNS1_3gpuE8ELNS1_3repE0EEENS1_30default_config_static_selectorELNS0_4arch9wavefront6targetE1EEEvSY_.num_agpr, 0
	.set _ZN7rocprim17ROCPRIM_400000_NS6detail17trampoline_kernelINS0_14default_configENS1_27lower_bound_config_selectorIflEEZNS1_14transform_implILb0ES3_S5_N6thrust23THRUST_200600_302600_NS6detail15normal_iteratorINS8_7pointerIfNS8_11hip_rocprim16par_det_nosync_tENS8_11use_defaultESE_EEEENSA_INSB_IlSD_SE_SE_EEEEZNS1_13binary_searchIS3_S5_NSA_INS8_10device_ptrIfEEEESG_SI_NS1_21lower_bound_search_opENS9_16wrapped_functionINS8_6system6detail7generic6detail18binary_search_lessEbEEEE10hipError_tPvRmT1_T2_T3_mmT4_T5_P12ihipStream_tbEUlRKfE_EESV_SZ_S10_mS11_S14_bEUlT_E_NS1_11comp_targetILNS1_3genE4ELNS1_11target_archE910ELNS1_3gpuE8ELNS1_3repE0EEENS1_30default_config_static_selectorELNS0_4arch9wavefront6targetE1EEEvSY_.numbered_sgpr, 0
	.set _ZN7rocprim17ROCPRIM_400000_NS6detail17trampoline_kernelINS0_14default_configENS1_27lower_bound_config_selectorIflEEZNS1_14transform_implILb0ES3_S5_N6thrust23THRUST_200600_302600_NS6detail15normal_iteratorINS8_7pointerIfNS8_11hip_rocprim16par_det_nosync_tENS8_11use_defaultESE_EEEENSA_INSB_IlSD_SE_SE_EEEEZNS1_13binary_searchIS3_S5_NSA_INS8_10device_ptrIfEEEESG_SI_NS1_21lower_bound_search_opENS9_16wrapped_functionINS8_6system6detail7generic6detail18binary_search_lessEbEEEE10hipError_tPvRmT1_T2_T3_mmT4_T5_P12ihipStream_tbEUlRKfE_EESV_SZ_S10_mS11_S14_bEUlT_E_NS1_11comp_targetILNS1_3genE4ELNS1_11target_archE910ELNS1_3gpuE8ELNS1_3repE0EEENS1_30default_config_static_selectorELNS0_4arch9wavefront6targetE1EEEvSY_.num_named_barrier, 0
	.set _ZN7rocprim17ROCPRIM_400000_NS6detail17trampoline_kernelINS0_14default_configENS1_27lower_bound_config_selectorIflEEZNS1_14transform_implILb0ES3_S5_N6thrust23THRUST_200600_302600_NS6detail15normal_iteratorINS8_7pointerIfNS8_11hip_rocprim16par_det_nosync_tENS8_11use_defaultESE_EEEENSA_INSB_IlSD_SE_SE_EEEEZNS1_13binary_searchIS3_S5_NSA_INS8_10device_ptrIfEEEESG_SI_NS1_21lower_bound_search_opENS9_16wrapped_functionINS8_6system6detail7generic6detail18binary_search_lessEbEEEE10hipError_tPvRmT1_T2_T3_mmT4_T5_P12ihipStream_tbEUlRKfE_EESV_SZ_S10_mS11_S14_bEUlT_E_NS1_11comp_targetILNS1_3genE4ELNS1_11target_archE910ELNS1_3gpuE8ELNS1_3repE0EEENS1_30default_config_static_selectorELNS0_4arch9wavefront6targetE1EEEvSY_.private_seg_size, 0
	.set _ZN7rocprim17ROCPRIM_400000_NS6detail17trampoline_kernelINS0_14default_configENS1_27lower_bound_config_selectorIflEEZNS1_14transform_implILb0ES3_S5_N6thrust23THRUST_200600_302600_NS6detail15normal_iteratorINS8_7pointerIfNS8_11hip_rocprim16par_det_nosync_tENS8_11use_defaultESE_EEEENSA_INSB_IlSD_SE_SE_EEEEZNS1_13binary_searchIS3_S5_NSA_INS8_10device_ptrIfEEEESG_SI_NS1_21lower_bound_search_opENS9_16wrapped_functionINS8_6system6detail7generic6detail18binary_search_lessEbEEEE10hipError_tPvRmT1_T2_T3_mmT4_T5_P12ihipStream_tbEUlRKfE_EESV_SZ_S10_mS11_S14_bEUlT_E_NS1_11comp_targetILNS1_3genE4ELNS1_11target_archE910ELNS1_3gpuE8ELNS1_3repE0EEENS1_30default_config_static_selectorELNS0_4arch9wavefront6targetE1EEEvSY_.uses_vcc, 0
	.set _ZN7rocprim17ROCPRIM_400000_NS6detail17trampoline_kernelINS0_14default_configENS1_27lower_bound_config_selectorIflEEZNS1_14transform_implILb0ES3_S5_N6thrust23THRUST_200600_302600_NS6detail15normal_iteratorINS8_7pointerIfNS8_11hip_rocprim16par_det_nosync_tENS8_11use_defaultESE_EEEENSA_INSB_IlSD_SE_SE_EEEEZNS1_13binary_searchIS3_S5_NSA_INS8_10device_ptrIfEEEESG_SI_NS1_21lower_bound_search_opENS9_16wrapped_functionINS8_6system6detail7generic6detail18binary_search_lessEbEEEE10hipError_tPvRmT1_T2_T3_mmT4_T5_P12ihipStream_tbEUlRKfE_EESV_SZ_S10_mS11_S14_bEUlT_E_NS1_11comp_targetILNS1_3genE4ELNS1_11target_archE910ELNS1_3gpuE8ELNS1_3repE0EEENS1_30default_config_static_selectorELNS0_4arch9wavefront6targetE1EEEvSY_.uses_flat_scratch, 0
	.set _ZN7rocprim17ROCPRIM_400000_NS6detail17trampoline_kernelINS0_14default_configENS1_27lower_bound_config_selectorIflEEZNS1_14transform_implILb0ES3_S5_N6thrust23THRUST_200600_302600_NS6detail15normal_iteratorINS8_7pointerIfNS8_11hip_rocprim16par_det_nosync_tENS8_11use_defaultESE_EEEENSA_INSB_IlSD_SE_SE_EEEEZNS1_13binary_searchIS3_S5_NSA_INS8_10device_ptrIfEEEESG_SI_NS1_21lower_bound_search_opENS9_16wrapped_functionINS8_6system6detail7generic6detail18binary_search_lessEbEEEE10hipError_tPvRmT1_T2_T3_mmT4_T5_P12ihipStream_tbEUlRKfE_EESV_SZ_S10_mS11_S14_bEUlT_E_NS1_11comp_targetILNS1_3genE4ELNS1_11target_archE910ELNS1_3gpuE8ELNS1_3repE0EEENS1_30default_config_static_selectorELNS0_4arch9wavefront6targetE1EEEvSY_.has_dyn_sized_stack, 0
	.set _ZN7rocprim17ROCPRIM_400000_NS6detail17trampoline_kernelINS0_14default_configENS1_27lower_bound_config_selectorIflEEZNS1_14transform_implILb0ES3_S5_N6thrust23THRUST_200600_302600_NS6detail15normal_iteratorINS8_7pointerIfNS8_11hip_rocprim16par_det_nosync_tENS8_11use_defaultESE_EEEENSA_INSB_IlSD_SE_SE_EEEEZNS1_13binary_searchIS3_S5_NSA_INS8_10device_ptrIfEEEESG_SI_NS1_21lower_bound_search_opENS9_16wrapped_functionINS8_6system6detail7generic6detail18binary_search_lessEbEEEE10hipError_tPvRmT1_T2_T3_mmT4_T5_P12ihipStream_tbEUlRKfE_EESV_SZ_S10_mS11_S14_bEUlT_E_NS1_11comp_targetILNS1_3genE4ELNS1_11target_archE910ELNS1_3gpuE8ELNS1_3repE0EEENS1_30default_config_static_selectorELNS0_4arch9wavefront6targetE1EEEvSY_.has_recursion, 0
	.set _ZN7rocprim17ROCPRIM_400000_NS6detail17trampoline_kernelINS0_14default_configENS1_27lower_bound_config_selectorIflEEZNS1_14transform_implILb0ES3_S5_N6thrust23THRUST_200600_302600_NS6detail15normal_iteratorINS8_7pointerIfNS8_11hip_rocprim16par_det_nosync_tENS8_11use_defaultESE_EEEENSA_INSB_IlSD_SE_SE_EEEEZNS1_13binary_searchIS3_S5_NSA_INS8_10device_ptrIfEEEESG_SI_NS1_21lower_bound_search_opENS9_16wrapped_functionINS8_6system6detail7generic6detail18binary_search_lessEbEEEE10hipError_tPvRmT1_T2_T3_mmT4_T5_P12ihipStream_tbEUlRKfE_EESV_SZ_S10_mS11_S14_bEUlT_E_NS1_11comp_targetILNS1_3genE4ELNS1_11target_archE910ELNS1_3gpuE8ELNS1_3repE0EEENS1_30default_config_static_selectorELNS0_4arch9wavefront6targetE1EEEvSY_.has_indirect_call, 0
	.section	.AMDGPU.csdata,"",@progbits
; Kernel info:
; codeLenInByte = 0
; TotalNumSgprs: 4
; NumVgprs: 0
; ScratchSize: 0
; MemoryBound: 0
; FloatMode: 240
; IeeeMode: 1
; LDSByteSize: 0 bytes/workgroup (compile time only)
; SGPRBlocks: 0
; VGPRBlocks: 0
; NumSGPRsForWavesPerEU: 4
; NumVGPRsForWavesPerEU: 1
; Occupancy: 10
; WaveLimiterHint : 0
; COMPUTE_PGM_RSRC2:SCRATCH_EN: 0
; COMPUTE_PGM_RSRC2:USER_SGPR: 6
; COMPUTE_PGM_RSRC2:TRAP_HANDLER: 0
; COMPUTE_PGM_RSRC2:TGID_X_EN: 1
; COMPUTE_PGM_RSRC2:TGID_Y_EN: 0
; COMPUTE_PGM_RSRC2:TGID_Z_EN: 0
; COMPUTE_PGM_RSRC2:TIDIG_COMP_CNT: 0
	.section	.text._ZN7rocprim17ROCPRIM_400000_NS6detail17trampoline_kernelINS0_14default_configENS1_27lower_bound_config_selectorIflEEZNS1_14transform_implILb0ES3_S5_N6thrust23THRUST_200600_302600_NS6detail15normal_iteratorINS8_7pointerIfNS8_11hip_rocprim16par_det_nosync_tENS8_11use_defaultESE_EEEENSA_INSB_IlSD_SE_SE_EEEEZNS1_13binary_searchIS3_S5_NSA_INS8_10device_ptrIfEEEESG_SI_NS1_21lower_bound_search_opENS9_16wrapped_functionINS8_6system6detail7generic6detail18binary_search_lessEbEEEE10hipError_tPvRmT1_T2_T3_mmT4_T5_P12ihipStream_tbEUlRKfE_EESV_SZ_S10_mS11_S14_bEUlT_E_NS1_11comp_targetILNS1_3genE3ELNS1_11target_archE908ELNS1_3gpuE7ELNS1_3repE0EEENS1_30default_config_static_selectorELNS0_4arch9wavefront6targetE1EEEvSY_,"axG",@progbits,_ZN7rocprim17ROCPRIM_400000_NS6detail17trampoline_kernelINS0_14default_configENS1_27lower_bound_config_selectorIflEEZNS1_14transform_implILb0ES3_S5_N6thrust23THRUST_200600_302600_NS6detail15normal_iteratorINS8_7pointerIfNS8_11hip_rocprim16par_det_nosync_tENS8_11use_defaultESE_EEEENSA_INSB_IlSD_SE_SE_EEEEZNS1_13binary_searchIS3_S5_NSA_INS8_10device_ptrIfEEEESG_SI_NS1_21lower_bound_search_opENS9_16wrapped_functionINS8_6system6detail7generic6detail18binary_search_lessEbEEEE10hipError_tPvRmT1_T2_T3_mmT4_T5_P12ihipStream_tbEUlRKfE_EESV_SZ_S10_mS11_S14_bEUlT_E_NS1_11comp_targetILNS1_3genE3ELNS1_11target_archE908ELNS1_3gpuE7ELNS1_3repE0EEENS1_30default_config_static_selectorELNS0_4arch9wavefront6targetE1EEEvSY_,comdat
	.protected	_ZN7rocprim17ROCPRIM_400000_NS6detail17trampoline_kernelINS0_14default_configENS1_27lower_bound_config_selectorIflEEZNS1_14transform_implILb0ES3_S5_N6thrust23THRUST_200600_302600_NS6detail15normal_iteratorINS8_7pointerIfNS8_11hip_rocprim16par_det_nosync_tENS8_11use_defaultESE_EEEENSA_INSB_IlSD_SE_SE_EEEEZNS1_13binary_searchIS3_S5_NSA_INS8_10device_ptrIfEEEESG_SI_NS1_21lower_bound_search_opENS9_16wrapped_functionINS8_6system6detail7generic6detail18binary_search_lessEbEEEE10hipError_tPvRmT1_T2_T3_mmT4_T5_P12ihipStream_tbEUlRKfE_EESV_SZ_S10_mS11_S14_bEUlT_E_NS1_11comp_targetILNS1_3genE3ELNS1_11target_archE908ELNS1_3gpuE7ELNS1_3repE0EEENS1_30default_config_static_selectorELNS0_4arch9wavefront6targetE1EEEvSY_ ; -- Begin function _ZN7rocprim17ROCPRIM_400000_NS6detail17trampoline_kernelINS0_14default_configENS1_27lower_bound_config_selectorIflEEZNS1_14transform_implILb0ES3_S5_N6thrust23THRUST_200600_302600_NS6detail15normal_iteratorINS8_7pointerIfNS8_11hip_rocprim16par_det_nosync_tENS8_11use_defaultESE_EEEENSA_INSB_IlSD_SE_SE_EEEEZNS1_13binary_searchIS3_S5_NSA_INS8_10device_ptrIfEEEESG_SI_NS1_21lower_bound_search_opENS9_16wrapped_functionINS8_6system6detail7generic6detail18binary_search_lessEbEEEE10hipError_tPvRmT1_T2_T3_mmT4_T5_P12ihipStream_tbEUlRKfE_EESV_SZ_S10_mS11_S14_bEUlT_E_NS1_11comp_targetILNS1_3genE3ELNS1_11target_archE908ELNS1_3gpuE7ELNS1_3repE0EEENS1_30default_config_static_selectorELNS0_4arch9wavefront6targetE1EEEvSY_
	.globl	_ZN7rocprim17ROCPRIM_400000_NS6detail17trampoline_kernelINS0_14default_configENS1_27lower_bound_config_selectorIflEEZNS1_14transform_implILb0ES3_S5_N6thrust23THRUST_200600_302600_NS6detail15normal_iteratorINS8_7pointerIfNS8_11hip_rocprim16par_det_nosync_tENS8_11use_defaultESE_EEEENSA_INSB_IlSD_SE_SE_EEEEZNS1_13binary_searchIS3_S5_NSA_INS8_10device_ptrIfEEEESG_SI_NS1_21lower_bound_search_opENS9_16wrapped_functionINS8_6system6detail7generic6detail18binary_search_lessEbEEEE10hipError_tPvRmT1_T2_T3_mmT4_T5_P12ihipStream_tbEUlRKfE_EESV_SZ_S10_mS11_S14_bEUlT_E_NS1_11comp_targetILNS1_3genE3ELNS1_11target_archE908ELNS1_3gpuE7ELNS1_3repE0EEENS1_30default_config_static_selectorELNS0_4arch9wavefront6targetE1EEEvSY_
	.p2align	8
	.type	_ZN7rocprim17ROCPRIM_400000_NS6detail17trampoline_kernelINS0_14default_configENS1_27lower_bound_config_selectorIflEEZNS1_14transform_implILb0ES3_S5_N6thrust23THRUST_200600_302600_NS6detail15normal_iteratorINS8_7pointerIfNS8_11hip_rocprim16par_det_nosync_tENS8_11use_defaultESE_EEEENSA_INSB_IlSD_SE_SE_EEEEZNS1_13binary_searchIS3_S5_NSA_INS8_10device_ptrIfEEEESG_SI_NS1_21lower_bound_search_opENS9_16wrapped_functionINS8_6system6detail7generic6detail18binary_search_lessEbEEEE10hipError_tPvRmT1_T2_T3_mmT4_T5_P12ihipStream_tbEUlRKfE_EESV_SZ_S10_mS11_S14_bEUlT_E_NS1_11comp_targetILNS1_3genE3ELNS1_11target_archE908ELNS1_3gpuE7ELNS1_3repE0EEENS1_30default_config_static_selectorELNS0_4arch9wavefront6targetE1EEEvSY_,@function
_ZN7rocprim17ROCPRIM_400000_NS6detail17trampoline_kernelINS0_14default_configENS1_27lower_bound_config_selectorIflEEZNS1_14transform_implILb0ES3_S5_N6thrust23THRUST_200600_302600_NS6detail15normal_iteratorINS8_7pointerIfNS8_11hip_rocprim16par_det_nosync_tENS8_11use_defaultESE_EEEENSA_INSB_IlSD_SE_SE_EEEEZNS1_13binary_searchIS3_S5_NSA_INS8_10device_ptrIfEEEESG_SI_NS1_21lower_bound_search_opENS9_16wrapped_functionINS8_6system6detail7generic6detail18binary_search_lessEbEEEE10hipError_tPvRmT1_T2_T3_mmT4_T5_P12ihipStream_tbEUlRKfE_EESV_SZ_S10_mS11_S14_bEUlT_E_NS1_11comp_targetILNS1_3genE3ELNS1_11target_archE908ELNS1_3gpuE7ELNS1_3repE0EEENS1_30default_config_static_selectorELNS0_4arch9wavefront6targetE1EEEvSY_: ; @_ZN7rocprim17ROCPRIM_400000_NS6detail17trampoline_kernelINS0_14default_configENS1_27lower_bound_config_selectorIflEEZNS1_14transform_implILb0ES3_S5_N6thrust23THRUST_200600_302600_NS6detail15normal_iteratorINS8_7pointerIfNS8_11hip_rocprim16par_det_nosync_tENS8_11use_defaultESE_EEEENSA_INSB_IlSD_SE_SE_EEEEZNS1_13binary_searchIS3_S5_NSA_INS8_10device_ptrIfEEEESG_SI_NS1_21lower_bound_search_opENS9_16wrapped_functionINS8_6system6detail7generic6detail18binary_search_lessEbEEEE10hipError_tPvRmT1_T2_T3_mmT4_T5_P12ihipStream_tbEUlRKfE_EESV_SZ_S10_mS11_S14_bEUlT_E_NS1_11comp_targetILNS1_3genE3ELNS1_11target_archE908ELNS1_3gpuE7ELNS1_3repE0EEENS1_30default_config_static_selectorELNS0_4arch9wavefront6targetE1EEEvSY_
; %bb.0:
	.section	.rodata,"a",@progbits
	.p2align	6, 0x0
	.amdhsa_kernel _ZN7rocprim17ROCPRIM_400000_NS6detail17trampoline_kernelINS0_14default_configENS1_27lower_bound_config_selectorIflEEZNS1_14transform_implILb0ES3_S5_N6thrust23THRUST_200600_302600_NS6detail15normal_iteratorINS8_7pointerIfNS8_11hip_rocprim16par_det_nosync_tENS8_11use_defaultESE_EEEENSA_INSB_IlSD_SE_SE_EEEEZNS1_13binary_searchIS3_S5_NSA_INS8_10device_ptrIfEEEESG_SI_NS1_21lower_bound_search_opENS9_16wrapped_functionINS8_6system6detail7generic6detail18binary_search_lessEbEEEE10hipError_tPvRmT1_T2_T3_mmT4_T5_P12ihipStream_tbEUlRKfE_EESV_SZ_S10_mS11_S14_bEUlT_E_NS1_11comp_targetILNS1_3genE3ELNS1_11target_archE908ELNS1_3gpuE7ELNS1_3repE0EEENS1_30default_config_static_selectorELNS0_4arch9wavefront6targetE1EEEvSY_
		.amdhsa_group_segment_fixed_size 0
		.amdhsa_private_segment_fixed_size 0
		.amdhsa_kernarg_size 56
		.amdhsa_user_sgpr_count 6
		.amdhsa_user_sgpr_private_segment_buffer 1
		.amdhsa_user_sgpr_dispatch_ptr 0
		.amdhsa_user_sgpr_queue_ptr 0
		.amdhsa_user_sgpr_kernarg_segment_ptr 1
		.amdhsa_user_sgpr_dispatch_id 0
		.amdhsa_user_sgpr_flat_scratch_init 0
		.amdhsa_user_sgpr_private_segment_size 0
		.amdhsa_uses_dynamic_stack 0
		.amdhsa_system_sgpr_private_segment_wavefront_offset 0
		.amdhsa_system_sgpr_workgroup_id_x 1
		.amdhsa_system_sgpr_workgroup_id_y 0
		.amdhsa_system_sgpr_workgroup_id_z 0
		.amdhsa_system_sgpr_workgroup_info 0
		.amdhsa_system_vgpr_workitem_id 0
		.amdhsa_next_free_vgpr 1
		.amdhsa_next_free_sgpr 0
		.amdhsa_reserve_vcc 0
		.amdhsa_reserve_flat_scratch 0
		.amdhsa_float_round_mode_32 0
		.amdhsa_float_round_mode_16_64 0
		.amdhsa_float_denorm_mode_32 3
		.amdhsa_float_denorm_mode_16_64 3
		.amdhsa_dx10_clamp 1
		.amdhsa_ieee_mode 1
		.amdhsa_fp16_overflow 0
		.amdhsa_exception_fp_ieee_invalid_op 0
		.amdhsa_exception_fp_denorm_src 0
		.amdhsa_exception_fp_ieee_div_zero 0
		.amdhsa_exception_fp_ieee_overflow 0
		.amdhsa_exception_fp_ieee_underflow 0
		.amdhsa_exception_fp_ieee_inexact 0
		.amdhsa_exception_int_div_zero 0
	.end_amdhsa_kernel
	.section	.text._ZN7rocprim17ROCPRIM_400000_NS6detail17trampoline_kernelINS0_14default_configENS1_27lower_bound_config_selectorIflEEZNS1_14transform_implILb0ES3_S5_N6thrust23THRUST_200600_302600_NS6detail15normal_iteratorINS8_7pointerIfNS8_11hip_rocprim16par_det_nosync_tENS8_11use_defaultESE_EEEENSA_INSB_IlSD_SE_SE_EEEEZNS1_13binary_searchIS3_S5_NSA_INS8_10device_ptrIfEEEESG_SI_NS1_21lower_bound_search_opENS9_16wrapped_functionINS8_6system6detail7generic6detail18binary_search_lessEbEEEE10hipError_tPvRmT1_T2_T3_mmT4_T5_P12ihipStream_tbEUlRKfE_EESV_SZ_S10_mS11_S14_bEUlT_E_NS1_11comp_targetILNS1_3genE3ELNS1_11target_archE908ELNS1_3gpuE7ELNS1_3repE0EEENS1_30default_config_static_selectorELNS0_4arch9wavefront6targetE1EEEvSY_,"axG",@progbits,_ZN7rocprim17ROCPRIM_400000_NS6detail17trampoline_kernelINS0_14default_configENS1_27lower_bound_config_selectorIflEEZNS1_14transform_implILb0ES3_S5_N6thrust23THRUST_200600_302600_NS6detail15normal_iteratorINS8_7pointerIfNS8_11hip_rocprim16par_det_nosync_tENS8_11use_defaultESE_EEEENSA_INSB_IlSD_SE_SE_EEEEZNS1_13binary_searchIS3_S5_NSA_INS8_10device_ptrIfEEEESG_SI_NS1_21lower_bound_search_opENS9_16wrapped_functionINS8_6system6detail7generic6detail18binary_search_lessEbEEEE10hipError_tPvRmT1_T2_T3_mmT4_T5_P12ihipStream_tbEUlRKfE_EESV_SZ_S10_mS11_S14_bEUlT_E_NS1_11comp_targetILNS1_3genE3ELNS1_11target_archE908ELNS1_3gpuE7ELNS1_3repE0EEENS1_30default_config_static_selectorELNS0_4arch9wavefront6targetE1EEEvSY_,comdat
.Lfunc_end334:
	.size	_ZN7rocprim17ROCPRIM_400000_NS6detail17trampoline_kernelINS0_14default_configENS1_27lower_bound_config_selectorIflEEZNS1_14transform_implILb0ES3_S5_N6thrust23THRUST_200600_302600_NS6detail15normal_iteratorINS8_7pointerIfNS8_11hip_rocprim16par_det_nosync_tENS8_11use_defaultESE_EEEENSA_INSB_IlSD_SE_SE_EEEEZNS1_13binary_searchIS3_S5_NSA_INS8_10device_ptrIfEEEESG_SI_NS1_21lower_bound_search_opENS9_16wrapped_functionINS8_6system6detail7generic6detail18binary_search_lessEbEEEE10hipError_tPvRmT1_T2_T3_mmT4_T5_P12ihipStream_tbEUlRKfE_EESV_SZ_S10_mS11_S14_bEUlT_E_NS1_11comp_targetILNS1_3genE3ELNS1_11target_archE908ELNS1_3gpuE7ELNS1_3repE0EEENS1_30default_config_static_selectorELNS0_4arch9wavefront6targetE1EEEvSY_, .Lfunc_end334-_ZN7rocprim17ROCPRIM_400000_NS6detail17trampoline_kernelINS0_14default_configENS1_27lower_bound_config_selectorIflEEZNS1_14transform_implILb0ES3_S5_N6thrust23THRUST_200600_302600_NS6detail15normal_iteratorINS8_7pointerIfNS8_11hip_rocprim16par_det_nosync_tENS8_11use_defaultESE_EEEENSA_INSB_IlSD_SE_SE_EEEEZNS1_13binary_searchIS3_S5_NSA_INS8_10device_ptrIfEEEESG_SI_NS1_21lower_bound_search_opENS9_16wrapped_functionINS8_6system6detail7generic6detail18binary_search_lessEbEEEE10hipError_tPvRmT1_T2_T3_mmT4_T5_P12ihipStream_tbEUlRKfE_EESV_SZ_S10_mS11_S14_bEUlT_E_NS1_11comp_targetILNS1_3genE3ELNS1_11target_archE908ELNS1_3gpuE7ELNS1_3repE0EEENS1_30default_config_static_selectorELNS0_4arch9wavefront6targetE1EEEvSY_
                                        ; -- End function
	.set _ZN7rocprim17ROCPRIM_400000_NS6detail17trampoline_kernelINS0_14default_configENS1_27lower_bound_config_selectorIflEEZNS1_14transform_implILb0ES3_S5_N6thrust23THRUST_200600_302600_NS6detail15normal_iteratorINS8_7pointerIfNS8_11hip_rocprim16par_det_nosync_tENS8_11use_defaultESE_EEEENSA_INSB_IlSD_SE_SE_EEEEZNS1_13binary_searchIS3_S5_NSA_INS8_10device_ptrIfEEEESG_SI_NS1_21lower_bound_search_opENS9_16wrapped_functionINS8_6system6detail7generic6detail18binary_search_lessEbEEEE10hipError_tPvRmT1_T2_T3_mmT4_T5_P12ihipStream_tbEUlRKfE_EESV_SZ_S10_mS11_S14_bEUlT_E_NS1_11comp_targetILNS1_3genE3ELNS1_11target_archE908ELNS1_3gpuE7ELNS1_3repE0EEENS1_30default_config_static_selectorELNS0_4arch9wavefront6targetE1EEEvSY_.num_vgpr, 0
	.set _ZN7rocprim17ROCPRIM_400000_NS6detail17trampoline_kernelINS0_14default_configENS1_27lower_bound_config_selectorIflEEZNS1_14transform_implILb0ES3_S5_N6thrust23THRUST_200600_302600_NS6detail15normal_iteratorINS8_7pointerIfNS8_11hip_rocprim16par_det_nosync_tENS8_11use_defaultESE_EEEENSA_INSB_IlSD_SE_SE_EEEEZNS1_13binary_searchIS3_S5_NSA_INS8_10device_ptrIfEEEESG_SI_NS1_21lower_bound_search_opENS9_16wrapped_functionINS8_6system6detail7generic6detail18binary_search_lessEbEEEE10hipError_tPvRmT1_T2_T3_mmT4_T5_P12ihipStream_tbEUlRKfE_EESV_SZ_S10_mS11_S14_bEUlT_E_NS1_11comp_targetILNS1_3genE3ELNS1_11target_archE908ELNS1_3gpuE7ELNS1_3repE0EEENS1_30default_config_static_selectorELNS0_4arch9wavefront6targetE1EEEvSY_.num_agpr, 0
	.set _ZN7rocprim17ROCPRIM_400000_NS6detail17trampoline_kernelINS0_14default_configENS1_27lower_bound_config_selectorIflEEZNS1_14transform_implILb0ES3_S5_N6thrust23THRUST_200600_302600_NS6detail15normal_iteratorINS8_7pointerIfNS8_11hip_rocprim16par_det_nosync_tENS8_11use_defaultESE_EEEENSA_INSB_IlSD_SE_SE_EEEEZNS1_13binary_searchIS3_S5_NSA_INS8_10device_ptrIfEEEESG_SI_NS1_21lower_bound_search_opENS9_16wrapped_functionINS8_6system6detail7generic6detail18binary_search_lessEbEEEE10hipError_tPvRmT1_T2_T3_mmT4_T5_P12ihipStream_tbEUlRKfE_EESV_SZ_S10_mS11_S14_bEUlT_E_NS1_11comp_targetILNS1_3genE3ELNS1_11target_archE908ELNS1_3gpuE7ELNS1_3repE0EEENS1_30default_config_static_selectorELNS0_4arch9wavefront6targetE1EEEvSY_.numbered_sgpr, 0
	.set _ZN7rocprim17ROCPRIM_400000_NS6detail17trampoline_kernelINS0_14default_configENS1_27lower_bound_config_selectorIflEEZNS1_14transform_implILb0ES3_S5_N6thrust23THRUST_200600_302600_NS6detail15normal_iteratorINS8_7pointerIfNS8_11hip_rocprim16par_det_nosync_tENS8_11use_defaultESE_EEEENSA_INSB_IlSD_SE_SE_EEEEZNS1_13binary_searchIS3_S5_NSA_INS8_10device_ptrIfEEEESG_SI_NS1_21lower_bound_search_opENS9_16wrapped_functionINS8_6system6detail7generic6detail18binary_search_lessEbEEEE10hipError_tPvRmT1_T2_T3_mmT4_T5_P12ihipStream_tbEUlRKfE_EESV_SZ_S10_mS11_S14_bEUlT_E_NS1_11comp_targetILNS1_3genE3ELNS1_11target_archE908ELNS1_3gpuE7ELNS1_3repE0EEENS1_30default_config_static_selectorELNS0_4arch9wavefront6targetE1EEEvSY_.num_named_barrier, 0
	.set _ZN7rocprim17ROCPRIM_400000_NS6detail17trampoline_kernelINS0_14default_configENS1_27lower_bound_config_selectorIflEEZNS1_14transform_implILb0ES3_S5_N6thrust23THRUST_200600_302600_NS6detail15normal_iteratorINS8_7pointerIfNS8_11hip_rocprim16par_det_nosync_tENS8_11use_defaultESE_EEEENSA_INSB_IlSD_SE_SE_EEEEZNS1_13binary_searchIS3_S5_NSA_INS8_10device_ptrIfEEEESG_SI_NS1_21lower_bound_search_opENS9_16wrapped_functionINS8_6system6detail7generic6detail18binary_search_lessEbEEEE10hipError_tPvRmT1_T2_T3_mmT4_T5_P12ihipStream_tbEUlRKfE_EESV_SZ_S10_mS11_S14_bEUlT_E_NS1_11comp_targetILNS1_3genE3ELNS1_11target_archE908ELNS1_3gpuE7ELNS1_3repE0EEENS1_30default_config_static_selectorELNS0_4arch9wavefront6targetE1EEEvSY_.private_seg_size, 0
	.set _ZN7rocprim17ROCPRIM_400000_NS6detail17trampoline_kernelINS0_14default_configENS1_27lower_bound_config_selectorIflEEZNS1_14transform_implILb0ES3_S5_N6thrust23THRUST_200600_302600_NS6detail15normal_iteratorINS8_7pointerIfNS8_11hip_rocprim16par_det_nosync_tENS8_11use_defaultESE_EEEENSA_INSB_IlSD_SE_SE_EEEEZNS1_13binary_searchIS3_S5_NSA_INS8_10device_ptrIfEEEESG_SI_NS1_21lower_bound_search_opENS9_16wrapped_functionINS8_6system6detail7generic6detail18binary_search_lessEbEEEE10hipError_tPvRmT1_T2_T3_mmT4_T5_P12ihipStream_tbEUlRKfE_EESV_SZ_S10_mS11_S14_bEUlT_E_NS1_11comp_targetILNS1_3genE3ELNS1_11target_archE908ELNS1_3gpuE7ELNS1_3repE0EEENS1_30default_config_static_selectorELNS0_4arch9wavefront6targetE1EEEvSY_.uses_vcc, 0
	.set _ZN7rocprim17ROCPRIM_400000_NS6detail17trampoline_kernelINS0_14default_configENS1_27lower_bound_config_selectorIflEEZNS1_14transform_implILb0ES3_S5_N6thrust23THRUST_200600_302600_NS6detail15normal_iteratorINS8_7pointerIfNS8_11hip_rocprim16par_det_nosync_tENS8_11use_defaultESE_EEEENSA_INSB_IlSD_SE_SE_EEEEZNS1_13binary_searchIS3_S5_NSA_INS8_10device_ptrIfEEEESG_SI_NS1_21lower_bound_search_opENS9_16wrapped_functionINS8_6system6detail7generic6detail18binary_search_lessEbEEEE10hipError_tPvRmT1_T2_T3_mmT4_T5_P12ihipStream_tbEUlRKfE_EESV_SZ_S10_mS11_S14_bEUlT_E_NS1_11comp_targetILNS1_3genE3ELNS1_11target_archE908ELNS1_3gpuE7ELNS1_3repE0EEENS1_30default_config_static_selectorELNS0_4arch9wavefront6targetE1EEEvSY_.uses_flat_scratch, 0
	.set _ZN7rocprim17ROCPRIM_400000_NS6detail17trampoline_kernelINS0_14default_configENS1_27lower_bound_config_selectorIflEEZNS1_14transform_implILb0ES3_S5_N6thrust23THRUST_200600_302600_NS6detail15normal_iteratorINS8_7pointerIfNS8_11hip_rocprim16par_det_nosync_tENS8_11use_defaultESE_EEEENSA_INSB_IlSD_SE_SE_EEEEZNS1_13binary_searchIS3_S5_NSA_INS8_10device_ptrIfEEEESG_SI_NS1_21lower_bound_search_opENS9_16wrapped_functionINS8_6system6detail7generic6detail18binary_search_lessEbEEEE10hipError_tPvRmT1_T2_T3_mmT4_T5_P12ihipStream_tbEUlRKfE_EESV_SZ_S10_mS11_S14_bEUlT_E_NS1_11comp_targetILNS1_3genE3ELNS1_11target_archE908ELNS1_3gpuE7ELNS1_3repE0EEENS1_30default_config_static_selectorELNS0_4arch9wavefront6targetE1EEEvSY_.has_dyn_sized_stack, 0
	.set _ZN7rocprim17ROCPRIM_400000_NS6detail17trampoline_kernelINS0_14default_configENS1_27lower_bound_config_selectorIflEEZNS1_14transform_implILb0ES3_S5_N6thrust23THRUST_200600_302600_NS6detail15normal_iteratorINS8_7pointerIfNS8_11hip_rocprim16par_det_nosync_tENS8_11use_defaultESE_EEEENSA_INSB_IlSD_SE_SE_EEEEZNS1_13binary_searchIS3_S5_NSA_INS8_10device_ptrIfEEEESG_SI_NS1_21lower_bound_search_opENS9_16wrapped_functionINS8_6system6detail7generic6detail18binary_search_lessEbEEEE10hipError_tPvRmT1_T2_T3_mmT4_T5_P12ihipStream_tbEUlRKfE_EESV_SZ_S10_mS11_S14_bEUlT_E_NS1_11comp_targetILNS1_3genE3ELNS1_11target_archE908ELNS1_3gpuE7ELNS1_3repE0EEENS1_30default_config_static_selectorELNS0_4arch9wavefront6targetE1EEEvSY_.has_recursion, 0
	.set _ZN7rocprim17ROCPRIM_400000_NS6detail17trampoline_kernelINS0_14default_configENS1_27lower_bound_config_selectorIflEEZNS1_14transform_implILb0ES3_S5_N6thrust23THRUST_200600_302600_NS6detail15normal_iteratorINS8_7pointerIfNS8_11hip_rocprim16par_det_nosync_tENS8_11use_defaultESE_EEEENSA_INSB_IlSD_SE_SE_EEEEZNS1_13binary_searchIS3_S5_NSA_INS8_10device_ptrIfEEEESG_SI_NS1_21lower_bound_search_opENS9_16wrapped_functionINS8_6system6detail7generic6detail18binary_search_lessEbEEEE10hipError_tPvRmT1_T2_T3_mmT4_T5_P12ihipStream_tbEUlRKfE_EESV_SZ_S10_mS11_S14_bEUlT_E_NS1_11comp_targetILNS1_3genE3ELNS1_11target_archE908ELNS1_3gpuE7ELNS1_3repE0EEENS1_30default_config_static_selectorELNS0_4arch9wavefront6targetE1EEEvSY_.has_indirect_call, 0
	.section	.AMDGPU.csdata,"",@progbits
; Kernel info:
; codeLenInByte = 0
; TotalNumSgprs: 4
; NumVgprs: 0
; ScratchSize: 0
; MemoryBound: 0
; FloatMode: 240
; IeeeMode: 1
; LDSByteSize: 0 bytes/workgroup (compile time only)
; SGPRBlocks: 0
; VGPRBlocks: 0
; NumSGPRsForWavesPerEU: 4
; NumVGPRsForWavesPerEU: 1
; Occupancy: 10
; WaveLimiterHint : 0
; COMPUTE_PGM_RSRC2:SCRATCH_EN: 0
; COMPUTE_PGM_RSRC2:USER_SGPR: 6
; COMPUTE_PGM_RSRC2:TRAP_HANDLER: 0
; COMPUTE_PGM_RSRC2:TGID_X_EN: 1
; COMPUTE_PGM_RSRC2:TGID_Y_EN: 0
; COMPUTE_PGM_RSRC2:TGID_Z_EN: 0
; COMPUTE_PGM_RSRC2:TIDIG_COMP_CNT: 0
	.section	.text._ZN7rocprim17ROCPRIM_400000_NS6detail17trampoline_kernelINS0_14default_configENS1_27lower_bound_config_selectorIflEEZNS1_14transform_implILb0ES3_S5_N6thrust23THRUST_200600_302600_NS6detail15normal_iteratorINS8_7pointerIfNS8_11hip_rocprim16par_det_nosync_tENS8_11use_defaultESE_EEEENSA_INSB_IlSD_SE_SE_EEEEZNS1_13binary_searchIS3_S5_NSA_INS8_10device_ptrIfEEEESG_SI_NS1_21lower_bound_search_opENS9_16wrapped_functionINS8_6system6detail7generic6detail18binary_search_lessEbEEEE10hipError_tPvRmT1_T2_T3_mmT4_T5_P12ihipStream_tbEUlRKfE_EESV_SZ_S10_mS11_S14_bEUlT_E_NS1_11comp_targetILNS1_3genE2ELNS1_11target_archE906ELNS1_3gpuE6ELNS1_3repE0EEENS1_30default_config_static_selectorELNS0_4arch9wavefront6targetE1EEEvSY_,"axG",@progbits,_ZN7rocprim17ROCPRIM_400000_NS6detail17trampoline_kernelINS0_14default_configENS1_27lower_bound_config_selectorIflEEZNS1_14transform_implILb0ES3_S5_N6thrust23THRUST_200600_302600_NS6detail15normal_iteratorINS8_7pointerIfNS8_11hip_rocprim16par_det_nosync_tENS8_11use_defaultESE_EEEENSA_INSB_IlSD_SE_SE_EEEEZNS1_13binary_searchIS3_S5_NSA_INS8_10device_ptrIfEEEESG_SI_NS1_21lower_bound_search_opENS9_16wrapped_functionINS8_6system6detail7generic6detail18binary_search_lessEbEEEE10hipError_tPvRmT1_T2_T3_mmT4_T5_P12ihipStream_tbEUlRKfE_EESV_SZ_S10_mS11_S14_bEUlT_E_NS1_11comp_targetILNS1_3genE2ELNS1_11target_archE906ELNS1_3gpuE6ELNS1_3repE0EEENS1_30default_config_static_selectorELNS0_4arch9wavefront6targetE1EEEvSY_,comdat
	.protected	_ZN7rocprim17ROCPRIM_400000_NS6detail17trampoline_kernelINS0_14default_configENS1_27lower_bound_config_selectorIflEEZNS1_14transform_implILb0ES3_S5_N6thrust23THRUST_200600_302600_NS6detail15normal_iteratorINS8_7pointerIfNS8_11hip_rocprim16par_det_nosync_tENS8_11use_defaultESE_EEEENSA_INSB_IlSD_SE_SE_EEEEZNS1_13binary_searchIS3_S5_NSA_INS8_10device_ptrIfEEEESG_SI_NS1_21lower_bound_search_opENS9_16wrapped_functionINS8_6system6detail7generic6detail18binary_search_lessEbEEEE10hipError_tPvRmT1_T2_T3_mmT4_T5_P12ihipStream_tbEUlRKfE_EESV_SZ_S10_mS11_S14_bEUlT_E_NS1_11comp_targetILNS1_3genE2ELNS1_11target_archE906ELNS1_3gpuE6ELNS1_3repE0EEENS1_30default_config_static_selectorELNS0_4arch9wavefront6targetE1EEEvSY_ ; -- Begin function _ZN7rocprim17ROCPRIM_400000_NS6detail17trampoline_kernelINS0_14default_configENS1_27lower_bound_config_selectorIflEEZNS1_14transform_implILb0ES3_S5_N6thrust23THRUST_200600_302600_NS6detail15normal_iteratorINS8_7pointerIfNS8_11hip_rocprim16par_det_nosync_tENS8_11use_defaultESE_EEEENSA_INSB_IlSD_SE_SE_EEEEZNS1_13binary_searchIS3_S5_NSA_INS8_10device_ptrIfEEEESG_SI_NS1_21lower_bound_search_opENS9_16wrapped_functionINS8_6system6detail7generic6detail18binary_search_lessEbEEEE10hipError_tPvRmT1_T2_T3_mmT4_T5_P12ihipStream_tbEUlRKfE_EESV_SZ_S10_mS11_S14_bEUlT_E_NS1_11comp_targetILNS1_3genE2ELNS1_11target_archE906ELNS1_3gpuE6ELNS1_3repE0EEENS1_30default_config_static_selectorELNS0_4arch9wavefront6targetE1EEEvSY_
	.globl	_ZN7rocprim17ROCPRIM_400000_NS6detail17trampoline_kernelINS0_14default_configENS1_27lower_bound_config_selectorIflEEZNS1_14transform_implILb0ES3_S5_N6thrust23THRUST_200600_302600_NS6detail15normal_iteratorINS8_7pointerIfNS8_11hip_rocprim16par_det_nosync_tENS8_11use_defaultESE_EEEENSA_INSB_IlSD_SE_SE_EEEEZNS1_13binary_searchIS3_S5_NSA_INS8_10device_ptrIfEEEESG_SI_NS1_21lower_bound_search_opENS9_16wrapped_functionINS8_6system6detail7generic6detail18binary_search_lessEbEEEE10hipError_tPvRmT1_T2_T3_mmT4_T5_P12ihipStream_tbEUlRKfE_EESV_SZ_S10_mS11_S14_bEUlT_E_NS1_11comp_targetILNS1_3genE2ELNS1_11target_archE906ELNS1_3gpuE6ELNS1_3repE0EEENS1_30default_config_static_selectorELNS0_4arch9wavefront6targetE1EEEvSY_
	.p2align	8
	.type	_ZN7rocprim17ROCPRIM_400000_NS6detail17trampoline_kernelINS0_14default_configENS1_27lower_bound_config_selectorIflEEZNS1_14transform_implILb0ES3_S5_N6thrust23THRUST_200600_302600_NS6detail15normal_iteratorINS8_7pointerIfNS8_11hip_rocprim16par_det_nosync_tENS8_11use_defaultESE_EEEENSA_INSB_IlSD_SE_SE_EEEEZNS1_13binary_searchIS3_S5_NSA_INS8_10device_ptrIfEEEESG_SI_NS1_21lower_bound_search_opENS9_16wrapped_functionINS8_6system6detail7generic6detail18binary_search_lessEbEEEE10hipError_tPvRmT1_T2_T3_mmT4_T5_P12ihipStream_tbEUlRKfE_EESV_SZ_S10_mS11_S14_bEUlT_E_NS1_11comp_targetILNS1_3genE2ELNS1_11target_archE906ELNS1_3gpuE6ELNS1_3repE0EEENS1_30default_config_static_selectorELNS0_4arch9wavefront6targetE1EEEvSY_,@function
_ZN7rocprim17ROCPRIM_400000_NS6detail17trampoline_kernelINS0_14default_configENS1_27lower_bound_config_selectorIflEEZNS1_14transform_implILb0ES3_S5_N6thrust23THRUST_200600_302600_NS6detail15normal_iteratorINS8_7pointerIfNS8_11hip_rocprim16par_det_nosync_tENS8_11use_defaultESE_EEEENSA_INSB_IlSD_SE_SE_EEEEZNS1_13binary_searchIS3_S5_NSA_INS8_10device_ptrIfEEEESG_SI_NS1_21lower_bound_search_opENS9_16wrapped_functionINS8_6system6detail7generic6detail18binary_search_lessEbEEEE10hipError_tPvRmT1_T2_T3_mmT4_T5_P12ihipStream_tbEUlRKfE_EESV_SZ_S10_mS11_S14_bEUlT_E_NS1_11comp_targetILNS1_3genE2ELNS1_11target_archE906ELNS1_3gpuE6ELNS1_3repE0EEENS1_30default_config_static_selectorELNS0_4arch9wavefront6targetE1EEEvSY_: ; @_ZN7rocprim17ROCPRIM_400000_NS6detail17trampoline_kernelINS0_14default_configENS1_27lower_bound_config_selectorIflEEZNS1_14transform_implILb0ES3_S5_N6thrust23THRUST_200600_302600_NS6detail15normal_iteratorINS8_7pointerIfNS8_11hip_rocprim16par_det_nosync_tENS8_11use_defaultESE_EEEENSA_INSB_IlSD_SE_SE_EEEEZNS1_13binary_searchIS3_S5_NSA_INS8_10device_ptrIfEEEESG_SI_NS1_21lower_bound_search_opENS9_16wrapped_functionINS8_6system6detail7generic6detail18binary_search_lessEbEEEE10hipError_tPvRmT1_T2_T3_mmT4_T5_P12ihipStream_tbEUlRKfE_EESV_SZ_S10_mS11_S14_bEUlT_E_NS1_11comp_targetILNS1_3genE2ELNS1_11target_archE906ELNS1_3gpuE6ELNS1_3repE0EEENS1_30default_config_static_selectorELNS0_4arch9wavefront6targetE1EEEvSY_
; %bb.0:
	s_load_dwordx4 s[16:19], s[4:5], 0x0
	s_load_dwordx4 s[8:11], s[4:5], 0x18
	s_load_dwordx2 s[12:13], s[4:5], 0x28
	s_load_dword s15, s[4:5], 0x38
	s_waitcnt lgkmcnt(0)
	s_lshl_b64 s[0:1], s[18:19], 2
	s_add_u32 s2, s16, s0
	s_addc_u32 s3, s17, s1
	s_lshl_b64 s[0:1], s[18:19], 3
	s_add_u32 s7, s8, s0
	s_addc_u32 s14, s9, s1
	s_lshl_b32 s8, s6, 8
	s_add_i32 s15, s15, -1
	s_mov_b32 s9, 0
	s_cmp_lg_u32 s6, s15
	s_mov_b64 s[0:1], -1
	s_cbranch_scc0 .LBB335_7
; %bb.1:
	s_cmp_eq_u64 s[12:13], 0
	s_mov_b64 s[0:1], 0
	s_cbranch_scc1 .LBB335_5
; %bb.2:
	s_lshl_b64 s[16:17], s[8:9], 2
	s_add_u32 s6, s2, s16
	s_addc_u32 s15, s3, s17
	v_lshlrev_b32_e32 v1, 2, v0
	v_mov_b32_e32 v2, s15
	v_add_co_u32_e32 v1, vcc, s6, v1
	v_addc_co_u32_e32 v2, vcc, 0, v2, vcc
	flat_load_dword v5, v[1:2]
	v_mov_b32_e32 v1, 0
	v_mov_b32_e32 v3, s12
	;; [unrolled: 1-line block ×5, first 2 shown]
.LBB335_3:                              ; =>This Inner Loop Header: Depth=1
	v_sub_co_u32_e32 v7, vcc, v3, v1
	v_subb_co_u32_e32 v8, vcc, v4, v2, vcc
	v_lshrrev_b64 v[9:10], 1, v[7:8]
	v_lshrrev_b64 v[7:8], 6, v[7:8]
	v_add_co_u32_e32 v9, vcc, v9, v1
	v_addc_co_u32_e32 v10, vcc, v10, v2, vcc
	v_add_co_u32_e32 v7, vcc, v9, v7
	v_addc_co_u32_e32 v8, vcc, v10, v8, vcc
	v_lshlrev_b64 v[9:10], 2, v[7:8]
	v_add_co_u32_e32 v9, vcc, s10, v9
	v_addc_co_u32_e32 v10, vcc, v6, v10, vcc
	global_load_dword v9, v[9:10], off
	v_add_co_u32_e32 v10, vcc, 1, v7
	v_addc_co_u32_e32 v11, vcc, 0, v8, vcc
	s_waitcnt vmcnt(0) lgkmcnt(0)
	v_cmp_lt_f32_e32 vcc, v9, v5
	v_cndmask_b32_e32 v4, v8, v4, vcc
	v_cndmask_b32_e32 v3, v7, v3, vcc
	;; [unrolled: 1-line block ×4, first 2 shown]
	v_cmp_ge_u64_e32 vcc, v[1:2], v[3:4]
	s_or_b64 s[0:1], vcc, s[0:1]
	s_andn2_b64 exec, exec, s[0:1]
	s_cbranch_execnz .LBB335_3
; %bb.4:
	s_or_b64 exec, exec, s[0:1]
	s_branch .LBB335_6
.LBB335_5:
	v_mov_b32_e32 v1, 0
	v_mov_b32_e32 v2, 0
.LBB335_6:
	s_lshl_b64 s[0:1], s[8:9], 3
	s_add_u32 s0, s7, s0
	s_addc_u32 s1, s14, s1
	v_lshlrev_b32_e32 v3, 3, v0
	v_mov_b32_e32 v4, s1
	v_add_co_u32_e32 v3, vcc, s0, v3
	v_addc_co_u32_e32 v4, vcc, 0, v4, vcc
	s_mov_b64 s[0:1], 0
	flat_store_dwordx2 v[3:4], v[1:2]
.LBB335_7:
	s_and_b64 vcc, exec, s[0:1]
	s_cbranch_vccz .LBB335_16
; %bb.8:
	s_load_dword s0, s[4:5], 0x10
                                        ; implicit-def: $vgpr5
	s_waitcnt lgkmcnt(0)
	s_sub_i32 s4, s0, s8
	v_cmp_le_u32_e64 s[0:1], s4, v0
	v_cmp_gt_u32_e32 vcc, s4, v0
	s_and_saveexec_b64 s[4:5], vcc
	s_cbranch_execz .LBB335_10
; %bb.9:
	s_lshl_b64 s[16:17], s[8:9], 2
	s_add_u32 s2, s2, s16
	s_addc_u32 s3, s3, s17
	v_lshlrev_b32_e32 v1, 2, v0
	v_mov_b32_e32 v2, s3
	v_add_co_u32_e64 v1, s[2:3], s2, v1
	v_addc_co_u32_e64 v2, s[2:3], 0, v2, s[2:3]
	flat_load_dword v5, v[1:2]
.LBB335_10:
	s_or_b64 exec, exec, s[4:5]
	s_cmp_lg_u64 s[12:13], 0
	s_cselect_b64 s[4:5], -1, 0
	s_xor_b64 s[0:1], s[0:1], -1
	v_mov_b32_e32 v1, 0
	s_mov_b64 s[2:3], 0
	v_mov_b32_e32 v2, 0
	s_and_b64 s[0:1], s[0:1], s[4:5]
	s_and_saveexec_b64 s[4:5], s[0:1]
	s_cbranch_execz .LBB335_14
; %bb.11:
	v_mov_b32_e32 v1, 0
	v_mov_b32_e32 v3, s12
	;; [unrolled: 1-line block ×5, first 2 shown]
.LBB335_12:                             ; =>This Inner Loop Header: Depth=1
	v_sub_co_u32_e64 v7, s[0:1], v3, v1
	v_subb_co_u32_e64 v8, s[0:1], v4, v2, s[0:1]
	v_lshrrev_b64 v[9:10], 1, v[7:8]
	v_lshrrev_b64 v[7:8], 6, v[7:8]
	v_add_co_u32_e64 v9, s[0:1], v9, v1
	v_addc_co_u32_e64 v10, s[0:1], v10, v2, s[0:1]
	v_add_co_u32_e64 v7, s[0:1], v9, v7
	v_addc_co_u32_e64 v8, s[0:1], v10, v8, s[0:1]
	v_lshlrev_b64 v[9:10], 2, v[7:8]
	v_add_co_u32_e64 v9, s[0:1], s10, v9
	v_addc_co_u32_e64 v10, s[0:1], v6, v10, s[0:1]
	global_load_dword v9, v[9:10], off
	v_add_co_u32_e64 v10, s[0:1], 1, v7
	v_addc_co_u32_e64 v11, s[0:1], 0, v8, s[0:1]
	s_waitcnt vmcnt(0) lgkmcnt(0)
	v_cmp_lt_f32_e64 s[0:1], v9, v5
	v_cndmask_b32_e64 v4, v8, v4, s[0:1]
	v_cndmask_b32_e64 v3, v7, v3, s[0:1]
	v_cndmask_b32_e64 v2, v2, v11, s[0:1]
	v_cndmask_b32_e64 v1, v1, v10, s[0:1]
	v_cmp_ge_u64_e64 s[0:1], v[1:2], v[3:4]
	s_or_b64 s[2:3], s[0:1], s[2:3]
	s_andn2_b64 exec, exec, s[2:3]
	s_cbranch_execnz .LBB335_12
; %bb.13:
	s_or_b64 exec, exec, s[2:3]
.LBB335_14:
	s_or_b64 exec, exec, s[4:5]
	s_and_saveexec_b64 s[0:1], vcc
	s_cbranch_execz .LBB335_16
; %bb.15:
	s_lshl_b64 s[0:1], s[8:9], 3
	s_add_u32 s0, s7, s0
	s_addc_u32 s1, s14, s1
	v_lshlrev_b32_e32 v0, 3, v0
	v_mov_b32_e32 v4, s1
	v_add_co_u32_e32 v3, vcc, s0, v0
	v_addc_co_u32_e32 v4, vcc, 0, v4, vcc
	flat_store_dwordx2 v[3:4], v[1:2]
.LBB335_16:
	s_endpgm
	.section	.rodata,"a",@progbits
	.p2align	6, 0x0
	.amdhsa_kernel _ZN7rocprim17ROCPRIM_400000_NS6detail17trampoline_kernelINS0_14default_configENS1_27lower_bound_config_selectorIflEEZNS1_14transform_implILb0ES3_S5_N6thrust23THRUST_200600_302600_NS6detail15normal_iteratorINS8_7pointerIfNS8_11hip_rocprim16par_det_nosync_tENS8_11use_defaultESE_EEEENSA_INSB_IlSD_SE_SE_EEEEZNS1_13binary_searchIS3_S5_NSA_INS8_10device_ptrIfEEEESG_SI_NS1_21lower_bound_search_opENS9_16wrapped_functionINS8_6system6detail7generic6detail18binary_search_lessEbEEEE10hipError_tPvRmT1_T2_T3_mmT4_T5_P12ihipStream_tbEUlRKfE_EESV_SZ_S10_mS11_S14_bEUlT_E_NS1_11comp_targetILNS1_3genE2ELNS1_11target_archE906ELNS1_3gpuE6ELNS1_3repE0EEENS1_30default_config_static_selectorELNS0_4arch9wavefront6targetE1EEEvSY_
		.amdhsa_group_segment_fixed_size 0
		.amdhsa_private_segment_fixed_size 0
		.amdhsa_kernarg_size 312
		.amdhsa_user_sgpr_count 6
		.amdhsa_user_sgpr_private_segment_buffer 1
		.amdhsa_user_sgpr_dispatch_ptr 0
		.amdhsa_user_sgpr_queue_ptr 0
		.amdhsa_user_sgpr_kernarg_segment_ptr 1
		.amdhsa_user_sgpr_dispatch_id 0
		.amdhsa_user_sgpr_flat_scratch_init 0
		.amdhsa_user_sgpr_private_segment_size 0
		.amdhsa_uses_dynamic_stack 0
		.amdhsa_system_sgpr_private_segment_wavefront_offset 0
		.amdhsa_system_sgpr_workgroup_id_x 1
		.amdhsa_system_sgpr_workgroup_id_y 0
		.amdhsa_system_sgpr_workgroup_id_z 0
		.amdhsa_system_sgpr_workgroup_info 0
		.amdhsa_system_vgpr_workitem_id 0
		.amdhsa_next_free_vgpr 12
		.amdhsa_next_free_sgpr 20
		.amdhsa_reserve_vcc 1
		.amdhsa_reserve_flat_scratch 0
		.amdhsa_float_round_mode_32 0
		.amdhsa_float_round_mode_16_64 0
		.amdhsa_float_denorm_mode_32 3
		.amdhsa_float_denorm_mode_16_64 3
		.amdhsa_dx10_clamp 1
		.amdhsa_ieee_mode 1
		.amdhsa_fp16_overflow 0
		.amdhsa_exception_fp_ieee_invalid_op 0
		.amdhsa_exception_fp_denorm_src 0
		.amdhsa_exception_fp_ieee_div_zero 0
		.amdhsa_exception_fp_ieee_overflow 0
		.amdhsa_exception_fp_ieee_underflow 0
		.amdhsa_exception_fp_ieee_inexact 0
		.amdhsa_exception_int_div_zero 0
	.end_amdhsa_kernel
	.section	.text._ZN7rocprim17ROCPRIM_400000_NS6detail17trampoline_kernelINS0_14default_configENS1_27lower_bound_config_selectorIflEEZNS1_14transform_implILb0ES3_S5_N6thrust23THRUST_200600_302600_NS6detail15normal_iteratorINS8_7pointerIfNS8_11hip_rocprim16par_det_nosync_tENS8_11use_defaultESE_EEEENSA_INSB_IlSD_SE_SE_EEEEZNS1_13binary_searchIS3_S5_NSA_INS8_10device_ptrIfEEEESG_SI_NS1_21lower_bound_search_opENS9_16wrapped_functionINS8_6system6detail7generic6detail18binary_search_lessEbEEEE10hipError_tPvRmT1_T2_T3_mmT4_T5_P12ihipStream_tbEUlRKfE_EESV_SZ_S10_mS11_S14_bEUlT_E_NS1_11comp_targetILNS1_3genE2ELNS1_11target_archE906ELNS1_3gpuE6ELNS1_3repE0EEENS1_30default_config_static_selectorELNS0_4arch9wavefront6targetE1EEEvSY_,"axG",@progbits,_ZN7rocprim17ROCPRIM_400000_NS6detail17trampoline_kernelINS0_14default_configENS1_27lower_bound_config_selectorIflEEZNS1_14transform_implILb0ES3_S5_N6thrust23THRUST_200600_302600_NS6detail15normal_iteratorINS8_7pointerIfNS8_11hip_rocprim16par_det_nosync_tENS8_11use_defaultESE_EEEENSA_INSB_IlSD_SE_SE_EEEEZNS1_13binary_searchIS3_S5_NSA_INS8_10device_ptrIfEEEESG_SI_NS1_21lower_bound_search_opENS9_16wrapped_functionINS8_6system6detail7generic6detail18binary_search_lessEbEEEE10hipError_tPvRmT1_T2_T3_mmT4_T5_P12ihipStream_tbEUlRKfE_EESV_SZ_S10_mS11_S14_bEUlT_E_NS1_11comp_targetILNS1_3genE2ELNS1_11target_archE906ELNS1_3gpuE6ELNS1_3repE0EEENS1_30default_config_static_selectorELNS0_4arch9wavefront6targetE1EEEvSY_,comdat
.Lfunc_end335:
	.size	_ZN7rocprim17ROCPRIM_400000_NS6detail17trampoline_kernelINS0_14default_configENS1_27lower_bound_config_selectorIflEEZNS1_14transform_implILb0ES3_S5_N6thrust23THRUST_200600_302600_NS6detail15normal_iteratorINS8_7pointerIfNS8_11hip_rocprim16par_det_nosync_tENS8_11use_defaultESE_EEEENSA_INSB_IlSD_SE_SE_EEEEZNS1_13binary_searchIS3_S5_NSA_INS8_10device_ptrIfEEEESG_SI_NS1_21lower_bound_search_opENS9_16wrapped_functionINS8_6system6detail7generic6detail18binary_search_lessEbEEEE10hipError_tPvRmT1_T2_T3_mmT4_T5_P12ihipStream_tbEUlRKfE_EESV_SZ_S10_mS11_S14_bEUlT_E_NS1_11comp_targetILNS1_3genE2ELNS1_11target_archE906ELNS1_3gpuE6ELNS1_3repE0EEENS1_30default_config_static_selectorELNS0_4arch9wavefront6targetE1EEEvSY_, .Lfunc_end335-_ZN7rocprim17ROCPRIM_400000_NS6detail17trampoline_kernelINS0_14default_configENS1_27lower_bound_config_selectorIflEEZNS1_14transform_implILb0ES3_S5_N6thrust23THRUST_200600_302600_NS6detail15normal_iteratorINS8_7pointerIfNS8_11hip_rocprim16par_det_nosync_tENS8_11use_defaultESE_EEEENSA_INSB_IlSD_SE_SE_EEEEZNS1_13binary_searchIS3_S5_NSA_INS8_10device_ptrIfEEEESG_SI_NS1_21lower_bound_search_opENS9_16wrapped_functionINS8_6system6detail7generic6detail18binary_search_lessEbEEEE10hipError_tPvRmT1_T2_T3_mmT4_T5_P12ihipStream_tbEUlRKfE_EESV_SZ_S10_mS11_S14_bEUlT_E_NS1_11comp_targetILNS1_3genE2ELNS1_11target_archE906ELNS1_3gpuE6ELNS1_3repE0EEENS1_30default_config_static_selectorELNS0_4arch9wavefront6targetE1EEEvSY_
                                        ; -- End function
	.set _ZN7rocprim17ROCPRIM_400000_NS6detail17trampoline_kernelINS0_14default_configENS1_27lower_bound_config_selectorIflEEZNS1_14transform_implILb0ES3_S5_N6thrust23THRUST_200600_302600_NS6detail15normal_iteratorINS8_7pointerIfNS8_11hip_rocprim16par_det_nosync_tENS8_11use_defaultESE_EEEENSA_INSB_IlSD_SE_SE_EEEEZNS1_13binary_searchIS3_S5_NSA_INS8_10device_ptrIfEEEESG_SI_NS1_21lower_bound_search_opENS9_16wrapped_functionINS8_6system6detail7generic6detail18binary_search_lessEbEEEE10hipError_tPvRmT1_T2_T3_mmT4_T5_P12ihipStream_tbEUlRKfE_EESV_SZ_S10_mS11_S14_bEUlT_E_NS1_11comp_targetILNS1_3genE2ELNS1_11target_archE906ELNS1_3gpuE6ELNS1_3repE0EEENS1_30default_config_static_selectorELNS0_4arch9wavefront6targetE1EEEvSY_.num_vgpr, 12
	.set _ZN7rocprim17ROCPRIM_400000_NS6detail17trampoline_kernelINS0_14default_configENS1_27lower_bound_config_selectorIflEEZNS1_14transform_implILb0ES3_S5_N6thrust23THRUST_200600_302600_NS6detail15normal_iteratorINS8_7pointerIfNS8_11hip_rocprim16par_det_nosync_tENS8_11use_defaultESE_EEEENSA_INSB_IlSD_SE_SE_EEEEZNS1_13binary_searchIS3_S5_NSA_INS8_10device_ptrIfEEEESG_SI_NS1_21lower_bound_search_opENS9_16wrapped_functionINS8_6system6detail7generic6detail18binary_search_lessEbEEEE10hipError_tPvRmT1_T2_T3_mmT4_T5_P12ihipStream_tbEUlRKfE_EESV_SZ_S10_mS11_S14_bEUlT_E_NS1_11comp_targetILNS1_3genE2ELNS1_11target_archE906ELNS1_3gpuE6ELNS1_3repE0EEENS1_30default_config_static_selectorELNS0_4arch9wavefront6targetE1EEEvSY_.num_agpr, 0
	.set _ZN7rocprim17ROCPRIM_400000_NS6detail17trampoline_kernelINS0_14default_configENS1_27lower_bound_config_selectorIflEEZNS1_14transform_implILb0ES3_S5_N6thrust23THRUST_200600_302600_NS6detail15normal_iteratorINS8_7pointerIfNS8_11hip_rocprim16par_det_nosync_tENS8_11use_defaultESE_EEEENSA_INSB_IlSD_SE_SE_EEEEZNS1_13binary_searchIS3_S5_NSA_INS8_10device_ptrIfEEEESG_SI_NS1_21lower_bound_search_opENS9_16wrapped_functionINS8_6system6detail7generic6detail18binary_search_lessEbEEEE10hipError_tPvRmT1_T2_T3_mmT4_T5_P12ihipStream_tbEUlRKfE_EESV_SZ_S10_mS11_S14_bEUlT_E_NS1_11comp_targetILNS1_3genE2ELNS1_11target_archE906ELNS1_3gpuE6ELNS1_3repE0EEENS1_30default_config_static_selectorELNS0_4arch9wavefront6targetE1EEEvSY_.numbered_sgpr, 20
	.set _ZN7rocprim17ROCPRIM_400000_NS6detail17trampoline_kernelINS0_14default_configENS1_27lower_bound_config_selectorIflEEZNS1_14transform_implILb0ES3_S5_N6thrust23THRUST_200600_302600_NS6detail15normal_iteratorINS8_7pointerIfNS8_11hip_rocprim16par_det_nosync_tENS8_11use_defaultESE_EEEENSA_INSB_IlSD_SE_SE_EEEEZNS1_13binary_searchIS3_S5_NSA_INS8_10device_ptrIfEEEESG_SI_NS1_21lower_bound_search_opENS9_16wrapped_functionINS8_6system6detail7generic6detail18binary_search_lessEbEEEE10hipError_tPvRmT1_T2_T3_mmT4_T5_P12ihipStream_tbEUlRKfE_EESV_SZ_S10_mS11_S14_bEUlT_E_NS1_11comp_targetILNS1_3genE2ELNS1_11target_archE906ELNS1_3gpuE6ELNS1_3repE0EEENS1_30default_config_static_selectorELNS0_4arch9wavefront6targetE1EEEvSY_.num_named_barrier, 0
	.set _ZN7rocprim17ROCPRIM_400000_NS6detail17trampoline_kernelINS0_14default_configENS1_27lower_bound_config_selectorIflEEZNS1_14transform_implILb0ES3_S5_N6thrust23THRUST_200600_302600_NS6detail15normal_iteratorINS8_7pointerIfNS8_11hip_rocprim16par_det_nosync_tENS8_11use_defaultESE_EEEENSA_INSB_IlSD_SE_SE_EEEEZNS1_13binary_searchIS3_S5_NSA_INS8_10device_ptrIfEEEESG_SI_NS1_21lower_bound_search_opENS9_16wrapped_functionINS8_6system6detail7generic6detail18binary_search_lessEbEEEE10hipError_tPvRmT1_T2_T3_mmT4_T5_P12ihipStream_tbEUlRKfE_EESV_SZ_S10_mS11_S14_bEUlT_E_NS1_11comp_targetILNS1_3genE2ELNS1_11target_archE906ELNS1_3gpuE6ELNS1_3repE0EEENS1_30default_config_static_selectorELNS0_4arch9wavefront6targetE1EEEvSY_.private_seg_size, 0
	.set _ZN7rocprim17ROCPRIM_400000_NS6detail17trampoline_kernelINS0_14default_configENS1_27lower_bound_config_selectorIflEEZNS1_14transform_implILb0ES3_S5_N6thrust23THRUST_200600_302600_NS6detail15normal_iteratorINS8_7pointerIfNS8_11hip_rocprim16par_det_nosync_tENS8_11use_defaultESE_EEEENSA_INSB_IlSD_SE_SE_EEEEZNS1_13binary_searchIS3_S5_NSA_INS8_10device_ptrIfEEEESG_SI_NS1_21lower_bound_search_opENS9_16wrapped_functionINS8_6system6detail7generic6detail18binary_search_lessEbEEEE10hipError_tPvRmT1_T2_T3_mmT4_T5_P12ihipStream_tbEUlRKfE_EESV_SZ_S10_mS11_S14_bEUlT_E_NS1_11comp_targetILNS1_3genE2ELNS1_11target_archE906ELNS1_3gpuE6ELNS1_3repE0EEENS1_30default_config_static_selectorELNS0_4arch9wavefront6targetE1EEEvSY_.uses_vcc, 1
	.set _ZN7rocprim17ROCPRIM_400000_NS6detail17trampoline_kernelINS0_14default_configENS1_27lower_bound_config_selectorIflEEZNS1_14transform_implILb0ES3_S5_N6thrust23THRUST_200600_302600_NS6detail15normal_iteratorINS8_7pointerIfNS8_11hip_rocprim16par_det_nosync_tENS8_11use_defaultESE_EEEENSA_INSB_IlSD_SE_SE_EEEEZNS1_13binary_searchIS3_S5_NSA_INS8_10device_ptrIfEEEESG_SI_NS1_21lower_bound_search_opENS9_16wrapped_functionINS8_6system6detail7generic6detail18binary_search_lessEbEEEE10hipError_tPvRmT1_T2_T3_mmT4_T5_P12ihipStream_tbEUlRKfE_EESV_SZ_S10_mS11_S14_bEUlT_E_NS1_11comp_targetILNS1_3genE2ELNS1_11target_archE906ELNS1_3gpuE6ELNS1_3repE0EEENS1_30default_config_static_selectorELNS0_4arch9wavefront6targetE1EEEvSY_.uses_flat_scratch, 0
	.set _ZN7rocprim17ROCPRIM_400000_NS6detail17trampoline_kernelINS0_14default_configENS1_27lower_bound_config_selectorIflEEZNS1_14transform_implILb0ES3_S5_N6thrust23THRUST_200600_302600_NS6detail15normal_iteratorINS8_7pointerIfNS8_11hip_rocprim16par_det_nosync_tENS8_11use_defaultESE_EEEENSA_INSB_IlSD_SE_SE_EEEEZNS1_13binary_searchIS3_S5_NSA_INS8_10device_ptrIfEEEESG_SI_NS1_21lower_bound_search_opENS9_16wrapped_functionINS8_6system6detail7generic6detail18binary_search_lessEbEEEE10hipError_tPvRmT1_T2_T3_mmT4_T5_P12ihipStream_tbEUlRKfE_EESV_SZ_S10_mS11_S14_bEUlT_E_NS1_11comp_targetILNS1_3genE2ELNS1_11target_archE906ELNS1_3gpuE6ELNS1_3repE0EEENS1_30default_config_static_selectorELNS0_4arch9wavefront6targetE1EEEvSY_.has_dyn_sized_stack, 0
	.set _ZN7rocprim17ROCPRIM_400000_NS6detail17trampoline_kernelINS0_14default_configENS1_27lower_bound_config_selectorIflEEZNS1_14transform_implILb0ES3_S5_N6thrust23THRUST_200600_302600_NS6detail15normal_iteratorINS8_7pointerIfNS8_11hip_rocprim16par_det_nosync_tENS8_11use_defaultESE_EEEENSA_INSB_IlSD_SE_SE_EEEEZNS1_13binary_searchIS3_S5_NSA_INS8_10device_ptrIfEEEESG_SI_NS1_21lower_bound_search_opENS9_16wrapped_functionINS8_6system6detail7generic6detail18binary_search_lessEbEEEE10hipError_tPvRmT1_T2_T3_mmT4_T5_P12ihipStream_tbEUlRKfE_EESV_SZ_S10_mS11_S14_bEUlT_E_NS1_11comp_targetILNS1_3genE2ELNS1_11target_archE906ELNS1_3gpuE6ELNS1_3repE0EEENS1_30default_config_static_selectorELNS0_4arch9wavefront6targetE1EEEvSY_.has_recursion, 0
	.set _ZN7rocprim17ROCPRIM_400000_NS6detail17trampoline_kernelINS0_14default_configENS1_27lower_bound_config_selectorIflEEZNS1_14transform_implILb0ES3_S5_N6thrust23THRUST_200600_302600_NS6detail15normal_iteratorINS8_7pointerIfNS8_11hip_rocprim16par_det_nosync_tENS8_11use_defaultESE_EEEENSA_INSB_IlSD_SE_SE_EEEEZNS1_13binary_searchIS3_S5_NSA_INS8_10device_ptrIfEEEESG_SI_NS1_21lower_bound_search_opENS9_16wrapped_functionINS8_6system6detail7generic6detail18binary_search_lessEbEEEE10hipError_tPvRmT1_T2_T3_mmT4_T5_P12ihipStream_tbEUlRKfE_EESV_SZ_S10_mS11_S14_bEUlT_E_NS1_11comp_targetILNS1_3genE2ELNS1_11target_archE906ELNS1_3gpuE6ELNS1_3repE0EEENS1_30default_config_static_selectorELNS0_4arch9wavefront6targetE1EEEvSY_.has_indirect_call, 0
	.section	.AMDGPU.csdata,"",@progbits
; Kernel info:
; codeLenInByte = 700
; TotalNumSgprs: 24
; NumVgprs: 12
; ScratchSize: 0
; MemoryBound: 0
; FloatMode: 240
; IeeeMode: 1
; LDSByteSize: 0 bytes/workgroup (compile time only)
; SGPRBlocks: 2
; VGPRBlocks: 2
; NumSGPRsForWavesPerEU: 24
; NumVGPRsForWavesPerEU: 12
; Occupancy: 10
; WaveLimiterHint : 0
; COMPUTE_PGM_RSRC2:SCRATCH_EN: 0
; COMPUTE_PGM_RSRC2:USER_SGPR: 6
; COMPUTE_PGM_RSRC2:TRAP_HANDLER: 0
; COMPUTE_PGM_RSRC2:TGID_X_EN: 1
; COMPUTE_PGM_RSRC2:TGID_Y_EN: 0
; COMPUTE_PGM_RSRC2:TGID_Z_EN: 0
; COMPUTE_PGM_RSRC2:TIDIG_COMP_CNT: 0
	.section	.text._ZN7rocprim17ROCPRIM_400000_NS6detail17trampoline_kernelINS0_14default_configENS1_27lower_bound_config_selectorIflEEZNS1_14transform_implILb0ES3_S5_N6thrust23THRUST_200600_302600_NS6detail15normal_iteratorINS8_7pointerIfNS8_11hip_rocprim16par_det_nosync_tENS8_11use_defaultESE_EEEENSA_INSB_IlSD_SE_SE_EEEEZNS1_13binary_searchIS3_S5_NSA_INS8_10device_ptrIfEEEESG_SI_NS1_21lower_bound_search_opENS9_16wrapped_functionINS8_6system6detail7generic6detail18binary_search_lessEbEEEE10hipError_tPvRmT1_T2_T3_mmT4_T5_P12ihipStream_tbEUlRKfE_EESV_SZ_S10_mS11_S14_bEUlT_E_NS1_11comp_targetILNS1_3genE10ELNS1_11target_archE1201ELNS1_3gpuE5ELNS1_3repE0EEENS1_30default_config_static_selectorELNS0_4arch9wavefront6targetE1EEEvSY_,"axG",@progbits,_ZN7rocprim17ROCPRIM_400000_NS6detail17trampoline_kernelINS0_14default_configENS1_27lower_bound_config_selectorIflEEZNS1_14transform_implILb0ES3_S5_N6thrust23THRUST_200600_302600_NS6detail15normal_iteratorINS8_7pointerIfNS8_11hip_rocprim16par_det_nosync_tENS8_11use_defaultESE_EEEENSA_INSB_IlSD_SE_SE_EEEEZNS1_13binary_searchIS3_S5_NSA_INS8_10device_ptrIfEEEESG_SI_NS1_21lower_bound_search_opENS9_16wrapped_functionINS8_6system6detail7generic6detail18binary_search_lessEbEEEE10hipError_tPvRmT1_T2_T3_mmT4_T5_P12ihipStream_tbEUlRKfE_EESV_SZ_S10_mS11_S14_bEUlT_E_NS1_11comp_targetILNS1_3genE10ELNS1_11target_archE1201ELNS1_3gpuE5ELNS1_3repE0EEENS1_30default_config_static_selectorELNS0_4arch9wavefront6targetE1EEEvSY_,comdat
	.protected	_ZN7rocprim17ROCPRIM_400000_NS6detail17trampoline_kernelINS0_14default_configENS1_27lower_bound_config_selectorIflEEZNS1_14transform_implILb0ES3_S5_N6thrust23THRUST_200600_302600_NS6detail15normal_iteratorINS8_7pointerIfNS8_11hip_rocprim16par_det_nosync_tENS8_11use_defaultESE_EEEENSA_INSB_IlSD_SE_SE_EEEEZNS1_13binary_searchIS3_S5_NSA_INS8_10device_ptrIfEEEESG_SI_NS1_21lower_bound_search_opENS9_16wrapped_functionINS8_6system6detail7generic6detail18binary_search_lessEbEEEE10hipError_tPvRmT1_T2_T3_mmT4_T5_P12ihipStream_tbEUlRKfE_EESV_SZ_S10_mS11_S14_bEUlT_E_NS1_11comp_targetILNS1_3genE10ELNS1_11target_archE1201ELNS1_3gpuE5ELNS1_3repE0EEENS1_30default_config_static_selectorELNS0_4arch9wavefront6targetE1EEEvSY_ ; -- Begin function _ZN7rocprim17ROCPRIM_400000_NS6detail17trampoline_kernelINS0_14default_configENS1_27lower_bound_config_selectorIflEEZNS1_14transform_implILb0ES3_S5_N6thrust23THRUST_200600_302600_NS6detail15normal_iteratorINS8_7pointerIfNS8_11hip_rocprim16par_det_nosync_tENS8_11use_defaultESE_EEEENSA_INSB_IlSD_SE_SE_EEEEZNS1_13binary_searchIS3_S5_NSA_INS8_10device_ptrIfEEEESG_SI_NS1_21lower_bound_search_opENS9_16wrapped_functionINS8_6system6detail7generic6detail18binary_search_lessEbEEEE10hipError_tPvRmT1_T2_T3_mmT4_T5_P12ihipStream_tbEUlRKfE_EESV_SZ_S10_mS11_S14_bEUlT_E_NS1_11comp_targetILNS1_3genE10ELNS1_11target_archE1201ELNS1_3gpuE5ELNS1_3repE0EEENS1_30default_config_static_selectorELNS0_4arch9wavefront6targetE1EEEvSY_
	.globl	_ZN7rocprim17ROCPRIM_400000_NS6detail17trampoline_kernelINS0_14default_configENS1_27lower_bound_config_selectorIflEEZNS1_14transform_implILb0ES3_S5_N6thrust23THRUST_200600_302600_NS6detail15normal_iteratorINS8_7pointerIfNS8_11hip_rocprim16par_det_nosync_tENS8_11use_defaultESE_EEEENSA_INSB_IlSD_SE_SE_EEEEZNS1_13binary_searchIS3_S5_NSA_INS8_10device_ptrIfEEEESG_SI_NS1_21lower_bound_search_opENS9_16wrapped_functionINS8_6system6detail7generic6detail18binary_search_lessEbEEEE10hipError_tPvRmT1_T2_T3_mmT4_T5_P12ihipStream_tbEUlRKfE_EESV_SZ_S10_mS11_S14_bEUlT_E_NS1_11comp_targetILNS1_3genE10ELNS1_11target_archE1201ELNS1_3gpuE5ELNS1_3repE0EEENS1_30default_config_static_selectorELNS0_4arch9wavefront6targetE1EEEvSY_
	.p2align	8
	.type	_ZN7rocprim17ROCPRIM_400000_NS6detail17trampoline_kernelINS0_14default_configENS1_27lower_bound_config_selectorIflEEZNS1_14transform_implILb0ES3_S5_N6thrust23THRUST_200600_302600_NS6detail15normal_iteratorINS8_7pointerIfNS8_11hip_rocprim16par_det_nosync_tENS8_11use_defaultESE_EEEENSA_INSB_IlSD_SE_SE_EEEEZNS1_13binary_searchIS3_S5_NSA_INS8_10device_ptrIfEEEESG_SI_NS1_21lower_bound_search_opENS9_16wrapped_functionINS8_6system6detail7generic6detail18binary_search_lessEbEEEE10hipError_tPvRmT1_T2_T3_mmT4_T5_P12ihipStream_tbEUlRKfE_EESV_SZ_S10_mS11_S14_bEUlT_E_NS1_11comp_targetILNS1_3genE10ELNS1_11target_archE1201ELNS1_3gpuE5ELNS1_3repE0EEENS1_30default_config_static_selectorELNS0_4arch9wavefront6targetE1EEEvSY_,@function
_ZN7rocprim17ROCPRIM_400000_NS6detail17trampoline_kernelINS0_14default_configENS1_27lower_bound_config_selectorIflEEZNS1_14transform_implILb0ES3_S5_N6thrust23THRUST_200600_302600_NS6detail15normal_iteratorINS8_7pointerIfNS8_11hip_rocprim16par_det_nosync_tENS8_11use_defaultESE_EEEENSA_INSB_IlSD_SE_SE_EEEEZNS1_13binary_searchIS3_S5_NSA_INS8_10device_ptrIfEEEESG_SI_NS1_21lower_bound_search_opENS9_16wrapped_functionINS8_6system6detail7generic6detail18binary_search_lessEbEEEE10hipError_tPvRmT1_T2_T3_mmT4_T5_P12ihipStream_tbEUlRKfE_EESV_SZ_S10_mS11_S14_bEUlT_E_NS1_11comp_targetILNS1_3genE10ELNS1_11target_archE1201ELNS1_3gpuE5ELNS1_3repE0EEENS1_30default_config_static_selectorELNS0_4arch9wavefront6targetE1EEEvSY_: ; @_ZN7rocprim17ROCPRIM_400000_NS6detail17trampoline_kernelINS0_14default_configENS1_27lower_bound_config_selectorIflEEZNS1_14transform_implILb0ES3_S5_N6thrust23THRUST_200600_302600_NS6detail15normal_iteratorINS8_7pointerIfNS8_11hip_rocprim16par_det_nosync_tENS8_11use_defaultESE_EEEENSA_INSB_IlSD_SE_SE_EEEEZNS1_13binary_searchIS3_S5_NSA_INS8_10device_ptrIfEEEESG_SI_NS1_21lower_bound_search_opENS9_16wrapped_functionINS8_6system6detail7generic6detail18binary_search_lessEbEEEE10hipError_tPvRmT1_T2_T3_mmT4_T5_P12ihipStream_tbEUlRKfE_EESV_SZ_S10_mS11_S14_bEUlT_E_NS1_11comp_targetILNS1_3genE10ELNS1_11target_archE1201ELNS1_3gpuE5ELNS1_3repE0EEENS1_30default_config_static_selectorELNS0_4arch9wavefront6targetE1EEEvSY_
; %bb.0:
	.section	.rodata,"a",@progbits
	.p2align	6, 0x0
	.amdhsa_kernel _ZN7rocprim17ROCPRIM_400000_NS6detail17trampoline_kernelINS0_14default_configENS1_27lower_bound_config_selectorIflEEZNS1_14transform_implILb0ES3_S5_N6thrust23THRUST_200600_302600_NS6detail15normal_iteratorINS8_7pointerIfNS8_11hip_rocprim16par_det_nosync_tENS8_11use_defaultESE_EEEENSA_INSB_IlSD_SE_SE_EEEEZNS1_13binary_searchIS3_S5_NSA_INS8_10device_ptrIfEEEESG_SI_NS1_21lower_bound_search_opENS9_16wrapped_functionINS8_6system6detail7generic6detail18binary_search_lessEbEEEE10hipError_tPvRmT1_T2_T3_mmT4_T5_P12ihipStream_tbEUlRKfE_EESV_SZ_S10_mS11_S14_bEUlT_E_NS1_11comp_targetILNS1_3genE10ELNS1_11target_archE1201ELNS1_3gpuE5ELNS1_3repE0EEENS1_30default_config_static_selectorELNS0_4arch9wavefront6targetE1EEEvSY_
		.amdhsa_group_segment_fixed_size 0
		.amdhsa_private_segment_fixed_size 0
		.amdhsa_kernarg_size 56
		.amdhsa_user_sgpr_count 6
		.amdhsa_user_sgpr_private_segment_buffer 1
		.amdhsa_user_sgpr_dispatch_ptr 0
		.amdhsa_user_sgpr_queue_ptr 0
		.amdhsa_user_sgpr_kernarg_segment_ptr 1
		.amdhsa_user_sgpr_dispatch_id 0
		.amdhsa_user_sgpr_flat_scratch_init 0
		.amdhsa_user_sgpr_private_segment_size 0
		.amdhsa_uses_dynamic_stack 0
		.amdhsa_system_sgpr_private_segment_wavefront_offset 0
		.amdhsa_system_sgpr_workgroup_id_x 1
		.amdhsa_system_sgpr_workgroup_id_y 0
		.amdhsa_system_sgpr_workgroup_id_z 0
		.amdhsa_system_sgpr_workgroup_info 0
		.amdhsa_system_vgpr_workitem_id 0
		.amdhsa_next_free_vgpr 1
		.amdhsa_next_free_sgpr 0
		.amdhsa_reserve_vcc 0
		.amdhsa_reserve_flat_scratch 0
		.amdhsa_float_round_mode_32 0
		.amdhsa_float_round_mode_16_64 0
		.amdhsa_float_denorm_mode_32 3
		.amdhsa_float_denorm_mode_16_64 3
		.amdhsa_dx10_clamp 1
		.amdhsa_ieee_mode 1
		.amdhsa_fp16_overflow 0
		.amdhsa_exception_fp_ieee_invalid_op 0
		.amdhsa_exception_fp_denorm_src 0
		.amdhsa_exception_fp_ieee_div_zero 0
		.amdhsa_exception_fp_ieee_overflow 0
		.amdhsa_exception_fp_ieee_underflow 0
		.amdhsa_exception_fp_ieee_inexact 0
		.amdhsa_exception_int_div_zero 0
	.end_amdhsa_kernel
	.section	.text._ZN7rocprim17ROCPRIM_400000_NS6detail17trampoline_kernelINS0_14default_configENS1_27lower_bound_config_selectorIflEEZNS1_14transform_implILb0ES3_S5_N6thrust23THRUST_200600_302600_NS6detail15normal_iteratorINS8_7pointerIfNS8_11hip_rocprim16par_det_nosync_tENS8_11use_defaultESE_EEEENSA_INSB_IlSD_SE_SE_EEEEZNS1_13binary_searchIS3_S5_NSA_INS8_10device_ptrIfEEEESG_SI_NS1_21lower_bound_search_opENS9_16wrapped_functionINS8_6system6detail7generic6detail18binary_search_lessEbEEEE10hipError_tPvRmT1_T2_T3_mmT4_T5_P12ihipStream_tbEUlRKfE_EESV_SZ_S10_mS11_S14_bEUlT_E_NS1_11comp_targetILNS1_3genE10ELNS1_11target_archE1201ELNS1_3gpuE5ELNS1_3repE0EEENS1_30default_config_static_selectorELNS0_4arch9wavefront6targetE1EEEvSY_,"axG",@progbits,_ZN7rocprim17ROCPRIM_400000_NS6detail17trampoline_kernelINS0_14default_configENS1_27lower_bound_config_selectorIflEEZNS1_14transform_implILb0ES3_S5_N6thrust23THRUST_200600_302600_NS6detail15normal_iteratorINS8_7pointerIfNS8_11hip_rocprim16par_det_nosync_tENS8_11use_defaultESE_EEEENSA_INSB_IlSD_SE_SE_EEEEZNS1_13binary_searchIS3_S5_NSA_INS8_10device_ptrIfEEEESG_SI_NS1_21lower_bound_search_opENS9_16wrapped_functionINS8_6system6detail7generic6detail18binary_search_lessEbEEEE10hipError_tPvRmT1_T2_T3_mmT4_T5_P12ihipStream_tbEUlRKfE_EESV_SZ_S10_mS11_S14_bEUlT_E_NS1_11comp_targetILNS1_3genE10ELNS1_11target_archE1201ELNS1_3gpuE5ELNS1_3repE0EEENS1_30default_config_static_selectorELNS0_4arch9wavefront6targetE1EEEvSY_,comdat
.Lfunc_end336:
	.size	_ZN7rocprim17ROCPRIM_400000_NS6detail17trampoline_kernelINS0_14default_configENS1_27lower_bound_config_selectorIflEEZNS1_14transform_implILb0ES3_S5_N6thrust23THRUST_200600_302600_NS6detail15normal_iteratorINS8_7pointerIfNS8_11hip_rocprim16par_det_nosync_tENS8_11use_defaultESE_EEEENSA_INSB_IlSD_SE_SE_EEEEZNS1_13binary_searchIS3_S5_NSA_INS8_10device_ptrIfEEEESG_SI_NS1_21lower_bound_search_opENS9_16wrapped_functionINS8_6system6detail7generic6detail18binary_search_lessEbEEEE10hipError_tPvRmT1_T2_T3_mmT4_T5_P12ihipStream_tbEUlRKfE_EESV_SZ_S10_mS11_S14_bEUlT_E_NS1_11comp_targetILNS1_3genE10ELNS1_11target_archE1201ELNS1_3gpuE5ELNS1_3repE0EEENS1_30default_config_static_selectorELNS0_4arch9wavefront6targetE1EEEvSY_, .Lfunc_end336-_ZN7rocprim17ROCPRIM_400000_NS6detail17trampoline_kernelINS0_14default_configENS1_27lower_bound_config_selectorIflEEZNS1_14transform_implILb0ES3_S5_N6thrust23THRUST_200600_302600_NS6detail15normal_iteratorINS8_7pointerIfNS8_11hip_rocprim16par_det_nosync_tENS8_11use_defaultESE_EEEENSA_INSB_IlSD_SE_SE_EEEEZNS1_13binary_searchIS3_S5_NSA_INS8_10device_ptrIfEEEESG_SI_NS1_21lower_bound_search_opENS9_16wrapped_functionINS8_6system6detail7generic6detail18binary_search_lessEbEEEE10hipError_tPvRmT1_T2_T3_mmT4_T5_P12ihipStream_tbEUlRKfE_EESV_SZ_S10_mS11_S14_bEUlT_E_NS1_11comp_targetILNS1_3genE10ELNS1_11target_archE1201ELNS1_3gpuE5ELNS1_3repE0EEENS1_30default_config_static_selectorELNS0_4arch9wavefront6targetE1EEEvSY_
                                        ; -- End function
	.set _ZN7rocprim17ROCPRIM_400000_NS6detail17trampoline_kernelINS0_14default_configENS1_27lower_bound_config_selectorIflEEZNS1_14transform_implILb0ES3_S5_N6thrust23THRUST_200600_302600_NS6detail15normal_iteratorINS8_7pointerIfNS8_11hip_rocprim16par_det_nosync_tENS8_11use_defaultESE_EEEENSA_INSB_IlSD_SE_SE_EEEEZNS1_13binary_searchIS3_S5_NSA_INS8_10device_ptrIfEEEESG_SI_NS1_21lower_bound_search_opENS9_16wrapped_functionINS8_6system6detail7generic6detail18binary_search_lessEbEEEE10hipError_tPvRmT1_T2_T3_mmT4_T5_P12ihipStream_tbEUlRKfE_EESV_SZ_S10_mS11_S14_bEUlT_E_NS1_11comp_targetILNS1_3genE10ELNS1_11target_archE1201ELNS1_3gpuE5ELNS1_3repE0EEENS1_30default_config_static_selectorELNS0_4arch9wavefront6targetE1EEEvSY_.num_vgpr, 0
	.set _ZN7rocprim17ROCPRIM_400000_NS6detail17trampoline_kernelINS0_14default_configENS1_27lower_bound_config_selectorIflEEZNS1_14transform_implILb0ES3_S5_N6thrust23THRUST_200600_302600_NS6detail15normal_iteratorINS8_7pointerIfNS8_11hip_rocprim16par_det_nosync_tENS8_11use_defaultESE_EEEENSA_INSB_IlSD_SE_SE_EEEEZNS1_13binary_searchIS3_S5_NSA_INS8_10device_ptrIfEEEESG_SI_NS1_21lower_bound_search_opENS9_16wrapped_functionINS8_6system6detail7generic6detail18binary_search_lessEbEEEE10hipError_tPvRmT1_T2_T3_mmT4_T5_P12ihipStream_tbEUlRKfE_EESV_SZ_S10_mS11_S14_bEUlT_E_NS1_11comp_targetILNS1_3genE10ELNS1_11target_archE1201ELNS1_3gpuE5ELNS1_3repE0EEENS1_30default_config_static_selectorELNS0_4arch9wavefront6targetE1EEEvSY_.num_agpr, 0
	.set _ZN7rocprim17ROCPRIM_400000_NS6detail17trampoline_kernelINS0_14default_configENS1_27lower_bound_config_selectorIflEEZNS1_14transform_implILb0ES3_S5_N6thrust23THRUST_200600_302600_NS6detail15normal_iteratorINS8_7pointerIfNS8_11hip_rocprim16par_det_nosync_tENS8_11use_defaultESE_EEEENSA_INSB_IlSD_SE_SE_EEEEZNS1_13binary_searchIS3_S5_NSA_INS8_10device_ptrIfEEEESG_SI_NS1_21lower_bound_search_opENS9_16wrapped_functionINS8_6system6detail7generic6detail18binary_search_lessEbEEEE10hipError_tPvRmT1_T2_T3_mmT4_T5_P12ihipStream_tbEUlRKfE_EESV_SZ_S10_mS11_S14_bEUlT_E_NS1_11comp_targetILNS1_3genE10ELNS1_11target_archE1201ELNS1_3gpuE5ELNS1_3repE0EEENS1_30default_config_static_selectorELNS0_4arch9wavefront6targetE1EEEvSY_.numbered_sgpr, 0
	.set _ZN7rocprim17ROCPRIM_400000_NS6detail17trampoline_kernelINS0_14default_configENS1_27lower_bound_config_selectorIflEEZNS1_14transform_implILb0ES3_S5_N6thrust23THRUST_200600_302600_NS6detail15normal_iteratorINS8_7pointerIfNS8_11hip_rocprim16par_det_nosync_tENS8_11use_defaultESE_EEEENSA_INSB_IlSD_SE_SE_EEEEZNS1_13binary_searchIS3_S5_NSA_INS8_10device_ptrIfEEEESG_SI_NS1_21lower_bound_search_opENS9_16wrapped_functionINS8_6system6detail7generic6detail18binary_search_lessEbEEEE10hipError_tPvRmT1_T2_T3_mmT4_T5_P12ihipStream_tbEUlRKfE_EESV_SZ_S10_mS11_S14_bEUlT_E_NS1_11comp_targetILNS1_3genE10ELNS1_11target_archE1201ELNS1_3gpuE5ELNS1_3repE0EEENS1_30default_config_static_selectorELNS0_4arch9wavefront6targetE1EEEvSY_.num_named_barrier, 0
	.set _ZN7rocprim17ROCPRIM_400000_NS6detail17trampoline_kernelINS0_14default_configENS1_27lower_bound_config_selectorIflEEZNS1_14transform_implILb0ES3_S5_N6thrust23THRUST_200600_302600_NS6detail15normal_iteratorINS8_7pointerIfNS8_11hip_rocprim16par_det_nosync_tENS8_11use_defaultESE_EEEENSA_INSB_IlSD_SE_SE_EEEEZNS1_13binary_searchIS3_S5_NSA_INS8_10device_ptrIfEEEESG_SI_NS1_21lower_bound_search_opENS9_16wrapped_functionINS8_6system6detail7generic6detail18binary_search_lessEbEEEE10hipError_tPvRmT1_T2_T3_mmT4_T5_P12ihipStream_tbEUlRKfE_EESV_SZ_S10_mS11_S14_bEUlT_E_NS1_11comp_targetILNS1_3genE10ELNS1_11target_archE1201ELNS1_3gpuE5ELNS1_3repE0EEENS1_30default_config_static_selectorELNS0_4arch9wavefront6targetE1EEEvSY_.private_seg_size, 0
	.set _ZN7rocprim17ROCPRIM_400000_NS6detail17trampoline_kernelINS0_14default_configENS1_27lower_bound_config_selectorIflEEZNS1_14transform_implILb0ES3_S5_N6thrust23THRUST_200600_302600_NS6detail15normal_iteratorINS8_7pointerIfNS8_11hip_rocprim16par_det_nosync_tENS8_11use_defaultESE_EEEENSA_INSB_IlSD_SE_SE_EEEEZNS1_13binary_searchIS3_S5_NSA_INS8_10device_ptrIfEEEESG_SI_NS1_21lower_bound_search_opENS9_16wrapped_functionINS8_6system6detail7generic6detail18binary_search_lessEbEEEE10hipError_tPvRmT1_T2_T3_mmT4_T5_P12ihipStream_tbEUlRKfE_EESV_SZ_S10_mS11_S14_bEUlT_E_NS1_11comp_targetILNS1_3genE10ELNS1_11target_archE1201ELNS1_3gpuE5ELNS1_3repE0EEENS1_30default_config_static_selectorELNS0_4arch9wavefront6targetE1EEEvSY_.uses_vcc, 0
	.set _ZN7rocprim17ROCPRIM_400000_NS6detail17trampoline_kernelINS0_14default_configENS1_27lower_bound_config_selectorIflEEZNS1_14transform_implILb0ES3_S5_N6thrust23THRUST_200600_302600_NS6detail15normal_iteratorINS8_7pointerIfNS8_11hip_rocprim16par_det_nosync_tENS8_11use_defaultESE_EEEENSA_INSB_IlSD_SE_SE_EEEEZNS1_13binary_searchIS3_S5_NSA_INS8_10device_ptrIfEEEESG_SI_NS1_21lower_bound_search_opENS9_16wrapped_functionINS8_6system6detail7generic6detail18binary_search_lessEbEEEE10hipError_tPvRmT1_T2_T3_mmT4_T5_P12ihipStream_tbEUlRKfE_EESV_SZ_S10_mS11_S14_bEUlT_E_NS1_11comp_targetILNS1_3genE10ELNS1_11target_archE1201ELNS1_3gpuE5ELNS1_3repE0EEENS1_30default_config_static_selectorELNS0_4arch9wavefront6targetE1EEEvSY_.uses_flat_scratch, 0
	.set _ZN7rocprim17ROCPRIM_400000_NS6detail17trampoline_kernelINS0_14default_configENS1_27lower_bound_config_selectorIflEEZNS1_14transform_implILb0ES3_S5_N6thrust23THRUST_200600_302600_NS6detail15normal_iteratorINS8_7pointerIfNS8_11hip_rocprim16par_det_nosync_tENS8_11use_defaultESE_EEEENSA_INSB_IlSD_SE_SE_EEEEZNS1_13binary_searchIS3_S5_NSA_INS8_10device_ptrIfEEEESG_SI_NS1_21lower_bound_search_opENS9_16wrapped_functionINS8_6system6detail7generic6detail18binary_search_lessEbEEEE10hipError_tPvRmT1_T2_T3_mmT4_T5_P12ihipStream_tbEUlRKfE_EESV_SZ_S10_mS11_S14_bEUlT_E_NS1_11comp_targetILNS1_3genE10ELNS1_11target_archE1201ELNS1_3gpuE5ELNS1_3repE0EEENS1_30default_config_static_selectorELNS0_4arch9wavefront6targetE1EEEvSY_.has_dyn_sized_stack, 0
	.set _ZN7rocprim17ROCPRIM_400000_NS6detail17trampoline_kernelINS0_14default_configENS1_27lower_bound_config_selectorIflEEZNS1_14transform_implILb0ES3_S5_N6thrust23THRUST_200600_302600_NS6detail15normal_iteratorINS8_7pointerIfNS8_11hip_rocprim16par_det_nosync_tENS8_11use_defaultESE_EEEENSA_INSB_IlSD_SE_SE_EEEEZNS1_13binary_searchIS3_S5_NSA_INS8_10device_ptrIfEEEESG_SI_NS1_21lower_bound_search_opENS9_16wrapped_functionINS8_6system6detail7generic6detail18binary_search_lessEbEEEE10hipError_tPvRmT1_T2_T3_mmT4_T5_P12ihipStream_tbEUlRKfE_EESV_SZ_S10_mS11_S14_bEUlT_E_NS1_11comp_targetILNS1_3genE10ELNS1_11target_archE1201ELNS1_3gpuE5ELNS1_3repE0EEENS1_30default_config_static_selectorELNS0_4arch9wavefront6targetE1EEEvSY_.has_recursion, 0
	.set _ZN7rocprim17ROCPRIM_400000_NS6detail17trampoline_kernelINS0_14default_configENS1_27lower_bound_config_selectorIflEEZNS1_14transform_implILb0ES3_S5_N6thrust23THRUST_200600_302600_NS6detail15normal_iteratorINS8_7pointerIfNS8_11hip_rocprim16par_det_nosync_tENS8_11use_defaultESE_EEEENSA_INSB_IlSD_SE_SE_EEEEZNS1_13binary_searchIS3_S5_NSA_INS8_10device_ptrIfEEEESG_SI_NS1_21lower_bound_search_opENS9_16wrapped_functionINS8_6system6detail7generic6detail18binary_search_lessEbEEEE10hipError_tPvRmT1_T2_T3_mmT4_T5_P12ihipStream_tbEUlRKfE_EESV_SZ_S10_mS11_S14_bEUlT_E_NS1_11comp_targetILNS1_3genE10ELNS1_11target_archE1201ELNS1_3gpuE5ELNS1_3repE0EEENS1_30default_config_static_selectorELNS0_4arch9wavefront6targetE1EEEvSY_.has_indirect_call, 0
	.section	.AMDGPU.csdata,"",@progbits
; Kernel info:
; codeLenInByte = 0
; TotalNumSgprs: 4
; NumVgprs: 0
; ScratchSize: 0
; MemoryBound: 0
; FloatMode: 240
; IeeeMode: 1
; LDSByteSize: 0 bytes/workgroup (compile time only)
; SGPRBlocks: 0
; VGPRBlocks: 0
; NumSGPRsForWavesPerEU: 4
; NumVGPRsForWavesPerEU: 1
; Occupancy: 10
; WaveLimiterHint : 0
; COMPUTE_PGM_RSRC2:SCRATCH_EN: 0
; COMPUTE_PGM_RSRC2:USER_SGPR: 6
; COMPUTE_PGM_RSRC2:TRAP_HANDLER: 0
; COMPUTE_PGM_RSRC2:TGID_X_EN: 1
; COMPUTE_PGM_RSRC2:TGID_Y_EN: 0
; COMPUTE_PGM_RSRC2:TGID_Z_EN: 0
; COMPUTE_PGM_RSRC2:TIDIG_COMP_CNT: 0
	.section	.text._ZN7rocprim17ROCPRIM_400000_NS6detail17trampoline_kernelINS0_14default_configENS1_27lower_bound_config_selectorIflEEZNS1_14transform_implILb0ES3_S5_N6thrust23THRUST_200600_302600_NS6detail15normal_iteratorINS8_7pointerIfNS8_11hip_rocprim16par_det_nosync_tENS8_11use_defaultESE_EEEENSA_INSB_IlSD_SE_SE_EEEEZNS1_13binary_searchIS3_S5_NSA_INS8_10device_ptrIfEEEESG_SI_NS1_21lower_bound_search_opENS9_16wrapped_functionINS8_6system6detail7generic6detail18binary_search_lessEbEEEE10hipError_tPvRmT1_T2_T3_mmT4_T5_P12ihipStream_tbEUlRKfE_EESV_SZ_S10_mS11_S14_bEUlT_E_NS1_11comp_targetILNS1_3genE10ELNS1_11target_archE1200ELNS1_3gpuE4ELNS1_3repE0EEENS1_30default_config_static_selectorELNS0_4arch9wavefront6targetE1EEEvSY_,"axG",@progbits,_ZN7rocprim17ROCPRIM_400000_NS6detail17trampoline_kernelINS0_14default_configENS1_27lower_bound_config_selectorIflEEZNS1_14transform_implILb0ES3_S5_N6thrust23THRUST_200600_302600_NS6detail15normal_iteratorINS8_7pointerIfNS8_11hip_rocprim16par_det_nosync_tENS8_11use_defaultESE_EEEENSA_INSB_IlSD_SE_SE_EEEEZNS1_13binary_searchIS3_S5_NSA_INS8_10device_ptrIfEEEESG_SI_NS1_21lower_bound_search_opENS9_16wrapped_functionINS8_6system6detail7generic6detail18binary_search_lessEbEEEE10hipError_tPvRmT1_T2_T3_mmT4_T5_P12ihipStream_tbEUlRKfE_EESV_SZ_S10_mS11_S14_bEUlT_E_NS1_11comp_targetILNS1_3genE10ELNS1_11target_archE1200ELNS1_3gpuE4ELNS1_3repE0EEENS1_30default_config_static_selectorELNS0_4arch9wavefront6targetE1EEEvSY_,comdat
	.protected	_ZN7rocprim17ROCPRIM_400000_NS6detail17trampoline_kernelINS0_14default_configENS1_27lower_bound_config_selectorIflEEZNS1_14transform_implILb0ES3_S5_N6thrust23THRUST_200600_302600_NS6detail15normal_iteratorINS8_7pointerIfNS8_11hip_rocprim16par_det_nosync_tENS8_11use_defaultESE_EEEENSA_INSB_IlSD_SE_SE_EEEEZNS1_13binary_searchIS3_S5_NSA_INS8_10device_ptrIfEEEESG_SI_NS1_21lower_bound_search_opENS9_16wrapped_functionINS8_6system6detail7generic6detail18binary_search_lessEbEEEE10hipError_tPvRmT1_T2_T3_mmT4_T5_P12ihipStream_tbEUlRKfE_EESV_SZ_S10_mS11_S14_bEUlT_E_NS1_11comp_targetILNS1_3genE10ELNS1_11target_archE1200ELNS1_3gpuE4ELNS1_3repE0EEENS1_30default_config_static_selectorELNS0_4arch9wavefront6targetE1EEEvSY_ ; -- Begin function _ZN7rocprim17ROCPRIM_400000_NS6detail17trampoline_kernelINS0_14default_configENS1_27lower_bound_config_selectorIflEEZNS1_14transform_implILb0ES3_S5_N6thrust23THRUST_200600_302600_NS6detail15normal_iteratorINS8_7pointerIfNS8_11hip_rocprim16par_det_nosync_tENS8_11use_defaultESE_EEEENSA_INSB_IlSD_SE_SE_EEEEZNS1_13binary_searchIS3_S5_NSA_INS8_10device_ptrIfEEEESG_SI_NS1_21lower_bound_search_opENS9_16wrapped_functionINS8_6system6detail7generic6detail18binary_search_lessEbEEEE10hipError_tPvRmT1_T2_T3_mmT4_T5_P12ihipStream_tbEUlRKfE_EESV_SZ_S10_mS11_S14_bEUlT_E_NS1_11comp_targetILNS1_3genE10ELNS1_11target_archE1200ELNS1_3gpuE4ELNS1_3repE0EEENS1_30default_config_static_selectorELNS0_4arch9wavefront6targetE1EEEvSY_
	.globl	_ZN7rocprim17ROCPRIM_400000_NS6detail17trampoline_kernelINS0_14default_configENS1_27lower_bound_config_selectorIflEEZNS1_14transform_implILb0ES3_S5_N6thrust23THRUST_200600_302600_NS6detail15normal_iteratorINS8_7pointerIfNS8_11hip_rocprim16par_det_nosync_tENS8_11use_defaultESE_EEEENSA_INSB_IlSD_SE_SE_EEEEZNS1_13binary_searchIS3_S5_NSA_INS8_10device_ptrIfEEEESG_SI_NS1_21lower_bound_search_opENS9_16wrapped_functionINS8_6system6detail7generic6detail18binary_search_lessEbEEEE10hipError_tPvRmT1_T2_T3_mmT4_T5_P12ihipStream_tbEUlRKfE_EESV_SZ_S10_mS11_S14_bEUlT_E_NS1_11comp_targetILNS1_3genE10ELNS1_11target_archE1200ELNS1_3gpuE4ELNS1_3repE0EEENS1_30default_config_static_selectorELNS0_4arch9wavefront6targetE1EEEvSY_
	.p2align	8
	.type	_ZN7rocprim17ROCPRIM_400000_NS6detail17trampoline_kernelINS0_14default_configENS1_27lower_bound_config_selectorIflEEZNS1_14transform_implILb0ES3_S5_N6thrust23THRUST_200600_302600_NS6detail15normal_iteratorINS8_7pointerIfNS8_11hip_rocprim16par_det_nosync_tENS8_11use_defaultESE_EEEENSA_INSB_IlSD_SE_SE_EEEEZNS1_13binary_searchIS3_S5_NSA_INS8_10device_ptrIfEEEESG_SI_NS1_21lower_bound_search_opENS9_16wrapped_functionINS8_6system6detail7generic6detail18binary_search_lessEbEEEE10hipError_tPvRmT1_T2_T3_mmT4_T5_P12ihipStream_tbEUlRKfE_EESV_SZ_S10_mS11_S14_bEUlT_E_NS1_11comp_targetILNS1_3genE10ELNS1_11target_archE1200ELNS1_3gpuE4ELNS1_3repE0EEENS1_30default_config_static_selectorELNS0_4arch9wavefront6targetE1EEEvSY_,@function
_ZN7rocprim17ROCPRIM_400000_NS6detail17trampoline_kernelINS0_14default_configENS1_27lower_bound_config_selectorIflEEZNS1_14transform_implILb0ES3_S5_N6thrust23THRUST_200600_302600_NS6detail15normal_iteratorINS8_7pointerIfNS8_11hip_rocprim16par_det_nosync_tENS8_11use_defaultESE_EEEENSA_INSB_IlSD_SE_SE_EEEEZNS1_13binary_searchIS3_S5_NSA_INS8_10device_ptrIfEEEESG_SI_NS1_21lower_bound_search_opENS9_16wrapped_functionINS8_6system6detail7generic6detail18binary_search_lessEbEEEE10hipError_tPvRmT1_T2_T3_mmT4_T5_P12ihipStream_tbEUlRKfE_EESV_SZ_S10_mS11_S14_bEUlT_E_NS1_11comp_targetILNS1_3genE10ELNS1_11target_archE1200ELNS1_3gpuE4ELNS1_3repE0EEENS1_30default_config_static_selectorELNS0_4arch9wavefront6targetE1EEEvSY_: ; @_ZN7rocprim17ROCPRIM_400000_NS6detail17trampoline_kernelINS0_14default_configENS1_27lower_bound_config_selectorIflEEZNS1_14transform_implILb0ES3_S5_N6thrust23THRUST_200600_302600_NS6detail15normal_iteratorINS8_7pointerIfNS8_11hip_rocprim16par_det_nosync_tENS8_11use_defaultESE_EEEENSA_INSB_IlSD_SE_SE_EEEEZNS1_13binary_searchIS3_S5_NSA_INS8_10device_ptrIfEEEESG_SI_NS1_21lower_bound_search_opENS9_16wrapped_functionINS8_6system6detail7generic6detail18binary_search_lessEbEEEE10hipError_tPvRmT1_T2_T3_mmT4_T5_P12ihipStream_tbEUlRKfE_EESV_SZ_S10_mS11_S14_bEUlT_E_NS1_11comp_targetILNS1_3genE10ELNS1_11target_archE1200ELNS1_3gpuE4ELNS1_3repE0EEENS1_30default_config_static_selectorELNS0_4arch9wavefront6targetE1EEEvSY_
; %bb.0:
	.section	.rodata,"a",@progbits
	.p2align	6, 0x0
	.amdhsa_kernel _ZN7rocprim17ROCPRIM_400000_NS6detail17trampoline_kernelINS0_14default_configENS1_27lower_bound_config_selectorIflEEZNS1_14transform_implILb0ES3_S5_N6thrust23THRUST_200600_302600_NS6detail15normal_iteratorINS8_7pointerIfNS8_11hip_rocprim16par_det_nosync_tENS8_11use_defaultESE_EEEENSA_INSB_IlSD_SE_SE_EEEEZNS1_13binary_searchIS3_S5_NSA_INS8_10device_ptrIfEEEESG_SI_NS1_21lower_bound_search_opENS9_16wrapped_functionINS8_6system6detail7generic6detail18binary_search_lessEbEEEE10hipError_tPvRmT1_T2_T3_mmT4_T5_P12ihipStream_tbEUlRKfE_EESV_SZ_S10_mS11_S14_bEUlT_E_NS1_11comp_targetILNS1_3genE10ELNS1_11target_archE1200ELNS1_3gpuE4ELNS1_3repE0EEENS1_30default_config_static_selectorELNS0_4arch9wavefront6targetE1EEEvSY_
		.amdhsa_group_segment_fixed_size 0
		.amdhsa_private_segment_fixed_size 0
		.amdhsa_kernarg_size 56
		.amdhsa_user_sgpr_count 6
		.amdhsa_user_sgpr_private_segment_buffer 1
		.amdhsa_user_sgpr_dispatch_ptr 0
		.amdhsa_user_sgpr_queue_ptr 0
		.amdhsa_user_sgpr_kernarg_segment_ptr 1
		.amdhsa_user_sgpr_dispatch_id 0
		.amdhsa_user_sgpr_flat_scratch_init 0
		.amdhsa_user_sgpr_private_segment_size 0
		.amdhsa_uses_dynamic_stack 0
		.amdhsa_system_sgpr_private_segment_wavefront_offset 0
		.amdhsa_system_sgpr_workgroup_id_x 1
		.amdhsa_system_sgpr_workgroup_id_y 0
		.amdhsa_system_sgpr_workgroup_id_z 0
		.amdhsa_system_sgpr_workgroup_info 0
		.amdhsa_system_vgpr_workitem_id 0
		.amdhsa_next_free_vgpr 1
		.amdhsa_next_free_sgpr 0
		.amdhsa_reserve_vcc 0
		.amdhsa_reserve_flat_scratch 0
		.amdhsa_float_round_mode_32 0
		.amdhsa_float_round_mode_16_64 0
		.amdhsa_float_denorm_mode_32 3
		.amdhsa_float_denorm_mode_16_64 3
		.amdhsa_dx10_clamp 1
		.amdhsa_ieee_mode 1
		.amdhsa_fp16_overflow 0
		.amdhsa_exception_fp_ieee_invalid_op 0
		.amdhsa_exception_fp_denorm_src 0
		.amdhsa_exception_fp_ieee_div_zero 0
		.amdhsa_exception_fp_ieee_overflow 0
		.amdhsa_exception_fp_ieee_underflow 0
		.amdhsa_exception_fp_ieee_inexact 0
		.amdhsa_exception_int_div_zero 0
	.end_amdhsa_kernel
	.section	.text._ZN7rocprim17ROCPRIM_400000_NS6detail17trampoline_kernelINS0_14default_configENS1_27lower_bound_config_selectorIflEEZNS1_14transform_implILb0ES3_S5_N6thrust23THRUST_200600_302600_NS6detail15normal_iteratorINS8_7pointerIfNS8_11hip_rocprim16par_det_nosync_tENS8_11use_defaultESE_EEEENSA_INSB_IlSD_SE_SE_EEEEZNS1_13binary_searchIS3_S5_NSA_INS8_10device_ptrIfEEEESG_SI_NS1_21lower_bound_search_opENS9_16wrapped_functionINS8_6system6detail7generic6detail18binary_search_lessEbEEEE10hipError_tPvRmT1_T2_T3_mmT4_T5_P12ihipStream_tbEUlRKfE_EESV_SZ_S10_mS11_S14_bEUlT_E_NS1_11comp_targetILNS1_3genE10ELNS1_11target_archE1200ELNS1_3gpuE4ELNS1_3repE0EEENS1_30default_config_static_selectorELNS0_4arch9wavefront6targetE1EEEvSY_,"axG",@progbits,_ZN7rocprim17ROCPRIM_400000_NS6detail17trampoline_kernelINS0_14default_configENS1_27lower_bound_config_selectorIflEEZNS1_14transform_implILb0ES3_S5_N6thrust23THRUST_200600_302600_NS6detail15normal_iteratorINS8_7pointerIfNS8_11hip_rocprim16par_det_nosync_tENS8_11use_defaultESE_EEEENSA_INSB_IlSD_SE_SE_EEEEZNS1_13binary_searchIS3_S5_NSA_INS8_10device_ptrIfEEEESG_SI_NS1_21lower_bound_search_opENS9_16wrapped_functionINS8_6system6detail7generic6detail18binary_search_lessEbEEEE10hipError_tPvRmT1_T2_T3_mmT4_T5_P12ihipStream_tbEUlRKfE_EESV_SZ_S10_mS11_S14_bEUlT_E_NS1_11comp_targetILNS1_3genE10ELNS1_11target_archE1200ELNS1_3gpuE4ELNS1_3repE0EEENS1_30default_config_static_selectorELNS0_4arch9wavefront6targetE1EEEvSY_,comdat
.Lfunc_end337:
	.size	_ZN7rocprim17ROCPRIM_400000_NS6detail17trampoline_kernelINS0_14default_configENS1_27lower_bound_config_selectorIflEEZNS1_14transform_implILb0ES3_S5_N6thrust23THRUST_200600_302600_NS6detail15normal_iteratorINS8_7pointerIfNS8_11hip_rocprim16par_det_nosync_tENS8_11use_defaultESE_EEEENSA_INSB_IlSD_SE_SE_EEEEZNS1_13binary_searchIS3_S5_NSA_INS8_10device_ptrIfEEEESG_SI_NS1_21lower_bound_search_opENS9_16wrapped_functionINS8_6system6detail7generic6detail18binary_search_lessEbEEEE10hipError_tPvRmT1_T2_T3_mmT4_T5_P12ihipStream_tbEUlRKfE_EESV_SZ_S10_mS11_S14_bEUlT_E_NS1_11comp_targetILNS1_3genE10ELNS1_11target_archE1200ELNS1_3gpuE4ELNS1_3repE0EEENS1_30default_config_static_selectorELNS0_4arch9wavefront6targetE1EEEvSY_, .Lfunc_end337-_ZN7rocprim17ROCPRIM_400000_NS6detail17trampoline_kernelINS0_14default_configENS1_27lower_bound_config_selectorIflEEZNS1_14transform_implILb0ES3_S5_N6thrust23THRUST_200600_302600_NS6detail15normal_iteratorINS8_7pointerIfNS8_11hip_rocprim16par_det_nosync_tENS8_11use_defaultESE_EEEENSA_INSB_IlSD_SE_SE_EEEEZNS1_13binary_searchIS3_S5_NSA_INS8_10device_ptrIfEEEESG_SI_NS1_21lower_bound_search_opENS9_16wrapped_functionINS8_6system6detail7generic6detail18binary_search_lessEbEEEE10hipError_tPvRmT1_T2_T3_mmT4_T5_P12ihipStream_tbEUlRKfE_EESV_SZ_S10_mS11_S14_bEUlT_E_NS1_11comp_targetILNS1_3genE10ELNS1_11target_archE1200ELNS1_3gpuE4ELNS1_3repE0EEENS1_30default_config_static_selectorELNS0_4arch9wavefront6targetE1EEEvSY_
                                        ; -- End function
	.set _ZN7rocprim17ROCPRIM_400000_NS6detail17trampoline_kernelINS0_14default_configENS1_27lower_bound_config_selectorIflEEZNS1_14transform_implILb0ES3_S5_N6thrust23THRUST_200600_302600_NS6detail15normal_iteratorINS8_7pointerIfNS8_11hip_rocprim16par_det_nosync_tENS8_11use_defaultESE_EEEENSA_INSB_IlSD_SE_SE_EEEEZNS1_13binary_searchIS3_S5_NSA_INS8_10device_ptrIfEEEESG_SI_NS1_21lower_bound_search_opENS9_16wrapped_functionINS8_6system6detail7generic6detail18binary_search_lessEbEEEE10hipError_tPvRmT1_T2_T3_mmT4_T5_P12ihipStream_tbEUlRKfE_EESV_SZ_S10_mS11_S14_bEUlT_E_NS1_11comp_targetILNS1_3genE10ELNS1_11target_archE1200ELNS1_3gpuE4ELNS1_3repE0EEENS1_30default_config_static_selectorELNS0_4arch9wavefront6targetE1EEEvSY_.num_vgpr, 0
	.set _ZN7rocprim17ROCPRIM_400000_NS6detail17trampoline_kernelINS0_14default_configENS1_27lower_bound_config_selectorIflEEZNS1_14transform_implILb0ES3_S5_N6thrust23THRUST_200600_302600_NS6detail15normal_iteratorINS8_7pointerIfNS8_11hip_rocprim16par_det_nosync_tENS8_11use_defaultESE_EEEENSA_INSB_IlSD_SE_SE_EEEEZNS1_13binary_searchIS3_S5_NSA_INS8_10device_ptrIfEEEESG_SI_NS1_21lower_bound_search_opENS9_16wrapped_functionINS8_6system6detail7generic6detail18binary_search_lessEbEEEE10hipError_tPvRmT1_T2_T3_mmT4_T5_P12ihipStream_tbEUlRKfE_EESV_SZ_S10_mS11_S14_bEUlT_E_NS1_11comp_targetILNS1_3genE10ELNS1_11target_archE1200ELNS1_3gpuE4ELNS1_3repE0EEENS1_30default_config_static_selectorELNS0_4arch9wavefront6targetE1EEEvSY_.num_agpr, 0
	.set _ZN7rocprim17ROCPRIM_400000_NS6detail17trampoline_kernelINS0_14default_configENS1_27lower_bound_config_selectorIflEEZNS1_14transform_implILb0ES3_S5_N6thrust23THRUST_200600_302600_NS6detail15normal_iteratorINS8_7pointerIfNS8_11hip_rocprim16par_det_nosync_tENS8_11use_defaultESE_EEEENSA_INSB_IlSD_SE_SE_EEEEZNS1_13binary_searchIS3_S5_NSA_INS8_10device_ptrIfEEEESG_SI_NS1_21lower_bound_search_opENS9_16wrapped_functionINS8_6system6detail7generic6detail18binary_search_lessEbEEEE10hipError_tPvRmT1_T2_T3_mmT4_T5_P12ihipStream_tbEUlRKfE_EESV_SZ_S10_mS11_S14_bEUlT_E_NS1_11comp_targetILNS1_3genE10ELNS1_11target_archE1200ELNS1_3gpuE4ELNS1_3repE0EEENS1_30default_config_static_selectorELNS0_4arch9wavefront6targetE1EEEvSY_.numbered_sgpr, 0
	.set _ZN7rocprim17ROCPRIM_400000_NS6detail17trampoline_kernelINS0_14default_configENS1_27lower_bound_config_selectorIflEEZNS1_14transform_implILb0ES3_S5_N6thrust23THRUST_200600_302600_NS6detail15normal_iteratorINS8_7pointerIfNS8_11hip_rocprim16par_det_nosync_tENS8_11use_defaultESE_EEEENSA_INSB_IlSD_SE_SE_EEEEZNS1_13binary_searchIS3_S5_NSA_INS8_10device_ptrIfEEEESG_SI_NS1_21lower_bound_search_opENS9_16wrapped_functionINS8_6system6detail7generic6detail18binary_search_lessEbEEEE10hipError_tPvRmT1_T2_T3_mmT4_T5_P12ihipStream_tbEUlRKfE_EESV_SZ_S10_mS11_S14_bEUlT_E_NS1_11comp_targetILNS1_3genE10ELNS1_11target_archE1200ELNS1_3gpuE4ELNS1_3repE0EEENS1_30default_config_static_selectorELNS0_4arch9wavefront6targetE1EEEvSY_.num_named_barrier, 0
	.set _ZN7rocprim17ROCPRIM_400000_NS6detail17trampoline_kernelINS0_14default_configENS1_27lower_bound_config_selectorIflEEZNS1_14transform_implILb0ES3_S5_N6thrust23THRUST_200600_302600_NS6detail15normal_iteratorINS8_7pointerIfNS8_11hip_rocprim16par_det_nosync_tENS8_11use_defaultESE_EEEENSA_INSB_IlSD_SE_SE_EEEEZNS1_13binary_searchIS3_S5_NSA_INS8_10device_ptrIfEEEESG_SI_NS1_21lower_bound_search_opENS9_16wrapped_functionINS8_6system6detail7generic6detail18binary_search_lessEbEEEE10hipError_tPvRmT1_T2_T3_mmT4_T5_P12ihipStream_tbEUlRKfE_EESV_SZ_S10_mS11_S14_bEUlT_E_NS1_11comp_targetILNS1_3genE10ELNS1_11target_archE1200ELNS1_3gpuE4ELNS1_3repE0EEENS1_30default_config_static_selectorELNS0_4arch9wavefront6targetE1EEEvSY_.private_seg_size, 0
	.set _ZN7rocprim17ROCPRIM_400000_NS6detail17trampoline_kernelINS0_14default_configENS1_27lower_bound_config_selectorIflEEZNS1_14transform_implILb0ES3_S5_N6thrust23THRUST_200600_302600_NS6detail15normal_iteratorINS8_7pointerIfNS8_11hip_rocprim16par_det_nosync_tENS8_11use_defaultESE_EEEENSA_INSB_IlSD_SE_SE_EEEEZNS1_13binary_searchIS3_S5_NSA_INS8_10device_ptrIfEEEESG_SI_NS1_21lower_bound_search_opENS9_16wrapped_functionINS8_6system6detail7generic6detail18binary_search_lessEbEEEE10hipError_tPvRmT1_T2_T3_mmT4_T5_P12ihipStream_tbEUlRKfE_EESV_SZ_S10_mS11_S14_bEUlT_E_NS1_11comp_targetILNS1_3genE10ELNS1_11target_archE1200ELNS1_3gpuE4ELNS1_3repE0EEENS1_30default_config_static_selectorELNS0_4arch9wavefront6targetE1EEEvSY_.uses_vcc, 0
	.set _ZN7rocprim17ROCPRIM_400000_NS6detail17trampoline_kernelINS0_14default_configENS1_27lower_bound_config_selectorIflEEZNS1_14transform_implILb0ES3_S5_N6thrust23THRUST_200600_302600_NS6detail15normal_iteratorINS8_7pointerIfNS8_11hip_rocprim16par_det_nosync_tENS8_11use_defaultESE_EEEENSA_INSB_IlSD_SE_SE_EEEEZNS1_13binary_searchIS3_S5_NSA_INS8_10device_ptrIfEEEESG_SI_NS1_21lower_bound_search_opENS9_16wrapped_functionINS8_6system6detail7generic6detail18binary_search_lessEbEEEE10hipError_tPvRmT1_T2_T3_mmT4_T5_P12ihipStream_tbEUlRKfE_EESV_SZ_S10_mS11_S14_bEUlT_E_NS1_11comp_targetILNS1_3genE10ELNS1_11target_archE1200ELNS1_3gpuE4ELNS1_3repE0EEENS1_30default_config_static_selectorELNS0_4arch9wavefront6targetE1EEEvSY_.uses_flat_scratch, 0
	.set _ZN7rocprim17ROCPRIM_400000_NS6detail17trampoline_kernelINS0_14default_configENS1_27lower_bound_config_selectorIflEEZNS1_14transform_implILb0ES3_S5_N6thrust23THRUST_200600_302600_NS6detail15normal_iteratorINS8_7pointerIfNS8_11hip_rocprim16par_det_nosync_tENS8_11use_defaultESE_EEEENSA_INSB_IlSD_SE_SE_EEEEZNS1_13binary_searchIS3_S5_NSA_INS8_10device_ptrIfEEEESG_SI_NS1_21lower_bound_search_opENS9_16wrapped_functionINS8_6system6detail7generic6detail18binary_search_lessEbEEEE10hipError_tPvRmT1_T2_T3_mmT4_T5_P12ihipStream_tbEUlRKfE_EESV_SZ_S10_mS11_S14_bEUlT_E_NS1_11comp_targetILNS1_3genE10ELNS1_11target_archE1200ELNS1_3gpuE4ELNS1_3repE0EEENS1_30default_config_static_selectorELNS0_4arch9wavefront6targetE1EEEvSY_.has_dyn_sized_stack, 0
	.set _ZN7rocprim17ROCPRIM_400000_NS6detail17trampoline_kernelINS0_14default_configENS1_27lower_bound_config_selectorIflEEZNS1_14transform_implILb0ES3_S5_N6thrust23THRUST_200600_302600_NS6detail15normal_iteratorINS8_7pointerIfNS8_11hip_rocprim16par_det_nosync_tENS8_11use_defaultESE_EEEENSA_INSB_IlSD_SE_SE_EEEEZNS1_13binary_searchIS3_S5_NSA_INS8_10device_ptrIfEEEESG_SI_NS1_21lower_bound_search_opENS9_16wrapped_functionINS8_6system6detail7generic6detail18binary_search_lessEbEEEE10hipError_tPvRmT1_T2_T3_mmT4_T5_P12ihipStream_tbEUlRKfE_EESV_SZ_S10_mS11_S14_bEUlT_E_NS1_11comp_targetILNS1_3genE10ELNS1_11target_archE1200ELNS1_3gpuE4ELNS1_3repE0EEENS1_30default_config_static_selectorELNS0_4arch9wavefront6targetE1EEEvSY_.has_recursion, 0
	.set _ZN7rocprim17ROCPRIM_400000_NS6detail17trampoline_kernelINS0_14default_configENS1_27lower_bound_config_selectorIflEEZNS1_14transform_implILb0ES3_S5_N6thrust23THRUST_200600_302600_NS6detail15normal_iteratorINS8_7pointerIfNS8_11hip_rocprim16par_det_nosync_tENS8_11use_defaultESE_EEEENSA_INSB_IlSD_SE_SE_EEEEZNS1_13binary_searchIS3_S5_NSA_INS8_10device_ptrIfEEEESG_SI_NS1_21lower_bound_search_opENS9_16wrapped_functionINS8_6system6detail7generic6detail18binary_search_lessEbEEEE10hipError_tPvRmT1_T2_T3_mmT4_T5_P12ihipStream_tbEUlRKfE_EESV_SZ_S10_mS11_S14_bEUlT_E_NS1_11comp_targetILNS1_3genE10ELNS1_11target_archE1200ELNS1_3gpuE4ELNS1_3repE0EEENS1_30default_config_static_selectorELNS0_4arch9wavefront6targetE1EEEvSY_.has_indirect_call, 0
	.section	.AMDGPU.csdata,"",@progbits
; Kernel info:
; codeLenInByte = 0
; TotalNumSgprs: 4
; NumVgprs: 0
; ScratchSize: 0
; MemoryBound: 0
; FloatMode: 240
; IeeeMode: 1
; LDSByteSize: 0 bytes/workgroup (compile time only)
; SGPRBlocks: 0
; VGPRBlocks: 0
; NumSGPRsForWavesPerEU: 4
; NumVGPRsForWavesPerEU: 1
; Occupancy: 10
; WaveLimiterHint : 0
; COMPUTE_PGM_RSRC2:SCRATCH_EN: 0
; COMPUTE_PGM_RSRC2:USER_SGPR: 6
; COMPUTE_PGM_RSRC2:TRAP_HANDLER: 0
; COMPUTE_PGM_RSRC2:TGID_X_EN: 1
; COMPUTE_PGM_RSRC2:TGID_Y_EN: 0
; COMPUTE_PGM_RSRC2:TGID_Z_EN: 0
; COMPUTE_PGM_RSRC2:TIDIG_COMP_CNT: 0
	.section	.text._ZN7rocprim17ROCPRIM_400000_NS6detail17trampoline_kernelINS0_14default_configENS1_27lower_bound_config_selectorIflEEZNS1_14transform_implILb0ES3_S5_N6thrust23THRUST_200600_302600_NS6detail15normal_iteratorINS8_7pointerIfNS8_11hip_rocprim16par_det_nosync_tENS8_11use_defaultESE_EEEENSA_INSB_IlSD_SE_SE_EEEEZNS1_13binary_searchIS3_S5_NSA_INS8_10device_ptrIfEEEESG_SI_NS1_21lower_bound_search_opENS9_16wrapped_functionINS8_6system6detail7generic6detail18binary_search_lessEbEEEE10hipError_tPvRmT1_T2_T3_mmT4_T5_P12ihipStream_tbEUlRKfE_EESV_SZ_S10_mS11_S14_bEUlT_E_NS1_11comp_targetILNS1_3genE9ELNS1_11target_archE1100ELNS1_3gpuE3ELNS1_3repE0EEENS1_30default_config_static_selectorELNS0_4arch9wavefront6targetE1EEEvSY_,"axG",@progbits,_ZN7rocprim17ROCPRIM_400000_NS6detail17trampoline_kernelINS0_14default_configENS1_27lower_bound_config_selectorIflEEZNS1_14transform_implILb0ES3_S5_N6thrust23THRUST_200600_302600_NS6detail15normal_iteratorINS8_7pointerIfNS8_11hip_rocprim16par_det_nosync_tENS8_11use_defaultESE_EEEENSA_INSB_IlSD_SE_SE_EEEEZNS1_13binary_searchIS3_S5_NSA_INS8_10device_ptrIfEEEESG_SI_NS1_21lower_bound_search_opENS9_16wrapped_functionINS8_6system6detail7generic6detail18binary_search_lessEbEEEE10hipError_tPvRmT1_T2_T3_mmT4_T5_P12ihipStream_tbEUlRKfE_EESV_SZ_S10_mS11_S14_bEUlT_E_NS1_11comp_targetILNS1_3genE9ELNS1_11target_archE1100ELNS1_3gpuE3ELNS1_3repE0EEENS1_30default_config_static_selectorELNS0_4arch9wavefront6targetE1EEEvSY_,comdat
	.protected	_ZN7rocprim17ROCPRIM_400000_NS6detail17trampoline_kernelINS0_14default_configENS1_27lower_bound_config_selectorIflEEZNS1_14transform_implILb0ES3_S5_N6thrust23THRUST_200600_302600_NS6detail15normal_iteratorINS8_7pointerIfNS8_11hip_rocprim16par_det_nosync_tENS8_11use_defaultESE_EEEENSA_INSB_IlSD_SE_SE_EEEEZNS1_13binary_searchIS3_S5_NSA_INS8_10device_ptrIfEEEESG_SI_NS1_21lower_bound_search_opENS9_16wrapped_functionINS8_6system6detail7generic6detail18binary_search_lessEbEEEE10hipError_tPvRmT1_T2_T3_mmT4_T5_P12ihipStream_tbEUlRKfE_EESV_SZ_S10_mS11_S14_bEUlT_E_NS1_11comp_targetILNS1_3genE9ELNS1_11target_archE1100ELNS1_3gpuE3ELNS1_3repE0EEENS1_30default_config_static_selectorELNS0_4arch9wavefront6targetE1EEEvSY_ ; -- Begin function _ZN7rocprim17ROCPRIM_400000_NS6detail17trampoline_kernelINS0_14default_configENS1_27lower_bound_config_selectorIflEEZNS1_14transform_implILb0ES3_S5_N6thrust23THRUST_200600_302600_NS6detail15normal_iteratorINS8_7pointerIfNS8_11hip_rocprim16par_det_nosync_tENS8_11use_defaultESE_EEEENSA_INSB_IlSD_SE_SE_EEEEZNS1_13binary_searchIS3_S5_NSA_INS8_10device_ptrIfEEEESG_SI_NS1_21lower_bound_search_opENS9_16wrapped_functionINS8_6system6detail7generic6detail18binary_search_lessEbEEEE10hipError_tPvRmT1_T2_T3_mmT4_T5_P12ihipStream_tbEUlRKfE_EESV_SZ_S10_mS11_S14_bEUlT_E_NS1_11comp_targetILNS1_3genE9ELNS1_11target_archE1100ELNS1_3gpuE3ELNS1_3repE0EEENS1_30default_config_static_selectorELNS0_4arch9wavefront6targetE1EEEvSY_
	.globl	_ZN7rocprim17ROCPRIM_400000_NS6detail17trampoline_kernelINS0_14default_configENS1_27lower_bound_config_selectorIflEEZNS1_14transform_implILb0ES3_S5_N6thrust23THRUST_200600_302600_NS6detail15normal_iteratorINS8_7pointerIfNS8_11hip_rocprim16par_det_nosync_tENS8_11use_defaultESE_EEEENSA_INSB_IlSD_SE_SE_EEEEZNS1_13binary_searchIS3_S5_NSA_INS8_10device_ptrIfEEEESG_SI_NS1_21lower_bound_search_opENS9_16wrapped_functionINS8_6system6detail7generic6detail18binary_search_lessEbEEEE10hipError_tPvRmT1_T2_T3_mmT4_T5_P12ihipStream_tbEUlRKfE_EESV_SZ_S10_mS11_S14_bEUlT_E_NS1_11comp_targetILNS1_3genE9ELNS1_11target_archE1100ELNS1_3gpuE3ELNS1_3repE0EEENS1_30default_config_static_selectorELNS0_4arch9wavefront6targetE1EEEvSY_
	.p2align	8
	.type	_ZN7rocprim17ROCPRIM_400000_NS6detail17trampoline_kernelINS0_14default_configENS1_27lower_bound_config_selectorIflEEZNS1_14transform_implILb0ES3_S5_N6thrust23THRUST_200600_302600_NS6detail15normal_iteratorINS8_7pointerIfNS8_11hip_rocprim16par_det_nosync_tENS8_11use_defaultESE_EEEENSA_INSB_IlSD_SE_SE_EEEEZNS1_13binary_searchIS3_S5_NSA_INS8_10device_ptrIfEEEESG_SI_NS1_21lower_bound_search_opENS9_16wrapped_functionINS8_6system6detail7generic6detail18binary_search_lessEbEEEE10hipError_tPvRmT1_T2_T3_mmT4_T5_P12ihipStream_tbEUlRKfE_EESV_SZ_S10_mS11_S14_bEUlT_E_NS1_11comp_targetILNS1_3genE9ELNS1_11target_archE1100ELNS1_3gpuE3ELNS1_3repE0EEENS1_30default_config_static_selectorELNS0_4arch9wavefront6targetE1EEEvSY_,@function
_ZN7rocprim17ROCPRIM_400000_NS6detail17trampoline_kernelINS0_14default_configENS1_27lower_bound_config_selectorIflEEZNS1_14transform_implILb0ES3_S5_N6thrust23THRUST_200600_302600_NS6detail15normal_iteratorINS8_7pointerIfNS8_11hip_rocprim16par_det_nosync_tENS8_11use_defaultESE_EEEENSA_INSB_IlSD_SE_SE_EEEEZNS1_13binary_searchIS3_S5_NSA_INS8_10device_ptrIfEEEESG_SI_NS1_21lower_bound_search_opENS9_16wrapped_functionINS8_6system6detail7generic6detail18binary_search_lessEbEEEE10hipError_tPvRmT1_T2_T3_mmT4_T5_P12ihipStream_tbEUlRKfE_EESV_SZ_S10_mS11_S14_bEUlT_E_NS1_11comp_targetILNS1_3genE9ELNS1_11target_archE1100ELNS1_3gpuE3ELNS1_3repE0EEENS1_30default_config_static_selectorELNS0_4arch9wavefront6targetE1EEEvSY_: ; @_ZN7rocprim17ROCPRIM_400000_NS6detail17trampoline_kernelINS0_14default_configENS1_27lower_bound_config_selectorIflEEZNS1_14transform_implILb0ES3_S5_N6thrust23THRUST_200600_302600_NS6detail15normal_iteratorINS8_7pointerIfNS8_11hip_rocprim16par_det_nosync_tENS8_11use_defaultESE_EEEENSA_INSB_IlSD_SE_SE_EEEEZNS1_13binary_searchIS3_S5_NSA_INS8_10device_ptrIfEEEESG_SI_NS1_21lower_bound_search_opENS9_16wrapped_functionINS8_6system6detail7generic6detail18binary_search_lessEbEEEE10hipError_tPvRmT1_T2_T3_mmT4_T5_P12ihipStream_tbEUlRKfE_EESV_SZ_S10_mS11_S14_bEUlT_E_NS1_11comp_targetILNS1_3genE9ELNS1_11target_archE1100ELNS1_3gpuE3ELNS1_3repE0EEENS1_30default_config_static_selectorELNS0_4arch9wavefront6targetE1EEEvSY_
; %bb.0:
	.section	.rodata,"a",@progbits
	.p2align	6, 0x0
	.amdhsa_kernel _ZN7rocprim17ROCPRIM_400000_NS6detail17trampoline_kernelINS0_14default_configENS1_27lower_bound_config_selectorIflEEZNS1_14transform_implILb0ES3_S5_N6thrust23THRUST_200600_302600_NS6detail15normal_iteratorINS8_7pointerIfNS8_11hip_rocprim16par_det_nosync_tENS8_11use_defaultESE_EEEENSA_INSB_IlSD_SE_SE_EEEEZNS1_13binary_searchIS3_S5_NSA_INS8_10device_ptrIfEEEESG_SI_NS1_21lower_bound_search_opENS9_16wrapped_functionINS8_6system6detail7generic6detail18binary_search_lessEbEEEE10hipError_tPvRmT1_T2_T3_mmT4_T5_P12ihipStream_tbEUlRKfE_EESV_SZ_S10_mS11_S14_bEUlT_E_NS1_11comp_targetILNS1_3genE9ELNS1_11target_archE1100ELNS1_3gpuE3ELNS1_3repE0EEENS1_30default_config_static_selectorELNS0_4arch9wavefront6targetE1EEEvSY_
		.amdhsa_group_segment_fixed_size 0
		.amdhsa_private_segment_fixed_size 0
		.amdhsa_kernarg_size 56
		.amdhsa_user_sgpr_count 6
		.amdhsa_user_sgpr_private_segment_buffer 1
		.amdhsa_user_sgpr_dispatch_ptr 0
		.amdhsa_user_sgpr_queue_ptr 0
		.amdhsa_user_sgpr_kernarg_segment_ptr 1
		.amdhsa_user_sgpr_dispatch_id 0
		.amdhsa_user_sgpr_flat_scratch_init 0
		.amdhsa_user_sgpr_private_segment_size 0
		.amdhsa_uses_dynamic_stack 0
		.amdhsa_system_sgpr_private_segment_wavefront_offset 0
		.amdhsa_system_sgpr_workgroup_id_x 1
		.amdhsa_system_sgpr_workgroup_id_y 0
		.amdhsa_system_sgpr_workgroup_id_z 0
		.amdhsa_system_sgpr_workgroup_info 0
		.amdhsa_system_vgpr_workitem_id 0
		.amdhsa_next_free_vgpr 1
		.amdhsa_next_free_sgpr 0
		.amdhsa_reserve_vcc 0
		.amdhsa_reserve_flat_scratch 0
		.amdhsa_float_round_mode_32 0
		.amdhsa_float_round_mode_16_64 0
		.amdhsa_float_denorm_mode_32 3
		.amdhsa_float_denorm_mode_16_64 3
		.amdhsa_dx10_clamp 1
		.amdhsa_ieee_mode 1
		.amdhsa_fp16_overflow 0
		.amdhsa_exception_fp_ieee_invalid_op 0
		.amdhsa_exception_fp_denorm_src 0
		.amdhsa_exception_fp_ieee_div_zero 0
		.amdhsa_exception_fp_ieee_overflow 0
		.amdhsa_exception_fp_ieee_underflow 0
		.amdhsa_exception_fp_ieee_inexact 0
		.amdhsa_exception_int_div_zero 0
	.end_amdhsa_kernel
	.section	.text._ZN7rocprim17ROCPRIM_400000_NS6detail17trampoline_kernelINS0_14default_configENS1_27lower_bound_config_selectorIflEEZNS1_14transform_implILb0ES3_S5_N6thrust23THRUST_200600_302600_NS6detail15normal_iteratorINS8_7pointerIfNS8_11hip_rocprim16par_det_nosync_tENS8_11use_defaultESE_EEEENSA_INSB_IlSD_SE_SE_EEEEZNS1_13binary_searchIS3_S5_NSA_INS8_10device_ptrIfEEEESG_SI_NS1_21lower_bound_search_opENS9_16wrapped_functionINS8_6system6detail7generic6detail18binary_search_lessEbEEEE10hipError_tPvRmT1_T2_T3_mmT4_T5_P12ihipStream_tbEUlRKfE_EESV_SZ_S10_mS11_S14_bEUlT_E_NS1_11comp_targetILNS1_3genE9ELNS1_11target_archE1100ELNS1_3gpuE3ELNS1_3repE0EEENS1_30default_config_static_selectorELNS0_4arch9wavefront6targetE1EEEvSY_,"axG",@progbits,_ZN7rocprim17ROCPRIM_400000_NS6detail17trampoline_kernelINS0_14default_configENS1_27lower_bound_config_selectorIflEEZNS1_14transform_implILb0ES3_S5_N6thrust23THRUST_200600_302600_NS6detail15normal_iteratorINS8_7pointerIfNS8_11hip_rocprim16par_det_nosync_tENS8_11use_defaultESE_EEEENSA_INSB_IlSD_SE_SE_EEEEZNS1_13binary_searchIS3_S5_NSA_INS8_10device_ptrIfEEEESG_SI_NS1_21lower_bound_search_opENS9_16wrapped_functionINS8_6system6detail7generic6detail18binary_search_lessEbEEEE10hipError_tPvRmT1_T2_T3_mmT4_T5_P12ihipStream_tbEUlRKfE_EESV_SZ_S10_mS11_S14_bEUlT_E_NS1_11comp_targetILNS1_3genE9ELNS1_11target_archE1100ELNS1_3gpuE3ELNS1_3repE0EEENS1_30default_config_static_selectorELNS0_4arch9wavefront6targetE1EEEvSY_,comdat
.Lfunc_end338:
	.size	_ZN7rocprim17ROCPRIM_400000_NS6detail17trampoline_kernelINS0_14default_configENS1_27lower_bound_config_selectorIflEEZNS1_14transform_implILb0ES3_S5_N6thrust23THRUST_200600_302600_NS6detail15normal_iteratorINS8_7pointerIfNS8_11hip_rocprim16par_det_nosync_tENS8_11use_defaultESE_EEEENSA_INSB_IlSD_SE_SE_EEEEZNS1_13binary_searchIS3_S5_NSA_INS8_10device_ptrIfEEEESG_SI_NS1_21lower_bound_search_opENS9_16wrapped_functionINS8_6system6detail7generic6detail18binary_search_lessEbEEEE10hipError_tPvRmT1_T2_T3_mmT4_T5_P12ihipStream_tbEUlRKfE_EESV_SZ_S10_mS11_S14_bEUlT_E_NS1_11comp_targetILNS1_3genE9ELNS1_11target_archE1100ELNS1_3gpuE3ELNS1_3repE0EEENS1_30default_config_static_selectorELNS0_4arch9wavefront6targetE1EEEvSY_, .Lfunc_end338-_ZN7rocprim17ROCPRIM_400000_NS6detail17trampoline_kernelINS0_14default_configENS1_27lower_bound_config_selectorIflEEZNS1_14transform_implILb0ES3_S5_N6thrust23THRUST_200600_302600_NS6detail15normal_iteratorINS8_7pointerIfNS8_11hip_rocprim16par_det_nosync_tENS8_11use_defaultESE_EEEENSA_INSB_IlSD_SE_SE_EEEEZNS1_13binary_searchIS3_S5_NSA_INS8_10device_ptrIfEEEESG_SI_NS1_21lower_bound_search_opENS9_16wrapped_functionINS8_6system6detail7generic6detail18binary_search_lessEbEEEE10hipError_tPvRmT1_T2_T3_mmT4_T5_P12ihipStream_tbEUlRKfE_EESV_SZ_S10_mS11_S14_bEUlT_E_NS1_11comp_targetILNS1_3genE9ELNS1_11target_archE1100ELNS1_3gpuE3ELNS1_3repE0EEENS1_30default_config_static_selectorELNS0_4arch9wavefront6targetE1EEEvSY_
                                        ; -- End function
	.set _ZN7rocprim17ROCPRIM_400000_NS6detail17trampoline_kernelINS0_14default_configENS1_27lower_bound_config_selectorIflEEZNS1_14transform_implILb0ES3_S5_N6thrust23THRUST_200600_302600_NS6detail15normal_iteratorINS8_7pointerIfNS8_11hip_rocprim16par_det_nosync_tENS8_11use_defaultESE_EEEENSA_INSB_IlSD_SE_SE_EEEEZNS1_13binary_searchIS3_S5_NSA_INS8_10device_ptrIfEEEESG_SI_NS1_21lower_bound_search_opENS9_16wrapped_functionINS8_6system6detail7generic6detail18binary_search_lessEbEEEE10hipError_tPvRmT1_T2_T3_mmT4_T5_P12ihipStream_tbEUlRKfE_EESV_SZ_S10_mS11_S14_bEUlT_E_NS1_11comp_targetILNS1_3genE9ELNS1_11target_archE1100ELNS1_3gpuE3ELNS1_3repE0EEENS1_30default_config_static_selectorELNS0_4arch9wavefront6targetE1EEEvSY_.num_vgpr, 0
	.set _ZN7rocprim17ROCPRIM_400000_NS6detail17trampoline_kernelINS0_14default_configENS1_27lower_bound_config_selectorIflEEZNS1_14transform_implILb0ES3_S5_N6thrust23THRUST_200600_302600_NS6detail15normal_iteratorINS8_7pointerIfNS8_11hip_rocprim16par_det_nosync_tENS8_11use_defaultESE_EEEENSA_INSB_IlSD_SE_SE_EEEEZNS1_13binary_searchIS3_S5_NSA_INS8_10device_ptrIfEEEESG_SI_NS1_21lower_bound_search_opENS9_16wrapped_functionINS8_6system6detail7generic6detail18binary_search_lessEbEEEE10hipError_tPvRmT1_T2_T3_mmT4_T5_P12ihipStream_tbEUlRKfE_EESV_SZ_S10_mS11_S14_bEUlT_E_NS1_11comp_targetILNS1_3genE9ELNS1_11target_archE1100ELNS1_3gpuE3ELNS1_3repE0EEENS1_30default_config_static_selectorELNS0_4arch9wavefront6targetE1EEEvSY_.num_agpr, 0
	.set _ZN7rocprim17ROCPRIM_400000_NS6detail17trampoline_kernelINS0_14default_configENS1_27lower_bound_config_selectorIflEEZNS1_14transform_implILb0ES3_S5_N6thrust23THRUST_200600_302600_NS6detail15normal_iteratorINS8_7pointerIfNS8_11hip_rocprim16par_det_nosync_tENS8_11use_defaultESE_EEEENSA_INSB_IlSD_SE_SE_EEEEZNS1_13binary_searchIS3_S5_NSA_INS8_10device_ptrIfEEEESG_SI_NS1_21lower_bound_search_opENS9_16wrapped_functionINS8_6system6detail7generic6detail18binary_search_lessEbEEEE10hipError_tPvRmT1_T2_T3_mmT4_T5_P12ihipStream_tbEUlRKfE_EESV_SZ_S10_mS11_S14_bEUlT_E_NS1_11comp_targetILNS1_3genE9ELNS1_11target_archE1100ELNS1_3gpuE3ELNS1_3repE0EEENS1_30default_config_static_selectorELNS0_4arch9wavefront6targetE1EEEvSY_.numbered_sgpr, 0
	.set _ZN7rocprim17ROCPRIM_400000_NS6detail17trampoline_kernelINS0_14default_configENS1_27lower_bound_config_selectorIflEEZNS1_14transform_implILb0ES3_S5_N6thrust23THRUST_200600_302600_NS6detail15normal_iteratorINS8_7pointerIfNS8_11hip_rocprim16par_det_nosync_tENS8_11use_defaultESE_EEEENSA_INSB_IlSD_SE_SE_EEEEZNS1_13binary_searchIS3_S5_NSA_INS8_10device_ptrIfEEEESG_SI_NS1_21lower_bound_search_opENS9_16wrapped_functionINS8_6system6detail7generic6detail18binary_search_lessEbEEEE10hipError_tPvRmT1_T2_T3_mmT4_T5_P12ihipStream_tbEUlRKfE_EESV_SZ_S10_mS11_S14_bEUlT_E_NS1_11comp_targetILNS1_3genE9ELNS1_11target_archE1100ELNS1_3gpuE3ELNS1_3repE0EEENS1_30default_config_static_selectorELNS0_4arch9wavefront6targetE1EEEvSY_.num_named_barrier, 0
	.set _ZN7rocprim17ROCPRIM_400000_NS6detail17trampoline_kernelINS0_14default_configENS1_27lower_bound_config_selectorIflEEZNS1_14transform_implILb0ES3_S5_N6thrust23THRUST_200600_302600_NS6detail15normal_iteratorINS8_7pointerIfNS8_11hip_rocprim16par_det_nosync_tENS8_11use_defaultESE_EEEENSA_INSB_IlSD_SE_SE_EEEEZNS1_13binary_searchIS3_S5_NSA_INS8_10device_ptrIfEEEESG_SI_NS1_21lower_bound_search_opENS9_16wrapped_functionINS8_6system6detail7generic6detail18binary_search_lessEbEEEE10hipError_tPvRmT1_T2_T3_mmT4_T5_P12ihipStream_tbEUlRKfE_EESV_SZ_S10_mS11_S14_bEUlT_E_NS1_11comp_targetILNS1_3genE9ELNS1_11target_archE1100ELNS1_3gpuE3ELNS1_3repE0EEENS1_30default_config_static_selectorELNS0_4arch9wavefront6targetE1EEEvSY_.private_seg_size, 0
	.set _ZN7rocprim17ROCPRIM_400000_NS6detail17trampoline_kernelINS0_14default_configENS1_27lower_bound_config_selectorIflEEZNS1_14transform_implILb0ES3_S5_N6thrust23THRUST_200600_302600_NS6detail15normal_iteratorINS8_7pointerIfNS8_11hip_rocprim16par_det_nosync_tENS8_11use_defaultESE_EEEENSA_INSB_IlSD_SE_SE_EEEEZNS1_13binary_searchIS3_S5_NSA_INS8_10device_ptrIfEEEESG_SI_NS1_21lower_bound_search_opENS9_16wrapped_functionINS8_6system6detail7generic6detail18binary_search_lessEbEEEE10hipError_tPvRmT1_T2_T3_mmT4_T5_P12ihipStream_tbEUlRKfE_EESV_SZ_S10_mS11_S14_bEUlT_E_NS1_11comp_targetILNS1_3genE9ELNS1_11target_archE1100ELNS1_3gpuE3ELNS1_3repE0EEENS1_30default_config_static_selectorELNS0_4arch9wavefront6targetE1EEEvSY_.uses_vcc, 0
	.set _ZN7rocprim17ROCPRIM_400000_NS6detail17trampoline_kernelINS0_14default_configENS1_27lower_bound_config_selectorIflEEZNS1_14transform_implILb0ES3_S5_N6thrust23THRUST_200600_302600_NS6detail15normal_iteratorINS8_7pointerIfNS8_11hip_rocprim16par_det_nosync_tENS8_11use_defaultESE_EEEENSA_INSB_IlSD_SE_SE_EEEEZNS1_13binary_searchIS3_S5_NSA_INS8_10device_ptrIfEEEESG_SI_NS1_21lower_bound_search_opENS9_16wrapped_functionINS8_6system6detail7generic6detail18binary_search_lessEbEEEE10hipError_tPvRmT1_T2_T3_mmT4_T5_P12ihipStream_tbEUlRKfE_EESV_SZ_S10_mS11_S14_bEUlT_E_NS1_11comp_targetILNS1_3genE9ELNS1_11target_archE1100ELNS1_3gpuE3ELNS1_3repE0EEENS1_30default_config_static_selectorELNS0_4arch9wavefront6targetE1EEEvSY_.uses_flat_scratch, 0
	.set _ZN7rocprim17ROCPRIM_400000_NS6detail17trampoline_kernelINS0_14default_configENS1_27lower_bound_config_selectorIflEEZNS1_14transform_implILb0ES3_S5_N6thrust23THRUST_200600_302600_NS6detail15normal_iteratorINS8_7pointerIfNS8_11hip_rocprim16par_det_nosync_tENS8_11use_defaultESE_EEEENSA_INSB_IlSD_SE_SE_EEEEZNS1_13binary_searchIS3_S5_NSA_INS8_10device_ptrIfEEEESG_SI_NS1_21lower_bound_search_opENS9_16wrapped_functionINS8_6system6detail7generic6detail18binary_search_lessEbEEEE10hipError_tPvRmT1_T2_T3_mmT4_T5_P12ihipStream_tbEUlRKfE_EESV_SZ_S10_mS11_S14_bEUlT_E_NS1_11comp_targetILNS1_3genE9ELNS1_11target_archE1100ELNS1_3gpuE3ELNS1_3repE0EEENS1_30default_config_static_selectorELNS0_4arch9wavefront6targetE1EEEvSY_.has_dyn_sized_stack, 0
	.set _ZN7rocprim17ROCPRIM_400000_NS6detail17trampoline_kernelINS0_14default_configENS1_27lower_bound_config_selectorIflEEZNS1_14transform_implILb0ES3_S5_N6thrust23THRUST_200600_302600_NS6detail15normal_iteratorINS8_7pointerIfNS8_11hip_rocprim16par_det_nosync_tENS8_11use_defaultESE_EEEENSA_INSB_IlSD_SE_SE_EEEEZNS1_13binary_searchIS3_S5_NSA_INS8_10device_ptrIfEEEESG_SI_NS1_21lower_bound_search_opENS9_16wrapped_functionINS8_6system6detail7generic6detail18binary_search_lessEbEEEE10hipError_tPvRmT1_T2_T3_mmT4_T5_P12ihipStream_tbEUlRKfE_EESV_SZ_S10_mS11_S14_bEUlT_E_NS1_11comp_targetILNS1_3genE9ELNS1_11target_archE1100ELNS1_3gpuE3ELNS1_3repE0EEENS1_30default_config_static_selectorELNS0_4arch9wavefront6targetE1EEEvSY_.has_recursion, 0
	.set _ZN7rocprim17ROCPRIM_400000_NS6detail17trampoline_kernelINS0_14default_configENS1_27lower_bound_config_selectorIflEEZNS1_14transform_implILb0ES3_S5_N6thrust23THRUST_200600_302600_NS6detail15normal_iteratorINS8_7pointerIfNS8_11hip_rocprim16par_det_nosync_tENS8_11use_defaultESE_EEEENSA_INSB_IlSD_SE_SE_EEEEZNS1_13binary_searchIS3_S5_NSA_INS8_10device_ptrIfEEEESG_SI_NS1_21lower_bound_search_opENS9_16wrapped_functionINS8_6system6detail7generic6detail18binary_search_lessEbEEEE10hipError_tPvRmT1_T2_T3_mmT4_T5_P12ihipStream_tbEUlRKfE_EESV_SZ_S10_mS11_S14_bEUlT_E_NS1_11comp_targetILNS1_3genE9ELNS1_11target_archE1100ELNS1_3gpuE3ELNS1_3repE0EEENS1_30default_config_static_selectorELNS0_4arch9wavefront6targetE1EEEvSY_.has_indirect_call, 0
	.section	.AMDGPU.csdata,"",@progbits
; Kernel info:
; codeLenInByte = 0
; TotalNumSgprs: 4
; NumVgprs: 0
; ScratchSize: 0
; MemoryBound: 0
; FloatMode: 240
; IeeeMode: 1
; LDSByteSize: 0 bytes/workgroup (compile time only)
; SGPRBlocks: 0
; VGPRBlocks: 0
; NumSGPRsForWavesPerEU: 4
; NumVGPRsForWavesPerEU: 1
; Occupancy: 10
; WaveLimiterHint : 0
; COMPUTE_PGM_RSRC2:SCRATCH_EN: 0
; COMPUTE_PGM_RSRC2:USER_SGPR: 6
; COMPUTE_PGM_RSRC2:TRAP_HANDLER: 0
; COMPUTE_PGM_RSRC2:TGID_X_EN: 1
; COMPUTE_PGM_RSRC2:TGID_Y_EN: 0
; COMPUTE_PGM_RSRC2:TGID_Z_EN: 0
; COMPUTE_PGM_RSRC2:TIDIG_COMP_CNT: 0
	.section	.text._ZN7rocprim17ROCPRIM_400000_NS6detail17trampoline_kernelINS0_14default_configENS1_27lower_bound_config_selectorIflEEZNS1_14transform_implILb0ES3_S5_N6thrust23THRUST_200600_302600_NS6detail15normal_iteratorINS8_7pointerIfNS8_11hip_rocprim16par_det_nosync_tENS8_11use_defaultESE_EEEENSA_INSB_IlSD_SE_SE_EEEEZNS1_13binary_searchIS3_S5_NSA_INS8_10device_ptrIfEEEESG_SI_NS1_21lower_bound_search_opENS9_16wrapped_functionINS8_6system6detail7generic6detail18binary_search_lessEbEEEE10hipError_tPvRmT1_T2_T3_mmT4_T5_P12ihipStream_tbEUlRKfE_EESV_SZ_S10_mS11_S14_bEUlT_E_NS1_11comp_targetILNS1_3genE8ELNS1_11target_archE1030ELNS1_3gpuE2ELNS1_3repE0EEENS1_30default_config_static_selectorELNS0_4arch9wavefront6targetE1EEEvSY_,"axG",@progbits,_ZN7rocprim17ROCPRIM_400000_NS6detail17trampoline_kernelINS0_14default_configENS1_27lower_bound_config_selectorIflEEZNS1_14transform_implILb0ES3_S5_N6thrust23THRUST_200600_302600_NS6detail15normal_iteratorINS8_7pointerIfNS8_11hip_rocprim16par_det_nosync_tENS8_11use_defaultESE_EEEENSA_INSB_IlSD_SE_SE_EEEEZNS1_13binary_searchIS3_S5_NSA_INS8_10device_ptrIfEEEESG_SI_NS1_21lower_bound_search_opENS9_16wrapped_functionINS8_6system6detail7generic6detail18binary_search_lessEbEEEE10hipError_tPvRmT1_T2_T3_mmT4_T5_P12ihipStream_tbEUlRKfE_EESV_SZ_S10_mS11_S14_bEUlT_E_NS1_11comp_targetILNS1_3genE8ELNS1_11target_archE1030ELNS1_3gpuE2ELNS1_3repE0EEENS1_30default_config_static_selectorELNS0_4arch9wavefront6targetE1EEEvSY_,comdat
	.protected	_ZN7rocprim17ROCPRIM_400000_NS6detail17trampoline_kernelINS0_14default_configENS1_27lower_bound_config_selectorIflEEZNS1_14transform_implILb0ES3_S5_N6thrust23THRUST_200600_302600_NS6detail15normal_iteratorINS8_7pointerIfNS8_11hip_rocprim16par_det_nosync_tENS8_11use_defaultESE_EEEENSA_INSB_IlSD_SE_SE_EEEEZNS1_13binary_searchIS3_S5_NSA_INS8_10device_ptrIfEEEESG_SI_NS1_21lower_bound_search_opENS9_16wrapped_functionINS8_6system6detail7generic6detail18binary_search_lessEbEEEE10hipError_tPvRmT1_T2_T3_mmT4_T5_P12ihipStream_tbEUlRKfE_EESV_SZ_S10_mS11_S14_bEUlT_E_NS1_11comp_targetILNS1_3genE8ELNS1_11target_archE1030ELNS1_3gpuE2ELNS1_3repE0EEENS1_30default_config_static_selectorELNS0_4arch9wavefront6targetE1EEEvSY_ ; -- Begin function _ZN7rocprim17ROCPRIM_400000_NS6detail17trampoline_kernelINS0_14default_configENS1_27lower_bound_config_selectorIflEEZNS1_14transform_implILb0ES3_S5_N6thrust23THRUST_200600_302600_NS6detail15normal_iteratorINS8_7pointerIfNS8_11hip_rocprim16par_det_nosync_tENS8_11use_defaultESE_EEEENSA_INSB_IlSD_SE_SE_EEEEZNS1_13binary_searchIS3_S5_NSA_INS8_10device_ptrIfEEEESG_SI_NS1_21lower_bound_search_opENS9_16wrapped_functionINS8_6system6detail7generic6detail18binary_search_lessEbEEEE10hipError_tPvRmT1_T2_T3_mmT4_T5_P12ihipStream_tbEUlRKfE_EESV_SZ_S10_mS11_S14_bEUlT_E_NS1_11comp_targetILNS1_3genE8ELNS1_11target_archE1030ELNS1_3gpuE2ELNS1_3repE0EEENS1_30default_config_static_selectorELNS0_4arch9wavefront6targetE1EEEvSY_
	.globl	_ZN7rocprim17ROCPRIM_400000_NS6detail17trampoline_kernelINS0_14default_configENS1_27lower_bound_config_selectorIflEEZNS1_14transform_implILb0ES3_S5_N6thrust23THRUST_200600_302600_NS6detail15normal_iteratorINS8_7pointerIfNS8_11hip_rocprim16par_det_nosync_tENS8_11use_defaultESE_EEEENSA_INSB_IlSD_SE_SE_EEEEZNS1_13binary_searchIS3_S5_NSA_INS8_10device_ptrIfEEEESG_SI_NS1_21lower_bound_search_opENS9_16wrapped_functionINS8_6system6detail7generic6detail18binary_search_lessEbEEEE10hipError_tPvRmT1_T2_T3_mmT4_T5_P12ihipStream_tbEUlRKfE_EESV_SZ_S10_mS11_S14_bEUlT_E_NS1_11comp_targetILNS1_3genE8ELNS1_11target_archE1030ELNS1_3gpuE2ELNS1_3repE0EEENS1_30default_config_static_selectorELNS0_4arch9wavefront6targetE1EEEvSY_
	.p2align	8
	.type	_ZN7rocprim17ROCPRIM_400000_NS6detail17trampoline_kernelINS0_14default_configENS1_27lower_bound_config_selectorIflEEZNS1_14transform_implILb0ES3_S5_N6thrust23THRUST_200600_302600_NS6detail15normal_iteratorINS8_7pointerIfNS8_11hip_rocprim16par_det_nosync_tENS8_11use_defaultESE_EEEENSA_INSB_IlSD_SE_SE_EEEEZNS1_13binary_searchIS3_S5_NSA_INS8_10device_ptrIfEEEESG_SI_NS1_21lower_bound_search_opENS9_16wrapped_functionINS8_6system6detail7generic6detail18binary_search_lessEbEEEE10hipError_tPvRmT1_T2_T3_mmT4_T5_P12ihipStream_tbEUlRKfE_EESV_SZ_S10_mS11_S14_bEUlT_E_NS1_11comp_targetILNS1_3genE8ELNS1_11target_archE1030ELNS1_3gpuE2ELNS1_3repE0EEENS1_30default_config_static_selectorELNS0_4arch9wavefront6targetE1EEEvSY_,@function
_ZN7rocprim17ROCPRIM_400000_NS6detail17trampoline_kernelINS0_14default_configENS1_27lower_bound_config_selectorIflEEZNS1_14transform_implILb0ES3_S5_N6thrust23THRUST_200600_302600_NS6detail15normal_iteratorINS8_7pointerIfNS8_11hip_rocprim16par_det_nosync_tENS8_11use_defaultESE_EEEENSA_INSB_IlSD_SE_SE_EEEEZNS1_13binary_searchIS3_S5_NSA_INS8_10device_ptrIfEEEESG_SI_NS1_21lower_bound_search_opENS9_16wrapped_functionINS8_6system6detail7generic6detail18binary_search_lessEbEEEE10hipError_tPvRmT1_T2_T3_mmT4_T5_P12ihipStream_tbEUlRKfE_EESV_SZ_S10_mS11_S14_bEUlT_E_NS1_11comp_targetILNS1_3genE8ELNS1_11target_archE1030ELNS1_3gpuE2ELNS1_3repE0EEENS1_30default_config_static_selectorELNS0_4arch9wavefront6targetE1EEEvSY_: ; @_ZN7rocprim17ROCPRIM_400000_NS6detail17trampoline_kernelINS0_14default_configENS1_27lower_bound_config_selectorIflEEZNS1_14transform_implILb0ES3_S5_N6thrust23THRUST_200600_302600_NS6detail15normal_iteratorINS8_7pointerIfNS8_11hip_rocprim16par_det_nosync_tENS8_11use_defaultESE_EEEENSA_INSB_IlSD_SE_SE_EEEEZNS1_13binary_searchIS3_S5_NSA_INS8_10device_ptrIfEEEESG_SI_NS1_21lower_bound_search_opENS9_16wrapped_functionINS8_6system6detail7generic6detail18binary_search_lessEbEEEE10hipError_tPvRmT1_T2_T3_mmT4_T5_P12ihipStream_tbEUlRKfE_EESV_SZ_S10_mS11_S14_bEUlT_E_NS1_11comp_targetILNS1_3genE8ELNS1_11target_archE1030ELNS1_3gpuE2ELNS1_3repE0EEENS1_30default_config_static_selectorELNS0_4arch9wavefront6targetE1EEEvSY_
; %bb.0:
	.section	.rodata,"a",@progbits
	.p2align	6, 0x0
	.amdhsa_kernel _ZN7rocprim17ROCPRIM_400000_NS6detail17trampoline_kernelINS0_14default_configENS1_27lower_bound_config_selectorIflEEZNS1_14transform_implILb0ES3_S5_N6thrust23THRUST_200600_302600_NS6detail15normal_iteratorINS8_7pointerIfNS8_11hip_rocprim16par_det_nosync_tENS8_11use_defaultESE_EEEENSA_INSB_IlSD_SE_SE_EEEEZNS1_13binary_searchIS3_S5_NSA_INS8_10device_ptrIfEEEESG_SI_NS1_21lower_bound_search_opENS9_16wrapped_functionINS8_6system6detail7generic6detail18binary_search_lessEbEEEE10hipError_tPvRmT1_T2_T3_mmT4_T5_P12ihipStream_tbEUlRKfE_EESV_SZ_S10_mS11_S14_bEUlT_E_NS1_11comp_targetILNS1_3genE8ELNS1_11target_archE1030ELNS1_3gpuE2ELNS1_3repE0EEENS1_30default_config_static_selectorELNS0_4arch9wavefront6targetE1EEEvSY_
		.amdhsa_group_segment_fixed_size 0
		.amdhsa_private_segment_fixed_size 0
		.amdhsa_kernarg_size 56
		.amdhsa_user_sgpr_count 6
		.amdhsa_user_sgpr_private_segment_buffer 1
		.amdhsa_user_sgpr_dispatch_ptr 0
		.amdhsa_user_sgpr_queue_ptr 0
		.amdhsa_user_sgpr_kernarg_segment_ptr 1
		.amdhsa_user_sgpr_dispatch_id 0
		.amdhsa_user_sgpr_flat_scratch_init 0
		.amdhsa_user_sgpr_private_segment_size 0
		.amdhsa_uses_dynamic_stack 0
		.amdhsa_system_sgpr_private_segment_wavefront_offset 0
		.amdhsa_system_sgpr_workgroup_id_x 1
		.amdhsa_system_sgpr_workgroup_id_y 0
		.amdhsa_system_sgpr_workgroup_id_z 0
		.amdhsa_system_sgpr_workgroup_info 0
		.amdhsa_system_vgpr_workitem_id 0
		.amdhsa_next_free_vgpr 1
		.amdhsa_next_free_sgpr 0
		.amdhsa_reserve_vcc 0
		.amdhsa_reserve_flat_scratch 0
		.amdhsa_float_round_mode_32 0
		.amdhsa_float_round_mode_16_64 0
		.amdhsa_float_denorm_mode_32 3
		.amdhsa_float_denorm_mode_16_64 3
		.amdhsa_dx10_clamp 1
		.amdhsa_ieee_mode 1
		.amdhsa_fp16_overflow 0
		.amdhsa_exception_fp_ieee_invalid_op 0
		.amdhsa_exception_fp_denorm_src 0
		.amdhsa_exception_fp_ieee_div_zero 0
		.amdhsa_exception_fp_ieee_overflow 0
		.amdhsa_exception_fp_ieee_underflow 0
		.amdhsa_exception_fp_ieee_inexact 0
		.amdhsa_exception_int_div_zero 0
	.end_amdhsa_kernel
	.section	.text._ZN7rocprim17ROCPRIM_400000_NS6detail17trampoline_kernelINS0_14default_configENS1_27lower_bound_config_selectorIflEEZNS1_14transform_implILb0ES3_S5_N6thrust23THRUST_200600_302600_NS6detail15normal_iteratorINS8_7pointerIfNS8_11hip_rocprim16par_det_nosync_tENS8_11use_defaultESE_EEEENSA_INSB_IlSD_SE_SE_EEEEZNS1_13binary_searchIS3_S5_NSA_INS8_10device_ptrIfEEEESG_SI_NS1_21lower_bound_search_opENS9_16wrapped_functionINS8_6system6detail7generic6detail18binary_search_lessEbEEEE10hipError_tPvRmT1_T2_T3_mmT4_T5_P12ihipStream_tbEUlRKfE_EESV_SZ_S10_mS11_S14_bEUlT_E_NS1_11comp_targetILNS1_3genE8ELNS1_11target_archE1030ELNS1_3gpuE2ELNS1_3repE0EEENS1_30default_config_static_selectorELNS0_4arch9wavefront6targetE1EEEvSY_,"axG",@progbits,_ZN7rocprim17ROCPRIM_400000_NS6detail17trampoline_kernelINS0_14default_configENS1_27lower_bound_config_selectorIflEEZNS1_14transform_implILb0ES3_S5_N6thrust23THRUST_200600_302600_NS6detail15normal_iteratorINS8_7pointerIfNS8_11hip_rocprim16par_det_nosync_tENS8_11use_defaultESE_EEEENSA_INSB_IlSD_SE_SE_EEEEZNS1_13binary_searchIS3_S5_NSA_INS8_10device_ptrIfEEEESG_SI_NS1_21lower_bound_search_opENS9_16wrapped_functionINS8_6system6detail7generic6detail18binary_search_lessEbEEEE10hipError_tPvRmT1_T2_T3_mmT4_T5_P12ihipStream_tbEUlRKfE_EESV_SZ_S10_mS11_S14_bEUlT_E_NS1_11comp_targetILNS1_3genE8ELNS1_11target_archE1030ELNS1_3gpuE2ELNS1_3repE0EEENS1_30default_config_static_selectorELNS0_4arch9wavefront6targetE1EEEvSY_,comdat
.Lfunc_end339:
	.size	_ZN7rocprim17ROCPRIM_400000_NS6detail17trampoline_kernelINS0_14default_configENS1_27lower_bound_config_selectorIflEEZNS1_14transform_implILb0ES3_S5_N6thrust23THRUST_200600_302600_NS6detail15normal_iteratorINS8_7pointerIfNS8_11hip_rocprim16par_det_nosync_tENS8_11use_defaultESE_EEEENSA_INSB_IlSD_SE_SE_EEEEZNS1_13binary_searchIS3_S5_NSA_INS8_10device_ptrIfEEEESG_SI_NS1_21lower_bound_search_opENS9_16wrapped_functionINS8_6system6detail7generic6detail18binary_search_lessEbEEEE10hipError_tPvRmT1_T2_T3_mmT4_T5_P12ihipStream_tbEUlRKfE_EESV_SZ_S10_mS11_S14_bEUlT_E_NS1_11comp_targetILNS1_3genE8ELNS1_11target_archE1030ELNS1_3gpuE2ELNS1_3repE0EEENS1_30default_config_static_selectorELNS0_4arch9wavefront6targetE1EEEvSY_, .Lfunc_end339-_ZN7rocprim17ROCPRIM_400000_NS6detail17trampoline_kernelINS0_14default_configENS1_27lower_bound_config_selectorIflEEZNS1_14transform_implILb0ES3_S5_N6thrust23THRUST_200600_302600_NS6detail15normal_iteratorINS8_7pointerIfNS8_11hip_rocprim16par_det_nosync_tENS8_11use_defaultESE_EEEENSA_INSB_IlSD_SE_SE_EEEEZNS1_13binary_searchIS3_S5_NSA_INS8_10device_ptrIfEEEESG_SI_NS1_21lower_bound_search_opENS9_16wrapped_functionINS8_6system6detail7generic6detail18binary_search_lessEbEEEE10hipError_tPvRmT1_T2_T3_mmT4_T5_P12ihipStream_tbEUlRKfE_EESV_SZ_S10_mS11_S14_bEUlT_E_NS1_11comp_targetILNS1_3genE8ELNS1_11target_archE1030ELNS1_3gpuE2ELNS1_3repE0EEENS1_30default_config_static_selectorELNS0_4arch9wavefront6targetE1EEEvSY_
                                        ; -- End function
	.set _ZN7rocprim17ROCPRIM_400000_NS6detail17trampoline_kernelINS0_14default_configENS1_27lower_bound_config_selectorIflEEZNS1_14transform_implILb0ES3_S5_N6thrust23THRUST_200600_302600_NS6detail15normal_iteratorINS8_7pointerIfNS8_11hip_rocprim16par_det_nosync_tENS8_11use_defaultESE_EEEENSA_INSB_IlSD_SE_SE_EEEEZNS1_13binary_searchIS3_S5_NSA_INS8_10device_ptrIfEEEESG_SI_NS1_21lower_bound_search_opENS9_16wrapped_functionINS8_6system6detail7generic6detail18binary_search_lessEbEEEE10hipError_tPvRmT1_T2_T3_mmT4_T5_P12ihipStream_tbEUlRKfE_EESV_SZ_S10_mS11_S14_bEUlT_E_NS1_11comp_targetILNS1_3genE8ELNS1_11target_archE1030ELNS1_3gpuE2ELNS1_3repE0EEENS1_30default_config_static_selectorELNS0_4arch9wavefront6targetE1EEEvSY_.num_vgpr, 0
	.set _ZN7rocprim17ROCPRIM_400000_NS6detail17trampoline_kernelINS0_14default_configENS1_27lower_bound_config_selectorIflEEZNS1_14transform_implILb0ES3_S5_N6thrust23THRUST_200600_302600_NS6detail15normal_iteratorINS8_7pointerIfNS8_11hip_rocprim16par_det_nosync_tENS8_11use_defaultESE_EEEENSA_INSB_IlSD_SE_SE_EEEEZNS1_13binary_searchIS3_S5_NSA_INS8_10device_ptrIfEEEESG_SI_NS1_21lower_bound_search_opENS9_16wrapped_functionINS8_6system6detail7generic6detail18binary_search_lessEbEEEE10hipError_tPvRmT1_T2_T3_mmT4_T5_P12ihipStream_tbEUlRKfE_EESV_SZ_S10_mS11_S14_bEUlT_E_NS1_11comp_targetILNS1_3genE8ELNS1_11target_archE1030ELNS1_3gpuE2ELNS1_3repE0EEENS1_30default_config_static_selectorELNS0_4arch9wavefront6targetE1EEEvSY_.num_agpr, 0
	.set _ZN7rocprim17ROCPRIM_400000_NS6detail17trampoline_kernelINS0_14default_configENS1_27lower_bound_config_selectorIflEEZNS1_14transform_implILb0ES3_S5_N6thrust23THRUST_200600_302600_NS6detail15normal_iteratorINS8_7pointerIfNS8_11hip_rocprim16par_det_nosync_tENS8_11use_defaultESE_EEEENSA_INSB_IlSD_SE_SE_EEEEZNS1_13binary_searchIS3_S5_NSA_INS8_10device_ptrIfEEEESG_SI_NS1_21lower_bound_search_opENS9_16wrapped_functionINS8_6system6detail7generic6detail18binary_search_lessEbEEEE10hipError_tPvRmT1_T2_T3_mmT4_T5_P12ihipStream_tbEUlRKfE_EESV_SZ_S10_mS11_S14_bEUlT_E_NS1_11comp_targetILNS1_3genE8ELNS1_11target_archE1030ELNS1_3gpuE2ELNS1_3repE0EEENS1_30default_config_static_selectorELNS0_4arch9wavefront6targetE1EEEvSY_.numbered_sgpr, 0
	.set _ZN7rocprim17ROCPRIM_400000_NS6detail17trampoline_kernelINS0_14default_configENS1_27lower_bound_config_selectorIflEEZNS1_14transform_implILb0ES3_S5_N6thrust23THRUST_200600_302600_NS6detail15normal_iteratorINS8_7pointerIfNS8_11hip_rocprim16par_det_nosync_tENS8_11use_defaultESE_EEEENSA_INSB_IlSD_SE_SE_EEEEZNS1_13binary_searchIS3_S5_NSA_INS8_10device_ptrIfEEEESG_SI_NS1_21lower_bound_search_opENS9_16wrapped_functionINS8_6system6detail7generic6detail18binary_search_lessEbEEEE10hipError_tPvRmT1_T2_T3_mmT4_T5_P12ihipStream_tbEUlRKfE_EESV_SZ_S10_mS11_S14_bEUlT_E_NS1_11comp_targetILNS1_3genE8ELNS1_11target_archE1030ELNS1_3gpuE2ELNS1_3repE0EEENS1_30default_config_static_selectorELNS0_4arch9wavefront6targetE1EEEvSY_.num_named_barrier, 0
	.set _ZN7rocprim17ROCPRIM_400000_NS6detail17trampoline_kernelINS0_14default_configENS1_27lower_bound_config_selectorIflEEZNS1_14transform_implILb0ES3_S5_N6thrust23THRUST_200600_302600_NS6detail15normal_iteratorINS8_7pointerIfNS8_11hip_rocprim16par_det_nosync_tENS8_11use_defaultESE_EEEENSA_INSB_IlSD_SE_SE_EEEEZNS1_13binary_searchIS3_S5_NSA_INS8_10device_ptrIfEEEESG_SI_NS1_21lower_bound_search_opENS9_16wrapped_functionINS8_6system6detail7generic6detail18binary_search_lessEbEEEE10hipError_tPvRmT1_T2_T3_mmT4_T5_P12ihipStream_tbEUlRKfE_EESV_SZ_S10_mS11_S14_bEUlT_E_NS1_11comp_targetILNS1_3genE8ELNS1_11target_archE1030ELNS1_3gpuE2ELNS1_3repE0EEENS1_30default_config_static_selectorELNS0_4arch9wavefront6targetE1EEEvSY_.private_seg_size, 0
	.set _ZN7rocprim17ROCPRIM_400000_NS6detail17trampoline_kernelINS0_14default_configENS1_27lower_bound_config_selectorIflEEZNS1_14transform_implILb0ES3_S5_N6thrust23THRUST_200600_302600_NS6detail15normal_iteratorINS8_7pointerIfNS8_11hip_rocprim16par_det_nosync_tENS8_11use_defaultESE_EEEENSA_INSB_IlSD_SE_SE_EEEEZNS1_13binary_searchIS3_S5_NSA_INS8_10device_ptrIfEEEESG_SI_NS1_21lower_bound_search_opENS9_16wrapped_functionINS8_6system6detail7generic6detail18binary_search_lessEbEEEE10hipError_tPvRmT1_T2_T3_mmT4_T5_P12ihipStream_tbEUlRKfE_EESV_SZ_S10_mS11_S14_bEUlT_E_NS1_11comp_targetILNS1_3genE8ELNS1_11target_archE1030ELNS1_3gpuE2ELNS1_3repE0EEENS1_30default_config_static_selectorELNS0_4arch9wavefront6targetE1EEEvSY_.uses_vcc, 0
	.set _ZN7rocprim17ROCPRIM_400000_NS6detail17trampoline_kernelINS0_14default_configENS1_27lower_bound_config_selectorIflEEZNS1_14transform_implILb0ES3_S5_N6thrust23THRUST_200600_302600_NS6detail15normal_iteratorINS8_7pointerIfNS8_11hip_rocprim16par_det_nosync_tENS8_11use_defaultESE_EEEENSA_INSB_IlSD_SE_SE_EEEEZNS1_13binary_searchIS3_S5_NSA_INS8_10device_ptrIfEEEESG_SI_NS1_21lower_bound_search_opENS9_16wrapped_functionINS8_6system6detail7generic6detail18binary_search_lessEbEEEE10hipError_tPvRmT1_T2_T3_mmT4_T5_P12ihipStream_tbEUlRKfE_EESV_SZ_S10_mS11_S14_bEUlT_E_NS1_11comp_targetILNS1_3genE8ELNS1_11target_archE1030ELNS1_3gpuE2ELNS1_3repE0EEENS1_30default_config_static_selectorELNS0_4arch9wavefront6targetE1EEEvSY_.uses_flat_scratch, 0
	.set _ZN7rocprim17ROCPRIM_400000_NS6detail17trampoline_kernelINS0_14default_configENS1_27lower_bound_config_selectorIflEEZNS1_14transform_implILb0ES3_S5_N6thrust23THRUST_200600_302600_NS6detail15normal_iteratorINS8_7pointerIfNS8_11hip_rocprim16par_det_nosync_tENS8_11use_defaultESE_EEEENSA_INSB_IlSD_SE_SE_EEEEZNS1_13binary_searchIS3_S5_NSA_INS8_10device_ptrIfEEEESG_SI_NS1_21lower_bound_search_opENS9_16wrapped_functionINS8_6system6detail7generic6detail18binary_search_lessEbEEEE10hipError_tPvRmT1_T2_T3_mmT4_T5_P12ihipStream_tbEUlRKfE_EESV_SZ_S10_mS11_S14_bEUlT_E_NS1_11comp_targetILNS1_3genE8ELNS1_11target_archE1030ELNS1_3gpuE2ELNS1_3repE0EEENS1_30default_config_static_selectorELNS0_4arch9wavefront6targetE1EEEvSY_.has_dyn_sized_stack, 0
	.set _ZN7rocprim17ROCPRIM_400000_NS6detail17trampoline_kernelINS0_14default_configENS1_27lower_bound_config_selectorIflEEZNS1_14transform_implILb0ES3_S5_N6thrust23THRUST_200600_302600_NS6detail15normal_iteratorINS8_7pointerIfNS8_11hip_rocprim16par_det_nosync_tENS8_11use_defaultESE_EEEENSA_INSB_IlSD_SE_SE_EEEEZNS1_13binary_searchIS3_S5_NSA_INS8_10device_ptrIfEEEESG_SI_NS1_21lower_bound_search_opENS9_16wrapped_functionINS8_6system6detail7generic6detail18binary_search_lessEbEEEE10hipError_tPvRmT1_T2_T3_mmT4_T5_P12ihipStream_tbEUlRKfE_EESV_SZ_S10_mS11_S14_bEUlT_E_NS1_11comp_targetILNS1_3genE8ELNS1_11target_archE1030ELNS1_3gpuE2ELNS1_3repE0EEENS1_30default_config_static_selectorELNS0_4arch9wavefront6targetE1EEEvSY_.has_recursion, 0
	.set _ZN7rocprim17ROCPRIM_400000_NS6detail17trampoline_kernelINS0_14default_configENS1_27lower_bound_config_selectorIflEEZNS1_14transform_implILb0ES3_S5_N6thrust23THRUST_200600_302600_NS6detail15normal_iteratorINS8_7pointerIfNS8_11hip_rocprim16par_det_nosync_tENS8_11use_defaultESE_EEEENSA_INSB_IlSD_SE_SE_EEEEZNS1_13binary_searchIS3_S5_NSA_INS8_10device_ptrIfEEEESG_SI_NS1_21lower_bound_search_opENS9_16wrapped_functionINS8_6system6detail7generic6detail18binary_search_lessEbEEEE10hipError_tPvRmT1_T2_T3_mmT4_T5_P12ihipStream_tbEUlRKfE_EESV_SZ_S10_mS11_S14_bEUlT_E_NS1_11comp_targetILNS1_3genE8ELNS1_11target_archE1030ELNS1_3gpuE2ELNS1_3repE0EEENS1_30default_config_static_selectorELNS0_4arch9wavefront6targetE1EEEvSY_.has_indirect_call, 0
	.section	.AMDGPU.csdata,"",@progbits
; Kernel info:
; codeLenInByte = 0
; TotalNumSgprs: 4
; NumVgprs: 0
; ScratchSize: 0
; MemoryBound: 0
; FloatMode: 240
; IeeeMode: 1
; LDSByteSize: 0 bytes/workgroup (compile time only)
; SGPRBlocks: 0
; VGPRBlocks: 0
; NumSGPRsForWavesPerEU: 4
; NumVGPRsForWavesPerEU: 1
; Occupancy: 10
; WaveLimiterHint : 0
; COMPUTE_PGM_RSRC2:SCRATCH_EN: 0
; COMPUTE_PGM_RSRC2:USER_SGPR: 6
; COMPUTE_PGM_RSRC2:TRAP_HANDLER: 0
; COMPUTE_PGM_RSRC2:TGID_X_EN: 1
; COMPUTE_PGM_RSRC2:TGID_Y_EN: 0
; COMPUTE_PGM_RSRC2:TGID_Z_EN: 0
; COMPUTE_PGM_RSRC2:TIDIG_COMP_CNT: 0
	.section	.text._ZN7rocprim17ROCPRIM_400000_NS6detail17trampoline_kernelINS0_14default_configENS1_27lower_bound_config_selectorIflEEZNS1_14transform_implILb0ES3_S5_N6thrust23THRUST_200600_302600_NS6detail15normal_iteratorINS8_7pointerIfNS8_11hip_rocprim9par_det_tENS8_11use_defaultESE_EEEENSA_INSB_IlSD_SE_SE_EEEEZNS1_13binary_searchIS3_S5_NSA_INS8_10device_ptrIfEEEESG_SI_NS1_21lower_bound_search_opENS9_16wrapped_functionINS8_6system6detail7generic6detail18binary_search_lessEbEEEE10hipError_tPvRmT1_T2_T3_mmT4_T5_P12ihipStream_tbEUlRKfE_EESV_SZ_S10_mS11_S14_bEUlT_E_NS1_11comp_targetILNS1_3genE0ELNS1_11target_archE4294967295ELNS1_3gpuE0ELNS1_3repE0EEENS1_30default_config_static_selectorELNS0_4arch9wavefront6targetE1EEEvSY_,"axG",@progbits,_ZN7rocprim17ROCPRIM_400000_NS6detail17trampoline_kernelINS0_14default_configENS1_27lower_bound_config_selectorIflEEZNS1_14transform_implILb0ES3_S5_N6thrust23THRUST_200600_302600_NS6detail15normal_iteratorINS8_7pointerIfNS8_11hip_rocprim9par_det_tENS8_11use_defaultESE_EEEENSA_INSB_IlSD_SE_SE_EEEEZNS1_13binary_searchIS3_S5_NSA_INS8_10device_ptrIfEEEESG_SI_NS1_21lower_bound_search_opENS9_16wrapped_functionINS8_6system6detail7generic6detail18binary_search_lessEbEEEE10hipError_tPvRmT1_T2_T3_mmT4_T5_P12ihipStream_tbEUlRKfE_EESV_SZ_S10_mS11_S14_bEUlT_E_NS1_11comp_targetILNS1_3genE0ELNS1_11target_archE4294967295ELNS1_3gpuE0ELNS1_3repE0EEENS1_30default_config_static_selectorELNS0_4arch9wavefront6targetE1EEEvSY_,comdat
	.protected	_ZN7rocprim17ROCPRIM_400000_NS6detail17trampoline_kernelINS0_14default_configENS1_27lower_bound_config_selectorIflEEZNS1_14transform_implILb0ES3_S5_N6thrust23THRUST_200600_302600_NS6detail15normal_iteratorINS8_7pointerIfNS8_11hip_rocprim9par_det_tENS8_11use_defaultESE_EEEENSA_INSB_IlSD_SE_SE_EEEEZNS1_13binary_searchIS3_S5_NSA_INS8_10device_ptrIfEEEESG_SI_NS1_21lower_bound_search_opENS9_16wrapped_functionINS8_6system6detail7generic6detail18binary_search_lessEbEEEE10hipError_tPvRmT1_T2_T3_mmT4_T5_P12ihipStream_tbEUlRKfE_EESV_SZ_S10_mS11_S14_bEUlT_E_NS1_11comp_targetILNS1_3genE0ELNS1_11target_archE4294967295ELNS1_3gpuE0ELNS1_3repE0EEENS1_30default_config_static_selectorELNS0_4arch9wavefront6targetE1EEEvSY_ ; -- Begin function _ZN7rocprim17ROCPRIM_400000_NS6detail17trampoline_kernelINS0_14default_configENS1_27lower_bound_config_selectorIflEEZNS1_14transform_implILb0ES3_S5_N6thrust23THRUST_200600_302600_NS6detail15normal_iteratorINS8_7pointerIfNS8_11hip_rocprim9par_det_tENS8_11use_defaultESE_EEEENSA_INSB_IlSD_SE_SE_EEEEZNS1_13binary_searchIS3_S5_NSA_INS8_10device_ptrIfEEEESG_SI_NS1_21lower_bound_search_opENS9_16wrapped_functionINS8_6system6detail7generic6detail18binary_search_lessEbEEEE10hipError_tPvRmT1_T2_T3_mmT4_T5_P12ihipStream_tbEUlRKfE_EESV_SZ_S10_mS11_S14_bEUlT_E_NS1_11comp_targetILNS1_3genE0ELNS1_11target_archE4294967295ELNS1_3gpuE0ELNS1_3repE0EEENS1_30default_config_static_selectorELNS0_4arch9wavefront6targetE1EEEvSY_
	.globl	_ZN7rocprim17ROCPRIM_400000_NS6detail17trampoline_kernelINS0_14default_configENS1_27lower_bound_config_selectorIflEEZNS1_14transform_implILb0ES3_S5_N6thrust23THRUST_200600_302600_NS6detail15normal_iteratorINS8_7pointerIfNS8_11hip_rocprim9par_det_tENS8_11use_defaultESE_EEEENSA_INSB_IlSD_SE_SE_EEEEZNS1_13binary_searchIS3_S5_NSA_INS8_10device_ptrIfEEEESG_SI_NS1_21lower_bound_search_opENS9_16wrapped_functionINS8_6system6detail7generic6detail18binary_search_lessEbEEEE10hipError_tPvRmT1_T2_T3_mmT4_T5_P12ihipStream_tbEUlRKfE_EESV_SZ_S10_mS11_S14_bEUlT_E_NS1_11comp_targetILNS1_3genE0ELNS1_11target_archE4294967295ELNS1_3gpuE0ELNS1_3repE0EEENS1_30default_config_static_selectorELNS0_4arch9wavefront6targetE1EEEvSY_
	.p2align	8
	.type	_ZN7rocprim17ROCPRIM_400000_NS6detail17trampoline_kernelINS0_14default_configENS1_27lower_bound_config_selectorIflEEZNS1_14transform_implILb0ES3_S5_N6thrust23THRUST_200600_302600_NS6detail15normal_iteratorINS8_7pointerIfNS8_11hip_rocprim9par_det_tENS8_11use_defaultESE_EEEENSA_INSB_IlSD_SE_SE_EEEEZNS1_13binary_searchIS3_S5_NSA_INS8_10device_ptrIfEEEESG_SI_NS1_21lower_bound_search_opENS9_16wrapped_functionINS8_6system6detail7generic6detail18binary_search_lessEbEEEE10hipError_tPvRmT1_T2_T3_mmT4_T5_P12ihipStream_tbEUlRKfE_EESV_SZ_S10_mS11_S14_bEUlT_E_NS1_11comp_targetILNS1_3genE0ELNS1_11target_archE4294967295ELNS1_3gpuE0ELNS1_3repE0EEENS1_30default_config_static_selectorELNS0_4arch9wavefront6targetE1EEEvSY_,@function
_ZN7rocprim17ROCPRIM_400000_NS6detail17trampoline_kernelINS0_14default_configENS1_27lower_bound_config_selectorIflEEZNS1_14transform_implILb0ES3_S5_N6thrust23THRUST_200600_302600_NS6detail15normal_iteratorINS8_7pointerIfNS8_11hip_rocprim9par_det_tENS8_11use_defaultESE_EEEENSA_INSB_IlSD_SE_SE_EEEEZNS1_13binary_searchIS3_S5_NSA_INS8_10device_ptrIfEEEESG_SI_NS1_21lower_bound_search_opENS9_16wrapped_functionINS8_6system6detail7generic6detail18binary_search_lessEbEEEE10hipError_tPvRmT1_T2_T3_mmT4_T5_P12ihipStream_tbEUlRKfE_EESV_SZ_S10_mS11_S14_bEUlT_E_NS1_11comp_targetILNS1_3genE0ELNS1_11target_archE4294967295ELNS1_3gpuE0ELNS1_3repE0EEENS1_30default_config_static_selectorELNS0_4arch9wavefront6targetE1EEEvSY_: ; @_ZN7rocprim17ROCPRIM_400000_NS6detail17trampoline_kernelINS0_14default_configENS1_27lower_bound_config_selectorIflEEZNS1_14transform_implILb0ES3_S5_N6thrust23THRUST_200600_302600_NS6detail15normal_iteratorINS8_7pointerIfNS8_11hip_rocprim9par_det_tENS8_11use_defaultESE_EEEENSA_INSB_IlSD_SE_SE_EEEEZNS1_13binary_searchIS3_S5_NSA_INS8_10device_ptrIfEEEESG_SI_NS1_21lower_bound_search_opENS9_16wrapped_functionINS8_6system6detail7generic6detail18binary_search_lessEbEEEE10hipError_tPvRmT1_T2_T3_mmT4_T5_P12ihipStream_tbEUlRKfE_EESV_SZ_S10_mS11_S14_bEUlT_E_NS1_11comp_targetILNS1_3genE0ELNS1_11target_archE4294967295ELNS1_3gpuE0ELNS1_3repE0EEENS1_30default_config_static_selectorELNS0_4arch9wavefront6targetE1EEEvSY_
; %bb.0:
	.section	.rodata,"a",@progbits
	.p2align	6, 0x0
	.amdhsa_kernel _ZN7rocprim17ROCPRIM_400000_NS6detail17trampoline_kernelINS0_14default_configENS1_27lower_bound_config_selectorIflEEZNS1_14transform_implILb0ES3_S5_N6thrust23THRUST_200600_302600_NS6detail15normal_iteratorINS8_7pointerIfNS8_11hip_rocprim9par_det_tENS8_11use_defaultESE_EEEENSA_INSB_IlSD_SE_SE_EEEEZNS1_13binary_searchIS3_S5_NSA_INS8_10device_ptrIfEEEESG_SI_NS1_21lower_bound_search_opENS9_16wrapped_functionINS8_6system6detail7generic6detail18binary_search_lessEbEEEE10hipError_tPvRmT1_T2_T3_mmT4_T5_P12ihipStream_tbEUlRKfE_EESV_SZ_S10_mS11_S14_bEUlT_E_NS1_11comp_targetILNS1_3genE0ELNS1_11target_archE4294967295ELNS1_3gpuE0ELNS1_3repE0EEENS1_30default_config_static_selectorELNS0_4arch9wavefront6targetE1EEEvSY_
		.amdhsa_group_segment_fixed_size 0
		.amdhsa_private_segment_fixed_size 0
		.amdhsa_kernarg_size 56
		.amdhsa_user_sgpr_count 6
		.amdhsa_user_sgpr_private_segment_buffer 1
		.amdhsa_user_sgpr_dispatch_ptr 0
		.amdhsa_user_sgpr_queue_ptr 0
		.amdhsa_user_sgpr_kernarg_segment_ptr 1
		.amdhsa_user_sgpr_dispatch_id 0
		.amdhsa_user_sgpr_flat_scratch_init 0
		.amdhsa_user_sgpr_private_segment_size 0
		.amdhsa_uses_dynamic_stack 0
		.amdhsa_system_sgpr_private_segment_wavefront_offset 0
		.amdhsa_system_sgpr_workgroup_id_x 1
		.amdhsa_system_sgpr_workgroup_id_y 0
		.amdhsa_system_sgpr_workgroup_id_z 0
		.amdhsa_system_sgpr_workgroup_info 0
		.amdhsa_system_vgpr_workitem_id 0
		.amdhsa_next_free_vgpr 1
		.amdhsa_next_free_sgpr 0
		.amdhsa_reserve_vcc 0
		.amdhsa_reserve_flat_scratch 0
		.amdhsa_float_round_mode_32 0
		.amdhsa_float_round_mode_16_64 0
		.amdhsa_float_denorm_mode_32 3
		.amdhsa_float_denorm_mode_16_64 3
		.amdhsa_dx10_clamp 1
		.amdhsa_ieee_mode 1
		.amdhsa_fp16_overflow 0
		.amdhsa_exception_fp_ieee_invalid_op 0
		.amdhsa_exception_fp_denorm_src 0
		.amdhsa_exception_fp_ieee_div_zero 0
		.amdhsa_exception_fp_ieee_overflow 0
		.amdhsa_exception_fp_ieee_underflow 0
		.amdhsa_exception_fp_ieee_inexact 0
		.amdhsa_exception_int_div_zero 0
	.end_amdhsa_kernel
	.section	.text._ZN7rocprim17ROCPRIM_400000_NS6detail17trampoline_kernelINS0_14default_configENS1_27lower_bound_config_selectorIflEEZNS1_14transform_implILb0ES3_S5_N6thrust23THRUST_200600_302600_NS6detail15normal_iteratorINS8_7pointerIfNS8_11hip_rocprim9par_det_tENS8_11use_defaultESE_EEEENSA_INSB_IlSD_SE_SE_EEEEZNS1_13binary_searchIS3_S5_NSA_INS8_10device_ptrIfEEEESG_SI_NS1_21lower_bound_search_opENS9_16wrapped_functionINS8_6system6detail7generic6detail18binary_search_lessEbEEEE10hipError_tPvRmT1_T2_T3_mmT4_T5_P12ihipStream_tbEUlRKfE_EESV_SZ_S10_mS11_S14_bEUlT_E_NS1_11comp_targetILNS1_3genE0ELNS1_11target_archE4294967295ELNS1_3gpuE0ELNS1_3repE0EEENS1_30default_config_static_selectorELNS0_4arch9wavefront6targetE1EEEvSY_,"axG",@progbits,_ZN7rocprim17ROCPRIM_400000_NS6detail17trampoline_kernelINS0_14default_configENS1_27lower_bound_config_selectorIflEEZNS1_14transform_implILb0ES3_S5_N6thrust23THRUST_200600_302600_NS6detail15normal_iteratorINS8_7pointerIfNS8_11hip_rocprim9par_det_tENS8_11use_defaultESE_EEEENSA_INSB_IlSD_SE_SE_EEEEZNS1_13binary_searchIS3_S5_NSA_INS8_10device_ptrIfEEEESG_SI_NS1_21lower_bound_search_opENS9_16wrapped_functionINS8_6system6detail7generic6detail18binary_search_lessEbEEEE10hipError_tPvRmT1_T2_T3_mmT4_T5_P12ihipStream_tbEUlRKfE_EESV_SZ_S10_mS11_S14_bEUlT_E_NS1_11comp_targetILNS1_3genE0ELNS1_11target_archE4294967295ELNS1_3gpuE0ELNS1_3repE0EEENS1_30default_config_static_selectorELNS0_4arch9wavefront6targetE1EEEvSY_,comdat
.Lfunc_end340:
	.size	_ZN7rocprim17ROCPRIM_400000_NS6detail17trampoline_kernelINS0_14default_configENS1_27lower_bound_config_selectorIflEEZNS1_14transform_implILb0ES3_S5_N6thrust23THRUST_200600_302600_NS6detail15normal_iteratorINS8_7pointerIfNS8_11hip_rocprim9par_det_tENS8_11use_defaultESE_EEEENSA_INSB_IlSD_SE_SE_EEEEZNS1_13binary_searchIS3_S5_NSA_INS8_10device_ptrIfEEEESG_SI_NS1_21lower_bound_search_opENS9_16wrapped_functionINS8_6system6detail7generic6detail18binary_search_lessEbEEEE10hipError_tPvRmT1_T2_T3_mmT4_T5_P12ihipStream_tbEUlRKfE_EESV_SZ_S10_mS11_S14_bEUlT_E_NS1_11comp_targetILNS1_3genE0ELNS1_11target_archE4294967295ELNS1_3gpuE0ELNS1_3repE0EEENS1_30default_config_static_selectorELNS0_4arch9wavefront6targetE1EEEvSY_, .Lfunc_end340-_ZN7rocprim17ROCPRIM_400000_NS6detail17trampoline_kernelINS0_14default_configENS1_27lower_bound_config_selectorIflEEZNS1_14transform_implILb0ES3_S5_N6thrust23THRUST_200600_302600_NS6detail15normal_iteratorINS8_7pointerIfNS8_11hip_rocprim9par_det_tENS8_11use_defaultESE_EEEENSA_INSB_IlSD_SE_SE_EEEEZNS1_13binary_searchIS3_S5_NSA_INS8_10device_ptrIfEEEESG_SI_NS1_21lower_bound_search_opENS9_16wrapped_functionINS8_6system6detail7generic6detail18binary_search_lessEbEEEE10hipError_tPvRmT1_T2_T3_mmT4_T5_P12ihipStream_tbEUlRKfE_EESV_SZ_S10_mS11_S14_bEUlT_E_NS1_11comp_targetILNS1_3genE0ELNS1_11target_archE4294967295ELNS1_3gpuE0ELNS1_3repE0EEENS1_30default_config_static_selectorELNS0_4arch9wavefront6targetE1EEEvSY_
                                        ; -- End function
	.set _ZN7rocprim17ROCPRIM_400000_NS6detail17trampoline_kernelINS0_14default_configENS1_27lower_bound_config_selectorIflEEZNS1_14transform_implILb0ES3_S5_N6thrust23THRUST_200600_302600_NS6detail15normal_iteratorINS8_7pointerIfNS8_11hip_rocprim9par_det_tENS8_11use_defaultESE_EEEENSA_INSB_IlSD_SE_SE_EEEEZNS1_13binary_searchIS3_S5_NSA_INS8_10device_ptrIfEEEESG_SI_NS1_21lower_bound_search_opENS9_16wrapped_functionINS8_6system6detail7generic6detail18binary_search_lessEbEEEE10hipError_tPvRmT1_T2_T3_mmT4_T5_P12ihipStream_tbEUlRKfE_EESV_SZ_S10_mS11_S14_bEUlT_E_NS1_11comp_targetILNS1_3genE0ELNS1_11target_archE4294967295ELNS1_3gpuE0ELNS1_3repE0EEENS1_30default_config_static_selectorELNS0_4arch9wavefront6targetE1EEEvSY_.num_vgpr, 0
	.set _ZN7rocprim17ROCPRIM_400000_NS6detail17trampoline_kernelINS0_14default_configENS1_27lower_bound_config_selectorIflEEZNS1_14transform_implILb0ES3_S5_N6thrust23THRUST_200600_302600_NS6detail15normal_iteratorINS8_7pointerIfNS8_11hip_rocprim9par_det_tENS8_11use_defaultESE_EEEENSA_INSB_IlSD_SE_SE_EEEEZNS1_13binary_searchIS3_S5_NSA_INS8_10device_ptrIfEEEESG_SI_NS1_21lower_bound_search_opENS9_16wrapped_functionINS8_6system6detail7generic6detail18binary_search_lessEbEEEE10hipError_tPvRmT1_T2_T3_mmT4_T5_P12ihipStream_tbEUlRKfE_EESV_SZ_S10_mS11_S14_bEUlT_E_NS1_11comp_targetILNS1_3genE0ELNS1_11target_archE4294967295ELNS1_3gpuE0ELNS1_3repE0EEENS1_30default_config_static_selectorELNS0_4arch9wavefront6targetE1EEEvSY_.num_agpr, 0
	.set _ZN7rocprim17ROCPRIM_400000_NS6detail17trampoline_kernelINS0_14default_configENS1_27lower_bound_config_selectorIflEEZNS1_14transform_implILb0ES3_S5_N6thrust23THRUST_200600_302600_NS6detail15normal_iteratorINS8_7pointerIfNS8_11hip_rocprim9par_det_tENS8_11use_defaultESE_EEEENSA_INSB_IlSD_SE_SE_EEEEZNS1_13binary_searchIS3_S5_NSA_INS8_10device_ptrIfEEEESG_SI_NS1_21lower_bound_search_opENS9_16wrapped_functionINS8_6system6detail7generic6detail18binary_search_lessEbEEEE10hipError_tPvRmT1_T2_T3_mmT4_T5_P12ihipStream_tbEUlRKfE_EESV_SZ_S10_mS11_S14_bEUlT_E_NS1_11comp_targetILNS1_3genE0ELNS1_11target_archE4294967295ELNS1_3gpuE0ELNS1_3repE0EEENS1_30default_config_static_selectorELNS0_4arch9wavefront6targetE1EEEvSY_.numbered_sgpr, 0
	.set _ZN7rocprim17ROCPRIM_400000_NS6detail17trampoline_kernelINS0_14default_configENS1_27lower_bound_config_selectorIflEEZNS1_14transform_implILb0ES3_S5_N6thrust23THRUST_200600_302600_NS6detail15normal_iteratorINS8_7pointerIfNS8_11hip_rocprim9par_det_tENS8_11use_defaultESE_EEEENSA_INSB_IlSD_SE_SE_EEEEZNS1_13binary_searchIS3_S5_NSA_INS8_10device_ptrIfEEEESG_SI_NS1_21lower_bound_search_opENS9_16wrapped_functionINS8_6system6detail7generic6detail18binary_search_lessEbEEEE10hipError_tPvRmT1_T2_T3_mmT4_T5_P12ihipStream_tbEUlRKfE_EESV_SZ_S10_mS11_S14_bEUlT_E_NS1_11comp_targetILNS1_3genE0ELNS1_11target_archE4294967295ELNS1_3gpuE0ELNS1_3repE0EEENS1_30default_config_static_selectorELNS0_4arch9wavefront6targetE1EEEvSY_.num_named_barrier, 0
	.set _ZN7rocprim17ROCPRIM_400000_NS6detail17trampoline_kernelINS0_14default_configENS1_27lower_bound_config_selectorIflEEZNS1_14transform_implILb0ES3_S5_N6thrust23THRUST_200600_302600_NS6detail15normal_iteratorINS8_7pointerIfNS8_11hip_rocprim9par_det_tENS8_11use_defaultESE_EEEENSA_INSB_IlSD_SE_SE_EEEEZNS1_13binary_searchIS3_S5_NSA_INS8_10device_ptrIfEEEESG_SI_NS1_21lower_bound_search_opENS9_16wrapped_functionINS8_6system6detail7generic6detail18binary_search_lessEbEEEE10hipError_tPvRmT1_T2_T3_mmT4_T5_P12ihipStream_tbEUlRKfE_EESV_SZ_S10_mS11_S14_bEUlT_E_NS1_11comp_targetILNS1_3genE0ELNS1_11target_archE4294967295ELNS1_3gpuE0ELNS1_3repE0EEENS1_30default_config_static_selectorELNS0_4arch9wavefront6targetE1EEEvSY_.private_seg_size, 0
	.set _ZN7rocprim17ROCPRIM_400000_NS6detail17trampoline_kernelINS0_14default_configENS1_27lower_bound_config_selectorIflEEZNS1_14transform_implILb0ES3_S5_N6thrust23THRUST_200600_302600_NS6detail15normal_iteratorINS8_7pointerIfNS8_11hip_rocprim9par_det_tENS8_11use_defaultESE_EEEENSA_INSB_IlSD_SE_SE_EEEEZNS1_13binary_searchIS3_S5_NSA_INS8_10device_ptrIfEEEESG_SI_NS1_21lower_bound_search_opENS9_16wrapped_functionINS8_6system6detail7generic6detail18binary_search_lessEbEEEE10hipError_tPvRmT1_T2_T3_mmT4_T5_P12ihipStream_tbEUlRKfE_EESV_SZ_S10_mS11_S14_bEUlT_E_NS1_11comp_targetILNS1_3genE0ELNS1_11target_archE4294967295ELNS1_3gpuE0ELNS1_3repE0EEENS1_30default_config_static_selectorELNS0_4arch9wavefront6targetE1EEEvSY_.uses_vcc, 0
	.set _ZN7rocprim17ROCPRIM_400000_NS6detail17trampoline_kernelINS0_14default_configENS1_27lower_bound_config_selectorIflEEZNS1_14transform_implILb0ES3_S5_N6thrust23THRUST_200600_302600_NS6detail15normal_iteratorINS8_7pointerIfNS8_11hip_rocprim9par_det_tENS8_11use_defaultESE_EEEENSA_INSB_IlSD_SE_SE_EEEEZNS1_13binary_searchIS3_S5_NSA_INS8_10device_ptrIfEEEESG_SI_NS1_21lower_bound_search_opENS9_16wrapped_functionINS8_6system6detail7generic6detail18binary_search_lessEbEEEE10hipError_tPvRmT1_T2_T3_mmT4_T5_P12ihipStream_tbEUlRKfE_EESV_SZ_S10_mS11_S14_bEUlT_E_NS1_11comp_targetILNS1_3genE0ELNS1_11target_archE4294967295ELNS1_3gpuE0ELNS1_3repE0EEENS1_30default_config_static_selectorELNS0_4arch9wavefront6targetE1EEEvSY_.uses_flat_scratch, 0
	.set _ZN7rocprim17ROCPRIM_400000_NS6detail17trampoline_kernelINS0_14default_configENS1_27lower_bound_config_selectorIflEEZNS1_14transform_implILb0ES3_S5_N6thrust23THRUST_200600_302600_NS6detail15normal_iteratorINS8_7pointerIfNS8_11hip_rocprim9par_det_tENS8_11use_defaultESE_EEEENSA_INSB_IlSD_SE_SE_EEEEZNS1_13binary_searchIS3_S5_NSA_INS8_10device_ptrIfEEEESG_SI_NS1_21lower_bound_search_opENS9_16wrapped_functionINS8_6system6detail7generic6detail18binary_search_lessEbEEEE10hipError_tPvRmT1_T2_T3_mmT4_T5_P12ihipStream_tbEUlRKfE_EESV_SZ_S10_mS11_S14_bEUlT_E_NS1_11comp_targetILNS1_3genE0ELNS1_11target_archE4294967295ELNS1_3gpuE0ELNS1_3repE0EEENS1_30default_config_static_selectorELNS0_4arch9wavefront6targetE1EEEvSY_.has_dyn_sized_stack, 0
	.set _ZN7rocprim17ROCPRIM_400000_NS6detail17trampoline_kernelINS0_14default_configENS1_27lower_bound_config_selectorIflEEZNS1_14transform_implILb0ES3_S5_N6thrust23THRUST_200600_302600_NS6detail15normal_iteratorINS8_7pointerIfNS8_11hip_rocprim9par_det_tENS8_11use_defaultESE_EEEENSA_INSB_IlSD_SE_SE_EEEEZNS1_13binary_searchIS3_S5_NSA_INS8_10device_ptrIfEEEESG_SI_NS1_21lower_bound_search_opENS9_16wrapped_functionINS8_6system6detail7generic6detail18binary_search_lessEbEEEE10hipError_tPvRmT1_T2_T3_mmT4_T5_P12ihipStream_tbEUlRKfE_EESV_SZ_S10_mS11_S14_bEUlT_E_NS1_11comp_targetILNS1_3genE0ELNS1_11target_archE4294967295ELNS1_3gpuE0ELNS1_3repE0EEENS1_30default_config_static_selectorELNS0_4arch9wavefront6targetE1EEEvSY_.has_recursion, 0
	.set _ZN7rocprim17ROCPRIM_400000_NS6detail17trampoline_kernelINS0_14default_configENS1_27lower_bound_config_selectorIflEEZNS1_14transform_implILb0ES3_S5_N6thrust23THRUST_200600_302600_NS6detail15normal_iteratorINS8_7pointerIfNS8_11hip_rocprim9par_det_tENS8_11use_defaultESE_EEEENSA_INSB_IlSD_SE_SE_EEEEZNS1_13binary_searchIS3_S5_NSA_INS8_10device_ptrIfEEEESG_SI_NS1_21lower_bound_search_opENS9_16wrapped_functionINS8_6system6detail7generic6detail18binary_search_lessEbEEEE10hipError_tPvRmT1_T2_T3_mmT4_T5_P12ihipStream_tbEUlRKfE_EESV_SZ_S10_mS11_S14_bEUlT_E_NS1_11comp_targetILNS1_3genE0ELNS1_11target_archE4294967295ELNS1_3gpuE0ELNS1_3repE0EEENS1_30default_config_static_selectorELNS0_4arch9wavefront6targetE1EEEvSY_.has_indirect_call, 0
	.section	.AMDGPU.csdata,"",@progbits
; Kernel info:
; codeLenInByte = 0
; TotalNumSgprs: 4
; NumVgprs: 0
; ScratchSize: 0
; MemoryBound: 0
; FloatMode: 240
; IeeeMode: 1
; LDSByteSize: 0 bytes/workgroup (compile time only)
; SGPRBlocks: 0
; VGPRBlocks: 0
; NumSGPRsForWavesPerEU: 4
; NumVGPRsForWavesPerEU: 1
; Occupancy: 10
; WaveLimiterHint : 0
; COMPUTE_PGM_RSRC2:SCRATCH_EN: 0
; COMPUTE_PGM_RSRC2:USER_SGPR: 6
; COMPUTE_PGM_RSRC2:TRAP_HANDLER: 0
; COMPUTE_PGM_RSRC2:TGID_X_EN: 1
; COMPUTE_PGM_RSRC2:TGID_Y_EN: 0
; COMPUTE_PGM_RSRC2:TGID_Z_EN: 0
; COMPUTE_PGM_RSRC2:TIDIG_COMP_CNT: 0
	.section	.text._ZN7rocprim17ROCPRIM_400000_NS6detail17trampoline_kernelINS0_14default_configENS1_27lower_bound_config_selectorIflEEZNS1_14transform_implILb0ES3_S5_N6thrust23THRUST_200600_302600_NS6detail15normal_iteratorINS8_7pointerIfNS8_11hip_rocprim9par_det_tENS8_11use_defaultESE_EEEENSA_INSB_IlSD_SE_SE_EEEEZNS1_13binary_searchIS3_S5_NSA_INS8_10device_ptrIfEEEESG_SI_NS1_21lower_bound_search_opENS9_16wrapped_functionINS8_6system6detail7generic6detail18binary_search_lessEbEEEE10hipError_tPvRmT1_T2_T3_mmT4_T5_P12ihipStream_tbEUlRKfE_EESV_SZ_S10_mS11_S14_bEUlT_E_NS1_11comp_targetILNS1_3genE5ELNS1_11target_archE942ELNS1_3gpuE9ELNS1_3repE0EEENS1_30default_config_static_selectorELNS0_4arch9wavefront6targetE1EEEvSY_,"axG",@progbits,_ZN7rocprim17ROCPRIM_400000_NS6detail17trampoline_kernelINS0_14default_configENS1_27lower_bound_config_selectorIflEEZNS1_14transform_implILb0ES3_S5_N6thrust23THRUST_200600_302600_NS6detail15normal_iteratorINS8_7pointerIfNS8_11hip_rocprim9par_det_tENS8_11use_defaultESE_EEEENSA_INSB_IlSD_SE_SE_EEEEZNS1_13binary_searchIS3_S5_NSA_INS8_10device_ptrIfEEEESG_SI_NS1_21lower_bound_search_opENS9_16wrapped_functionINS8_6system6detail7generic6detail18binary_search_lessEbEEEE10hipError_tPvRmT1_T2_T3_mmT4_T5_P12ihipStream_tbEUlRKfE_EESV_SZ_S10_mS11_S14_bEUlT_E_NS1_11comp_targetILNS1_3genE5ELNS1_11target_archE942ELNS1_3gpuE9ELNS1_3repE0EEENS1_30default_config_static_selectorELNS0_4arch9wavefront6targetE1EEEvSY_,comdat
	.protected	_ZN7rocprim17ROCPRIM_400000_NS6detail17trampoline_kernelINS0_14default_configENS1_27lower_bound_config_selectorIflEEZNS1_14transform_implILb0ES3_S5_N6thrust23THRUST_200600_302600_NS6detail15normal_iteratorINS8_7pointerIfNS8_11hip_rocprim9par_det_tENS8_11use_defaultESE_EEEENSA_INSB_IlSD_SE_SE_EEEEZNS1_13binary_searchIS3_S5_NSA_INS8_10device_ptrIfEEEESG_SI_NS1_21lower_bound_search_opENS9_16wrapped_functionINS8_6system6detail7generic6detail18binary_search_lessEbEEEE10hipError_tPvRmT1_T2_T3_mmT4_T5_P12ihipStream_tbEUlRKfE_EESV_SZ_S10_mS11_S14_bEUlT_E_NS1_11comp_targetILNS1_3genE5ELNS1_11target_archE942ELNS1_3gpuE9ELNS1_3repE0EEENS1_30default_config_static_selectorELNS0_4arch9wavefront6targetE1EEEvSY_ ; -- Begin function _ZN7rocprim17ROCPRIM_400000_NS6detail17trampoline_kernelINS0_14default_configENS1_27lower_bound_config_selectorIflEEZNS1_14transform_implILb0ES3_S5_N6thrust23THRUST_200600_302600_NS6detail15normal_iteratorINS8_7pointerIfNS8_11hip_rocprim9par_det_tENS8_11use_defaultESE_EEEENSA_INSB_IlSD_SE_SE_EEEEZNS1_13binary_searchIS3_S5_NSA_INS8_10device_ptrIfEEEESG_SI_NS1_21lower_bound_search_opENS9_16wrapped_functionINS8_6system6detail7generic6detail18binary_search_lessEbEEEE10hipError_tPvRmT1_T2_T3_mmT4_T5_P12ihipStream_tbEUlRKfE_EESV_SZ_S10_mS11_S14_bEUlT_E_NS1_11comp_targetILNS1_3genE5ELNS1_11target_archE942ELNS1_3gpuE9ELNS1_3repE0EEENS1_30default_config_static_selectorELNS0_4arch9wavefront6targetE1EEEvSY_
	.globl	_ZN7rocprim17ROCPRIM_400000_NS6detail17trampoline_kernelINS0_14default_configENS1_27lower_bound_config_selectorIflEEZNS1_14transform_implILb0ES3_S5_N6thrust23THRUST_200600_302600_NS6detail15normal_iteratorINS8_7pointerIfNS8_11hip_rocprim9par_det_tENS8_11use_defaultESE_EEEENSA_INSB_IlSD_SE_SE_EEEEZNS1_13binary_searchIS3_S5_NSA_INS8_10device_ptrIfEEEESG_SI_NS1_21lower_bound_search_opENS9_16wrapped_functionINS8_6system6detail7generic6detail18binary_search_lessEbEEEE10hipError_tPvRmT1_T2_T3_mmT4_T5_P12ihipStream_tbEUlRKfE_EESV_SZ_S10_mS11_S14_bEUlT_E_NS1_11comp_targetILNS1_3genE5ELNS1_11target_archE942ELNS1_3gpuE9ELNS1_3repE0EEENS1_30default_config_static_selectorELNS0_4arch9wavefront6targetE1EEEvSY_
	.p2align	8
	.type	_ZN7rocprim17ROCPRIM_400000_NS6detail17trampoline_kernelINS0_14default_configENS1_27lower_bound_config_selectorIflEEZNS1_14transform_implILb0ES3_S5_N6thrust23THRUST_200600_302600_NS6detail15normal_iteratorINS8_7pointerIfNS8_11hip_rocprim9par_det_tENS8_11use_defaultESE_EEEENSA_INSB_IlSD_SE_SE_EEEEZNS1_13binary_searchIS3_S5_NSA_INS8_10device_ptrIfEEEESG_SI_NS1_21lower_bound_search_opENS9_16wrapped_functionINS8_6system6detail7generic6detail18binary_search_lessEbEEEE10hipError_tPvRmT1_T2_T3_mmT4_T5_P12ihipStream_tbEUlRKfE_EESV_SZ_S10_mS11_S14_bEUlT_E_NS1_11comp_targetILNS1_3genE5ELNS1_11target_archE942ELNS1_3gpuE9ELNS1_3repE0EEENS1_30default_config_static_selectorELNS0_4arch9wavefront6targetE1EEEvSY_,@function
_ZN7rocprim17ROCPRIM_400000_NS6detail17trampoline_kernelINS0_14default_configENS1_27lower_bound_config_selectorIflEEZNS1_14transform_implILb0ES3_S5_N6thrust23THRUST_200600_302600_NS6detail15normal_iteratorINS8_7pointerIfNS8_11hip_rocprim9par_det_tENS8_11use_defaultESE_EEEENSA_INSB_IlSD_SE_SE_EEEEZNS1_13binary_searchIS3_S5_NSA_INS8_10device_ptrIfEEEESG_SI_NS1_21lower_bound_search_opENS9_16wrapped_functionINS8_6system6detail7generic6detail18binary_search_lessEbEEEE10hipError_tPvRmT1_T2_T3_mmT4_T5_P12ihipStream_tbEUlRKfE_EESV_SZ_S10_mS11_S14_bEUlT_E_NS1_11comp_targetILNS1_3genE5ELNS1_11target_archE942ELNS1_3gpuE9ELNS1_3repE0EEENS1_30default_config_static_selectorELNS0_4arch9wavefront6targetE1EEEvSY_: ; @_ZN7rocprim17ROCPRIM_400000_NS6detail17trampoline_kernelINS0_14default_configENS1_27lower_bound_config_selectorIflEEZNS1_14transform_implILb0ES3_S5_N6thrust23THRUST_200600_302600_NS6detail15normal_iteratorINS8_7pointerIfNS8_11hip_rocprim9par_det_tENS8_11use_defaultESE_EEEENSA_INSB_IlSD_SE_SE_EEEEZNS1_13binary_searchIS3_S5_NSA_INS8_10device_ptrIfEEEESG_SI_NS1_21lower_bound_search_opENS9_16wrapped_functionINS8_6system6detail7generic6detail18binary_search_lessEbEEEE10hipError_tPvRmT1_T2_T3_mmT4_T5_P12ihipStream_tbEUlRKfE_EESV_SZ_S10_mS11_S14_bEUlT_E_NS1_11comp_targetILNS1_3genE5ELNS1_11target_archE942ELNS1_3gpuE9ELNS1_3repE0EEENS1_30default_config_static_selectorELNS0_4arch9wavefront6targetE1EEEvSY_
; %bb.0:
	.section	.rodata,"a",@progbits
	.p2align	6, 0x0
	.amdhsa_kernel _ZN7rocprim17ROCPRIM_400000_NS6detail17trampoline_kernelINS0_14default_configENS1_27lower_bound_config_selectorIflEEZNS1_14transform_implILb0ES3_S5_N6thrust23THRUST_200600_302600_NS6detail15normal_iteratorINS8_7pointerIfNS8_11hip_rocprim9par_det_tENS8_11use_defaultESE_EEEENSA_INSB_IlSD_SE_SE_EEEEZNS1_13binary_searchIS3_S5_NSA_INS8_10device_ptrIfEEEESG_SI_NS1_21lower_bound_search_opENS9_16wrapped_functionINS8_6system6detail7generic6detail18binary_search_lessEbEEEE10hipError_tPvRmT1_T2_T3_mmT4_T5_P12ihipStream_tbEUlRKfE_EESV_SZ_S10_mS11_S14_bEUlT_E_NS1_11comp_targetILNS1_3genE5ELNS1_11target_archE942ELNS1_3gpuE9ELNS1_3repE0EEENS1_30default_config_static_selectorELNS0_4arch9wavefront6targetE1EEEvSY_
		.amdhsa_group_segment_fixed_size 0
		.amdhsa_private_segment_fixed_size 0
		.amdhsa_kernarg_size 56
		.amdhsa_user_sgpr_count 6
		.amdhsa_user_sgpr_private_segment_buffer 1
		.amdhsa_user_sgpr_dispatch_ptr 0
		.amdhsa_user_sgpr_queue_ptr 0
		.amdhsa_user_sgpr_kernarg_segment_ptr 1
		.amdhsa_user_sgpr_dispatch_id 0
		.amdhsa_user_sgpr_flat_scratch_init 0
		.amdhsa_user_sgpr_private_segment_size 0
		.amdhsa_uses_dynamic_stack 0
		.amdhsa_system_sgpr_private_segment_wavefront_offset 0
		.amdhsa_system_sgpr_workgroup_id_x 1
		.amdhsa_system_sgpr_workgroup_id_y 0
		.amdhsa_system_sgpr_workgroup_id_z 0
		.amdhsa_system_sgpr_workgroup_info 0
		.amdhsa_system_vgpr_workitem_id 0
		.amdhsa_next_free_vgpr 1
		.amdhsa_next_free_sgpr 0
		.amdhsa_reserve_vcc 0
		.amdhsa_reserve_flat_scratch 0
		.amdhsa_float_round_mode_32 0
		.amdhsa_float_round_mode_16_64 0
		.amdhsa_float_denorm_mode_32 3
		.amdhsa_float_denorm_mode_16_64 3
		.amdhsa_dx10_clamp 1
		.amdhsa_ieee_mode 1
		.amdhsa_fp16_overflow 0
		.amdhsa_exception_fp_ieee_invalid_op 0
		.amdhsa_exception_fp_denorm_src 0
		.amdhsa_exception_fp_ieee_div_zero 0
		.amdhsa_exception_fp_ieee_overflow 0
		.amdhsa_exception_fp_ieee_underflow 0
		.amdhsa_exception_fp_ieee_inexact 0
		.amdhsa_exception_int_div_zero 0
	.end_amdhsa_kernel
	.section	.text._ZN7rocprim17ROCPRIM_400000_NS6detail17trampoline_kernelINS0_14default_configENS1_27lower_bound_config_selectorIflEEZNS1_14transform_implILb0ES3_S5_N6thrust23THRUST_200600_302600_NS6detail15normal_iteratorINS8_7pointerIfNS8_11hip_rocprim9par_det_tENS8_11use_defaultESE_EEEENSA_INSB_IlSD_SE_SE_EEEEZNS1_13binary_searchIS3_S5_NSA_INS8_10device_ptrIfEEEESG_SI_NS1_21lower_bound_search_opENS9_16wrapped_functionINS8_6system6detail7generic6detail18binary_search_lessEbEEEE10hipError_tPvRmT1_T2_T3_mmT4_T5_P12ihipStream_tbEUlRKfE_EESV_SZ_S10_mS11_S14_bEUlT_E_NS1_11comp_targetILNS1_3genE5ELNS1_11target_archE942ELNS1_3gpuE9ELNS1_3repE0EEENS1_30default_config_static_selectorELNS0_4arch9wavefront6targetE1EEEvSY_,"axG",@progbits,_ZN7rocprim17ROCPRIM_400000_NS6detail17trampoline_kernelINS0_14default_configENS1_27lower_bound_config_selectorIflEEZNS1_14transform_implILb0ES3_S5_N6thrust23THRUST_200600_302600_NS6detail15normal_iteratorINS8_7pointerIfNS8_11hip_rocprim9par_det_tENS8_11use_defaultESE_EEEENSA_INSB_IlSD_SE_SE_EEEEZNS1_13binary_searchIS3_S5_NSA_INS8_10device_ptrIfEEEESG_SI_NS1_21lower_bound_search_opENS9_16wrapped_functionINS8_6system6detail7generic6detail18binary_search_lessEbEEEE10hipError_tPvRmT1_T2_T3_mmT4_T5_P12ihipStream_tbEUlRKfE_EESV_SZ_S10_mS11_S14_bEUlT_E_NS1_11comp_targetILNS1_3genE5ELNS1_11target_archE942ELNS1_3gpuE9ELNS1_3repE0EEENS1_30default_config_static_selectorELNS0_4arch9wavefront6targetE1EEEvSY_,comdat
.Lfunc_end341:
	.size	_ZN7rocprim17ROCPRIM_400000_NS6detail17trampoline_kernelINS0_14default_configENS1_27lower_bound_config_selectorIflEEZNS1_14transform_implILb0ES3_S5_N6thrust23THRUST_200600_302600_NS6detail15normal_iteratorINS8_7pointerIfNS8_11hip_rocprim9par_det_tENS8_11use_defaultESE_EEEENSA_INSB_IlSD_SE_SE_EEEEZNS1_13binary_searchIS3_S5_NSA_INS8_10device_ptrIfEEEESG_SI_NS1_21lower_bound_search_opENS9_16wrapped_functionINS8_6system6detail7generic6detail18binary_search_lessEbEEEE10hipError_tPvRmT1_T2_T3_mmT4_T5_P12ihipStream_tbEUlRKfE_EESV_SZ_S10_mS11_S14_bEUlT_E_NS1_11comp_targetILNS1_3genE5ELNS1_11target_archE942ELNS1_3gpuE9ELNS1_3repE0EEENS1_30default_config_static_selectorELNS0_4arch9wavefront6targetE1EEEvSY_, .Lfunc_end341-_ZN7rocprim17ROCPRIM_400000_NS6detail17trampoline_kernelINS0_14default_configENS1_27lower_bound_config_selectorIflEEZNS1_14transform_implILb0ES3_S5_N6thrust23THRUST_200600_302600_NS6detail15normal_iteratorINS8_7pointerIfNS8_11hip_rocprim9par_det_tENS8_11use_defaultESE_EEEENSA_INSB_IlSD_SE_SE_EEEEZNS1_13binary_searchIS3_S5_NSA_INS8_10device_ptrIfEEEESG_SI_NS1_21lower_bound_search_opENS9_16wrapped_functionINS8_6system6detail7generic6detail18binary_search_lessEbEEEE10hipError_tPvRmT1_T2_T3_mmT4_T5_P12ihipStream_tbEUlRKfE_EESV_SZ_S10_mS11_S14_bEUlT_E_NS1_11comp_targetILNS1_3genE5ELNS1_11target_archE942ELNS1_3gpuE9ELNS1_3repE0EEENS1_30default_config_static_selectorELNS0_4arch9wavefront6targetE1EEEvSY_
                                        ; -- End function
	.set _ZN7rocprim17ROCPRIM_400000_NS6detail17trampoline_kernelINS0_14default_configENS1_27lower_bound_config_selectorIflEEZNS1_14transform_implILb0ES3_S5_N6thrust23THRUST_200600_302600_NS6detail15normal_iteratorINS8_7pointerIfNS8_11hip_rocprim9par_det_tENS8_11use_defaultESE_EEEENSA_INSB_IlSD_SE_SE_EEEEZNS1_13binary_searchIS3_S5_NSA_INS8_10device_ptrIfEEEESG_SI_NS1_21lower_bound_search_opENS9_16wrapped_functionINS8_6system6detail7generic6detail18binary_search_lessEbEEEE10hipError_tPvRmT1_T2_T3_mmT4_T5_P12ihipStream_tbEUlRKfE_EESV_SZ_S10_mS11_S14_bEUlT_E_NS1_11comp_targetILNS1_3genE5ELNS1_11target_archE942ELNS1_3gpuE9ELNS1_3repE0EEENS1_30default_config_static_selectorELNS0_4arch9wavefront6targetE1EEEvSY_.num_vgpr, 0
	.set _ZN7rocprim17ROCPRIM_400000_NS6detail17trampoline_kernelINS0_14default_configENS1_27lower_bound_config_selectorIflEEZNS1_14transform_implILb0ES3_S5_N6thrust23THRUST_200600_302600_NS6detail15normal_iteratorINS8_7pointerIfNS8_11hip_rocprim9par_det_tENS8_11use_defaultESE_EEEENSA_INSB_IlSD_SE_SE_EEEEZNS1_13binary_searchIS3_S5_NSA_INS8_10device_ptrIfEEEESG_SI_NS1_21lower_bound_search_opENS9_16wrapped_functionINS8_6system6detail7generic6detail18binary_search_lessEbEEEE10hipError_tPvRmT1_T2_T3_mmT4_T5_P12ihipStream_tbEUlRKfE_EESV_SZ_S10_mS11_S14_bEUlT_E_NS1_11comp_targetILNS1_3genE5ELNS1_11target_archE942ELNS1_3gpuE9ELNS1_3repE0EEENS1_30default_config_static_selectorELNS0_4arch9wavefront6targetE1EEEvSY_.num_agpr, 0
	.set _ZN7rocprim17ROCPRIM_400000_NS6detail17trampoline_kernelINS0_14default_configENS1_27lower_bound_config_selectorIflEEZNS1_14transform_implILb0ES3_S5_N6thrust23THRUST_200600_302600_NS6detail15normal_iteratorINS8_7pointerIfNS8_11hip_rocprim9par_det_tENS8_11use_defaultESE_EEEENSA_INSB_IlSD_SE_SE_EEEEZNS1_13binary_searchIS3_S5_NSA_INS8_10device_ptrIfEEEESG_SI_NS1_21lower_bound_search_opENS9_16wrapped_functionINS8_6system6detail7generic6detail18binary_search_lessEbEEEE10hipError_tPvRmT1_T2_T3_mmT4_T5_P12ihipStream_tbEUlRKfE_EESV_SZ_S10_mS11_S14_bEUlT_E_NS1_11comp_targetILNS1_3genE5ELNS1_11target_archE942ELNS1_3gpuE9ELNS1_3repE0EEENS1_30default_config_static_selectorELNS0_4arch9wavefront6targetE1EEEvSY_.numbered_sgpr, 0
	.set _ZN7rocprim17ROCPRIM_400000_NS6detail17trampoline_kernelINS0_14default_configENS1_27lower_bound_config_selectorIflEEZNS1_14transform_implILb0ES3_S5_N6thrust23THRUST_200600_302600_NS6detail15normal_iteratorINS8_7pointerIfNS8_11hip_rocprim9par_det_tENS8_11use_defaultESE_EEEENSA_INSB_IlSD_SE_SE_EEEEZNS1_13binary_searchIS3_S5_NSA_INS8_10device_ptrIfEEEESG_SI_NS1_21lower_bound_search_opENS9_16wrapped_functionINS8_6system6detail7generic6detail18binary_search_lessEbEEEE10hipError_tPvRmT1_T2_T3_mmT4_T5_P12ihipStream_tbEUlRKfE_EESV_SZ_S10_mS11_S14_bEUlT_E_NS1_11comp_targetILNS1_3genE5ELNS1_11target_archE942ELNS1_3gpuE9ELNS1_3repE0EEENS1_30default_config_static_selectorELNS0_4arch9wavefront6targetE1EEEvSY_.num_named_barrier, 0
	.set _ZN7rocprim17ROCPRIM_400000_NS6detail17trampoline_kernelINS0_14default_configENS1_27lower_bound_config_selectorIflEEZNS1_14transform_implILb0ES3_S5_N6thrust23THRUST_200600_302600_NS6detail15normal_iteratorINS8_7pointerIfNS8_11hip_rocprim9par_det_tENS8_11use_defaultESE_EEEENSA_INSB_IlSD_SE_SE_EEEEZNS1_13binary_searchIS3_S5_NSA_INS8_10device_ptrIfEEEESG_SI_NS1_21lower_bound_search_opENS9_16wrapped_functionINS8_6system6detail7generic6detail18binary_search_lessEbEEEE10hipError_tPvRmT1_T2_T3_mmT4_T5_P12ihipStream_tbEUlRKfE_EESV_SZ_S10_mS11_S14_bEUlT_E_NS1_11comp_targetILNS1_3genE5ELNS1_11target_archE942ELNS1_3gpuE9ELNS1_3repE0EEENS1_30default_config_static_selectorELNS0_4arch9wavefront6targetE1EEEvSY_.private_seg_size, 0
	.set _ZN7rocprim17ROCPRIM_400000_NS6detail17trampoline_kernelINS0_14default_configENS1_27lower_bound_config_selectorIflEEZNS1_14transform_implILb0ES3_S5_N6thrust23THRUST_200600_302600_NS6detail15normal_iteratorINS8_7pointerIfNS8_11hip_rocprim9par_det_tENS8_11use_defaultESE_EEEENSA_INSB_IlSD_SE_SE_EEEEZNS1_13binary_searchIS3_S5_NSA_INS8_10device_ptrIfEEEESG_SI_NS1_21lower_bound_search_opENS9_16wrapped_functionINS8_6system6detail7generic6detail18binary_search_lessEbEEEE10hipError_tPvRmT1_T2_T3_mmT4_T5_P12ihipStream_tbEUlRKfE_EESV_SZ_S10_mS11_S14_bEUlT_E_NS1_11comp_targetILNS1_3genE5ELNS1_11target_archE942ELNS1_3gpuE9ELNS1_3repE0EEENS1_30default_config_static_selectorELNS0_4arch9wavefront6targetE1EEEvSY_.uses_vcc, 0
	.set _ZN7rocprim17ROCPRIM_400000_NS6detail17trampoline_kernelINS0_14default_configENS1_27lower_bound_config_selectorIflEEZNS1_14transform_implILb0ES3_S5_N6thrust23THRUST_200600_302600_NS6detail15normal_iteratorINS8_7pointerIfNS8_11hip_rocprim9par_det_tENS8_11use_defaultESE_EEEENSA_INSB_IlSD_SE_SE_EEEEZNS1_13binary_searchIS3_S5_NSA_INS8_10device_ptrIfEEEESG_SI_NS1_21lower_bound_search_opENS9_16wrapped_functionINS8_6system6detail7generic6detail18binary_search_lessEbEEEE10hipError_tPvRmT1_T2_T3_mmT4_T5_P12ihipStream_tbEUlRKfE_EESV_SZ_S10_mS11_S14_bEUlT_E_NS1_11comp_targetILNS1_3genE5ELNS1_11target_archE942ELNS1_3gpuE9ELNS1_3repE0EEENS1_30default_config_static_selectorELNS0_4arch9wavefront6targetE1EEEvSY_.uses_flat_scratch, 0
	.set _ZN7rocprim17ROCPRIM_400000_NS6detail17trampoline_kernelINS0_14default_configENS1_27lower_bound_config_selectorIflEEZNS1_14transform_implILb0ES3_S5_N6thrust23THRUST_200600_302600_NS6detail15normal_iteratorINS8_7pointerIfNS8_11hip_rocprim9par_det_tENS8_11use_defaultESE_EEEENSA_INSB_IlSD_SE_SE_EEEEZNS1_13binary_searchIS3_S5_NSA_INS8_10device_ptrIfEEEESG_SI_NS1_21lower_bound_search_opENS9_16wrapped_functionINS8_6system6detail7generic6detail18binary_search_lessEbEEEE10hipError_tPvRmT1_T2_T3_mmT4_T5_P12ihipStream_tbEUlRKfE_EESV_SZ_S10_mS11_S14_bEUlT_E_NS1_11comp_targetILNS1_3genE5ELNS1_11target_archE942ELNS1_3gpuE9ELNS1_3repE0EEENS1_30default_config_static_selectorELNS0_4arch9wavefront6targetE1EEEvSY_.has_dyn_sized_stack, 0
	.set _ZN7rocprim17ROCPRIM_400000_NS6detail17trampoline_kernelINS0_14default_configENS1_27lower_bound_config_selectorIflEEZNS1_14transform_implILb0ES3_S5_N6thrust23THRUST_200600_302600_NS6detail15normal_iteratorINS8_7pointerIfNS8_11hip_rocprim9par_det_tENS8_11use_defaultESE_EEEENSA_INSB_IlSD_SE_SE_EEEEZNS1_13binary_searchIS3_S5_NSA_INS8_10device_ptrIfEEEESG_SI_NS1_21lower_bound_search_opENS9_16wrapped_functionINS8_6system6detail7generic6detail18binary_search_lessEbEEEE10hipError_tPvRmT1_T2_T3_mmT4_T5_P12ihipStream_tbEUlRKfE_EESV_SZ_S10_mS11_S14_bEUlT_E_NS1_11comp_targetILNS1_3genE5ELNS1_11target_archE942ELNS1_3gpuE9ELNS1_3repE0EEENS1_30default_config_static_selectorELNS0_4arch9wavefront6targetE1EEEvSY_.has_recursion, 0
	.set _ZN7rocprim17ROCPRIM_400000_NS6detail17trampoline_kernelINS0_14default_configENS1_27lower_bound_config_selectorIflEEZNS1_14transform_implILb0ES3_S5_N6thrust23THRUST_200600_302600_NS6detail15normal_iteratorINS8_7pointerIfNS8_11hip_rocprim9par_det_tENS8_11use_defaultESE_EEEENSA_INSB_IlSD_SE_SE_EEEEZNS1_13binary_searchIS3_S5_NSA_INS8_10device_ptrIfEEEESG_SI_NS1_21lower_bound_search_opENS9_16wrapped_functionINS8_6system6detail7generic6detail18binary_search_lessEbEEEE10hipError_tPvRmT1_T2_T3_mmT4_T5_P12ihipStream_tbEUlRKfE_EESV_SZ_S10_mS11_S14_bEUlT_E_NS1_11comp_targetILNS1_3genE5ELNS1_11target_archE942ELNS1_3gpuE9ELNS1_3repE0EEENS1_30default_config_static_selectorELNS0_4arch9wavefront6targetE1EEEvSY_.has_indirect_call, 0
	.section	.AMDGPU.csdata,"",@progbits
; Kernel info:
; codeLenInByte = 0
; TotalNumSgprs: 4
; NumVgprs: 0
; ScratchSize: 0
; MemoryBound: 0
; FloatMode: 240
; IeeeMode: 1
; LDSByteSize: 0 bytes/workgroup (compile time only)
; SGPRBlocks: 0
; VGPRBlocks: 0
; NumSGPRsForWavesPerEU: 4
; NumVGPRsForWavesPerEU: 1
; Occupancy: 10
; WaveLimiterHint : 0
; COMPUTE_PGM_RSRC2:SCRATCH_EN: 0
; COMPUTE_PGM_RSRC2:USER_SGPR: 6
; COMPUTE_PGM_RSRC2:TRAP_HANDLER: 0
; COMPUTE_PGM_RSRC2:TGID_X_EN: 1
; COMPUTE_PGM_RSRC2:TGID_Y_EN: 0
; COMPUTE_PGM_RSRC2:TGID_Z_EN: 0
; COMPUTE_PGM_RSRC2:TIDIG_COMP_CNT: 0
	.section	.text._ZN7rocprim17ROCPRIM_400000_NS6detail17trampoline_kernelINS0_14default_configENS1_27lower_bound_config_selectorIflEEZNS1_14transform_implILb0ES3_S5_N6thrust23THRUST_200600_302600_NS6detail15normal_iteratorINS8_7pointerIfNS8_11hip_rocprim9par_det_tENS8_11use_defaultESE_EEEENSA_INSB_IlSD_SE_SE_EEEEZNS1_13binary_searchIS3_S5_NSA_INS8_10device_ptrIfEEEESG_SI_NS1_21lower_bound_search_opENS9_16wrapped_functionINS8_6system6detail7generic6detail18binary_search_lessEbEEEE10hipError_tPvRmT1_T2_T3_mmT4_T5_P12ihipStream_tbEUlRKfE_EESV_SZ_S10_mS11_S14_bEUlT_E_NS1_11comp_targetILNS1_3genE4ELNS1_11target_archE910ELNS1_3gpuE8ELNS1_3repE0EEENS1_30default_config_static_selectorELNS0_4arch9wavefront6targetE1EEEvSY_,"axG",@progbits,_ZN7rocprim17ROCPRIM_400000_NS6detail17trampoline_kernelINS0_14default_configENS1_27lower_bound_config_selectorIflEEZNS1_14transform_implILb0ES3_S5_N6thrust23THRUST_200600_302600_NS6detail15normal_iteratorINS8_7pointerIfNS8_11hip_rocprim9par_det_tENS8_11use_defaultESE_EEEENSA_INSB_IlSD_SE_SE_EEEEZNS1_13binary_searchIS3_S5_NSA_INS8_10device_ptrIfEEEESG_SI_NS1_21lower_bound_search_opENS9_16wrapped_functionINS8_6system6detail7generic6detail18binary_search_lessEbEEEE10hipError_tPvRmT1_T2_T3_mmT4_T5_P12ihipStream_tbEUlRKfE_EESV_SZ_S10_mS11_S14_bEUlT_E_NS1_11comp_targetILNS1_3genE4ELNS1_11target_archE910ELNS1_3gpuE8ELNS1_3repE0EEENS1_30default_config_static_selectorELNS0_4arch9wavefront6targetE1EEEvSY_,comdat
	.protected	_ZN7rocprim17ROCPRIM_400000_NS6detail17trampoline_kernelINS0_14default_configENS1_27lower_bound_config_selectorIflEEZNS1_14transform_implILb0ES3_S5_N6thrust23THRUST_200600_302600_NS6detail15normal_iteratorINS8_7pointerIfNS8_11hip_rocprim9par_det_tENS8_11use_defaultESE_EEEENSA_INSB_IlSD_SE_SE_EEEEZNS1_13binary_searchIS3_S5_NSA_INS8_10device_ptrIfEEEESG_SI_NS1_21lower_bound_search_opENS9_16wrapped_functionINS8_6system6detail7generic6detail18binary_search_lessEbEEEE10hipError_tPvRmT1_T2_T3_mmT4_T5_P12ihipStream_tbEUlRKfE_EESV_SZ_S10_mS11_S14_bEUlT_E_NS1_11comp_targetILNS1_3genE4ELNS1_11target_archE910ELNS1_3gpuE8ELNS1_3repE0EEENS1_30default_config_static_selectorELNS0_4arch9wavefront6targetE1EEEvSY_ ; -- Begin function _ZN7rocprim17ROCPRIM_400000_NS6detail17trampoline_kernelINS0_14default_configENS1_27lower_bound_config_selectorIflEEZNS1_14transform_implILb0ES3_S5_N6thrust23THRUST_200600_302600_NS6detail15normal_iteratorINS8_7pointerIfNS8_11hip_rocprim9par_det_tENS8_11use_defaultESE_EEEENSA_INSB_IlSD_SE_SE_EEEEZNS1_13binary_searchIS3_S5_NSA_INS8_10device_ptrIfEEEESG_SI_NS1_21lower_bound_search_opENS9_16wrapped_functionINS8_6system6detail7generic6detail18binary_search_lessEbEEEE10hipError_tPvRmT1_T2_T3_mmT4_T5_P12ihipStream_tbEUlRKfE_EESV_SZ_S10_mS11_S14_bEUlT_E_NS1_11comp_targetILNS1_3genE4ELNS1_11target_archE910ELNS1_3gpuE8ELNS1_3repE0EEENS1_30default_config_static_selectorELNS0_4arch9wavefront6targetE1EEEvSY_
	.globl	_ZN7rocprim17ROCPRIM_400000_NS6detail17trampoline_kernelINS0_14default_configENS1_27lower_bound_config_selectorIflEEZNS1_14transform_implILb0ES3_S5_N6thrust23THRUST_200600_302600_NS6detail15normal_iteratorINS8_7pointerIfNS8_11hip_rocprim9par_det_tENS8_11use_defaultESE_EEEENSA_INSB_IlSD_SE_SE_EEEEZNS1_13binary_searchIS3_S5_NSA_INS8_10device_ptrIfEEEESG_SI_NS1_21lower_bound_search_opENS9_16wrapped_functionINS8_6system6detail7generic6detail18binary_search_lessEbEEEE10hipError_tPvRmT1_T2_T3_mmT4_T5_P12ihipStream_tbEUlRKfE_EESV_SZ_S10_mS11_S14_bEUlT_E_NS1_11comp_targetILNS1_3genE4ELNS1_11target_archE910ELNS1_3gpuE8ELNS1_3repE0EEENS1_30default_config_static_selectorELNS0_4arch9wavefront6targetE1EEEvSY_
	.p2align	8
	.type	_ZN7rocprim17ROCPRIM_400000_NS6detail17trampoline_kernelINS0_14default_configENS1_27lower_bound_config_selectorIflEEZNS1_14transform_implILb0ES3_S5_N6thrust23THRUST_200600_302600_NS6detail15normal_iteratorINS8_7pointerIfNS8_11hip_rocprim9par_det_tENS8_11use_defaultESE_EEEENSA_INSB_IlSD_SE_SE_EEEEZNS1_13binary_searchIS3_S5_NSA_INS8_10device_ptrIfEEEESG_SI_NS1_21lower_bound_search_opENS9_16wrapped_functionINS8_6system6detail7generic6detail18binary_search_lessEbEEEE10hipError_tPvRmT1_T2_T3_mmT4_T5_P12ihipStream_tbEUlRKfE_EESV_SZ_S10_mS11_S14_bEUlT_E_NS1_11comp_targetILNS1_3genE4ELNS1_11target_archE910ELNS1_3gpuE8ELNS1_3repE0EEENS1_30default_config_static_selectorELNS0_4arch9wavefront6targetE1EEEvSY_,@function
_ZN7rocprim17ROCPRIM_400000_NS6detail17trampoline_kernelINS0_14default_configENS1_27lower_bound_config_selectorIflEEZNS1_14transform_implILb0ES3_S5_N6thrust23THRUST_200600_302600_NS6detail15normal_iteratorINS8_7pointerIfNS8_11hip_rocprim9par_det_tENS8_11use_defaultESE_EEEENSA_INSB_IlSD_SE_SE_EEEEZNS1_13binary_searchIS3_S5_NSA_INS8_10device_ptrIfEEEESG_SI_NS1_21lower_bound_search_opENS9_16wrapped_functionINS8_6system6detail7generic6detail18binary_search_lessEbEEEE10hipError_tPvRmT1_T2_T3_mmT4_T5_P12ihipStream_tbEUlRKfE_EESV_SZ_S10_mS11_S14_bEUlT_E_NS1_11comp_targetILNS1_3genE4ELNS1_11target_archE910ELNS1_3gpuE8ELNS1_3repE0EEENS1_30default_config_static_selectorELNS0_4arch9wavefront6targetE1EEEvSY_: ; @_ZN7rocprim17ROCPRIM_400000_NS6detail17trampoline_kernelINS0_14default_configENS1_27lower_bound_config_selectorIflEEZNS1_14transform_implILb0ES3_S5_N6thrust23THRUST_200600_302600_NS6detail15normal_iteratorINS8_7pointerIfNS8_11hip_rocprim9par_det_tENS8_11use_defaultESE_EEEENSA_INSB_IlSD_SE_SE_EEEEZNS1_13binary_searchIS3_S5_NSA_INS8_10device_ptrIfEEEESG_SI_NS1_21lower_bound_search_opENS9_16wrapped_functionINS8_6system6detail7generic6detail18binary_search_lessEbEEEE10hipError_tPvRmT1_T2_T3_mmT4_T5_P12ihipStream_tbEUlRKfE_EESV_SZ_S10_mS11_S14_bEUlT_E_NS1_11comp_targetILNS1_3genE4ELNS1_11target_archE910ELNS1_3gpuE8ELNS1_3repE0EEENS1_30default_config_static_selectorELNS0_4arch9wavefront6targetE1EEEvSY_
; %bb.0:
	.section	.rodata,"a",@progbits
	.p2align	6, 0x0
	.amdhsa_kernel _ZN7rocprim17ROCPRIM_400000_NS6detail17trampoline_kernelINS0_14default_configENS1_27lower_bound_config_selectorIflEEZNS1_14transform_implILb0ES3_S5_N6thrust23THRUST_200600_302600_NS6detail15normal_iteratorINS8_7pointerIfNS8_11hip_rocprim9par_det_tENS8_11use_defaultESE_EEEENSA_INSB_IlSD_SE_SE_EEEEZNS1_13binary_searchIS3_S5_NSA_INS8_10device_ptrIfEEEESG_SI_NS1_21lower_bound_search_opENS9_16wrapped_functionINS8_6system6detail7generic6detail18binary_search_lessEbEEEE10hipError_tPvRmT1_T2_T3_mmT4_T5_P12ihipStream_tbEUlRKfE_EESV_SZ_S10_mS11_S14_bEUlT_E_NS1_11comp_targetILNS1_3genE4ELNS1_11target_archE910ELNS1_3gpuE8ELNS1_3repE0EEENS1_30default_config_static_selectorELNS0_4arch9wavefront6targetE1EEEvSY_
		.amdhsa_group_segment_fixed_size 0
		.amdhsa_private_segment_fixed_size 0
		.amdhsa_kernarg_size 56
		.amdhsa_user_sgpr_count 6
		.amdhsa_user_sgpr_private_segment_buffer 1
		.amdhsa_user_sgpr_dispatch_ptr 0
		.amdhsa_user_sgpr_queue_ptr 0
		.amdhsa_user_sgpr_kernarg_segment_ptr 1
		.amdhsa_user_sgpr_dispatch_id 0
		.amdhsa_user_sgpr_flat_scratch_init 0
		.amdhsa_user_sgpr_private_segment_size 0
		.amdhsa_uses_dynamic_stack 0
		.amdhsa_system_sgpr_private_segment_wavefront_offset 0
		.amdhsa_system_sgpr_workgroup_id_x 1
		.amdhsa_system_sgpr_workgroup_id_y 0
		.amdhsa_system_sgpr_workgroup_id_z 0
		.amdhsa_system_sgpr_workgroup_info 0
		.amdhsa_system_vgpr_workitem_id 0
		.amdhsa_next_free_vgpr 1
		.amdhsa_next_free_sgpr 0
		.amdhsa_reserve_vcc 0
		.amdhsa_reserve_flat_scratch 0
		.amdhsa_float_round_mode_32 0
		.amdhsa_float_round_mode_16_64 0
		.amdhsa_float_denorm_mode_32 3
		.amdhsa_float_denorm_mode_16_64 3
		.amdhsa_dx10_clamp 1
		.amdhsa_ieee_mode 1
		.amdhsa_fp16_overflow 0
		.amdhsa_exception_fp_ieee_invalid_op 0
		.amdhsa_exception_fp_denorm_src 0
		.amdhsa_exception_fp_ieee_div_zero 0
		.amdhsa_exception_fp_ieee_overflow 0
		.amdhsa_exception_fp_ieee_underflow 0
		.amdhsa_exception_fp_ieee_inexact 0
		.amdhsa_exception_int_div_zero 0
	.end_amdhsa_kernel
	.section	.text._ZN7rocprim17ROCPRIM_400000_NS6detail17trampoline_kernelINS0_14default_configENS1_27lower_bound_config_selectorIflEEZNS1_14transform_implILb0ES3_S5_N6thrust23THRUST_200600_302600_NS6detail15normal_iteratorINS8_7pointerIfNS8_11hip_rocprim9par_det_tENS8_11use_defaultESE_EEEENSA_INSB_IlSD_SE_SE_EEEEZNS1_13binary_searchIS3_S5_NSA_INS8_10device_ptrIfEEEESG_SI_NS1_21lower_bound_search_opENS9_16wrapped_functionINS8_6system6detail7generic6detail18binary_search_lessEbEEEE10hipError_tPvRmT1_T2_T3_mmT4_T5_P12ihipStream_tbEUlRKfE_EESV_SZ_S10_mS11_S14_bEUlT_E_NS1_11comp_targetILNS1_3genE4ELNS1_11target_archE910ELNS1_3gpuE8ELNS1_3repE0EEENS1_30default_config_static_selectorELNS0_4arch9wavefront6targetE1EEEvSY_,"axG",@progbits,_ZN7rocprim17ROCPRIM_400000_NS6detail17trampoline_kernelINS0_14default_configENS1_27lower_bound_config_selectorIflEEZNS1_14transform_implILb0ES3_S5_N6thrust23THRUST_200600_302600_NS6detail15normal_iteratorINS8_7pointerIfNS8_11hip_rocprim9par_det_tENS8_11use_defaultESE_EEEENSA_INSB_IlSD_SE_SE_EEEEZNS1_13binary_searchIS3_S5_NSA_INS8_10device_ptrIfEEEESG_SI_NS1_21lower_bound_search_opENS9_16wrapped_functionINS8_6system6detail7generic6detail18binary_search_lessEbEEEE10hipError_tPvRmT1_T2_T3_mmT4_T5_P12ihipStream_tbEUlRKfE_EESV_SZ_S10_mS11_S14_bEUlT_E_NS1_11comp_targetILNS1_3genE4ELNS1_11target_archE910ELNS1_3gpuE8ELNS1_3repE0EEENS1_30default_config_static_selectorELNS0_4arch9wavefront6targetE1EEEvSY_,comdat
.Lfunc_end342:
	.size	_ZN7rocprim17ROCPRIM_400000_NS6detail17trampoline_kernelINS0_14default_configENS1_27lower_bound_config_selectorIflEEZNS1_14transform_implILb0ES3_S5_N6thrust23THRUST_200600_302600_NS6detail15normal_iteratorINS8_7pointerIfNS8_11hip_rocprim9par_det_tENS8_11use_defaultESE_EEEENSA_INSB_IlSD_SE_SE_EEEEZNS1_13binary_searchIS3_S5_NSA_INS8_10device_ptrIfEEEESG_SI_NS1_21lower_bound_search_opENS9_16wrapped_functionINS8_6system6detail7generic6detail18binary_search_lessEbEEEE10hipError_tPvRmT1_T2_T3_mmT4_T5_P12ihipStream_tbEUlRKfE_EESV_SZ_S10_mS11_S14_bEUlT_E_NS1_11comp_targetILNS1_3genE4ELNS1_11target_archE910ELNS1_3gpuE8ELNS1_3repE0EEENS1_30default_config_static_selectorELNS0_4arch9wavefront6targetE1EEEvSY_, .Lfunc_end342-_ZN7rocprim17ROCPRIM_400000_NS6detail17trampoline_kernelINS0_14default_configENS1_27lower_bound_config_selectorIflEEZNS1_14transform_implILb0ES3_S5_N6thrust23THRUST_200600_302600_NS6detail15normal_iteratorINS8_7pointerIfNS8_11hip_rocprim9par_det_tENS8_11use_defaultESE_EEEENSA_INSB_IlSD_SE_SE_EEEEZNS1_13binary_searchIS3_S5_NSA_INS8_10device_ptrIfEEEESG_SI_NS1_21lower_bound_search_opENS9_16wrapped_functionINS8_6system6detail7generic6detail18binary_search_lessEbEEEE10hipError_tPvRmT1_T2_T3_mmT4_T5_P12ihipStream_tbEUlRKfE_EESV_SZ_S10_mS11_S14_bEUlT_E_NS1_11comp_targetILNS1_3genE4ELNS1_11target_archE910ELNS1_3gpuE8ELNS1_3repE0EEENS1_30default_config_static_selectorELNS0_4arch9wavefront6targetE1EEEvSY_
                                        ; -- End function
	.set _ZN7rocprim17ROCPRIM_400000_NS6detail17trampoline_kernelINS0_14default_configENS1_27lower_bound_config_selectorIflEEZNS1_14transform_implILb0ES3_S5_N6thrust23THRUST_200600_302600_NS6detail15normal_iteratorINS8_7pointerIfNS8_11hip_rocprim9par_det_tENS8_11use_defaultESE_EEEENSA_INSB_IlSD_SE_SE_EEEEZNS1_13binary_searchIS3_S5_NSA_INS8_10device_ptrIfEEEESG_SI_NS1_21lower_bound_search_opENS9_16wrapped_functionINS8_6system6detail7generic6detail18binary_search_lessEbEEEE10hipError_tPvRmT1_T2_T3_mmT4_T5_P12ihipStream_tbEUlRKfE_EESV_SZ_S10_mS11_S14_bEUlT_E_NS1_11comp_targetILNS1_3genE4ELNS1_11target_archE910ELNS1_3gpuE8ELNS1_3repE0EEENS1_30default_config_static_selectorELNS0_4arch9wavefront6targetE1EEEvSY_.num_vgpr, 0
	.set _ZN7rocprim17ROCPRIM_400000_NS6detail17trampoline_kernelINS0_14default_configENS1_27lower_bound_config_selectorIflEEZNS1_14transform_implILb0ES3_S5_N6thrust23THRUST_200600_302600_NS6detail15normal_iteratorINS8_7pointerIfNS8_11hip_rocprim9par_det_tENS8_11use_defaultESE_EEEENSA_INSB_IlSD_SE_SE_EEEEZNS1_13binary_searchIS3_S5_NSA_INS8_10device_ptrIfEEEESG_SI_NS1_21lower_bound_search_opENS9_16wrapped_functionINS8_6system6detail7generic6detail18binary_search_lessEbEEEE10hipError_tPvRmT1_T2_T3_mmT4_T5_P12ihipStream_tbEUlRKfE_EESV_SZ_S10_mS11_S14_bEUlT_E_NS1_11comp_targetILNS1_3genE4ELNS1_11target_archE910ELNS1_3gpuE8ELNS1_3repE0EEENS1_30default_config_static_selectorELNS0_4arch9wavefront6targetE1EEEvSY_.num_agpr, 0
	.set _ZN7rocprim17ROCPRIM_400000_NS6detail17trampoline_kernelINS0_14default_configENS1_27lower_bound_config_selectorIflEEZNS1_14transform_implILb0ES3_S5_N6thrust23THRUST_200600_302600_NS6detail15normal_iteratorINS8_7pointerIfNS8_11hip_rocprim9par_det_tENS8_11use_defaultESE_EEEENSA_INSB_IlSD_SE_SE_EEEEZNS1_13binary_searchIS3_S5_NSA_INS8_10device_ptrIfEEEESG_SI_NS1_21lower_bound_search_opENS9_16wrapped_functionINS8_6system6detail7generic6detail18binary_search_lessEbEEEE10hipError_tPvRmT1_T2_T3_mmT4_T5_P12ihipStream_tbEUlRKfE_EESV_SZ_S10_mS11_S14_bEUlT_E_NS1_11comp_targetILNS1_3genE4ELNS1_11target_archE910ELNS1_3gpuE8ELNS1_3repE0EEENS1_30default_config_static_selectorELNS0_4arch9wavefront6targetE1EEEvSY_.numbered_sgpr, 0
	.set _ZN7rocprim17ROCPRIM_400000_NS6detail17trampoline_kernelINS0_14default_configENS1_27lower_bound_config_selectorIflEEZNS1_14transform_implILb0ES3_S5_N6thrust23THRUST_200600_302600_NS6detail15normal_iteratorINS8_7pointerIfNS8_11hip_rocprim9par_det_tENS8_11use_defaultESE_EEEENSA_INSB_IlSD_SE_SE_EEEEZNS1_13binary_searchIS3_S5_NSA_INS8_10device_ptrIfEEEESG_SI_NS1_21lower_bound_search_opENS9_16wrapped_functionINS8_6system6detail7generic6detail18binary_search_lessEbEEEE10hipError_tPvRmT1_T2_T3_mmT4_T5_P12ihipStream_tbEUlRKfE_EESV_SZ_S10_mS11_S14_bEUlT_E_NS1_11comp_targetILNS1_3genE4ELNS1_11target_archE910ELNS1_3gpuE8ELNS1_3repE0EEENS1_30default_config_static_selectorELNS0_4arch9wavefront6targetE1EEEvSY_.num_named_barrier, 0
	.set _ZN7rocprim17ROCPRIM_400000_NS6detail17trampoline_kernelINS0_14default_configENS1_27lower_bound_config_selectorIflEEZNS1_14transform_implILb0ES3_S5_N6thrust23THRUST_200600_302600_NS6detail15normal_iteratorINS8_7pointerIfNS8_11hip_rocprim9par_det_tENS8_11use_defaultESE_EEEENSA_INSB_IlSD_SE_SE_EEEEZNS1_13binary_searchIS3_S5_NSA_INS8_10device_ptrIfEEEESG_SI_NS1_21lower_bound_search_opENS9_16wrapped_functionINS8_6system6detail7generic6detail18binary_search_lessEbEEEE10hipError_tPvRmT1_T2_T3_mmT4_T5_P12ihipStream_tbEUlRKfE_EESV_SZ_S10_mS11_S14_bEUlT_E_NS1_11comp_targetILNS1_3genE4ELNS1_11target_archE910ELNS1_3gpuE8ELNS1_3repE0EEENS1_30default_config_static_selectorELNS0_4arch9wavefront6targetE1EEEvSY_.private_seg_size, 0
	.set _ZN7rocprim17ROCPRIM_400000_NS6detail17trampoline_kernelINS0_14default_configENS1_27lower_bound_config_selectorIflEEZNS1_14transform_implILb0ES3_S5_N6thrust23THRUST_200600_302600_NS6detail15normal_iteratorINS8_7pointerIfNS8_11hip_rocprim9par_det_tENS8_11use_defaultESE_EEEENSA_INSB_IlSD_SE_SE_EEEEZNS1_13binary_searchIS3_S5_NSA_INS8_10device_ptrIfEEEESG_SI_NS1_21lower_bound_search_opENS9_16wrapped_functionINS8_6system6detail7generic6detail18binary_search_lessEbEEEE10hipError_tPvRmT1_T2_T3_mmT4_T5_P12ihipStream_tbEUlRKfE_EESV_SZ_S10_mS11_S14_bEUlT_E_NS1_11comp_targetILNS1_3genE4ELNS1_11target_archE910ELNS1_3gpuE8ELNS1_3repE0EEENS1_30default_config_static_selectorELNS0_4arch9wavefront6targetE1EEEvSY_.uses_vcc, 0
	.set _ZN7rocprim17ROCPRIM_400000_NS6detail17trampoline_kernelINS0_14default_configENS1_27lower_bound_config_selectorIflEEZNS1_14transform_implILb0ES3_S5_N6thrust23THRUST_200600_302600_NS6detail15normal_iteratorINS8_7pointerIfNS8_11hip_rocprim9par_det_tENS8_11use_defaultESE_EEEENSA_INSB_IlSD_SE_SE_EEEEZNS1_13binary_searchIS3_S5_NSA_INS8_10device_ptrIfEEEESG_SI_NS1_21lower_bound_search_opENS9_16wrapped_functionINS8_6system6detail7generic6detail18binary_search_lessEbEEEE10hipError_tPvRmT1_T2_T3_mmT4_T5_P12ihipStream_tbEUlRKfE_EESV_SZ_S10_mS11_S14_bEUlT_E_NS1_11comp_targetILNS1_3genE4ELNS1_11target_archE910ELNS1_3gpuE8ELNS1_3repE0EEENS1_30default_config_static_selectorELNS0_4arch9wavefront6targetE1EEEvSY_.uses_flat_scratch, 0
	.set _ZN7rocprim17ROCPRIM_400000_NS6detail17trampoline_kernelINS0_14default_configENS1_27lower_bound_config_selectorIflEEZNS1_14transform_implILb0ES3_S5_N6thrust23THRUST_200600_302600_NS6detail15normal_iteratorINS8_7pointerIfNS8_11hip_rocprim9par_det_tENS8_11use_defaultESE_EEEENSA_INSB_IlSD_SE_SE_EEEEZNS1_13binary_searchIS3_S5_NSA_INS8_10device_ptrIfEEEESG_SI_NS1_21lower_bound_search_opENS9_16wrapped_functionINS8_6system6detail7generic6detail18binary_search_lessEbEEEE10hipError_tPvRmT1_T2_T3_mmT4_T5_P12ihipStream_tbEUlRKfE_EESV_SZ_S10_mS11_S14_bEUlT_E_NS1_11comp_targetILNS1_3genE4ELNS1_11target_archE910ELNS1_3gpuE8ELNS1_3repE0EEENS1_30default_config_static_selectorELNS0_4arch9wavefront6targetE1EEEvSY_.has_dyn_sized_stack, 0
	.set _ZN7rocprim17ROCPRIM_400000_NS6detail17trampoline_kernelINS0_14default_configENS1_27lower_bound_config_selectorIflEEZNS1_14transform_implILb0ES3_S5_N6thrust23THRUST_200600_302600_NS6detail15normal_iteratorINS8_7pointerIfNS8_11hip_rocprim9par_det_tENS8_11use_defaultESE_EEEENSA_INSB_IlSD_SE_SE_EEEEZNS1_13binary_searchIS3_S5_NSA_INS8_10device_ptrIfEEEESG_SI_NS1_21lower_bound_search_opENS9_16wrapped_functionINS8_6system6detail7generic6detail18binary_search_lessEbEEEE10hipError_tPvRmT1_T2_T3_mmT4_T5_P12ihipStream_tbEUlRKfE_EESV_SZ_S10_mS11_S14_bEUlT_E_NS1_11comp_targetILNS1_3genE4ELNS1_11target_archE910ELNS1_3gpuE8ELNS1_3repE0EEENS1_30default_config_static_selectorELNS0_4arch9wavefront6targetE1EEEvSY_.has_recursion, 0
	.set _ZN7rocprim17ROCPRIM_400000_NS6detail17trampoline_kernelINS0_14default_configENS1_27lower_bound_config_selectorIflEEZNS1_14transform_implILb0ES3_S5_N6thrust23THRUST_200600_302600_NS6detail15normal_iteratorINS8_7pointerIfNS8_11hip_rocprim9par_det_tENS8_11use_defaultESE_EEEENSA_INSB_IlSD_SE_SE_EEEEZNS1_13binary_searchIS3_S5_NSA_INS8_10device_ptrIfEEEESG_SI_NS1_21lower_bound_search_opENS9_16wrapped_functionINS8_6system6detail7generic6detail18binary_search_lessEbEEEE10hipError_tPvRmT1_T2_T3_mmT4_T5_P12ihipStream_tbEUlRKfE_EESV_SZ_S10_mS11_S14_bEUlT_E_NS1_11comp_targetILNS1_3genE4ELNS1_11target_archE910ELNS1_3gpuE8ELNS1_3repE0EEENS1_30default_config_static_selectorELNS0_4arch9wavefront6targetE1EEEvSY_.has_indirect_call, 0
	.section	.AMDGPU.csdata,"",@progbits
; Kernel info:
; codeLenInByte = 0
; TotalNumSgprs: 4
; NumVgprs: 0
; ScratchSize: 0
; MemoryBound: 0
; FloatMode: 240
; IeeeMode: 1
; LDSByteSize: 0 bytes/workgroup (compile time only)
; SGPRBlocks: 0
; VGPRBlocks: 0
; NumSGPRsForWavesPerEU: 4
; NumVGPRsForWavesPerEU: 1
; Occupancy: 10
; WaveLimiterHint : 0
; COMPUTE_PGM_RSRC2:SCRATCH_EN: 0
; COMPUTE_PGM_RSRC2:USER_SGPR: 6
; COMPUTE_PGM_RSRC2:TRAP_HANDLER: 0
; COMPUTE_PGM_RSRC2:TGID_X_EN: 1
; COMPUTE_PGM_RSRC2:TGID_Y_EN: 0
; COMPUTE_PGM_RSRC2:TGID_Z_EN: 0
; COMPUTE_PGM_RSRC2:TIDIG_COMP_CNT: 0
	.section	.text._ZN7rocprim17ROCPRIM_400000_NS6detail17trampoline_kernelINS0_14default_configENS1_27lower_bound_config_selectorIflEEZNS1_14transform_implILb0ES3_S5_N6thrust23THRUST_200600_302600_NS6detail15normal_iteratorINS8_7pointerIfNS8_11hip_rocprim9par_det_tENS8_11use_defaultESE_EEEENSA_INSB_IlSD_SE_SE_EEEEZNS1_13binary_searchIS3_S5_NSA_INS8_10device_ptrIfEEEESG_SI_NS1_21lower_bound_search_opENS9_16wrapped_functionINS8_6system6detail7generic6detail18binary_search_lessEbEEEE10hipError_tPvRmT1_T2_T3_mmT4_T5_P12ihipStream_tbEUlRKfE_EESV_SZ_S10_mS11_S14_bEUlT_E_NS1_11comp_targetILNS1_3genE3ELNS1_11target_archE908ELNS1_3gpuE7ELNS1_3repE0EEENS1_30default_config_static_selectorELNS0_4arch9wavefront6targetE1EEEvSY_,"axG",@progbits,_ZN7rocprim17ROCPRIM_400000_NS6detail17trampoline_kernelINS0_14default_configENS1_27lower_bound_config_selectorIflEEZNS1_14transform_implILb0ES3_S5_N6thrust23THRUST_200600_302600_NS6detail15normal_iteratorINS8_7pointerIfNS8_11hip_rocprim9par_det_tENS8_11use_defaultESE_EEEENSA_INSB_IlSD_SE_SE_EEEEZNS1_13binary_searchIS3_S5_NSA_INS8_10device_ptrIfEEEESG_SI_NS1_21lower_bound_search_opENS9_16wrapped_functionINS8_6system6detail7generic6detail18binary_search_lessEbEEEE10hipError_tPvRmT1_T2_T3_mmT4_T5_P12ihipStream_tbEUlRKfE_EESV_SZ_S10_mS11_S14_bEUlT_E_NS1_11comp_targetILNS1_3genE3ELNS1_11target_archE908ELNS1_3gpuE7ELNS1_3repE0EEENS1_30default_config_static_selectorELNS0_4arch9wavefront6targetE1EEEvSY_,comdat
	.protected	_ZN7rocprim17ROCPRIM_400000_NS6detail17trampoline_kernelINS0_14default_configENS1_27lower_bound_config_selectorIflEEZNS1_14transform_implILb0ES3_S5_N6thrust23THRUST_200600_302600_NS6detail15normal_iteratorINS8_7pointerIfNS8_11hip_rocprim9par_det_tENS8_11use_defaultESE_EEEENSA_INSB_IlSD_SE_SE_EEEEZNS1_13binary_searchIS3_S5_NSA_INS8_10device_ptrIfEEEESG_SI_NS1_21lower_bound_search_opENS9_16wrapped_functionINS8_6system6detail7generic6detail18binary_search_lessEbEEEE10hipError_tPvRmT1_T2_T3_mmT4_T5_P12ihipStream_tbEUlRKfE_EESV_SZ_S10_mS11_S14_bEUlT_E_NS1_11comp_targetILNS1_3genE3ELNS1_11target_archE908ELNS1_3gpuE7ELNS1_3repE0EEENS1_30default_config_static_selectorELNS0_4arch9wavefront6targetE1EEEvSY_ ; -- Begin function _ZN7rocprim17ROCPRIM_400000_NS6detail17trampoline_kernelINS0_14default_configENS1_27lower_bound_config_selectorIflEEZNS1_14transform_implILb0ES3_S5_N6thrust23THRUST_200600_302600_NS6detail15normal_iteratorINS8_7pointerIfNS8_11hip_rocprim9par_det_tENS8_11use_defaultESE_EEEENSA_INSB_IlSD_SE_SE_EEEEZNS1_13binary_searchIS3_S5_NSA_INS8_10device_ptrIfEEEESG_SI_NS1_21lower_bound_search_opENS9_16wrapped_functionINS8_6system6detail7generic6detail18binary_search_lessEbEEEE10hipError_tPvRmT1_T2_T3_mmT4_T5_P12ihipStream_tbEUlRKfE_EESV_SZ_S10_mS11_S14_bEUlT_E_NS1_11comp_targetILNS1_3genE3ELNS1_11target_archE908ELNS1_3gpuE7ELNS1_3repE0EEENS1_30default_config_static_selectorELNS0_4arch9wavefront6targetE1EEEvSY_
	.globl	_ZN7rocprim17ROCPRIM_400000_NS6detail17trampoline_kernelINS0_14default_configENS1_27lower_bound_config_selectorIflEEZNS1_14transform_implILb0ES3_S5_N6thrust23THRUST_200600_302600_NS6detail15normal_iteratorINS8_7pointerIfNS8_11hip_rocprim9par_det_tENS8_11use_defaultESE_EEEENSA_INSB_IlSD_SE_SE_EEEEZNS1_13binary_searchIS3_S5_NSA_INS8_10device_ptrIfEEEESG_SI_NS1_21lower_bound_search_opENS9_16wrapped_functionINS8_6system6detail7generic6detail18binary_search_lessEbEEEE10hipError_tPvRmT1_T2_T3_mmT4_T5_P12ihipStream_tbEUlRKfE_EESV_SZ_S10_mS11_S14_bEUlT_E_NS1_11comp_targetILNS1_3genE3ELNS1_11target_archE908ELNS1_3gpuE7ELNS1_3repE0EEENS1_30default_config_static_selectorELNS0_4arch9wavefront6targetE1EEEvSY_
	.p2align	8
	.type	_ZN7rocprim17ROCPRIM_400000_NS6detail17trampoline_kernelINS0_14default_configENS1_27lower_bound_config_selectorIflEEZNS1_14transform_implILb0ES3_S5_N6thrust23THRUST_200600_302600_NS6detail15normal_iteratorINS8_7pointerIfNS8_11hip_rocprim9par_det_tENS8_11use_defaultESE_EEEENSA_INSB_IlSD_SE_SE_EEEEZNS1_13binary_searchIS3_S5_NSA_INS8_10device_ptrIfEEEESG_SI_NS1_21lower_bound_search_opENS9_16wrapped_functionINS8_6system6detail7generic6detail18binary_search_lessEbEEEE10hipError_tPvRmT1_T2_T3_mmT4_T5_P12ihipStream_tbEUlRKfE_EESV_SZ_S10_mS11_S14_bEUlT_E_NS1_11comp_targetILNS1_3genE3ELNS1_11target_archE908ELNS1_3gpuE7ELNS1_3repE0EEENS1_30default_config_static_selectorELNS0_4arch9wavefront6targetE1EEEvSY_,@function
_ZN7rocprim17ROCPRIM_400000_NS6detail17trampoline_kernelINS0_14default_configENS1_27lower_bound_config_selectorIflEEZNS1_14transform_implILb0ES3_S5_N6thrust23THRUST_200600_302600_NS6detail15normal_iteratorINS8_7pointerIfNS8_11hip_rocprim9par_det_tENS8_11use_defaultESE_EEEENSA_INSB_IlSD_SE_SE_EEEEZNS1_13binary_searchIS3_S5_NSA_INS8_10device_ptrIfEEEESG_SI_NS1_21lower_bound_search_opENS9_16wrapped_functionINS8_6system6detail7generic6detail18binary_search_lessEbEEEE10hipError_tPvRmT1_T2_T3_mmT4_T5_P12ihipStream_tbEUlRKfE_EESV_SZ_S10_mS11_S14_bEUlT_E_NS1_11comp_targetILNS1_3genE3ELNS1_11target_archE908ELNS1_3gpuE7ELNS1_3repE0EEENS1_30default_config_static_selectorELNS0_4arch9wavefront6targetE1EEEvSY_: ; @_ZN7rocprim17ROCPRIM_400000_NS6detail17trampoline_kernelINS0_14default_configENS1_27lower_bound_config_selectorIflEEZNS1_14transform_implILb0ES3_S5_N6thrust23THRUST_200600_302600_NS6detail15normal_iteratorINS8_7pointerIfNS8_11hip_rocprim9par_det_tENS8_11use_defaultESE_EEEENSA_INSB_IlSD_SE_SE_EEEEZNS1_13binary_searchIS3_S5_NSA_INS8_10device_ptrIfEEEESG_SI_NS1_21lower_bound_search_opENS9_16wrapped_functionINS8_6system6detail7generic6detail18binary_search_lessEbEEEE10hipError_tPvRmT1_T2_T3_mmT4_T5_P12ihipStream_tbEUlRKfE_EESV_SZ_S10_mS11_S14_bEUlT_E_NS1_11comp_targetILNS1_3genE3ELNS1_11target_archE908ELNS1_3gpuE7ELNS1_3repE0EEENS1_30default_config_static_selectorELNS0_4arch9wavefront6targetE1EEEvSY_
; %bb.0:
	.section	.rodata,"a",@progbits
	.p2align	6, 0x0
	.amdhsa_kernel _ZN7rocprim17ROCPRIM_400000_NS6detail17trampoline_kernelINS0_14default_configENS1_27lower_bound_config_selectorIflEEZNS1_14transform_implILb0ES3_S5_N6thrust23THRUST_200600_302600_NS6detail15normal_iteratorINS8_7pointerIfNS8_11hip_rocprim9par_det_tENS8_11use_defaultESE_EEEENSA_INSB_IlSD_SE_SE_EEEEZNS1_13binary_searchIS3_S5_NSA_INS8_10device_ptrIfEEEESG_SI_NS1_21lower_bound_search_opENS9_16wrapped_functionINS8_6system6detail7generic6detail18binary_search_lessEbEEEE10hipError_tPvRmT1_T2_T3_mmT4_T5_P12ihipStream_tbEUlRKfE_EESV_SZ_S10_mS11_S14_bEUlT_E_NS1_11comp_targetILNS1_3genE3ELNS1_11target_archE908ELNS1_3gpuE7ELNS1_3repE0EEENS1_30default_config_static_selectorELNS0_4arch9wavefront6targetE1EEEvSY_
		.amdhsa_group_segment_fixed_size 0
		.amdhsa_private_segment_fixed_size 0
		.amdhsa_kernarg_size 56
		.amdhsa_user_sgpr_count 6
		.amdhsa_user_sgpr_private_segment_buffer 1
		.amdhsa_user_sgpr_dispatch_ptr 0
		.amdhsa_user_sgpr_queue_ptr 0
		.amdhsa_user_sgpr_kernarg_segment_ptr 1
		.amdhsa_user_sgpr_dispatch_id 0
		.amdhsa_user_sgpr_flat_scratch_init 0
		.amdhsa_user_sgpr_private_segment_size 0
		.amdhsa_uses_dynamic_stack 0
		.amdhsa_system_sgpr_private_segment_wavefront_offset 0
		.amdhsa_system_sgpr_workgroup_id_x 1
		.amdhsa_system_sgpr_workgroup_id_y 0
		.amdhsa_system_sgpr_workgroup_id_z 0
		.amdhsa_system_sgpr_workgroup_info 0
		.amdhsa_system_vgpr_workitem_id 0
		.amdhsa_next_free_vgpr 1
		.amdhsa_next_free_sgpr 0
		.amdhsa_reserve_vcc 0
		.amdhsa_reserve_flat_scratch 0
		.amdhsa_float_round_mode_32 0
		.amdhsa_float_round_mode_16_64 0
		.amdhsa_float_denorm_mode_32 3
		.amdhsa_float_denorm_mode_16_64 3
		.amdhsa_dx10_clamp 1
		.amdhsa_ieee_mode 1
		.amdhsa_fp16_overflow 0
		.amdhsa_exception_fp_ieee_invalid_op 0
		.amdhsa_exception_fp_denorm_src 0
		.amdhsa_exception_fp_ieee_div_zero 0
		.amdhsa_exception_fp_ieee_overflow 0
		.amdhsa_exception_fp_ieee_underflow 0
		.amdhsa_exception_fp_ieee_inexact 0
		.amdhsa_exception_int_div_zero 0
	.end_amdhsa_kernel
	.section	.text._ZN7rocprim17ROCPRIM_400000_NS6detail17trampoline_kernelINS0_14default_configENS1_27lower_bound_config_selectorIflEEZNS1_14transform_implILb0ES3_S5_N6thrust23THRUST_200600_302600_NS6detail15normal_iteratorINS8_7pointerIfNS8_11hip_rocprim9par_det_tENS8_11use_defaultESE_EEEENSA_INSB_IlSD_SE_SE_EEEEZNS1_13binary_searchIS3_S5_NSA_INS8_10device_ptrIfEEEESG_SI_NS1_21lower_bound_search_opENS9_16wrapped_functionINS8_6system6detail7generic6detail18binary_search_lessEbEEEE10hipError_tPvRmT1_T2_T3_mmT4_T5_P12ihipStream_tbEUlRKfE_EESV_SZ_S10_mS11_S14_bEUlT_E_NS1_11comp_targetILNS1_3genE3ELNS1_11target_archE908ELNS1_3gpuE7ELNS1_3repE0EEENS1_30default_config_static_selectorELNS0_4arch9wavefront6targetE1EEEvSY_,"axG",@progbits,_ZN7rocprim17ROCPRIM_400000_NS6detail17trampoline_kernelINS0_14default_configENS1_27lower_bound_config_selectorIflEEZNS1_14transform_implILb0ES3_S5_N6thrust23THRUST_200600_302600_NS6detail15normal_iteratorINS8_7pointerIfNS8_11hip_rocprim9par_det_tENS8_11use_defaultESE_EEEENSA_INSB_IlSD_SE_SE_EEEEZNS1_13binary_searchIS3_S5_NSA_INS8_10device_ptrIfEEEESG_SI_NS1_21lower_bound_search_opENS9_16wrapped_functionINS8_6system6detail7generic6detail18binary_search_lessEbEEEE10hipError_tPvRmT1_T2_T3_mmT4_T5_P12ihipStream_tbEUlRKfE_EESV_SZ_S10_mS11_S14_bEUlT_E_NS1_11comp_targetILNS1_3genE3ELNS1_11target_archE908ELNS1_3gpuE7ELNS1_3repE0EEENS1_30default_config_static_selectorELNS0_4arch9wavefront6targetE1EEEvSY_,comdat
.Lfunc_end343:
	.size	_ZN7rocprim17ROCPRIM_400000_NS6detail17trampoline_kernelINS0_14default_configENS1_27lower_bound_config_selectorIflEEZNS1_14transform_implILb0ES3_S5_N6thrust23THRUST_200600_302600_NS6detail15normal_iteratorINS8_7pointerIfNS8_11hip_rocprim9par_det_tENS8_11use_defaultESE_EEEENSA_INSB_IlSD_SE_SE_EEEEZNS1_13binary_searchIS3_S5_NSA_INS8_10device_ptrIfEEEESG_SI_NS1_21lower_bound_search_opENS9_16wrapped_functionINS8_6system6detail7generic6detail18binary_search_lessEbEEEE10hipError_tPvRmT1_T2_T3_mmT4_T5_P12ihipStream_tbEUlRKfE_EESV_SZ_S10_mS11_S14_bEUlT_E_NS1_11comp_targetILNS1_3genE3ELNS1_11target_archE908ELNS1_3gpuE7ELNS1_3repE0EEENS1_30default_config_static_selectorELNS0_4arch9wavefront6targetE1EEEvSY_, .Lfunc_end343-_ZN7rocprim17ROCPRIM_400000_NS6detail17trampoline_kernelINS0_14default_configENS1_27lower_bound_config_selectorIflEEZNS1_14transform_implILb0ES3_S5_N6thrust23THRUST_200600_302600_NS6detail15normal_iteratorINS8_7pointerIfNS8_11hip_rocprim9par_det_tENS8_11use_defaultESE_EEEENSA_INSB_IlSD_SE_SE_EEEEZNS1_13binary_searchIS3_S5_NSA_INS8_10device_ptrIfEEEESG_SI_NS1_21lower_bound_search_opENS9_16wrapped_functionINS8_6system6detail7generic6detail18binary_search_lessEbEEEE10hipError_tPvRmT1_T2_T3_mmT4_T5_P12ihipStream_tbEUlRKfE_EESV_SZ_S10_mS11_S14_bEUlT_E_NS1_11comp_targetILNS1_3genE3ELNS1_11target_archE908ELNS1_3gpuE7ELNS1_3repE0EEENS1_30default_config_static_selectorELNS0_4arch9wavefront6targetE1EEEvSY_
                                        ; -- End function
	.set _ZN7rocprim17ROCPRIM_400000_NS6detail17trampoline_kernelINS0_14default_configENS1_27lower_bound_config_selectorIflEEZNS1_14transform_implILb0ES3_S5_N6thrust23THRUST_200600_302600_NS6detail15normal_iteratorINS8_7pointerIfNS8_11hip_rocprim9par_det_tENS8_11use_defaultESE_EEEENSA_INSB_IlSD_SE_SE_EEEEZNS1_13binary_searchIS3_S5_NSA_INS8_10device_ptrIfEEEESG_SI_NS1_21lower_bound_search_opENS9_16wrapped_functionINS8_6system6detail7generic6detail18binary_search_lessEbEEEE10hipError_tPvRmT1_T2_T3_mmT4_T5_P12ihipStream_tbEUlRKfE_EESV_SZ_S10_mS11_S14_bEUlT_E_NS1_11comp_targetILNS1_3genE3ELNS1_11target_archE908ELNS1_3gpuE7ELNS1_3repE0EEENS1_30default_config_static_selectorELNS0_4arch9wavefront6targetE1EEEvSY_.num_vgpr, 0
	.set _ZN7rocprim17ROCPRIM_400000_NS6detail17trampoline_kernelINS0_14default_configENS1_27lower_bound_config_selectorIflEEZNS1_14transform_implILb0ES3_S5_N6thrust23THRUST_200600_302600_NS6detail15normal_iteratorINS8_7pointerIfNS8_11hip_rocprim9par_det_tENS8_11use_defaultESE_EEEENSA_INSB_IlSD_SE_SE_EEEEZNS1_13binary_searchIS3_S5_NSA_INS8_10device_ptrIfEEEESG_SI_NS1_21lower_bound_search_opENS9_16wrapped_functionINS8_6system6detail7generic6detail18binary_search_lessEbEEEE10hipError_tPvRmT1_T2_T3_mmT4_T5_P12ihipStream_tbEUlRKfE_EESV_SZ_S10_mS11_S14_bEUlT_E_NS1_11comp_targetILNS1_3genE3ELNS1_11target_archE908ELNS1_3gpuE7ELNS1_3repE0EEENS1_30default_config_static_selectorELNS0_4arch9wavefront6targetE1EEEvSY_.num_agpr, 0
	.set _ZN7rocprim17ROCPRIM_400000_NS6detail17trampoline_kernelINS0_14default_configENS1_27lower_bound_config_selectorIflEEZNS1_14transform_implILb0ES3_S5_N6thrust23THRUST_200600_302600_NS6detail15normal_iteratorINS8_7pointerIfNS8_11hip_rocprim9par_det_tENS8_11use_defaultESE_EEEENSA_INSB_IlSD_SE_SE_EEEEZNS1_13binary_searchIS3_S5_NSA_INS8_10device_ptrIfEEEESG_SI_NS1_21lower_bound_search_opENS9_16wrapped_functionINS8_6system6detail7generic6detail18binary_search_lessEbEEEE10hipError_tPvRmT1_T2_T3_mmT4_T5_P12ihipStream_tbEUlRKfE_EESV_SZ_S10_mS11_S14_bEUlT_E_NS1_11comp_targetILNS1_3genE3ELNS1_11target_archE908ELNS1_3gpuE7ELNS1_3repE0EEENS1_30default_config_static_selectorELNS0_4arch9wavefront6targetE1EEEvSY_.numbered_sgpr, 0
	.set _ZN7rocprim17ROCPRIM_400000_NS6detail17trampoline_kernelINS0_14default_configENS1_27lower_bound_config_selectorIflEEZNS1_14transform_implILb0ES3_S5_N6thrust23THRUST_200600_302600_NS6detail15normal_iteratorINS8_7pointerIfNS8_11hip_rocprim9par_det_tENS8_11use_defaultESE_EEEENSA_INSB_IlSD_SE_SE_EEEEZNS1_13binary_searchIS3_S5_NSA_INS8_10device_ptrIfEEEESG_SI_NS1_21lower_bound_search_opENS9_16wrapped_functionINS8_6system6detail7generic6detail18binary_search_lessEbEEEE10hipError_tPvRmT1_T2_T3_mmT4_T5_P12ihipStream_tbEUlRKfE_EESV_SZ_S10_mS11_S14_bEUlT_E_NS1_11comp_targetILNS1_3genE3ELNS1_11target_archE908ELNS1_3gpuE7ELNS1_3repE0EEENS1_30default_config_static_selectorELNS0_4arch9wavefront6targetE1EEEvSY_.num_named_barrier, 0
	.set _ZN7rocprim17ROCPRIM_400000_NS6detail17trampoline_kernelINS0_14default_configENS1_27lower_bound_config_selectorIflEEZNS1_14transform_implILb0ES3_S5_N6thrust23THRUST_200600_302600_NS6detail15normal_iteratorINS8_7pointerIfNS8_11hip_rocprim9par_det_tENS8_11use_defaultESE_EEEENSA_INSB_IlSD_SE_SE_EEEEZNS1_13binary_searchIS3_S5_NSA_INS8_10device_ptrIfEEEESG_SI_NS1_21lower_bound_search_opENS9_16wrapped_functionINS8_6system6detail7generic6detail18binary_search_lessEbEEEE10hipError_tPvRmT1_T2_T3_mmT4_T5_P12ihipStream_tbEUlRKfE_EESV_SZ_S10_mS11_S14_bEUlT_E_NS1_11comp_targetILNS1_3genE3ELNS1_11target_archE908ELNS1_3gpuE7ELNS1_3repE0EEENS1_30default_config_static_selectorELNS0_4arch9wavefront6targetE1EEEvSY_.private_seg_size, 0
	.set _ZN7rocprim17ROCPRIM_400000_NS6detail17trampoline_kernelINS0_14default_configENS1_27lower_bound_config_selectorIflEEZNS1_14transform_implILb0ES3_S5_N6thrust23THRUST_200600_302600_NS6detail15normal_iteratorINS8_7pointerIfNS8_11hip_rocprim9par_det_tENS8_11use_defaultESE_EEEENSA_INSB_IlSD_SE_SE_EEEEZNS1_13binary_searchIS3_S5_NSA_INS8_10device_ptrIfEEEESG_SI_NS1_21lower_bound_search_opENS9_16wrapped_functionINS8_6system6detail7generic6detail18binary_search_lessEbEEEE10hipError_tPvRmT1_T2_T3_mmT4_T5_P12ihipStream_tbEUlRKfE_EESV_SZ_S10_mS11_S14_bEUlT_E_NS1_11comp_targetILNS1_3genE3ELNS1_11target_archE908ELNS1_3gpuE7ELNS1_3repE0EEENS1_30default_config_static_selectorELNS0_4arch9wavefront6targetE1EEEvSY_.uses_vcc, 0
	.set _ZN7rocprim17ROCPRIM_400000_NS6detail17trampoline_kernelINS0_14default_configENS1_27lower_bound_config_selectorIflEEZNS1_14transform_implILb0ES3_S5_N6thrust23THRUST_200600_302600_NS6detail15normal_iteratorINS8_7pointerIfNS8_11hip_rocprim9par_det_tENS8_11use_defaultESE_EEEENSA_INSB_IlSD_SE_SE_EEEEZNS1_13binary_searchIS3_S5_NSA_INS8_10device_ptrIfEEEESG_SI_NS1_21lower_bound_search_opENS9_16wrapped_functionINS8_6system6detail7generic6detail18binary_search_lessEbEEEE10hipError_tPvRmT1_T2_T3_mmT4_T5_P12ihipStream_tbEUlRKfE_EESV_SZ_S10_mS11_S14_bEUlT_E_NS1_11comp_targetILNS1_3genE3ELNS1_11target_archE908ELNS1_3gpuE7ELNS1_3repE0EEENS1_30default_config_static_selectorELNS0_4arch9wavefront6targetE1EEEvSY_.uses_flat_scratch, 0
	.set _ZN7rocprim17ROCPRIM_400000_NS6detail17trampoline_kernelINS0_14default_configENS1_27lower_bound_config_selectorIflEEZNS1_14transform_implILb0ES3_S5_N6thrust23THRUST_200600_302600_NS6detail15normal_iteratorINS8_7pointerIfNS8_11hip_rocprim9par_det_tENS8_11use_defaultESE_EEEENSA_INSB_IlSD_SE_SE_EEEEZNS1_13binary_searchIS3_S5_NSA_INS8_10device_ptrIfEEEESG_SI_NS1_21lower_bound_search_opENS9_16wrapped_functionINS8_6system6detail7generic6detail18binary_search_lessEbEEEE10hipError_tPvRmT1_T2_T3_mmT4_T5_P12ihipStream_tbEUlRKfE_EESV_SZ_S10_mS11_S14_bEUlT_E_NS1_11comp_targetILNS1_3genE3ELNS1_11target_archE908ELNS1_3gpuE7ELNS1_3repE0EEENS1_30default_config_static_selectorELNS0_4arch9wavefront6targetE1EEEvSY_.has_dyn_sized_stack, 0
	.set _ZN7rocprim17ROCPRIM_400000_NS6detail17trampoline_kernelINS0_14default_configENS1_27lower_bound_config_selectorIflEEZNS1_14transform_implILb0ES3_S5_N6thrust23THRUST_200600_302600_NS6detail15normal_iteratorINS8_7pointerIfNS8_11hip_rocprim9par_det_tENS8_11use_defaultESE_EEEENSA_INSB_IlSD_SE_SE_EEEEZNS1_13binary_searchIS3_S5_NSA_INS8_10device_ptrIfEEEESG_SI_NS1_21lower_bound_search_opENS9_16wrapped_functionINS8_6system6detail7generic6detail18binary_search_lessEbEEEE10hipError_tPvRmT1_T2_T3_mmT4_T5_P12ihipStream_tbEUlRKfE_EESV_SZ_S10_mS11_S14_bEUlT_E_NS1_11comp_targetILNS1_3genE3ELNS1_11target_archE908ELNS1_3gpuE7ELNS1_3repE0EEENS1_30default_config_static_selectorELNS0_4arch9wavefront6targetE1EEEvSY_.has_recursion, 0
	.set _ZN7rocprim17ROCPRIM_400000_NS6detail17trampoline_kernelINS0_14default_configENS1_27lower_bound_config_selectorIflEEZNS1_14transform_implILb0ES3_S5_N6thrust23THRUST_200600_302600_NS6detail15normal_iteratorINS8_7pointerIfNS8_11hip_rocprim9par_det_tENS8_11use_defaultESE_EEEENSA_INSB_IlSD_SE_SE_EEEEZNS1_13binary_searchIS3_S5_NSA_INS8_10device_ptrIfEEEESG_SI_NS1_21lower_bound_search_opENS9_16wrapped_functionINS8_6system6detail7generic6detail18binary_search_lessEbEEEE10hipError_tPvRmT1_T2_T3_mmT4_T5_P12ihipStream_tbEUlRKfE_EESV_SZ_S10_mS11_S14_bEUlT_E_NS1_11comp_targetILNS1_3genE3ELNS1_11target_archE908ELNS1_3gpuE7ELNS1_3repE0EEENS1_30default_config_static_selectorELNS0_4arch9wavefront6targetE1EEEvSY_.has_indirect_call, 0
	.section	.AMDGPU.csdata,"",@progbits
; Kernel info:
; codeLenInByte = 0
; TotalNumSgprs: 4
; NumVgprs: 0
; ScratchSize: 0
; MemoryBound: 0
; FloatMode: 240
; IeeeMode: 1
; LDSByteSize: 0 bytes/workgroup (compile time only)
; SGPRBlocks: 0
; VGPRBlocks: 0
; NumSGPRsForWavesPerEU: 4
; NumVGPRsForWavesPerEU: 1
; Occupancy: 10
; WaveLimiterHint : 0
; COMPUTE_PGM_RSRC2:SCRATCH_EN: 0
; COMPUTE_PGM_RSRC2:USER_SGPR: 6
; COMPUTE_PGM_RSRC2:TRAP_HANDLER: 0
; COMPUTE_PGM_RSRC2:TGID_X_EN: 1
; COMPUTE_PGM_RSRC2:TGID_Y_EN: 0
; COMPUTE_PGM_RSRC2:TGID_Z_EN: 0
; COMPUTE_PGM_RSRC2:TIDIG_COMP_CNT: 0
	.section	.text._ZN7rocprim17ROCPRIM_400000_NS6detail17trampoline_kernelINS0_14default_configENS1_27lower_bound_config_selectorIflEEZNS1_14transform_implILb0ES3_S5_N6thrust23THRUST_200600_302600_NS6detail15normal_iteratorINS8_7pointerIfNS8_11hip_rocprim9par_det_tENS8_11use_defaultESE_EEEENSA_INSB_IlSD_SE_SE_EEEEZNS1_13binary_searchIS3_S5_NSA_INS8_10device_ptrIfEEEESG_SI_NS1_21lower_bound_search_opENS9_16wrapped_functionINS8_6system6detail7generic6detail18binary_search_lessEbEEEE10hipError_tPvRmT1_T2_T3_mmT4_T5_P12ihipStream_tbEUlRKfE_EESV_SZ_S10_mS11_S14_bEUlT_E_NS1_11comp_targetILNS1_3genE2ELNS1_11target_archE906ELNS1_3gpuE6ELNS1_3repE0EEENS1_30default_config_static_selectorELNS0_4arch9wavefront6targetE1EEEvSY_,"axG",@progbits,_ZN7rocprim17ROCPRIM_400000_NS6detail17trampoline_kernelINS0_14default_configENS1_27lower_bound_config_selectorIflEEZNS1_14transform_implILb0ES3_S5_N6thrust23THRUST_200600_302600_NS6detail15normal_iteratorINS8_7pointerIfNS8_11hip_rocprim9par_det_tENS8_11use_defaultESE_EEEENSA_INSB_IlSD_SE_SE_EEEEZNS1_13binary_searchIS3_S5_NSA_INS8_10device_ptrIfEEEESG_SI_NS1_21lower_bound_search_opENS9_16wrapped_functionINS8_6system6detail7generic6detail18binary_search_lessEbEEEE10hipError_tPvRmT1_T2_T3_mmT4_T5_P12ihipStream_tbEUlRKfE_EESV_SZ_S10_mS11_S14_bEUlT_E_NS1_11comp_targetILNS1_3genE2ELNS1_11target_archE906ELNS1_3gpuE6ELNS1_3repE0EEENS1_30default_config_static_selectorELNS0_4arch9wavefront6targetE1EEEvSY_,comdat
	.protected	_ZN7rocprim17ROCPRIM_400000_NS6detail17trampoline_kernelINS0_14default_configENS1_27lower_bound_config_selectorIflEEZNS1_14transform_implILb0ES3_S5_N6thrust23THRUST_200600_302600_NS6detail15normal_iteratorINS8_7pointerIfNS8_11hip_rocprim9par_det_tENS8_11use_defaultESE_EEEENSA_INSB_IlSD_SE_SE_EEEEZNS1_13binary_searchIS3_S5_NSA_INS8_10device_ptrIfEEEESG_SI_NS1_21lower_bound_search_opENS9_16wrapped_functionINS8_6system6detail7generic6detail18binary_search_lessEbEEEE10hipError_tPvRmT1_T2_T3_mmT4_T5_P12ihipStream_tbEUlRKfE_EESV_SZ_S10_mS11_S14_bEUlT_E_NS1_11comp_targetILNS1_3genE2ELNS1_11target_archE906ELNS1_3gpuE6ELNS1_3repE0EEENS1_30default_config_static_selectorELNS0_4arch9wavefront6targetE1EEEvSY_ ; -- Begin function _ZN7rocprim17ROCPRIM_400000_NS6detail17trampoline_kernelINS0_14default_configENS1_27lower_bound_config_selectorIflEEZNS1_14transform_implILb0ES3_S5_N6thrust23THRUST_200600_302600_NS6detail15normal_iteratorINS8_7pointerIfNS8_11hip_rocprim9par_det_tENS8_11use_defaultESE_EEEENSA_INSB_IlSD_SE_SE_EEEEZNS1_13binary_searchIS3_S5_NSA_INS8_10device_ptrIfEEEESG_SI_NS1_21lower_bound_search_opENS9_16wrapped_functionINS8_6system6detail7generic6detail18binary_search_lessEbEEEE10hipError_tPvRmT1_T2_T3_mmT4_T5_P12ihipStream_tbEUlRKfE_EESV_SZ_S10_mS11_S14_bEUlT_E_NS1_11comp_targetILNS1_3genE2ELNS1_11target_archE906ELNS1_3gpuE6ELNS1_3repE0EEENS1_30default_config_static_selectorELNS0_4arch9wavefront6targetE1EEEvSY_
	.globl	_ZN7rocprim17ROCPRIM_400000_NS6detail17trampoline_kernelINS0_14default_configENS1_27lower_bound_config_selectorIflEEZNS1_14transform_implILb0ES3_S5_N6thrust23THRUST_200600_302600_NS6detail15normal_iteratorINS8_7pointerIfNS8_11hip_rocprim9par_det_tENS8_11use_defaultESE_EEEENSA_INSB_IlSD_SE_SE_EEEEZNS1_13binary_searchIS3_S5_NSA_INS8_10device_ptrIfEEEESG_SI_NS1_21lower_bound_search_opENS9_16wrapped_functionINS8_6system6detail7generic6detail18binary_search_lessEbEEEE10hipError_tPvRmT1_T2_T3_mmT4_T5_P12ihipStream_tbEUlRKfE_EESV_SZ_S10_mS11_S14_bEUlT_E_NS1_11comp_targetILNS1_3genE2ELNS1_11target_archE906ELNS1_3gpuE6ELNS1_3repE0EEENS1_30default_config_static_selectorELNS0_4arch9wavefront6targetE1EEEvSY_
	.p2align	8
	.type	_ZN7rocprim17ROCPRIM_400000_NS6detail17trampoline_kernelINS0_14default_configENS1_27lower_bound_config_selectorIflEEZNS1_14transform_implILb0ES3_S5_N6thrust23THRUST_200600_302600_NS6detail15normal_iteratorINS8_7pointerIfNS8_11hip_rocprim9par_det_tENS8_11use_defaultESE_EEEENSA_INSB_IlSD_SE_SE_EEEEZNS1_13binary_searchIS3_S5_NSA_INS8_10device_ptrIfEEEESG_SI_NS1_21lower_bound_search_opENS9_16wrapped_functionINS8_6system6detail7generic6detail18binary_search_lessEbEEEE10hipError_tPvRmT1_T2_T3_mmT4_T5_P12ihipStream_tbEUlRKfE_EESV_SZ_S10_mS11_S14_bEUlT_E_NS1_11comp_targetILNS1_3genE2ELNS1_11target_archE906ELNS1_3gpuE6ELNS1_3repE0EEENS1_30default_config_static_selectorELNS0_4arch9wavefront6targetE1EEEvSY_,@function
_ZN7rocprim17ROCPRIM_400000_NS6detail17trampoline_kernelINS0_14default_configENS1_27lower_bound_config_selectorIflEEZNS1_14transform_implILb0ES3_S5_N6thrust23THRUST_200600_302600_NS6detail15normal_iteratorINS8_7pointerIfNS8_11hip_rocprim9par_det_tENS8_11use_defaultESE_EEEENSA_INSB_IlSD_SE_SE_EEEEZNS1_13binary_searchIS3_S5_NSA_INS8_10device_ptrIfEEEESG_SI_NS1_21lower_bound_search_opENS9_16wrapped_functionINS8_6system6detail7generic6detail18binary_search_lessEbEEEE10hipError_tPvRmT1_T2_T3_mmT4_T5_P12ihipStream_tbEUlRKfE_EESV_SZ_S10_mS11_S14_bEUlT_E_NS1_11comp_targetILNS1_3genE2ELNS1_11target_archE906ELNS1_3gpuE6ELNS1_3repE0EEENS1_30default_config_static_selectorELNS0_4arch9wavefront6targetE1EEEvSY_: ; @_ZN7rocprim17ROCPRIM_400000_NS6detail17trampoline_kernelINS0_14default_configENS1_27lower_bound_config_selectorIflEEZNS1_14transform_implILb0ES3_S5_N6thrust23THRUST_200600_302600_NS6detail15normal_iteratorINS8_7pointerIfNS8_11hip_rocprim9par_det_tENS8_11use_defaultESE_EEEENSA_INSB_IlSD_SE_SE_EEEEZNS1_13binary_searchIS3_S5_NSA_INS8_10device_ptrIfEEEESG_SI_NS1_21lower_bound_search_opENS9_16wrapped_functionINS8_6system6detail7generic6detail18binary_search_lessEbEEEE10hipError_tPvRmT1_T2_T3_mmT4_T5_P12ihipStream_tbEUlRKfE_EESV_SZ_S10_mS11_S14_bEUlT_E_NS1_11comp_targetILNS1_3genE2ELNS1_11target_archE906ELNS1_3gpuE6ELNS1_3repE0EEENS1_30default_config_static_selectorELNS0_4arch9wavefront6targetE1EEEvSY_
; %bb.0:
	s_load_dwordx4 s[16:19], s[4:5], 0x0
	s_load_dwordx4 s[8:11], s[4:5], 0x18
	s_load_dwordx2 s[12:13], s[4:5], 0x28
	s_load_dword s15, s[4:5], 0x38
	s_waitcnt lgkmcnt(0)
	s_lshl_b64 s[0:1], s[18:19], 2
	s_add_u32 s2, s16, s0
	s_addc_u32 s3, s17, s1
	s_lshl_b64 s[0:1], s[18:19], 3
	s_add_u32 s7, s8, s0
	s_addc_u32 s14, s9, s1
	s_lshl_b32 s8, s6, 8
	s_add_i32 s15, s15, -1
	s_mov_b32 s9, 0
	s_cmp_lg_u32 s6, s15
	s_mov_b64 s[0:1], -1
	s_cbranch_scc0 .LBB344_7
; %bb.1:
	s_cmp_eq_u64 s[12:13], 0
	s_mov_b64 s[0:1], 0
	s_cbranch_scc1 .LBB344_5
; %bb.2:
	s_lshl_b64 s[16:17], s[8:9], 2
	s_add_u32 s6, s2, s16
	s_addc_u32 s15, s3, s17
	v_lshlrev_b32_e32 v1, 2, v0
	v_mov_b32_e32 v2, s15
	v_add_co_u32_e32 v1, vcc, s6, v1
	v_addc_co_u32_e32 v2, vcc, 0, v2, vcc
	flat_load_dword v5, v[1:2]
	v_mov_b32_e32 v1, 0
	v_mov_b32_e32 v3, s12
	;; [unrolled: 1-line block ×5, first 2 shown]
.LBB344_3:                              ; =>This Inner Loop Header: Depth=1
	v_sub_co_u32_e32 v7, vcc, v3, v1
	v_subb_co_u32_e32 v8, vcc, v4, v2, vcc
	v_lshrrev_b64 v[9:10], 1, v[7:8]
	v_lshrrev_b64 v[7:8], 6, v[7:8]
	v_add_co_u32_e32 v9, vcc, v9, v1
	v_addc_co_u32_e32 v10, vcc, v10, v2, vcc
	v_add_co_u32_e32 v7, vcc, v9, v7
	v_addc_co_u32_e32 v8, vcc, v10, v8, vcc
	v_lshlrev_b64 v[9:10], 2, v[7:8]
	v_add_co_u32_e32 v9, vcc, s10, v9
	v_addc_co_u32_e32 v10, vcc, v6, v10, vcc
	global_load_dword v9, v[9:10], off
	v_add_co_u32_e32 v10, vcc, 1, v7
	v_addc_co_u32_e32 v11, vcc, 0, v8, vcc
	s_waitcnt vmcnt(0) lgkmcnt(0)
	v_cmp_lt_f32_e32 vcc, v9, v5
	v_cndmask_b32_e32 v4, v8, v4, vcc
	v_cndmask_b32_e32 v3, v7, v3, vcc
	;; [unrolled: 1-line block ×4, first 2 shown]
	v_cmp_ge_u64_e32 vcc, v[1:2], v[3:4]
	s_or_b64 s[0:1], vcc, s[0:1]
	s_andn2_b64 exec, exec, s[0:1]
	s_cbranch_execnz .LBB344_3
; %bb.4:
	s_or_b64 exec, exec, s[0:1]
	s_branch .LBB344_6
.LBB344_5:
	v_mov_b32_e32 v1, 0
	v_mov_b32_e32 v2, 0
.LBB344_6:
	s_lshl_b64 s[0:1], s[8:9], 3
	s_add_u32 s0, s7, s0
	s_addc_u32 s1, s14, s1
	v_lshlrev_b32_e32 v3, 3, v0
	v_mov_b32_e32 v4, s1
	v_add_co_u32_e32 v3, vcc, s0, v3
	v_addc_co_u32_e32 v4, vcc, 0, v4, vcc
	s_mov_b64 s[0:1], 0
	flat_store_dwordx2 v[3:4], v[1:2]
.LBB344_7:
	s_and_b64 vcc, exec, s[0:1]
	s_cbranch_vccz .LBB344_16
; %bb.8:
	s_load_dword s0, s[4:5], 0x10
                                        ; implicit-def: $vgpr5
	s_waitcnt lgkmcnt(0)
	s_sub_i32 s4, s0, s8
	v_cmp_le_u32_e64 s[0:1], s4, v0
	v_cmp_gt_u32_e32 vcc, s4, v0
	s_and_saveexec_b64 s[4:5], vcc
	s_cbranch_execz .LBB344_10
; %bb.9:
	s_lshl_b64 s[16:17], s[8:9], 2
	s_add_u32 s2, s2, s16
	s_addc_u32 s3, s3, s17
	v_lshlrev_b32_e32 v1, 2, v0
	v_mov_b32_e32 v2, s3
	v_add_co_u32_e64 v1, s[2:3], s2, v1
	v_addc_co_u32_e64 v2, s[2:3], 0, v2, s[2:3]
	flat_load_dword v5, v[1:2]
.LBB344_10:
	s_or_b64 exec, exec, s[4:5]
	s_cmp_lg_u64 s[12:13], 0
	s_cselect_b64 s[4:5], -1, 0
	s_xor_b64 s[0:1], s[0:1], -1
	v_mov_b32_e32 v1, 0
	s_mov_b64 s[2:3], 0
	v_mov_b32_e32 v2, 0
	s_and_b64 s[0:1], s[0:1], s[4:5]
	s_and_saveexec_b64 s[4:5], s[0:1]
	s_cbranch_execz .LBB344_14
; %bb.11:
	v_mov_b32_e32 v1, 0
	v_mov_b32_e32 v3, s12
	;; [unrolled: 1-line block ×5, first 2 shown]
.LBB344_12:                             ; =>This Inner Loop Header: Depth=1
	v_sub_co_u32_e64 v7, s[0:1], v3, v1
	v_subb_co_u32_e64 v8, s[0:1], v4, v2, s[0:1]
	v_lshrrev_b64 v[9:10], 1, v[7:8]
	v_lshrrev_b64 v[7:8], 6, v[7:8]
	v_add_co_u32_e64 v9, s[0:1], v9, v1
	v_addc_co_u32_e64 v10, s[0:1], v10, v2, s[0:1]
	v_add_co_u32_e64 v7, s[0:1], v9, v7
	v_addc_co_u32_e64 v8, s[0:1], v10, v8, s[0:1]
	v_lshlrev_b64 v[9:10], 2, v[7:8]
	v_add_co_u32_e64 v9, s[0:1], s10, v9
	v_addc_co_u32_e64 v10, s[0:1], v6, v10, s[0:1]
	global_load_dword v9, v[9:10], off
	v_add_co_u32_e64 v10, s[0:1], 1, v7
	v_addc_co_u32_e64 v11, s[0:1], 0, v8, s[0:1]
	s_waitcnt vmcnt(0) lgkmcnt(0)
	v_cmp_lt_f32_e64 s[0:1], v9, v5
	v_cndmask_b32_e64 v4, v8, v4, s[0:1]
	v_cndmask_b32_e64 v3, v7, v3, s[0:1]
	;; [unrolled: 1-line block ×4, first 2 shown]
	v_cmp_ge_u64_e64 s[0:1], v[1:2], v[3:4]
	s_or_b64 s[2:3], s[0:1], s[2:3]
	s_andn2_b64 exec, exec, s[2:3]
	s_cbranch_execnz .LBB344_12
; %bb.13:
	s_or_b64 exec, exec, s[2:3]
.LBB344_14:
	s_or_b64 exec, exec, s[4:5]
	s_and_saveexec_b64 s[0:1], vcc
	s_cbranch_execz .LBB344_16
; %bb.15:
	s_lshl_b64 s[0:1], s[8:9], 3
	s_add_u32 s0, s7, s0
	s_addc_u32 s1, s14, s1
	v_lshlrev_b32_e32 v0, 3, v0
	v_mov_b32_e32 v4, s1
	v_add_co_u32_e32 v3, vcc, s0, v0
	v_addc_co_u32_e32 v4, vcc, 0, v4, vcc
	flat_store_dwordx2 v[3:4], v[1:2]
.LBB344_16:
	s_endpgm
	.section	.rodata,"a",@progbits
	.p2align	6, 0x0
	.amdhsa_kernel _ZN7rocprim17ROCPRIM_400000_NS6detail17trampoline_kernelINS0_14default_configENS1_27lower_bound_config_selectorIflEEZNS1_14transform_implILb0ES3_S5_N6thrust23THRUST_200600_302600_NS6detail15normal_iteratorINS8_7pointerIfNS8_11hip_rocprim9par_det_tENS8_11use_defaultESE_EEEENSA_INSB_IlSD_SE_SE_EEEEZNS1_13binary_searchIS3_S5_NSA_INS8_10device_ptrIfEEEESG_SI_NS1_21lower_bound_search_opENS9_16wrapped_functionINS8_6system6detail7generic6detail18binary_search_lessEbEEEE10hipError_tPvRmT1_T2_T3_mmT4_T5_P12ihipStream_tbEUlRKfE_EESV_SZ_S10_mS11_S14_bEUlT_E_NS1_11comp_targetILNS1_3genE2ELNS1_11target_archE906ELNS1_3gpuE6ELNS1_3repE0EEENS1_30default_config_static_selectorELNS0_4arch9wavefront6targetE1EEEvSY_
		.amdhsa_group_segment_fixed_size 0
		.amdhsa_private_segment_fixed_size 0
		.amdhsa_kernarg_size 312
		.amdhsa_user_sgpr_count 6
		.amdhsa_user_sgpr_private_segment_buffer 1
		.amdhsa_user_sgpr_dispatch_ptr 0
		.amdhsa_user_sgpr_queue_ptr 0
		.amdhsa_user_sgpr_kernarg_segment_ptr 1
		.amdhsa_user_sgpr_dispatch_id 0
		.amdhsa_user_sgpr_flat_scratch_init 0
		.amdhsa_user_sgpr_private_segment_size 0
		.amdhsa_uses_dynamic_stack 0
		.amdhsa_system_sgpr_private_segment_wavefront_offset 0
		.amdhsa_system_sgpr_workgroup_id_x 1
		.amdhsa_system_sgpr_workgroup_id_y 0
		.amdhsa_system_sgpr_workgroup_id_z 0
		.amdhsa_system_sgpr_workgroup_info 0
		.amdhsa_system_vgpr_workitem_id 0
		.amdhsa_next_free_vgpr 12
		.amdhsa_next_free_sgpr 20
		.amdhsa_reserve_vcc 1
		.amdhsa_reserve_flat_scratch 0
		.amdhsa_float_round_mode_32 0
		.amdhsa_float_round_mode_16_64 0
		.amdhsa_float_denorm_mode_32 3
		.amdhsa_float_denorm_mode_16_64 3
		.amdhsa_dx10_clamp 1
		.amdhsa_ieee_mode 1
		.amdhsa_fp16_overflow 0
		.amdhsa_exception_fp_ieee_invalid_op 0
		.amdhsa_exception_fp_denorm_src 0
		.amdhsa_exception_fp_ieee_div_zero 0
		.amdhsa_exception_fp_ieee_overflow 0
		.amdhsa_exception_fp_ieee_underflow 0
		.amdhsa_exception_fp_ieee_inexact 0
		.amdhsa_exception_int_div_zero 0
	.end_amdhsa_kernel
	.section	.text._ZN7rocprim17ROCPRIM_400000_NS6detail17trampoline_kernelINS0_14default_configENS1_27lower_bound_config_selectorIflEEZNS1_14transform_implILb0ES3_S5_N6thrust23THRUST_200600_302600_NS6detail15normal_iteratorINS8_7pointerIfNS8_11hip_rocprim9par_det_tENS8_11use_defaultESE_EEEENSA_INSB_IlSD_SE_SE_EEEEZNS1_13binary_searchIS3_S5_NSA_INS8_10device_ptrIfEEEESG_SI_NS1_21lower_bound_search_opENS9_16wrapped_functionINS8_6system6detail7generic6detail18binary_search_lessEbEEEE10hipError_tPvRmT1_T2_T3_mmT4_T5_P12ihipStream_tbEUlRKfE_EESV_SZ_S10_mS11_S14_bEUlT_E_NS1_11comp_targetILNS1_3genE2ELNS1_11target_archE906ELNS1_3gpuE6ELNS1_3repE0EEENS1_30default_config_static_selectorELNS0_4arch9wavefront6targetE1EEEvSY_,"axG",@progbits,_ZN7rocprim17ROCPRIM_400000_NS6detail17trampoline_kernelINS0_14default_configENS1_27lower_bound_config_selectorIflEEZNS1_14transform_implILb0ES3_S5_N6thrust23THRUST_200600_302600_NS6detail15normal_iteratorINS8_7pointerIfNS8_11hip_rocprim9par_det_tENS8_11use_defaultESE_EEEENSA_INSB_IlSD_SE_SE_EEEEZNS1_13binary_searchIS3_S5_NSA_INS8_10device_ptrIfEEEESG_SI_NS1_21lower_bound_search_opENS9_16wrapped_functionINS8_6system6detail7generic6detail18binary_search_lessEbEEEE10hipError_tPvRmT1_T2_T3_mmT4_T5_P12ihipStream_tbEUlRKfE_EESV_SZ_S10_mS11_S14_bEUlT_E_NS1_11comp_targetILNS1_3genE2ELNS1_11target_archE906ELNS1_3gpuE6ELNS1_3repE0EEENS1_30default_config_static_selectorELNS0_4arch9wavefront6targetE1EEEvSY_,comdat
.Lfunc_end344:
	.size	_ZN7rocprim17ROCPRIM_400000_NS6detail17trampoline_kernelINS0_14default_configENS1_27lower_bound_config_selectorIflEEZNS1_14transform_implILb0ES3_S5_N6thrust23THRUST_200600_302600_NS6detail15normal_iteratorINS8_7pointerIfNS8_11hip_rocprim9par_det_tENS8_11use_defaultESE_EEEENSA_INSB_IlSD_SE_SE_EEEEZNS1_13binary_searchIS3_S5_NSA_INS8_10device_ptrIfEEEESG_SI_NS1_21lower_bound_search_opENS9_16wrapped_functionINS8_6system6detail7generic6detail18binary_search_lessEbEEEE10hipError_tPvRmT1_T2_T3_mmT4_T5_P12ihipStream_tbEUlRKfE_EESV_SZ_S10_mS11_S14_bEUlT_E_NS1_11comp_targetILNS1_3genE2ELNS1_11target_archE906ELNS1_3gpuE6ELNS1_3repE0EEENS1_30default_config_static_selectorELNS0_4arch9wavefront6targetE1EEEvSY_, .Lfunc_end344-_ZN7rocprim17ROCPRIM_400000_NS6detail17trampoline_kernelINS0_14default_configENS1_27lower_bound_config_selectorIflEEZNS1_14transform_implILb0ES3_S5_N6thrust23THRUST_200600_302600_NS6detail15normal_iteratorINS8_7pointerIfNS8_11hip_rocprim9par_det_tENS8_11use_defaultESE_EEEENSA_INSB_IlSD_SE_SE_EEEEZNS1_13binary_searchIS3_S5_NSA_INS8_10device_ptrIfEEEESG_SI_NS1_21lower_bound_search_opENS9_16wrapped_functionINS8_6system6detail7generic6detail18binary_search_lessEbEEEE10hipError_tPvRmT1_T2_T3_mmT4_T5_P12ihipStream_tbEUlRKfE_EESV_SZ_S10_mS11_S14_bEUlT_E_NS1_11comp_targetILNS1_3genE2ELNS1_11target_archE906ELNS1_3gpuE6ELNS1_3repE0EEENS1_30default_config_static_selectorELNS0_4arch9wavefront6targetE1EEEvSY_
                                        ; -- End function
	.set _ZN7rocprim17ROCPRIM_400000_NS6detail17trampoline_kernelINS0_14default_configENS1_27lower_bound_config_selectorIflEEZNS1_14transform_implILb0ES3_S5_N6thrust23THRUST_200600_302600_NS6detail15normal_iteratorINS8_7pointerIfNS8_11hip_rocprim9par_det_tENS8_11use_defaultESE_EEEENSA_INSB_IlSD_SE_SE_EEEEZNS1_13binary_searchIS3_S5_NSA_INS8_10device_ptrIfEEEESG_SI_NS1_21lower_bound_search_opENS9_16wrapped_functionINS8_6system6detail7generic6detail18binary_search_lessEbEEEE10hipError_tPvRmT1_T2_T3_mmT4_T5_P12ihipStream_tbEUlRKfE_EESV_SZ_S10_mS11_S14_bEUlT_E_NS1_11comp_targetILNS1_3genE2ELNS1_11target_archE906ELNS1_3gpuE6ELNS1_3repE0EEENS1_30default_config_static_selectorELNS0_4arch9wavefront6targetE1EEEvSY_.num_vgpr, 12
	.set _ZN7rocprim17ROCPRIM_400000_NS6detail17trampoline_kernelINS0_14default_configENS1_27lower_bound_config_selectorIflEEZNS1_14transform_implILb0ES3_S5_N6thrust23THRUST_200600_302600_NS6detail15normal_iteratorINS8_7pointerIfNS8_11hip_rocprim9par_det_tENS8_11use_defaultESE_EEEENSA_INSB_IlSD_SE_SE_EEEEZNS1_13binary_searchIS3_S5_NSA_INS8_10device_ptrIfEEEESG_SI_NS1_21lower_bound_search_opENS9_16wrapped_functionINS8_6system6detail7generic6detail18binary_search_lessEbEEEE10hipError_tPvRmT1_T2_T3_mmT4_T5_P12ihipStream_tbEUlRKfE_EESV_SZ_S10_mS11_S14_bEUlT_E_NS1_11comp_targetILNS1_3genE2ELNS1_11target_archE906ELNS1_3gpuE6ELNS1_3repE0EEENS1_30default_config_static_selectorELNS0_4arch9wavefront6targetE1EEEvSY_.num_agpr, 0
	.set _ZN7rocprim17ROCPRIM_400000_NS6detail17trampoline_kernelINS0_14default_configENS1_27lower_bound_config_selectorIflEEZNS1_14transform_implILb0ES3_S5_N6thrust23THRUST_200600_302600_NS6detail15normal_iteratorINS8_7pointerIfNS8_11hip_rocprim9par_det_tENS8_11use_defaultESE_EEEENSA_INSB_IlSD_SE_SE_EEEEZNS1_13binary_searchIS3_S5_NSA_INS8_10device_ptrIfEEEESG_SI_NS1_21lower_bound_search_opENS9_16wrapped_functionINS8_6system6detail7generic6detail18binary_search_lessEbEEEE10hipError_tPvRmT1_T2_T3_mmT4_T5_P12ihipStream_tbEUlRKfE_EESV_SZ_S10_mS11_S14_bEUlT_E_NS1_11comp_targetILNS1_3genE2ELNS1_11target_archE906ELNS1_3gpuE6ELNS1_3repE0EEENS1_30default_config_static_selectorELNS0_4arch9wavefront6targetE1EEEvSY_.numbered_sgpr, 20
	.set _ZN7rocprim17ROCPRIM_400000_NS6detail17trampoline_kernelINS0_14default_configENS1_27lower_bound_config_selectorIflEEZNS1_14transform_implILb0ES3_S5_N6thrust23THRUST_200600_302600_NS6detail15normal_iteratorINS8_7pointerIfNS8_11hip_rocprim9par_det_tENS8_11use_defaultESE_EEEENSA_INSB_IlSD_SE_SE_EEEEZNS1_13binary_searchIS3_S5_NSA_INS8_10device_ptrIfEEEESG_SI_NS1_21lower_bound_search_opENS9_16wrapped_functionINS8_6system6detail7generic6detail18binary_search_lessEbEEEE10hipError_tPvRmT1_T2_T3_mmT4_T5_P12ihipStream_tbEUlRKfE_EESV_SZ_S10_mS11_S14_bEUlT_E_NS1_11comp_targetILNS1_3genE2ELNS1_11target_archE906ELNS1_3gpuE6ELNS1_3repE0EEENS1_30default_config_static_selectorELNS0_4arch9wavefront6targetE1EEEvSY_.num_named_barrier, 0
	.set _ZN7rocprim17ROCPRIM_400000_NS6detail17trampoline_kernelINS0_14default_configENS1_27lower_bound_config_selectorIflEEZNS1_14transform_implILb0ES3_S5_N6thrust23THRUST_200600_302600_NS6detail15normal_iteratorINS8_7pointerIfNS8_11hip_rocprim9par_det_tENS8_11use_defaultESE_EEEENSA_INSB_IlSD_SE_SE_EEEEZNS1_13binary_searchIS3_S5_NSA_INS8_10device_ptrIfEEEESG_SI_NS1_21lower_bound_search_opENS9_16wrapped_functionINS8_6system6detail7generic6detail18binary_search_lessEbEEEE10hipError_tPvRmT1_T2_T3_mmT4_T5_P12ihipStream_tbEUlRKfE_EESV_SZ_S10_mS11_S14_bEUlT_E_NS1_11comp_targetILNS1_3genE2ELNS1_11target_archE906ELNS1_3gpuE6ELNS1_3repE0EEENS1_30default_config_static_selectorELNS0_4arch9wavefront6targetE1EEEvSY_.private_seg_size, 0
	.set _ZN7rocprim17ROCPRIM_400000_NS6detail17trampoline_kernelINS0_14default_configENS1_27lower_bound_config_selectorIflEEZNS1_14transform_implILb0ES3_S5_N6thrust23THRUST_200600_302600_NS6detail15normal_iteratorINS8_7pointerIfNS8_11hip_rocprim9par_det_tENS8_11use_defaultESE_EEEENSA_INSB_IlSD_SE_SE_EEEEZNS1_13binary_searchIS3_S5_NSA_INS8_10device_ptrIfEEEESG_SI_NS1_21lower_bound_search_opENS9_16wrapped_functionINS8_6system6detail7generic6detail18binary_search_lessEbEEEE10hipError_tPvRmT1_T2_T3_mmT4_T5_P12ihipStream_tbEUlRKfE_EESV_SZ_S10_mS11_S14_bEUlT_E_NS1_11comp_targetILNS1_3genE2ELNS1_11target_archE906ELNS1_3gpuE6ELNS1_3repE0EEENS1_30default_config_static_selectorELNS0_4arch9wavefront6targetE1EEEvSY_.uses_vcc, 1
	.set _ZN7rocprim17ROCPRIM_400000_NS6detail17trampoline_kernelINS0_14default_configENS1_27lower_bound_config_selectorIflEEZNS1_14transform_implILb0ES3_S5_N6thrust23THRUST_200600_302600_NS6detail15normal_iteratorINS8_7pointerIfNS8_11hip_rocprim9par_det_tENS8_11use_defaultESE_EEEENSA_INSB_IlSD_SE_SE_EEEEZNS1_13binary_searchIS3_S5_NSA_INS8_10device_ptrIfEEEESG_SI_NS1_21lower_bound_search_opENS9_16wrapped_functionINS8_6system6detail7generic6detail18binary_search_lessEbEEEE10hipError_tPvRmT1_T2_T3_mmT4_T5_P12ihipStream_tbEUlRKfE_EESV_SZ_S10_mS11_S14_bEUlT_E_NS1_11comp_targetILNS1_3genE2ELNS1_11target_archE906ELNS1_3gpuE6ELNS1_3repE0EEENS1_30default_config_static_selectorELNS0_4arch9wavefront6targetE1EEEvSY_.uses_flat_scratch, 0
	.set _ZN7rocprim17ROCPRIM_400000_NS6detail17trampoline_kernelINS0_14default_configENS1_27lower_bound_config_selectorIflEEZNS1_14transform_implILb0ES3_S5_N6thrust23THRUST_200600_302600_NS6detail15normal_iteratorINS8_7pointerIfNS8_11hip_rocprim9par_det_tENS8_11use_defaultESE_EEEENSA_INSB_IlSD_SE_SE_EEEEZNS1_13binary_searchIS3_S5_NSA_INS8_10device_ptrIfEEEESG_SI_NS1_21lower_bound_search_opENS9_16wrapped_functionINS8_6system6detail7generic6detail18binary_search_lessEbEEEE10hipError_tPvRmT1_T2_T3_mmT4_T5_P12ihipStream_tbEUlRKfE_EESV_SZ_S10_mS11_S14_bEUlT_E_NS1_11comp_targetILNS1_3genE2ELNS1_11target_archE906ELNS1_3gpuE6ELNS1_3repE0EEENS1_30default_config_static_selectorELNS0_4arch9wavefront6targetE1EEEvSY_.has_dyn_sized_stack, 0
	.set _ZN7rocprim17ROCPRIM_400000_NS6detail17trampoline_kernelINS0_14default_configENS1_27lower_bound_config_selectorIflEEZNS1_14transform_implILb0ES3_S5_N6thrust23THRUST_200600_302600_NS6detail15normal_iteratorINS8_7pointerIfNS8_11hip_rocprim9par_det_tENS8_11use_defaultESE_EEEENSA_INSB_IlSD_SE_SE_EEEEZNS1_13binary_searchIS3_S5_NSA_INS8_10device_ptrIfEEEESG_SI_NS1_21lower_bound_search_opENS9_16wrapped_functionINS8_6system6detail7generic6detail18binary_search_lessEbEEEE10hipError_tPvRmT1_T2_T3_mmT4_T5_P12ihipStream_tbEUlRKfE_EESV_SZ_S10_mS11_S14_bEUlT_E_NS1_11comp_targetILNS1_3genE2ELNS1_11target_archE906ELNS1_3gpuE6ELNS1_3repE0EEENS1_30default_config_static_selectorELNS0_4arch9wavefront6targetE1EEEvSY_.has_recursion, 0
	.set _ZN7rocprim17ROCPRIM_400000_NS6detail17trampoline_kernelINS0_14default_configENS1_27lower_bound_config_selectorIflEEZNS1_14transform_implILb0ES3_S5_N6thrust23THRUST_200600_302600_NS6detail15normal_iteratorINS8_7pointerIfNS8_11hip_rocprim9par_det_tENS8_11use_defaultESE_EEEENSA_INSB_IlSD_SE_SE_EEEEZNS1_13binary_searchIS3_S5_NSA_INS8_10device_ptrIfEEEESG_SI_NS1_21lower_bound_search_opENS9_16wrapped_functionINS8_6system6detail7generic6detail18binary_search_lessEbEEEE10hipError_tPvRmT1_T2_T3_mmT4_T5_P12ihipStream_tbEUlRKfE_EESV_SZ_S10_mS11_S14_bEUlT_E_NS1_11comp_targetILNS1_3genE2ELNS1_11target_archE906ELNS1_3gpuE6ELNS1_3repE0EEENS1_30default_config_static_selectorELNS0_4arch9wavefront6targetE1EEEvSY_.has_indirect_call, 0
	.section	.AMDGPU.csdata,"",@progbits
; Kernel info:
; codeLenInByte = 700
; TotalNumSgprs: 24
; NumVgprs: 12
; ScratchSize: 0
; MemoryBound: 0
; FloatMode: 240
; IeeeMode: 1
; LDSByteSize: 0 bytes/workgroup (compile time only)
; SGPRBlocks: 2
; VGPRBlocks: 2
; NumSGPRsForWavesPerEU: 24
; NumVGPRsForWavesPerEU: 12
; Occupancy: 10
; WaveLimiterHint : 0
; COMPUTE_PGM_RSRC2:SCRATCH_EN: 0
; COMPUTE_PGM_RSRC2:USER_SGPR: 6
; COMPUTE_PGM_RSRC2:TRAP_HANDLER: 0
; COMPUTE_PGM_RSRC2:TGID_X_EN: 1
; COMPUTE_PGM_RSRC2:TGID_Y_EN: 0
; COMPUTE_PGM_RSRC2:TGID_Z_EN: 0
; COMPUTE_PGM_RSRC2:TIDIG_COMP_CNT: 0
	.section	.text._ZN7rocprim17ROCPRIM_400000_NS6detail17trampoline_kernelINS0_14default_configENS1_27lower_bound_config_selectorIflEEZNS1_14transform_implILb0ES3_S5_N6thrust23THRUST_200600_302600_NS6detail15normal_iteratorINS8_7pointerIfNS8_11hip_rocprim9par_det_tENS8_11use_defaultESE_EEEENSA_INSB_IlSD_SE_SE_EEEEZNS1_13binary_searchIS3_S5_NSA_INS8_10device_ptrIfEEEESG_SI_NS1_21lower_bound_search_opENS9_16wrapped_functionINS8_6system6detail7generic6detail18binary_search_lessEbEEEE10hipError_tPvRmT1_T2_T3_mmT4_T5_P12ihipStream_tbEUlRKfE_EESV_SZ_S10_mS11_S14_bEUlT_E_NS1_11comp_targetILNS1_3genE10ELNS1_11target_archE1201ELNS1_3gpuE5ELNS1_3repE0EEENS1_30default_config_static_selectorELNS0_4arch9wavefront6targetE1EEEvSY_,"axG",@progbits,_ZN7rocprim17ROCPRIM_400000_NS6detail17trampoline_kernelINS0_14default_configENS1_27lower_bound_config_selectorIflEEZNS1_14transform_implILb0ES3_S5_N6thrust23THRUST_200600_302600_NS6detail15normal_iteratorINS8_7pointerIfNS8_11hip_rocprim9par_det_tENS8_11use_defaultESE_EEEENSA_INSB_IlSD_SE_SE_EEEEZNS1_13binary_searchIS3_S5_NSA_INS8_10device_ptrIfEEEESG_SI_NS1_21lower_bound_search_opENS9_16wrapped_functionINS8_6system6detail7generic6detail18binary_search_lessEbEEEE10hipError_tPvRmT1_T2_T3_mmT4_T5_P12ihipStream_tbEUlRKfE_EESV_SZ_S10_mS11_S14_bEUlT_E_NS1_11comp_targetILNS1_3genE10ELNS1_11target_archE1201ELNS1_3gpuE5ELNS1_3repE0EEENS1_30default_config_static_selectorELNS0_4arch9wavefront6targetE1EEEvSY_,comdat
	.protected	_ZN7rocprim17ROCPRIM_400000_NS6detail17trampoline_kernelINS0_14default_configENS1_27lower_bound_config_selectorIflEEZNS1_14transform_implILb0ES3_S5_N6thrust23THRUST_200600_302600_NS6detail15normal_iteratorINS8_7pointerIfNS8_11hip_rocprim9par_det_tENS8_11use_defaultESE_EEEENSA_INSB_IlSD_SE_SE_EEEEZNS1_13binary_searchIS3_S5_NSA_INS8_10device_ptrIfEEEESG_SI_NS1_21lower_bound_search_opENS9_16wrapped_functionINS8_6system6detail7generic6detail18binary_search_lessEbEEEE10hipError_tPvRmT1_T2_T3_mmT4_T5_P12ihipStream_tbEUlRKfE_EESV_SZ_S10_mS11_S14_bEUlT_E_NS1_11comp_targetILNS1_3genE10ELNS1_11target_archE1201ELNS1_3gpuE5ELNS1_3repE0EEENS1_30default_config_static_selectorELNS0_4arch9wavefront6targetE1EEEvSY_ ; -- Begin function _ZN7rocprim17ROCPRIM_400000_NS6detail17trampoline_kernelINS0_14default_configENS1_27lower_bound_config_selectorIflEEZNS1_14transform_implILb0ES3_S5_N6thrust23THRUST_200600_302600_NS6detail15normal_iteratorINS8_7pointerIfNS8_11hip_rocprim9par_det_tENS8_11use_defaultESE_EEEENSA_INSB_IlSD_SE_SE_EEEEZNS1_13binary_searchIS3_S5_NSA_INS8_10device_ptrIfEEEESG_SI_NS1_21lower_bound_search_opENS9_16wrapped_functionINS8_6system6detail7generic6detail18binary_search_lessEbEEEE10hipError_tPvRmT1_T2_T3_mmT4_T5_P12ihipStream_tbEUlRKfE_EESV_SZ_S10_mS11_S14_bEUlT_E_NS1_11comp_targetILNS1_3genE10ELNS1_11target_archE1201ELNS1_3gpuE5ELNS1_3repE0EEENS1_30default_config_static_selectorELNS0_4arch9wavefront6targetE1EEEvSY_
	.globl	_ZN7rocprim17ROCPRIM_400000_NS6detail17trampoline_kernelINS0_14default_configENS1_27lower_bound_config_selectorIflEEZNS1_14transform_implILb0ES3_S5_N6thrust23THRUST_200600_302600_NS6detail15normal_iteratorINS8_7pointerIfNS8_11hip_rocprim9par_det_tENS8_11use_defaultESE_EEEENSA_INSB_IlSD_SE_SE_EEEEZNS1_13binary_searchIS3_S5_NSA_INS8_10device_ptrIfEEEESG_SI_NS1_21lower_bound_search_opENS9_16wrapped_functionINS8_6system6detail7generic6detail18binary_search_lessEbEEEE10hipError_tPvRmT1_T2_T3_mmT4_T5_P12ihipStream_tbEUlRKfE_EESV_SZ_S10_mS11_S14_bEUlT_E_NS1_11comp_targetILNS1_3genE10ELNS1_11target_archE1201ELNS1_3gpuE5ELNS1_3repE0EEENS1_30default_config_static_selectorELNS0_4arch9wavefront6targetE1EEEvSY_
	.p2align	8
	.type	_ZN7rocprim17ROCPRIM_400000_NS6detail17trampoline_kernelINS0_14default_configENS1_27lower_bound_config_selectorIflEEZNS1_14transform_implILb0ES3_S5_N6thrust23THRUST_200600_302600_NS6detail15normal_iteratorINS8_7pointerIfNS8_11hip_rocprim9par_det_tENS8_11use_defaultESE_EEEENSA_INSB_IlSD_SE_SE_EEEEZNS1_13binary_searchIS3_S5_NSA_INS8_10device_ptrIfEEEESG_SI_NS1_21lower_bound_search_opENS9_16wrapped_functionINS8_6system6detail7generic6detail18binary_search_lessEbEEEE10hipError_tPvRmT1_T2_T3_mmT4_T5_P12ihipStream_tbEUlRKfE_EESV_SZ_S10_mS11_S14_bEUlT_E_NS1_11comp_targetILNS1_3genE10ELNS1_11target_archE1201ELNS1_3gpuE5ELNS1_3repE0EEENS1_30default_config_static_selectorELNS0_4arch9wavefront6targetE1EEEvSY_,@function
_ZN7rocprim17ROCPRIM_400000_NS6detail17trampoline_kernelINS0_14default_configENS1_27lower_bound_config_selectorIflEEZNS1_14transform_implILb0ES3_S5_N6thrust23THRUST_200600_302600_NS6detail15normal_iteratorINS8_7pointerIfNS8_11hip_rocprim9par_det_tENS8_11use_defaultESE_EEEENSA_INSB_IlSD_SE_SE_EEEEZNS1_13binary_searchIS3_S5_NSA_INS8_10device_ptrIfEEEESG_SI_NS1_21lower_bound_search_opENS9_16wrapped_functionINS8_6system6detail7generic6detail18binary_search_lessEbEEEE10hipError_tPvRmT1_T2_T3_mmT4_T5_P12ihipStream_tbEUlRKfE_EESV_SZ_S10_mS11_S14_bEUlT_E_NS1_11comp_targetILNS1_3genE10ELNS1_11target_archE1201ELNS1_3gpuE5ELNS1_3repE0EEENS1_30default_config_static_selectorELNS0_4arch9wavefront6targetE1EEEvSY_: ; @_ZN7rocprim17ROCPRIM_400000_NS6detail17trampoline_kernelINS0_14default_configENS1_27lower_bound_config_selectorIflEEZNS1_14transform_implILb0ES3_S5_N6thrust23THRUST_200600_302600_NS6detail15normal_iteratorINS8_7pointerIfNS8_11hip_rocprim9par_det_tENS8_11use_defaultESE_EEEENSA_INSB_IlSD_SE_SE_EEEEZNS1_13binary_searchIS3_S5_NSA_INS8_10device_ptrIfEEEESG_SI_NS1_21lower_bound_search_opENS9_16wrapped_functionINS8_6system6detail7generic6detail18binary_search_lessEbEEEE10hipError_tPvRmT1_T2_T3_mmT4_T5_P12ihipStream_tbEUlRKfE_EESV_SZ_S10_mS11_S14_bEUlT_E_NS1_11comp_targetILNS1_3genE10ELNS1_11target_archE1201ELNS1_3gpuE5ELNS1_3repE0EEENS1_30default_config_static_selectorELNS0_4arch9wavefront6targetE1EEEvSY_
; %bb.0:
	.section	.rodata,"a",@progbits
	.p2align	6, 0x0
	.amdhsa_kernel _ZN7rocprim17ROCPRIM_400000_NS6detail17trampoline_kernelINS0_14default_configENS1_27lower_bound_config_selectorIflEEZNS1_14transform_implILb0ES3_S5_N6thrust23THRUST_200600_302600_NS6detail15normal_iteratorINS8_7pointerIfNS8_11hip_rocprim9par_det_tENS8_11use_defaultESE_EEEENSA_INSB_IlSD_SE_SE_EEEEZNS1_13binary_searchIS3_S5_NSA_INS8_10device_ptrIfEEEESG_SI_NS1_21lower_bound_search_opENS9_16wrapped_functionINS8_6system6detail7generic6detail18binary_search_lessEbEEEE10hipError_tPvRmT1_T2_T3_mmT4_T5_P12ihipStream_tbEUlRKfE_EESV_SZ_S10_mS11_S14_bEUlT_E_NS1_11comp_targetILNS1_3genE10ELNS1_11target_archE1201ELNS1_3gpuE5ELNS1_3repE0EEENS1_30default_config_static_selectorELNS0_4arch9wavefront6targetE1EEEvSY_
		.amdhsa_group_segment_fixed_size 0
		.amdhsa_private_segment_fixed_size 0
		.amdhsa_kernarg_size 56
		.amdhsa_user_sgpr_count 6
		.amdhsa_user_sgpr_private_segment_buffer 1
		.amdhsa_user_sgpr_dispatch_ptr 0
		.amdhsa_user_sgpr_queue_ptr 0
		.amdhsa_user_sgpr_kernarg_segment_ptr 1
		.amdhsa_user_sgpr_dispatch_id 0
		.amdhsa_user_sgpr_flat_scratch_init 0
		.amdhsa_user_sgpr_private_segment_size 0
		.amdhsa_uses_dynamic_stack 0
		.amdhsa_system_sgpr_private_segment_wavefront_offset 0
		.amdhsa_system_sgpr_workgroup_id_x 1
		.amdhsa_system_sgpr_workgroup_id_y 0
		.amdhsa_system_sgpr_workgroup_id_z 0
		.amdhsa_system_sgpr_workgroup_info 0
		.amdhsa_system_vgpr_workitem_id 0
		.amdhsa_next_free_vgpr 1
		.amdhsa_next_free_sgpr 0
		.amdhsa_reserve_vcc 0
		.amdhsa_reserve_flat_scratch 0
		.amdhsa_float_round_mode_32 0
		.amdhsa_float_round_mode_16_64 0
		.amdhsa_float_denorm_mode_32 3
		.amdhsa_float_denorm_mode_16_64 3
		.amdhsa_dx10_clamp 1
		.amdhsa_ieee_mode 1
		.amdhsa_fp16_overflow 0
		.amdhsa_exception_fp_ieee_invalid_op 0
		.amdhsa_exception_fp_denorm_src 0
		.amdhsa_exception_fp_ieee_div_zero 0
		.amdhsa_exception_fp_ieee_overflow 0
		.amdhsa_exception_fp_ieee_underflow 0
		.amdhsa_exception_fp_ieee_inexact 0
		.amdhsa_exception_int_div_zero 0
	.end_amdhsa_kernel
	.section	.text._ZN7rocprim17ROCPRIM_400000_NS6detail17trampoline_kernelINS0_14default_configENS1_27lower_bound_config_selectorIflEEZNS1_14transform_implILb0ES3_S5_N6thrust23THRUST_200600_302600_NS6detail15normal_iteratorINS8_7pointerIfNS8_11hip_rocprim9par_det_tENS8_11use_defaultESE_EEEENSA_INSB_IlSD_SE_SE_EEEEZNS1_13binary_searchIS3_S5_NSA_INS8_10device_ptrIfEEEESG_SI_NS1_21lower_bound_search_opENS9_16wrapped_functionINS8_6system6detail7generic6detail18binary_search_lessEbEEEE10hipError_tPvRmT1_T2_T3_mmT4_T5_P12ihipStream_tbEUlRKfE_EESV_SZ_S10_mS11_S14_bEUlT_E_NS1_11comp_targetILNS1_3genE10ELNS1_11target_archE1201ELNS1_3gpuE5ELNS1_3repE0EEENS1_30default_config_static_selectorELNS0_4arch9wavefront6targetE1EEEvSY_,"axG",@progbits,_ZN7rocprim17ROCPRIM_400000_NS6detail17trampoline_kernelINS0_14default_configENS1_27lower_bound_config_selectorIflEEZNS1_14transform_implILb0ES3_S5_N6thrust23THRUST_200600_302600_NS6detail15normal_iteratorINS8_7pointerIfNS8_11hip_rocprim9par_det_tENS8_11use_defaultESE_EEEENSA_INSB_IlSD_SE_SE_EEEEZNS1_13binary_searchIS3_S5_NSA_INS8_10device_ptrIfEEEESG_SI_NS1_21lower_bound_search_opENS9_16wrapped_functionINS8_6system6detail7generic6detail18binary_search_lessEbEEEE10hipError_tPvRmT1_T2_T3_mmT4_T5_P12ihipStream_tbEUlRKfE_EESV_SZ_S10_mS11_S14_bEUlT_E_NS1_11comp_targetILNS1_3genE10ELNS1_11target_archE1201ELNS1_3gpuE5ELNS1_3repE0EEENS1_30default_config_static_selectorELNS0_4arch9wavefront6targetE1EEEvSY_,comdat
.Lfunc_end345:
	.size	_ZN7rocprim17ROCPRIM_400000_NS6detail17trampoline_kernelINS0_14default_configENS1_27lower_bound_config_selectorIflEEZNS1_14transform_implILb0ES3_S5_N6thrust23THRUST_200600_302600_NS6detail15normal_iteratorINS8_7pointerIfNS8_11hip_rocprim9par_det_tENS8_11use_defaultESE_EEEENSA_INSB_IlSD_SE_SE_EEEEZNS1_13binary_searchIS3_S5_NSA_INS8_10device_ptrIfEEEESG_SI_NS1_21lower_bound_search_opENS9_16wrapped_functionINS8_6system6detail7generic6detail18binary_search_lessEbEEEE10hipError_tPvRmT1_T2_T3_mmT4_T5_P12ihipStream_tbEUlRKfE_EESV_SZ_S10_mS11_S14_bEUlT_E_NS1_11comp_targetILNS1_3genE10ELNS1_11target_archE1201ELNS1_3gpuE5ELNS1_3repE0EEENS1_30default_config_static_selectorELNS0_4arch9wavefront6targetE1EEEvSY_, .Lfunc_end345-_ZN7rocprim17ROCPRIM_400000_NS6detail17trampoline_kernelINS0_14default_configENS1_27lower_bound_config_selectorIflEEZNS1_14transform_implILb0ES3_S5_N6thrust23THRUST_200600_302600_NS6detail15normal_iteratorINS8_7pointerIfNS8_11hip_rocprim9par_det_tENS8_11use_defaultESE_EEEENSA_INSB_IlSD_SE_SE_EEEEZNS1_13binary_searchIS3_S5_NSA_INS8_10device_ptrIfEEEESG_SI_NS1_21lower_bound_search_opENS9_16wrapped_functionINS8_6system6detail7generic6detail18binary_search_lessEbEEEE10hipError_tPvRmT1_T2_T3_mmT4_T5_P12ihipStream_tbEUlRKfE_EESV_SZ_S10_mS11_S14_bEUlT_E_NS1_11comp_targetILNS1_3genE10ELNS1_11target_archE1201ELNS1_3gpuE5ELNS1_3repE0EEENS1_30default_config_static_selectorELNS0_4arch9wavefront6targetE1EEEvSY_
                                        ; -- End function
	.set _ZN7rocprim17ROCPRIM_400000_NS6detail17trampoline_kernelINS0_14default_configENS1_27lower_bound_config_selectorIflEEZNS1_14transform_implILb0ES3_S5_N6thrust23THRUST_200600_302600_NS6detail15normal_iteratorINS8_7pointerIfNS8_11hip_rocprim9par_det_tENS8_11use_defaultESE_EEEENSA_INSB_IlSD_SE_SE_EEEEZNS1_13binary_searchIS3_S5_NSA_INS8_10device_ptrIfEEEESG_SI_NS1_21lower_bound_search_opENS9_16wrapped_functionINS8_6system6detail7generic6detail18binary_search_lessEbEEEE10hipError_tPvRmT1_T2_T3_mmT4_T5_P12ihipStream_tbEUlRKfE_EESV_SZ_S10_mS11_S14_bEUlT_E_NS1_11comp_targetILNS1_3genE10ELNS1_11target_archE1201ELNS1_3gpuE5ELNS1_3repE0EEENS1_30default_config_static_selectorELNS0_4arch9wavefront6targetE1EEEvSY_.num_vgpr, 0
	.set _ZN7rocprim17ROCPRIM_400000_NS6detail17trampoline_kernelINS0_14default_configENS1_27lower_bound_config_selectorIflEEZNS1_14transform_implILb0ES3_S5_N6thrust23THRUST_200600_302600_NS6detail15normal_iteratorINS8_7pointerIfNS8_11hip_rocprim9par_det_tENS8_11use_defaultESE_EEEENSA_INSB_IlSD_SE_SE_EEEEZNS1_13binary_searchIS3_S5_NSA_INS8_10device_ptrIfEEEESG_SI_NS1_21lower_bound_search_opENS9_16wrapped_functionINS8_6system6detail7generic6detail18binary_search_lessEbEEEE10hipError_tPvRmT1_T2_T3_mmT4_T5_P12ihipStream_tbEUlRKfE_EESV_SZ_S10_mS11_S14_bEUlT_E_NS1_11comp_targetILNS1_3genE10ELNS1_11target_archE1201ELNS1_3gpuE5ELNS1_3repE0EEENS1_30default_config_static_selectorELNS0_4arch9wavefront6targetE1EEEvSY_.num_agpr, 0
	.set _ZN7rocprim17ROCPRIM_400000_NS6detail17trampoline_kernelINS0_14default_configENS1_27lower_bound_config_selectorIflEEZNS1_14transform_implILb0ES3_S5_N6thrust23THRUST_200600_302600_NS6detail15normal_iteratorINS8_7pointerIfNS8_11hip_rocprim9par_det_tENS8_11use_defaultESE_EEEENSA_INSB_IlSD_SE_SE_EEEEZNS1_13binary_searchIS3_S5_NSA_INS8_10device_ptrIfEEEESG_SI_NS1_21lower_bound_search_opENS9_16wrapped_functionINS8_6system6detail7generic6detail18binary_search_lessEbEEEE10hipError_tPvRmT1_T2_T3_mmT4_T5_P12ihipStream_tbEUlRKfE_EESV_SZ_S10_mS11_S14_bEUlT_E_NS1_11comp_targetILNS1_3genE10ELNS1_11target_archE1201ELNS1_3gpuE5ELNS1_3repE0EEENS1_30default_config_static_selectorELNS0_4arch9wavefront6targetE1EEEvSY_.numbered_sgpr, 0
	.set _ZN7rocprim17ROCPRIM_400000_NS6detail17trampoline_kernelINS0_14default_configENS1_27lower_bound_config_selectorIflEEZNS1_14transform_implILb0ES3_S5_N6thrust23THRUST_200600_302600_NS6detail15normal_iteratorINS8_7pointerIfNS8_11hip_rocprim9par_det_tENS8_11use_defaultESE_EEEENSA_INSB_IlSD_SE_SE_EEEEZNS1_13binary_searchIS3_S5_NSA_INS8_10device_ptrIfEEEESG_SI_NS1_21lower_bound_search_opENS9_16wrapped_functionINS8_6system6detail7generic6detail18binary_search_lessEbEEEE10hipError_tPvRmT1_T2_T3_mmT4_T5_P12ihipStream_tbEUlRKfE_EESV_SZ_S10_mS11_S14_bEUlT_E_NS1_11comp_targetILNS1_3genE10ELNS1_11target_archE1201ELNS1_3gpuE5ELNS1_3repE0EEENS1_30default_config_static_selectorELNS0_4arch9wavefront6targetE1EEEvSY_.num_named_barrier, 0
	.set _ZN7rocprim17ROCPRIM_400000_NS6detail17trampoline_kernelINS0_14default_configENS1_27lower_bound_config_selectorIflEEZNS1_14transform_implILb0ES3_S5_N6thrust23THRUST_200600_302600_NS6detail15normal_iteratorINS8_7pointerIfNS8_11hip_rocprim9par_det_tENS8_11use_defaultESE_EEEENSA_INSB_IlSD_SE_SE_EEEEZNS1_13binary_searchIS3_S5_NSA_INS8_10device_ptrIfEEEESG_SI_NS1_21lower_bound_search_opENS9_16wrapped_functionINS8_6system6detail7generic6detail18binary_search_lessEbEEEE10hipError_tPvRmT1_T2_T3_mmT4_T5_P12ihipStream_tbEUlRKfE_EESV_SZ_S10_mS11_S14_bEUlT_E_NS1_11comp_targetILNS1_3genE10ELNS1_11target_archE1201ELNS1_3gpuE5ELNS1_3repE0EEENS1_30default_config_static_selectorELNS0_4arch9wavefront6targetE1EEEvSY_.private_seg_size, 0
	.set _ZN7rocprim17ROCPRIM_400000_NS6detail17trampoline_kernelINS0_14default_configENS1_27lower_bound_config_selectorIflEEZNS1_14transform_implILb0ES3_S5_N6thrust23THRUST_200600_302600_NS6detail15normal_iteratorINS8_7pointerIfNS8_11hip_rocprim9par_det_tENS8_11use_defaultESE_EEEENSA_INSB_IlSD_SE_SE_EEEEZNS1_13binary_searchIS3_S5_NSA_INS8_10device_ptrIfEEEESG_SI_NS1_21lower_bound_search_opENS9_16wrapped_functionINS8_6system6detail7generic6detail18binary_search_lessEbEEEE10hipError_tPvRmT1_T2_T3_mmT4_T5_P12ihipStream_tbEUlRKfE_EESV_SZ_S10_mS11_S14_bEUlT_E_NS1_11comp_targetILNS1_3genE10ELNS1_11target_archE1201ELNS1_3gpuE5ELNS1_3repE0EEENS1_30default_config_static_selectorELNS0_4arch9wavefront6targetE1EEEvSY_.uses_vcc, 0
	.set _ZN7rocprim17ROCPRIM_400000_NS6detail17trampoline_kernelINS0_14default_configENS1_27lower_bound_config_selectorIflEEZNS1_14transform_implILb0ES3_S5_N6thrust23THRUST_200600_302600_NS6detail15normal_iteratorINS8_7pointerIfNS8_11hip_rocprim9par_det_tENS8_11use_defaultESE_EEEENSA_INSB_IlSD_SE_SE_EEEEZNS1_13binary_searchIS3_S5_NSA_INS8_10device_ptrIfEEEESG_SI_NS1_21lower_bound_search_opENS9_16wrapped_functionINS8_6system6detail7generic6detail18binary_search_lessEbEEEE10hipError_tPvRmT1_T2_T3_mmT4_T5_P12ihipStream_tbEUlRKfE_EESV_SZ_S10_mS11_S14_bEUlT_E_NS1_11comp_targetILNS1_3genE10ELNS1_11target_archE1201ELNS1_3gpuE5ELNS1_3repE0EEENS1_30default_config_static_selectorELNS0_4arch9wavefront6targetE1EEEvSY_.uses_flat_scratch, 0
	.set _ZN7rocprim17ROCPRIM_400000_NS6detail17trampoline_kernelINS0_14default_configENS1_27lower_bound_config_selectorIflEEZNS1_14transform_implILb0ES3_S5_N6thrust23THRUST_200600_302600_NS6detail15normal_iteratorINS8_7pointerIfNS8_11hip_rocprim9par_det_tENS8_11use_defaultESE_EEEENSA_INSB_IlSD_SE_SE_EEEEZNS1_13binary_searchIS3_S5_NSA_INS8_10device_ptrIfEEEESG_SI_NS1_21lower_bound_search_opENS9_16wrapped_functionINS8_6system6detail7generic6detail18binary_search_lessEbEEEE10hipError_tPvRmT1_T2_T3_mmT4_T5_P12ihipStream_tbEUlRKfE_EESV_SZ_S10_mS11_S14_bEUlT_E_NS1_11comp_targetILNS1_3genE10ELNS1_11target_archE1201ELNS1_3gpuE5ELNS1_3repE0EEENS1_30default_config_static_selectorELNS0_4arch9wavefront6targetE1EEEvSY_.has_dyn_sized_stack, 0
	.set _ZN7rocprim17ROCPRIM_400000_NS6detail17trampoline_kernelINS0_14default_configENS1_27lower_bound_config_selectorIflEEZNS1_14transform_implILb0ES3_S5_N6thrust23THRUST_200600_302600_NS6detail15normal_iteratorINS8_7pointerIfNS8_11hip_rocprim9par_det_tENS8_11use_defaultESE_EEEENSA_INSB_IlSD_SE_SE_EEEEZNS1_13binary_searchIS3_S5_NSA_INS8_10device_ptrIfEEEESG_SI_NS1_21lower_bound_search_opENS9_16wrapped_functionINS8_6system6detail7generic6detail18binary_search_lessEbEEEE10hipError_tPvRmT1_T2_T3_mmT4_T5_P12ihipStream_tbEUlRKfE_EESV_SZ_S10_mS11_S14_bEUlT_E_NS1_11comp_targetILNS1_3genE10ELNS1_11target_archE1201ELNS1_3gpuE5ELNS1_3repE0EEENS1_30default_config_static_selectorELNS0_4arch9wavefront6targetE1EEEvSY_.has_recursion, 0
	.set _ZN7rocprim17ROCPRIM_400000_NS6detail17trampoline_kernelINS0_14default_configENS1_27lower_bound_config_selectorIflEEZNS1_14transform_implILb0ES3_S5_N6thrust23THRUST_200600_302600_NS6detail15normal_iteratorINS8_7pointerIfNS8_11hip_rocprim9par_det_tENS8_11use_defaultESE_EEEENSA_INSB_IlSD_SE_SE_EEEEZNS1_13binary_searchIS3_S5_NSA_INS8_10device_ptrIfEEEESG_SI_NS1_21lower_bound_search_opENS9_16wrapped_functionINS8_6system6detail7generic6detail18binary_search_lessEbEEEE10hipError_tPvRmT1_T2_T3_mmT4_T5_P12ihipStream_tbEUlRKfE_EESV_SZ_S10_mS11_S14_bEUlT_E_NS1_11comp_targetILNS1_3genE10ELNS1_11target_archE1201ELNS1_3gpuE5ELNS1_3repE0EEENS1_30default_config_static_selectorELNS0_4arch9wavefront6targetE1EEEvSY_.has_indirect_call, 0
	.section	.AMDGPU.csdata,"",@progbits
; Kernel info:
; codeLenInByte = 0
; TotalNumSgprs: 4
; NumVgprs: 0
; ScratchSize: 0
; MemoryBound: 0
; FloatMode: 240
; IeeeMode: 1
; LDSByteSize: 0 bytes/workgroup (compile time only)
; SGPRBlocks: 0
; VGPRBlocks: 0
; NumSGPRsForWavesPerEU: 4
; NumVGPRsForWavesPerEU: 1
; Occupancy: 10
; WaveLimiterHint : 0
; COMPUTE_PGM_RSRC2:SCRATCH_EN: 0
; COMPUTE_PGM_RSRC2:USER_SGPR: 6
; COMPUTE_PGM_RSRC2:TRAP_HANDLER: 0
; COMPUTE_PGM_RSRC2:TGID_X_EN: 1
; COMPUTE_PGM_RSRC2:TGID_Y_EN: 0
; COMPUTE_PGM_RSRC2:TGID_Z_EN: 0
; COMPUTE_PGM_RSRC2:TIDIG_COMP_CNT: 0
	.section	.text._ZN7rocprim17ROCPRIM_400000_NS6detail17trampoline_kernelINS0_14default_configENS1_27lower_bound_config_selectorIflEEZNS1_14transform_implILb0ES3_S5_N6thrust23THRUST_200600_302600_NS6detail15normal_iteratorINS8_7pointerIfNS8_11hip_rocprim9par_det_tENS8_11use_defaultESE_EEEENSA_INSB_IlSD_SE_SE_EEEEZNS1_13binary_searchIS3_S5_NSA_INS8_10device_ptrIfEEEESG_SI_NS1_21lower_bound_search_opENS9_16wrapped_functionINS8_6system6detail7generic6detail18binary_search_lessEbEEEE10hipError_tPvRmT1_T2_T3_mmT4_T5_P12ihipStream_tbEUlRKfE_EESV_SZ_S10_mS11_S14_bEUlT_E_NS1_11comp_targetILNS1_3genE10ELNS1_11target_archE1200ELNS1_3gpuE4ELNS1_3repE0EEENS1_30default_config_static_selectorELNS0_4arch9wavefront6targetE1EEEvSY_,"axG",@progbits,_ZN7rocprim17ROCPRIM_400000_NS6detail17trampoline_kernelINS0_14default_configENS1_27lower_bound_config_selectorIflEEZNS1_14transform_implILb0ES3_S5_N6thrust23THRUST_200600_302600_NS6detail15normal_iteratorINS8_7pointerIfNS8_11hip_rocprim9par_det_tENS8_11use_defaultESE_EEEENSA_INSB_IlSD_SE_SE_EEEEZNS1_13binary_searchIS3_S5_NSA_INS8_10device_ptrIfEEEESG_SI_NS1_21lower_bound_search_opENS9_16wrapped_functionINS8_6system6detail7generic6detail18binary_search_lessEbEEEE10hipError_tPvRmT1_T2_T3_mmT4_T5_P12ihipStream_tbEUlRKfE_EESV_SZ_S10_mS11_S14_bEUlT_E_NS1_11comp_targetILNS1_3genE10ELNS1_11target_archE1200ELNS1_3gpuE4ELNS1_3repE0EEENS1_30default_config_static_selectorELNS0_4arch9wavefront6targetE1EEEvSY_,comdat
	.protected	_ZN7rocprim17ROCPRIM_400000_NS6detail17trampoline_kernelINS0_14default_configENS1_27lower_bound_config_selectorIflEEZNS1_14transform_implILb0ES3_S5_N6thrust23THRUST_200600_302600_NS6detail15normal_iteratorINS8_7pointerIfNS8_11hip_rocprim9par_det_tENS8_11use_defaultESE_EEEENSA_INSB_IlSD_SE_SE_EEEEZNS1_13binary_searchIS3_S5_NSA_INS8_10device_ptrIfEEEESG_SI_NS1_21lower_bound_search_opENS9_16wrapped_functionINS8_6system6detail7generic6detail18binary_search_lessEbEEEE10hipError_tPvRmT1_T2_T3_mmT4_T5_P12ihipStream_tbEUlRKfE_EESV_SZ_S10_mS11_S14_bEUlT_E_NS1_11comp_targetILNS1_3genE10ELNS1_11target_archE1200ELNS1_3gpuE4ELNS1_3repE0EEENS1_30default_config_static_selectorELNS0_4arch9wavefront6targetE1EEEvSY_ ; -- Begin function _ZN7rocprim17ROCPRIM_400000_NS6detail17trampoline_kernelINS0_14default_configENS1_27lower_bound_config_selectorIflEEZNS1_14transform_implILb0ES3_S5_N6thrust23THRUST_200600_302600_NS6detail15normal_iteratorINS8_7pointerIfNS8_11hip_rocprim9par_det_tENS8_11use_defaultESE_EEEENSA_INSB_IlSD_SE_SE_EEEEZNS1_13binary_searchIS3_S5_NSA_INS8_10device_ptrIfEEEESG_SI_NS1_21lower_bound_search_opENS9_16wrapped_functionINS8_6system6detail7generic6detail18binary_search_lessEbEEEE10hipError_tPvRmT1_T2_T3_mmT4_T5_P12ihipStream_tbEUlRKfE_EESV_SZ_S10_mS11_S14_bEUlT_E_NS1_11comp_targetILNS1_3genE10ELNS1_11target_archE1200ELNS1_3gpuE4ELNS1_3repE0EEENS1_30default_config_static_selectorELNS0_4arch9wavefront6targetE1EEEvSY_
	.globl	_ZN7rocprim17ROCPRIM_400000_NS6detail17trampoline_kernelINS0_14default_configENS1_27lower_bound_config_selectorIflEEZNS1_14transform_implILb0ES3_S5_N6thrust23THRUST_200600_302600_NS6detail15normal_iteratorINS8_7pointerIfNS8_11hip_rocprim9par_det_tENS8_11use_defaultESE_EEEENSA_INSB_IlSD_SE_SE_EEEEZNS1_13binary_searchIS3_S5_NSA_INS8_10device_ptrIfEEEESG_SI_NS1_21lower_bound_search_opENS9_16wrapped_functionINS8_6system6detail7generic6detail18binary_search_lessEbEEEE10hipError_tPvRmT1_T2_T3_mmT4_T5_P12ihipStream_tbEUlRKfE_EESV_SZ_S10_mS11_S14_bEUlT_E_NS1_11comp_targetILNS1_3genE10ELNS1_11target_archE1200ELNS1_3gpuE4ELNS1_3repE0EEENS1_30default_config_static_selectorELNS0_4arch9wavefront6targetE1EEEvSY_
	.p2align	8
	.type	_ZN7rocprim17ROCPRIM_400000_NS6detail17trampoline_kernelINS0_14default_configENS1_27lower_bound_config_selectorIflEEZNS1_14transform_implILb0ES3_S5_N6thrust23THRUST_200600_302600_NS6detail15normal_iteratorINS8_7pointerIfNS8_11hip_rocprim9par_det_tENS8_11use_defaultESE_EEEENSA_INSB_IlSD_SE_SE_EEEEZNS1_13binary_searchIS3_S5_NSA_INS8_10device_ptrIfEEEESG_SI_NS1_21lower_bound_search_opENS9_16wrapped_functionINS8_6system6detail7generic6detail18binary_search_lessEbEEEE10hipError_tPvRmT1_T2_T3_mmT4_T5_P12ihipStream_tbEUlRKfE_EESV_SZ_S10_mS11_S14_bEUlT_E_NS1_11comp_targetILNS1_3genE10ELNS1_11target_archE1200ELNS1_3gpuE4ELNS1_3repE0EEENS1_30default_config_static_selectorELNS0_4arch9wavefront6targetE1EEEvSY_,@function
_ZN7rocprim17ROCPRIM_400000_NS6detail17trampoline_kernelINS0_14default_configENS1_27lower_bound_config_selectorIflEEZNS1_14transform_implILb0ES3_S5_N6thrust23THRUST_200600_302600_NS6detail15normal_iteratorINS8_7pointerIfNS8_11hip_rocprim9par_det_tENS8_11use_defaultESE_EEEENSA_INSB_IlSD_SE_SE_EEEEZNS1_13binary_searchIS3_S5_NSA_INS8_10device_ptrIfEEEESG_SI_NS1_21lower_bound_search_opENS9_16wrapped_functionINS8_6system6detail7generic6detail18binary_search_lessEbEEEE10hipError_tPvRmT1_T2_T3_mmT4_T5_P12ihipStream_tbEUlRKfE_EESV_SZ_S10_mS11_S14_bEUlT_E_NS1_11comp_targetILNS1_3genE10ELNS1_11target_archE1200ELNS1_3gpuE4ELNS1_3repE0EEENS1_30default_config_static_selectorELNS0_4arch9wavefront6targetE1EEEvSY_: ; @_ZN7rocprim17ROCPRIM_400000_NS6detail17trampoline_kernelINS0_14default_configENS1_27lower_bound_config_selectorIflEEZNS1_14transform_implILb0ES3_S5_N6thrust23THRUST_200600_302600_NS6detail15normal_iteratorINS8_7pointerIfNS8_11hip_rocprim9par_det_tENS8_11use_defaultESE_EEEENSA_INSB_IlSD_SE_SE_EEEEZNS1_13binary_searchIS3_S5_NSA_INS8_10device_ptrIfEEEESG_SI_NS1_21lower_bound_search_opENS9_16wrapped_functionINS8_6system6detail7generic6detail18binary_search_lessEbEEEE10hipError_tPvRmT1_T2_T3_mmT4_T5_P12ihipStream_tbEUlRKfE_EESV_SZ_S10_mS11_S14_bEUlT_E_NS1_11comp_targetILNS1_3genE10ELNS1_11target_archE1200ELNS1_3gpuE4ELNS1_3repE0EEENS1_30default_config_static_selectorELNS0_4arch9wavefront6targetE1EEEvSY_
; %bb.0:
	.section	.rodata,"a",@progbits
	.p2align	6, 0x0
	.amdhsa_kernel _ZN7rocprim17ROCPRIM_400000_NS6detail17trampoline_kernelINS0_14default_configENS1_27lower_bound_config_selectorIflEEZNS1_14transform_implILb0ES3_S5_N6thrust23THRUST_200600_302600_NS6detail15normal_iteratorINS8_7pointerIfNS8_11hip_rocprim9par_det_tENS8_11use_defaultESE_EEEENSA_INSB_IlSD_SE_SE_EEEEZNS1_13binary_searchIS3_S5_NSA_INS8_10device_ptrIfEEEESG_SI_NS1_21lower_bound_search_opENS9_16wrapped_functionINS8_6system6detail7generic6detail18binary_search_lessEbEEEE10hipError_tPvRmT1_T2_T3_mmT4_T5_P12ihipStream_tbEUlRKfE_EESV_SZ_S10_mS11_S14_bEUlT_E_NS1_11comp_targetILNS1_3genE10ELNS1_11target_archE1200ELNS1_3gpuE4ELNS1_3repE0EEENS1_30default_config_static_selectorELNS0_4arch9wavefront6targetE1EEEvSY_
		.amdhsa_group_segment_fixed_size 0
		.amdhsa_private_segment_fixed_size 0
		.amdhsa_kernarg_size 56
		.amdhsa_user_sgpr_count 6
		.amdhsa_user_sgpr_private_segment_buffer 1
		.amdhsa_user_sgpr_dispatch_ptr 0
		.amdhsa_user_sgpr_queue_ptr 0
		.amdhsa_user_sgpr_kernarg_segment_ptr 1
		.amdhsa_user_sgpr_dispatch_id 0
		.amdhsa_user_sgpr_flat_scratch_init 0
		.amdhsa_user_sgpr_private_segment_size 0
		.amdhsa_uses_dynamic_stack 0
		.amdhsa_system_sgpr_private_segment_wavefront_offset 0
		.amdhsa_system_sgpr_workgroup_id_x 1
		.amdhsa_system_sgpr_workgroup_id_y 0
		.amdhsa_system_sgpr_workgroup_id_z 0
		.amdhsa_system_sgpr_workgroup_info 0
		.amdhsa_system_vgpr_workitem_id 0
		.amdhsa_next_free_vgpr 1
		.amdhsa_next_free_sgpr 0
		.amdhsa_reserve_vcc 0
		.amdhsa_reserve_flat_scratch 0
		.amdhsa_float_round_mode_32 0
		.amdhsa_float_round_mode_16_64 0
		.amdhsa_float_denorm_mode_32 3
		.amdhsa_float_denorm_mode_16_64 3
		.amdhsa_dx10_clamp 1
		.amdhsa_ieee_mode 1
		.amdhsa_fp16_overflow 0
		.amdhsa_exception_fp_ieee_invalid_op 0
		.amdhsa_exception_fp_denorm_src 0
		.amdhsa_exception_fp_ieee_div_zero 0
		.amdhsa_exception_fp_ieee_overflow 0
		.amdhsa_exception_fp_ieee_underflow 0
		.amdhsa_exception_fp_ieee_inexact 0
		.amdhsa_exception_int_div_zero 0
	.end_amdhsa_kernel
	.section	.text._ZN7rocprim17ROCPRIM_400000_NS6detail17trampoline_kernelINS0_14default_configENS1_27lower_bound_config_selectorIflEEZNS1_14transform_implILb0ES3_S5_N6thrust23THRUST_200600_302600_NS6detail15normal_iteratorINS8_7pointerIfNS8_11hip_rocprim9par_det_tENS8_11use_defaultESE_EEEENSA_INSB_IlSD_SE_SE_EEEEZNS1_13binary_searchIS3_S5_NSA_INS8_10device_ptrIfEEEESG_SI_NS1_21lower_bound_search_opENS9_16wrapped_functionINS8_6system6detail7generic6detail18binary_search_lessEbEEEE10hipError_tPvRmT1_T2_T3_mmT4_T5_P12ihipStream_tbEUlRKfE_EESV_SZ_S10_mS11_S14_bEUlT_E_NS1_11comp_targetILNS1_3genE10ELNS1_11target_archE1200ELNS1_3gpuE4ELNS1_3repE0EEENS1_30default_config_static_selectorELNS0_4arch9wavefront6targetE1EEEvSY_,"axG",@progbits,_ZN7rocprim17ROCPRIM_400000_NS6detail17trampoline_kernelINS0_14default_configENS1_27lower_bound_config_selectorIflEEZNS1_14transform_implILb0ES3_S5_N6thrust23THRUST_200600_302600_NS6detail15normal_iteratorINS8_7pointerIfNS8_11hip_rocprim9par_det_tENS8_11use_defaultESE_EEEENSA_INSB_IlSD_SE_SE_EEEEZNS1_13binary_searchIS3_S5_NSA_INS8_10device_ptrIfEEEESG_SI_NS1_21lower_bound_search_opENS9_16wrapped_functionINS8_6system6detail7generic6detail18binary_search_lessEbEEEE10hipError_tPvRmT1_T2_T3_mmT4_T5_P12ihipStream_tbEUlRKfE_EESV_SZ_S10_mS11_S14_bEUlT_E_NS1_11comp_targetILNS1_3genE10ELNS1_11target_archE1200ELNS1_3gpuE4ELNS1_3repE0EEENS1_30default_config_static_selectorELNS0_4arch9wavefront6targetE1EEEvSY_,comdat
.Lfunc_end346:
	.size	_ZN7rocprim17ROCPRIM_400000_NS6detail17trampoline_kernelINS0_14default_configENS1_27lower_bound_config_selectorIflEEZNS1_14transform_implILb0ES3_S5_N6thrust23THRUST_200600_302600_NS6detail15normal_iteratorINS8_7pointerIfNS8_11hip_rocprim9par_det_tENS8_11use_defaultESE_EEEENSA_INSB_IlSD_SE_SE_EEEEZNS1_13binary_searchIS3_S5_NSA_INS8_10device_ptrIfEEEESG_SI_NS1_21lower_bound_search_opENS9_16wrapped_functionINS8_6system6detail7generic6detail18binary_search_lessEbEEEE10hipError_tPvRmT1_T2_T3_mmT4_T5_P12ihipStream_tbEUlRKfE_EESV_SZ_S10_mS11_S14_bEUlT_E_NS1_11comp_targetILNS1_3genE10ELNS1_11target_archE1200ELNS1_3gpuE4ELNS1_3repE0EEENS1_30default_config_static_selectorELNS0_4arch9wavefront6targetE1EEEvSY_, .Lfunc_end346-_ZN7rocprim17ROCPRIM_400000_NS6detail17trampoline_kernelINS0_14default_configENS1_27lower_bound_config_selectorIflEEZNS1_14transform_implILb0ES3_S5_N6thrust23THRUST_200600_302600_NS6detail15normal_iteratorINS8_7pointerIfNS8_11hip_rocprim9par_det_tENS8_11use_defaultESE_EEEENSA_INSB_IlSD_SE_SE_EEEEZNS1_13binary_searchIS3_S5_NSA_INS8_10device_ptrIfEEEESG_SI_NS1_21lower_bound_search_opENS9_16wrapped_functionINS8_6system6detail7generic6detail18binary_search_lessEbEEEE10hipError_tPvRmT1_T2_T3_mmT4_T5_P12ihipStream_tbEUlRKfE_EESV_SZ_S10_mS11_S14_bEUlT_E_NS1_11comp_targetILNS1_3genE10ELNS1_11target_archE1200ELNS1_3gpuE4ELNS1_3repE0EEENS1_30default_config_static_selectorELNS0_4arch9wavefront6targetE1EEEvSY_
                                        ; -- End function
	.set _ZN7rocprim17ROCPRIM_400000_NS6detail17trampoline_kernelINS0_14default_configENS1_27lower_bound_config_selectorIflEEZNS1_14transform_implILb0ES3_S5_N6thrust23THRUST_200600_302600_NS6detail15normal_iteratorINS8_7pointerIfNS8_11hip_rocprim9par_det_tENS8_11use_defaultESE_EEEENSA_INSB_IlSD_SE_SE_EEEEZNS1_13binary_searchIS3_S5_NSA_INS8_10device_ptrIfEEEESG_SI_NS1_21lower_bound_search_opENS9_16wrapped_functionINS8_6system6detail7generic6detail18binary_search_lessEbEEEE10hipError_tPvRmT1_T2_T3_mmT4_T5_P12ihipStream_tbEUlRKfE_EESV_SZ_S10_mS11_S14_bEUlT_E_NS1_11comp_targetILNS1_3genE10ELNS1_11target_archE1200ELNS1_3gpuE4ELNS1_3repE0EEENS1_30default_config_static_selectorELNS0_4arch9wavefront6targetE1EEEvSY_.num_vgpr, 0
	.set _ZN7rocprim17ROCPRIM_400000_NS6detail17trampoline_kernelINS0_14default_configENS1_27lower_bound_config_selectorIflEEZNS1_14transform_implILb0ES3_S5_N6thrust23THRUST_200600_302600_NS6detail15normal_iteratorINS8_7pointerIfNS8_11hip_rocprim9par_det_tENS8_11use_defaultESE_EEEENSA_INSB_IlSD_SE_SE_EEEEZNS1_13binary_searchIS3_S5_NSA_INS8_10device_ptrIfEEEESG_SI_NS1_21lower_bound_search_opENS9_16wrapped_functionINS8_6system6detail7generic6detail18binary_search_lessEbEEEE10hipError_tPvRmT1_T2_T3_mmT4_T5_P12ihipStream_tbEUlRKfE_EESV_SZ_S10_mS11_S14_bEUlT_E_NS1_11comp_targetILNS1_3genE10ELNS1_11target_archE1200ELNS1_3gpuE4ELNS1_3repE0EEENS1_30default_config_static_selectorELNS0_4arch9wavefront6targetE1EEEvSY_.num_agpr, 0
	.set _ZN7rocprim17ROCPRIM_400000_NS6detail17trampoline_kernelINS0_14default_configENS1_27lower_bound_config_selectorIflEEZNS1_14transform_implILb0ES3_S5_N6thrust23THRUST_200600_302600_NS6detail15normal_iteratorINS8_7pointerIfNS8_11hip_rocprim9par_det_tENS8_11use_defaultESE_EEEENSA_INSB_IlSD_SE_SE_EEEEZNS1_13binary_searchIS3_S5_NSA_INS8_10device_ptrIfEEEESG_SI_NS1_21lower_bound_search_opENS9_16wrapped_functionINS8_6system6detail7generic6detail18binary_search_lessEbEEEE10hipError_tPvRmT1_T2_T3_mmT4_T5_P12ihipStream_tbEUlRKfE_EESV_SZ_S10_mS11_S14_bEUlT_E_NS1_11comp_targetILNS1_3genE10ELNS1_11target_archE1200ELNS1_3gpuE4ELNS1_3repE0EEENS1_30default_config_static_selectorELNS0_4arch9wavefront6targetE1EEEvSY_.numbered_sgpr, 0
	.set _ZN7rocprim17ROCPRIM_400000_NS6detail17trampoline_kernelINS0_14default_configENS1_27lower_bound_config_selectorIflEEZNS1_14transform_implILb0ES3_S5_N6thrust23THRUST_200600_302600_NS6detail15normal_iteratorINS8_7pointerIfNS8_11hip_rocprim9par_det_tENS8_11use_defaultESE_EEEENSA_INSB_IlSD_SE_SE_EEEEZNS1_13binary_searchIS3_S5_NSA_INS8_10device_ptrIfEEEESG_SI_NS1_21lower_bound_search_opENS9_16wrapped_functionINS8_6system6detail7generic6detail18binary_search_lessEbEEEE10hipError_tPvRmT1_T2_T3_mmT4_T5_P12ihipStream_tbEUlRKfE_EESV_SZ_S10_mS11_S14_bEUlT_E_NS1_11comp_targetILNS1_3genE10ELNS1_11target_archE1200ELNS1_3gpuE4ELNS1_3repE0EEENS1_30default_config_static_selectorELNS0_4arch9wavefront6targetE1EEEvSY_.num_named_barrier, 0
	.set _ZN7rocprim17ROCPRIM_400000_NS6detail17trampoline_kernelINS0_14default_configENS1_27lower_bound_config_selectorIflEEZNS1_14transform_implILb0ES3_S5_N6thrust23THRUST_200600_302600_NS6detail15normal_iteratorINS8_7pointerIfNS8_11hip_rocprim9par_det_tENS8_11use_defaultESE_EEEENSA_INSB_IlSD_SE_SE_EEEEZNS1_13binary_searchIS3_S5_NSA_INS8_10device_ptrIfEEEESG_SI_NS1_21lower_bound_search_opENS9_16wrapped_functionINS8_6system6detail7generic6detail18binary_search_lessEbEEEE10hipError_tPvRmT1_T2_T3_mmT4_T5_P12ihipStream_tbEUlRKfE_EESV_SZ_S10_mS11_S14_bEUlT_E_NS1_11comp_targetILNS1_3genE10ELNS1_11target_archE1200ELNS1_3gpuE4ELNS1_3repE0EEENS1_30default_config_static_selectorELNS0_4arch9wavefront6targetE1EEEvSY_.private_seg_size, 0
	.set _ZN7rocprim17ROCPRIM_400000_NS6detail17trampoline_kernelINS0_14default_configENS1_27lower_bound_config_selectorIflEEZNS1_14transform_implILb0ES3_S5_N6thrust23THRUST_200600_302600_NS6detail15normal_iteratorINS8_7pointerIfNS8_11hip_rocprim9par_det_tENS8_11use_defaultESE_EEEENSA_INSB_IlSD_SE_SE_EEEEZNS1_13binary_searchIS3_S5_NSA_INS8_10device_ptrIfEEEESG_SI_NS1_21lower_bound_search_opENS9_16wrapped_functionINS8_6system6detail7generic6detail18binary_search_lessEbEEEE10hipError_tPvRmT1_T2_T3_mmT4_T5_P12ihipStream_tbEUlRKfE_EESV_SZ_S10_mS11_S14_bEUlT_E_NS1_11comp_targetILNS1_3genE10ELNS1_11target_archE1200ELNS1_3gpuE4ELNS1_3repE0EEENS1_30default_config_static_selectorELNS0_4arch9wavefront6targetE1EEEvSY_.uses_vcc, 0
	.set _ZN7rocprim17ROCPRIM_400000_NS6detail17trampoline_kernelINS0_14default_configENS1_27lower_bound_config_selectorIflEEZNS1_14transform_implILb0ES3_S5_N6thrust23THRUST_200600_302600_NS6detail15normal_iteratorINS8_7pointerIfNS8_11hip_rocprim9par_det_tENS8_11use_defaultESE_EEEENSA_INSB_IlSD_SE_SE_EEEEZNS1_13binary_searchIS3_S5_NSA_INS8_10device_ptrIfEEEESG_SI_NS1_21lower_bound_search_opENS9_16wrapped_functionINS8_6system6detail7generic6detail18binary_search_lessEbEEEE10hipError_tPvRmT1_T2_T3_mmT4_T5_P12ihipStream_tbEUlRKfE_EESV_SZ_S10_mS11_S14_bEUlT_E_NS1_11comp_targetILNS1_3genE10ELNS1_11target_archE1200ELNS1_3gpuE4ELNS1_3repE0EEENS1_30default_config_static_selectorELNS0_4arch9wavefront6targetE1EEEvSY_.uses_flat_scratch, 0
	.set _ZN7rocprim17ROCPRIM_400000_NS6detail17trampoline_kernelINS0_14default_configENS1_27lower_bound_config_selectorIflEEZNS1_14transform_implILb0ES3_S5_N6thrust23THRUST_200600_302600_NS6detail15normal_iteratorINS8_7pointerIfNS8_11hip_rocprim9par_det_tENS8_11use_defaultESE_EEEENSA_INSB_IlSD_SE_SE_EEEEZNS1_13binary_searchIS3_S5_NSA_INS8_10device_ptrIfEEEESG_SI_NS1_21lower_bound_search_opENS9_16wrapped_functionINS8_6system6detail7generic6detail18binary_search_lessEbEEEE10hipError_tPvRmT1_T2_T3_mmT4_T5_P12ihipStream_tbEUlRKfE_EESV_SZ_S10_mS11_S14_bEUlT_E_NS1_11comp_targetILNS1_3genE10ELNS1_11target_archE1200ELNS1_3gpuE4ELNS1_3repE0EEENS1_30default_config_static_selectorELNS0_4arch9wavefront6targetE1EEEvSY_.has_dyn_sized_stack, 0
	.set _ZN7rocprim17ROCPRIM_400000_NS6detail17trampoline_kernelINS0_14default_configENS1_27lower_bound_config_selectorIflEEZNS1_14transform_implILb0ES3_S5_N6thrust23THRUST_200600_302600_NS6detail15normal_iteratorINS8_7pointerIfNS8_11hip_rocprim9par_det_tENS8_11use_defaultESE_EEEENSA_INSB_IlSD_SE_SE_EEEEZNS1_13binary_searchIS3_S5_NSA_INS8_10device_ptrIfEEEESG_SI_NS1_21lower_bound_search_opENS9_16wrapped_functionINS8_6system6detail7generic6detail18binary_search_lessEbEEEE10hipError_tPvRmT1_T2_T3_mmT4_T5_P12ihipStream_tbEUlRKfE_EESV_SZ_S10_mS11_S14_bEUlT_E_NS1_11comp_targetILNS1_3genE10ELNS1_11target_archE1200ELNS1_3gpuE4ELNS1_3repE0EEENS1_30default_config_static_selectorELNS0_4arch9wavefront6targetE1EEEvSY_.has_recursion, 0
	.set _ZN7rocprim17ROCPRIM_400000_NS6detail17trampoline_kernelINS0_14default_configENS1_27lower_bound_config_selectorIflEEZNS1_14transform_implILb0ES3_S5_N6thrust23THRUST_200600_302600_NS6detail15normal_iteratorINS8_7pointerIfNS8_11hip_rocprim9par_det_tENS8_11use_defaultESE_EEEENSA_INSB_IlSD_SE_SE_EEEEZNS1_13binary_searchIS3_S5_NSA_INS8_10device_ptrIfEEEESG_SI_NS1_21lower_bound_search_opENS9_16wrapped_functionINS8_6system6detail7generic6detail18binary_search_lessEbEEEE10hipError_tPvRmT1_T2_T3_mmT4_T5_P12ihipStream_tbEUlRKfE_EESV_SZ_S10_mS11_S14_bEUlT_E_NS1_11comp_targetILNS1_3genE10ELNS1_11target_archE1200ELNS1_3gpuE4ELNS1_3repE0EEENS1_30default_config_static_selectorELNS0_4arch9wavefront6targetE1EEEvSY_.has_indirect_call, 0
	.section	.AMDGPU.csdata,"",@progbits
; Kernel info:
; codeLenInByte = 0
; TotalNumSgprs: 4
; NumVgprs: 0
; ScratchSize: 0
; MemoryBound: 0
; FloatMode: 240
; IeeeMode: 1
; LDSByteSize: 0 bytes/workgroup (compile time only)
; SGPRBlocks: 0
; VGPRBlocks: 0
; NumSGPRsForWavesPerEU: 4
; NumVGPRsForWavesPerEU: 1
; Occupancy: 10
; WaveLimiterHint : 0
; COMPUTE_PGM_RSRC2:SCRATCH_EN: 0
; COMPUTE_PGM_RSRC2:USER_SGPR: 6
; COMPUTE_PGM_RSRC2:TRAP_HANDLER: 0
; COMPUTE_PGM_RSRC2:TGID_X_EN: 1
; COMPUTE_PGM_RSRC2:TGID_Y_EN: 0
; COMPUTE_PGM_RSRC2:TGID_Z_EN: 0
; COMPUTE_PGM_RSRC2:TIDIG_COMP_CNT: 0
	.section	.text._ZN7rocprim17ROCPRIM_400000_NS6detail17trampoline_kernelINS0_14default_configENS1_27lower_bound_config_selectorIflEEZNS1_14transform_implILb0ES3_S5_N6thrust23THRUST_200600_302600_NS6detail15normal_iteratorINS8_7pointerIfNS8_11hip_rocprim9par_det_tENS8_11use_defaultESE_EEEENSA_INSB_IlSD_SE_SE_EEEEZNS1_13binary_searchIS3_S5_NSA_INS8_10device_ptrIfEEEESG_SI_NS1_21lower_bound_search_opENS9_16wrapped_functionINS8_6system6detail7generic6detail18binary_search_lessEbEEEE10hipError_tPvRmT1_T2_T3_mmT4_T5_P12ihipStream_tbEUlRKfE_EESV_SZ_S10_mS11_S14_bEUlT_E_NS1_11comp_targetILNS1_3genE9ELNS1_11target_archE1100ELNS1_3gpuE3ELNS1_3repE0EEENS1_30default_config_static_selectorELNS0_4arch9wavefront6targetE1EEEvSY_,"axG",@progbits,_ZN7rocprim17ROCPRIM_400000_NS6detail17trampoline_kernelINS0_14default_configENS1_27lower_bound_config_selectorIflEEZNS1_14transform_implILb0ES3_S5_N6thrust23THRUST_200600_302600_NS6detail15normal_iteratorINS8_7pointerIfNS8_11hip_rocprim9par_det_tENS8_11use_defaultESE_EEEENSA_INSB_IlSD_SE_SE_EEEEZNS1_13binary_searchIS3_S5_NSA_INS8_10device_ptrIfEEEESG_SI_NS1_21lower_bound_search_opENS9_16wrapped_functionINS8_6system6detail7generic6detail18binary_search_lessEbEEEE10hipError_tPvRmT1_T2_T3_mmT4_T5_P12ihipStream_tbEUlRKfE_EESV_SZ_S10_mS11_S14_bEUlT_E_NS1_11comp_targetILNS1_3genE9ELNS1_11target_archE1100ELNS1_3gpuE3ELNS1_3repE0EEENS1_30default_config_static_selectorELNS0_4arch9wavefront6targetE1EEEvSY_,comdat
	.protected	_ZN7rocprim17ROCPRIM_400000_NS6detail17trampoline_kernelINS0_14default_configENS1_27lower_bound_config_selectorIflEEZNS1_14transform_implILb0ES3_S5_N6thrust23THRUST_200600_302600_NS6detail15normal_iteratorINS8_7pointerIfNS8_11hip_rocprim9par_det_tENS8_11use_defaultESE_EEEENSA_INSB_IlSD_SE_SE_EEEEZNS1_13binary_searchIS3_S5_NSA_INS8_10device_ptrIfEEEESG_SI_NS1_21lower_bound_search_opENS9_16wrapped_functionINS8_6system6detail7generic6detail18binary_search_lessEbEEEE10hipError_tPvRmT1_T2_T3_mmT4_T5_P12ihipStream_tbEUlRKfE_EESV_SZ_S10_mS11_S14_bEUlT_E_NS1_11comp_targetILNS1_3genE9ELNS1_11target_archE1100ELNS1_3gpuE3ELNS1_3repE0EEENS1_30default_config_static_selectorELNS0_4arch9wavefront6targetE1EEEvSY_ ; -- Begin function _ZN7rocprim17ROCPRIM_400000_NS6detail17trampoline_kernelINS0_14default_configENS1_27lower_bound_config_selectorIflEEZNS1_14transform_implILb0ES3_S5_N6thrust23THRUST_200600_302600_NS6detail15normal_iteratorINS8_7pointerIfNS8_11hip_rocprim9par_det_tENS8_11use_defaultESE_EEEENSA_INSB_IlSD_SE_SE_EEEEZNS1_13binary_searchIS3_S5_NSA_INS8_10device_ptrIfEEEESG_SI_NS1_21lower_bound_search_opENS9_16wrapped_functionINS8_6system6detail7generic6detail18binary_search_lessEbEEEE10hipError_tPvRmT1_T2_T3_mmT4_T5_P12ihipStream_tbEUlRKfE_EESV_SZ_S10_mS11_S14_bEUlT_E_NS1_11comp_targetILNS1_3genE9ELNS1_11target_archE1100ELNS1_3gpuE3ELNS1_3repE0EEENS1_30default_config_static_selectorELNS0_4arch9wavefront6targetE1EEEvSY_
	.globl	_ZN7rocprim17ROCPRIM_400000_NS6detail17trampoline_kernelINS0_14default_configENS1_27lower_bound_config_selectorIflEEZNS1_14transform_implILb0ES3_S5_N6thrust23THRUST_200600_302600_NS6detail15normal_iteratorINS8_7pointerIfNS8_11hip_rocprim9par_det_tENS8_11use_defaultESE_EEEENSA_INSB_IlSD_SE_SE_EEEEZNS1_13binary_searchIS3_S5_NSA_INS8_10device_ptrIfEEEESG_SI_NS1_21lower_bound_search_opENS9_16wrapped_functionINS8_6system6detail7generic6detail18binary_search_lessEbEEEE10hipError_tPvRmT1_T2_T3_mmT4_T5_P12ihipStream_tbEUlRKfE_EESV_SZ_S10_mS11_S14_bEUlT_E_NS1_11comp_targetILNS1_3genE9ELNS1_11target_archE1100ELNS1_3gpuE3ELNS1_3repE0EEENS1_30default_config_static_selectorELNS0_4arch9wavefront6targetE1EEEvSY_
	.p2align	8
	.type	_ZN7rocprim17ROCPRIM_400000_NS6detail17trampoline_kernelINS0_14default_configENS1_27lower_bound_config_selectorIflEEZNS1_14transform_implILb0ES3_S5_N6thrust23THRUST_200600_302600_NS6detail15normal_iteratorINS8_7pointerIfNS8_11hip_rocprim9par_det_tENS8_11use_defaultESE_EEEENSA_INSB_IlSD_SE_SE_EEEEZNS1_13binary_searchIS3_S5_NSA_INS8_10device_ptrIfEEEESG_SI_NS1_21lower_bound_search_opENS9_16wrapped_functionINS8_6system6detail7generic6detail18binary_search_lessEbEEEE10hipError_tPvRmT1_T2_T3_mmT4_T5_P12ihipStream_tbEUlRKfE_EESV_SZ_S10_mS11_S14_bEUlT_E_NS1_11comp_targetILNS1_3genE9ELNS1_11target_archE1100ELNS1_3gpuE3ELNS1_3repE0EEENS1_30default_config_static_selectorELNS0_4arch9wavefront6targetE1EEEvSY_,@function
_ZN7rocprim17ROCPRIM_400000_NS6detail17trampoline_kernelINS0_14default_configENS1_27lower_bound_config_selectorIflEEZNS1_14transform_implILb0ES3_S5_N6thrust23THRUST_200600_302600_NS6detail15normal_iteratorINS8_7pointerIfNS8_11hip_rocprim9par_det_tENS8_11use_defaultESE_EEEENSA_INSB_IlSD_SE_SE_EEEEZNS1_13binary_searchIS3_S5_NSA_INS8_10device_ptrIfEEEESG_SI_NS1_21lower_bound_search_opENS9_16wrapped_functionINS8_6system6detail7generic6detail18binary_search_lessEbEEEE10hipError_tPvRmT1_T2_T3_mmT4_T5_P12ihipStream_tbEUlRKfE_EESV_SZ_S10_mS11_S14_bEUlT_E_NS1_11comp_targetILNS1_3genE9ELNS1_11target_archE1100ELNS1_3gpuE3ELNS1_3repE0EEENS1_30default_config_static_selectorELNS0_4arch9wavefront6targetE1EEEvSY_: ; @_ZN7rocprim17ROCPRIM_400000_NS6detail17trampoline_kernelINS0_14default_configENS1_27lower_bound_config_selectorIflEEZNS1_14transform_implILb0ES3_S5_N6thrust23THRUST_200600_302600_NS6detail15normal_iteratorINS8_7pointerIfNS8_11hip_rocprim9par_det_tENS8_11use_defaultESE_EEEENSA_INSB_IlSD_SE_SE_EEEEZNS1_13binary_searchIS3_S5_NSA_INS8_10device_ptrIfEEEESG_SI_NS1_21lower_bound_search_opENS9_16wrapped_functionINS8_6system6detail7generic6detail18binary_search_lessEbEEEE10hipError_tPvRmT1_T2_T3_mmT4_T5_P12ihipStream_tbEUlRKfE_EESV_SZ_S10_mS11_S14_bEUlT_E_NS1_11comp_targetILNS1_3genE9ELNS1_11target_archE1100ELNS1_3gpuE3ELNS1_3repE0EEENS1_30default_config_static_selectorELNS0_4arch9wavefront6targetE1EEEvSY_
; %bb.0:
	.section	.rodata,"a",@progbits
	.p2align	6, 0x0
	.amdhsa_kernel _ZN7rocprim17ROCPRIM_400000_NS6detail17trampoline_kernelINS0_14default_configENS1_27lower_bound_config_selectorIflEEZNS1_14transform_implILb0ES3_S5_N6thrust23THRUST_200600_302600_NS6detail15normal_iteratorINS8_7pointerIfNS8_11hip_rocprim9par_det_tENS8_11use_defaultESE_EEEENSA_INSB_IlSD_SE_SE_EEEEZNS1_13binary_searchIS3_S5_NSA_INS8_10device_ptrIfEEEESG_SI_NS1_21lower_bound_search_opENS9_16wrapped_functionINS8_6system6detail7generic6detail18binary_search_lessEbEEEE10hipError_tPvRmT1_T2_T3_mmT4_T5_P12ihipStream_tbEUlRKfE_EESV_SZ_S10_mS11_S14_bEUlT_E_NS1_11comp_targetILNS1_3genE9ELNS1_11target_archE1100ELNS1_3gpuE3ELNS1_3repE0EEENS1_30default_config_static_selectorELNS0_4arch9wavefront6targetE1EEEvSY_
		.amdhsa_group_segment_fixed_size 0
		.amdhsa_private_segment_fixed_size 0
		.amdhsa_kernarg_size 56
		.amdhsa_user_sgpr_count 6
		.amdhsa_user_sgpr_private_segment_buffer 1
		.amdhsa_user_sgpr_dispatch_ptr 0
		.amdhsa_user_sgpr_queue_ptr 0
		.amdhsa_user_sgpr_kernarg_segment_ptr 1
		.amdhsa_user_sgpr_dispatch_id 0
		.amdhsa_user_sgpr_flat_scratch_init 0
		.amdhsa_user_sgpr_private_segment_size 0
		.amdhsa_uses_dynamic_stack 0
		.amdhsa_system_sgpr_private_segment_wavefront_offset 0
		.amdhsa_system_sgpr_workgroup_id_x 1
		.amdhsa_system_sgpr_workgroup_id_y 0
		.amdhsa_system_sgpr_workgroup_id_z 0
		.amdhsa_system_sgpr_workgroup_info 0
		.amdhsa_system_vgpr_workitem_id 0
		.amdhsa_next_free_vgpr 1
		.amdhsa_next_free_sgpr 0
		.amdhsa_reserve_vcc 0
		.amdhsa_reserve_flat_scratch 0
		.amdhsa_float_round_mode_32 0
		.amdhsa_float_round_mode_16_64 0
		.amdhsa_float_denorm_mode_32 3
		.amdhsa_float_denorm_mode_16_64 3
		.amdhsa_dx10_clamp 1
		.amdhsa_ieee_mode 1
		.amdhsa_fp16_overflow 0
		.amdhsa_exception_fp_ieee_invalid_op 0
		.amdhsa_exception_fp_denorm_src 0
		.amdhsa_exception_fp_ieee_div_zero 0
		.amdhsa_exception_fp_ieee_overflow 0
		.amdhsa_exception_fp_ieee_underflow 0
		.amdhsa_exception_fp_ieee_inexact 0
		.amdhsa_exception_int_div_zero 0
	.end_amdhsa_kernel
	.section	.text._ZN7rocprim17ROCPRIM_400000_NS6detail17trampoline_kernelINS0_14default_configENS1_27lower_bound_config_selectorIflEEZNS1_14transform_implILb0ES3_S5_N6thrust23THRUST_200600_302600_NS6detail15normal_iteratorINS8_7pointerIfNS8_11hip_rocprim9par_det_tENS8_11use_defaultESE_EEEENSA_INSB_IlSD_SE_SE_EEEEZNS1_13binary_searchIS3_S5_NSA_INS8_10device_ptrIfEEEESG_SI_NS1_21lower_bound_search_opENS9_16wrapped_functionINS8_6system6detail7generic6detail18binary_search_lessEbEEEE10hipError_tPvRmT1_T2_T3_mmT4_T5_P12ihipStream_tbEUlRKfE_EESV_SZ_S10_mS11_S14_bEUlT_E_NS1_11comp_targetILNS1_3genE9ELNS1_11target_archE1100ELNS1_3gpuE3ELNS1_3repE0EEENS1_30default_config_static_selectorELNS0_4arch9wavefront6targetE1EEEvSY_,"axG",@progbits,_ZN7rocprim17ROCPRIM_400000_NS6detail17trampoline_kernelINS0_14default_configENS1_27lower_bound_config_selectorIflEEZNS1_14transform_implILb0ES3_S5_N6thrust23THRUST_200600_302600_NS6detail15normal_iteratorINS8_7pointerIfNS8_11hip_rocprim9par_det_tENS8_11use_defaultESE_EEEENSA_INSB_IlSD_SE_SE_EEEEZNS1_13binary_searchIS3_S5_NSA_INS8_10device_ptrIfEEEESG_SI_NS1_21lower_bound_search_opENS9_16wrapped_functionINS8_6system6detail7generic6detail18binary_search_lessEbEEEE10hipError_tPvRmT1_T2_T3_mmT4_T5_P12ihipStream_tbEUlRKfE_EESV_SZ_S10_mS11_S14_bEUlT_E_NS1_11comp_targetILNS1_3genE9ELNS1_11target_archE1100ELNS1_3gpuE3ELNS1_3repE0EEENS1_30default_config_static_selectorELNS0_4arch9wavefront6targetE1EEEvSY_,comdat
.Lfunc_end347:
	.size	_ZN7rocprim17ROCPRIM_400000_NS6detail17trampoline_kernelINS0_14default_configENS1_27lower_bound_config_selectorIflEEZNS1_14transform_implILb0ES3_S5_N6thrust23THRUST_200600_302600_NS6detail15normal_iteratorINS8_7pointerIfNS8_11hip_rocprim9par_det_tENS8_11use_defaultESE_EEEENSA_INSB_IlSD_SE_SE_EEEEZNS1_13binary_searchIS3_S5_NSA_INS8_10device_ptrIfEEEESG_SI_NS1_21lower_bound_search_opENS9_16wrapped_functionINS8_6system6detail7generic6detail18binary_search_lessEbEEEE10hipError_tPvRmT1_T2_T3_mmT4_T5_P12ihipStream_tbEUlRKfE_EESV_SZ_S10_mS11_S14_bEUlT_E_NS1_11comp_targetILNS1_3genE9ELNS1_11target_archE1100ELNS1_3gpuE3ELNS1_3repE0EEENS1_30default_config_static_selectorELNS0_4arch9wavefront6targetE1EEEvSY_, .Lfunc_end347-_ZN7rocprim17ROCPRIM_400000_NS6detail17trampoline_kernelINS0_14default_configENS1_27lower_bound_config_selectorIflEEZNS1_14transform_implILb0ES3_S5_N6thrust23THRUST_200600_302600_NS6detail15normal_iteratorINS8_7pointerIfNS8_11hip_rocprim9par_det_tENS8_11use_defaultESE_EEEENSA_INSB_IlSD_SE_SE_EEEEZNS1_13binary_searchIS3_S5_NSA_INS8_10device_ptrIfEEEESG_SI_NS1_21lower_bound_search_opENS9_16wrapped_functionINS8_6system6detail7generic6detail18binary_search_lessEbEEEE10hipError_tPvRmT1_T2_T3_mmT4_T5_P12ihipStream_tbEUlRKfE_EESV_SZ_S10_mS11_S14_bEUlT_E_NS1_11comp_targetILNS1_3genE9ELNS1_11target_archE1100ELNS1_3gpuE3ELNS1_3repE0EEENS1_30default_config_static_selectorELNS0_4arch9wavefront6targetE1EEEvSY_
                                        ; -- End function
	.set _ZN7rocprim17ROCPRIM_400000_NS6detail17trampoline_kernelINS0_14default_configENS1_27lower_bound_config_selectorIflEEZNS1_14transform_implILb0ES3_S5_N6thrust23THRUST_200600_302600_NS6detail15normal_iteratorINS8_7pointerIfNS8_11hip_rocprim9par_det_tENS8_11use_defaultESE_EEEENSA_INSB_IlSD_SE_SE_EEEEZNS1_13binary_searchIS3_S5_NSA_INS8_10device_ptrIfEEEESG_SI_NS1_21lower_bound_search_opENS9_16wrapped_functionINS8_6system6detail7generic6detail18binary_search_lessEbEEEE10hipError_tPvRmT1_T2_T3_mmT4_T5_P12ihipStream_tbEUlRKfE_EESV_SZ_S10_mS11_S14_bEUlT_E_NS1_11comp_targetILNS1_3genE9ELNS1_11target_archE1100ELNS1_3gpuE3ELNS1_3repE0EEENS1_30default_config_static_selectorELNS0_4arch9wavefront6targetE1EEEvSY_.num_vgpr, 0
	.set _ZN7rocprim17ROCPRIM_400000_NS6detail17trampoline_kernelINS0_14default_configENS1_27lower_bound_config_selectorIflEEZNS1_14transform_implILb0ES3_S5_N6thrust23THRUST_200600_302600_NS6detail15normal_iteratorINS8_7pointerIfNS8_11hip_rocprim9par_det_tENS8_11use_defaultESE_EEEENSA_INSB_IlSD_SE_SE_EEEEZNS1_13binary_searchIS3_S5_NSA_INS8_10device_ptrIfEEEESG_SI_NS1_21lower_bound_search_opENS9_16wrapped_functionINS8_6system6detail7generic6detail18binary_search_lessEbEEEE10hipError_tPvRmT1_T2_T3_mmT4_T5_P12ihipStream_tbEUlRKfE_EESV_SZ_S10_mS11_S14_bEUlT_E_NS1_11comp_targetILNS1_3genE9ELNS1_11target_archE1100ELNS1_3gpuE3ELNS1_3repE0EEENS1_30default_config_static_selectorELNS0_4arch9wavefront6targetE1EEEvSY_.num_agpr, 0
	.set _ZN7rocprim17ROCPRIM_400000_NS6detail17trampoline_kernelINS0_14default_configENS1_27lower_bound_config_selectorIflEEZNS1_14transform_implILb0ES3_S5_N6thrust23THRUST_200600_302600_NS6detail15normal_iteratorINS8_7pointerIfNS8_11hip_rocprim9par_det_tENS8_11use_defaultESE_EEEENSA_INSB_IlSD_SE_SE_EEEEZNS1_13binary_searchIS3_S5_NSA_INS8_10device_ptrIfEEEESG_SI_NS1_21lower_bound_search_opENS9_16wrapped_functionINS8_6system6detail7generic6detail18binary_search_lessEbEEEE10hipError_tPvRmT1_T2_T3_mmT4_T5_P12ihipStream_tbEUlRKfE_EESV_SZ_S10_mS11_S14_bEUlT_E_NS1_11comp_targetILNS1_3genE9ELNS1_11target_archE1100ELNS1_3gpuE3ELNS1_3repE0EEENS1_30default_config_static_selectorELNS0_4arch9wavefront6targetE1EEEvSY_.numbered_sgpr, 0
	.set _ZN7rocprim17ROCPRIM_400000_NS6detail17trampoline_kernelINS0_14default_configENS1_27lower_bound_config_selectorIflEEZNS1_14transform_implILb0ES3_S5_N6thrust23THRUST_200600_302600_NS6detail15normal_iteratorINS8_7pointerIfNS8_11hip_rocprim9par_det_tENS8_11use_defaultESE_EEEENSA_INSB_IlSD_SE_SE_EEEEZNS1_13binary_searchIS3_S5_NSA_INS8_10device_ptrIfEEEESG_SI_NS1_21lower_bound_search_opENS9_16wrapped_functionINS8_6system6detail7generic6detail18binary_search_lessEbEEEE10hipError_tPvRmT1_T2_T3_mmT4_T5_P12ihipStream_tbEUlRKfE_EESV_SZ_S10_mS11_S14_bEUlT_E_NS1_11comp_targetILNS1_3genE9ELNS1_11target_archE1100ELNS1_3gpuE3ELNS1_3repE0EEENS1_30default_config_static_selectorELNS0_4arch9wavefront6targetE1EEEvSY_.num_named_barrier, 0
	.set _ZN7rocprim17ROCPRIM_400000_NS6detail17trampoline_kernelINS0_14default_configENS1_27lower_bound_config_selectorIflEEZNS1_14transform_implILb0ES3_S5_N6thrust23THRUST_200600_302600_NS6detail15normal_iteratorINS8_7pointerIfNS8_11hip_rocprim9par_det_tENS8_11use_defaultESE_EEEENSA_INSB_IlSD_SE_SE_EEEEZNS1_13binary_searchIS3_S5_NSA_INS8_10device_ptrIfEEEESG_SI_NS1_21lower_bound_search_opENS9_16wrapped_functionINS8_6system6detail7generic6detail18binary_search_lessEbEEEE10hipError_tPvRmT1_T2_T3_mmT4_T5_P12ihipStream_tbEUlRKfE_EESV_SZ_S10_mS11_S14_bEUlT_E_NS1_11comp_targetILNS1_3genE9ELNS1_11target_archE1100ELNS1_3gpuE3ELNS1_3repE0EEENS1_30default_config_static_selectorELNS0_4arch9wavefront6targetE1EEEvSY_.private_seg_size, 0
	.set _ZN7rocprim17ROCPRIM_400000_NS6detail17trampoline_kernelINS0_14default_configENS1_27lower_bound_config_selectorIflEEZNS1_14transform_implILb0ES3_S5_N6thrust23THRUST_200600_302600_NS6detail15normal_iteratorINS8_7pointerIfNS8_11hip_rocprim9par_det_tENS8_11use_defaultESE_EEEENSA_INSB_IlSD_SE_SE_EEEEZNS1_13binary_searchIS3_S5_NSA_INS8_10device_ptrIfEEEESG_SI_NS1_21lower_bound_search_opENS9_16wrapped_functionINS8_6system6detail7generic6detail18binary_search_lessEbEEEE10hipError_tPvRmT1_T2_T3_mmT4_T5_P12ihipStream_tbEUlRKfE_EESV_SZ_S10_mS11_S14_bEUlT_E_NS1_11comp_targetILNS1_3genE9ELNS1_11target_archE1100ELNS1_3gpuE3ELNS1_3repE0EEENS1_30default_config_static_selectorELNS0_4arch9wavefront6targetE1EEEvSY_.uses_vcc, 0
	.set _ZN7rocprim17ROCPRIM_400000_NS6detail17trampoline_kernelINS0_14default_configENS1_27lower_bound_config_selectorIflEEZNS1_14transform_implILb0ES3_S5_N6thrust23THRUST_200600_302600_NS6detail15normal_iteratorINS8_7pointerIfNS8_11hip_rocprim9par_det_tENS8_11use_defaultESE_EEEENSA_INSB_IlSD_SE_SE_EEEEZNS1_13binary_searchIS3_S5_NSA_INS8_10device_ptrIfEEEESG_SI_NS1_21lower_bound_search_opENS9_16wrapped_functionINS8_6system6detail7generic6detail18binary_search_lessEbEEEE10hipError_tPvRmT1_T2_T3_mmT4_T5_P12ihipStream_tbEUlRKfE_EESV_SZ_S10_mS11_S14_bEUlT_E_NS1_11comp_targetILNS1_3genE9ELNS1_11target_archE1100ELNS1_3gpuE3ELNS1_3repE0EEENS1_30default_config_static_selectorELNS0_4arch9wavefront6targetE1EEEvSY_.uses_flat_scratch, 0
	.set _ZN7rocprim17ROCPRIM_400000_NS6detail17trampoline_kernelINS0_14default_configENS1_27lower_bound_config_selectorIflEEZNS1_14transform_implILb0ES3_S5_N6thrust23THRUST_200600_302600_NS6detail15normal_iteratorINS8_7pointerIfNS8_11hip_rocprim9par_det_tENS8_11use_defaultESE_EEEENSA_INSB_IlSD_SE_SE_EEEEZNS1_13binary_searchIS3_S5_NSA_INS8_10device_ptrIfEEEESG_SI_NS1_21lower_bound_search_opENS9_16wrapped_functionINS8_6system6detail7generic6detail18binary_search_lessEbEEEE10hipError_tPvRmT1_T2_T3_mmT4_T5_P12ihipStream_tbEUlRKfE_EESV_SZ_S10_mS11_S14_bEUlT_E_NS1_11comp_targetILNS1_3genE9ELNS1_11target_archE1100ELNS1_3gpuE3ELNS1_3repE0EEENS1_30default_config_static_selectorELNS0_4arch9wavefront6targetE1EEEvSY_.has_dyn_sized_stack, 0
	.set _ZN7rocprim17ROCPRIM_400000_NS6detail17trampoline_kernelINS0_14default_configENS1_27lower_bound_config_selectorIflEEZNS1_14transform_implILb0ES3_S5_N6thrust23THRUST_200600_302600_NS6detail15normal_iteratorINS8_7pointerIfNS8_11hip_rocprim9par_det_tENS8_11use_defaultESE_EEEENSA_INSB_IlSD_SE_SE_EEEEZNS1_13binary_searchIS3_S5_NSA_INS8_10device_ptrIfEEEESG_SI_NS1_21lower_bound_search_opENS9_16wrapped_functionINS8_6system6detail7generic6detail18binary_search_lessEbEEEE10hipError_tPvRmT1_T2_T3_mmT4_T5_P12ihipStream_tbEUlRKfE_EESV_SZ_S10_mS11_S14_bEUlT_E_NS1_11comp_targetILNS1_3genE9ELNS1_11target_archE1100ELNS1_3gpuE3ELNS1_3repE0EEENS1_30default_config_static_selectorELNS0_4arch9wavefront6targetE1EEEvSY_.has_recursion, 0
	.set _ZN7rocprim17ROCPRIM_400000_NS6detail17trampoline_kernelINS0_14default_configENS1_27lower_bound_config_selectorIflEEZNS1_14transform_implILb0ES3_S5_N6thrust23THRUST_200600_302600_NS6detail15normal_iteratorINS8_7pointerIfNS8_11hip_rocprim9par_det_tENS8_11use_defaultESE_EEEENSA_INSB_IlSD_SE_SE_EEEEZNS1_13binary_searchIS3_S5_NSA_INS8_10device_ptrIfEEEESG_SI_NS1_21lower_bound_search_opENS9_16wrapped_functionINS8_6system6detail7generic6detail18binary_search_lessEbEEEE10hipError_tPvRmT1_T2_T3_mmT4_T5_P12ihipStream_tbEUlRKfE_EESV_SZ_S10_mS11_S14_bEUlT_E_NS1_11comp_targetILNS1_3genE9ELNS1_11target_archE1100ELNS1_3gpuE3ELNS1_3repE0EEENS1_30default_config_static_selectorELNS0_4arch9wavefront6targetE1EEEvSY_.has_indirect_call, 0
	.section	.AMDGPU.csdata,"",@progbits
; Kernel info:
; codeLenInByte = 0
; TotalNumSgprs: 4
; NumVgprs: 0
; ScratchSize: 0
; MemoryBound: 0
; FloatMode: 240
; IeeeMode: 1
; LDSByteSize: 0 bytes/workgroup (compile time only)
; SGPRBlocks: 0
; VGPRBlocks: 0
; NumSGPRsForWavesPerEU: 4
; NumVGPRsForWavesPerEU: 1
; Occupancy: 10
; WaveLimiterHint : 0
; COMPUTE_PGM_RSRC2:SCRATCH_EN: 0
; COMPUTE_PGM_RSRC2:USER_SGPR: 6
; COMPUTE_PGM_RSRC2:TRAP_HANDLER: 0
; COMPUTE_PGM_RSRC2:TGID_X_EN: 1
; COMPUTE_PGM_RSRC2:TGID_Y_EN: 0
; COMPUTE_PGM_RSRC2:TGID_Z_EN: 0
; COMPUTE_PGM_RSRC2:TIDIG_COMP_CNT: 0
	.section	.text._ZN7rocprim17ROCPRIM_400000_NS6detail17trampoline_kernelINS0_14default_configENS1_27lower_bound_config_selectorIflEEZNS1_14transform_implILb0ES3_S5_N6thrust23THRUST_200600_302600_NS6detail15normal_iteratorINS8_7pointerIfNS8_11hip_rocprim9par_det_tENS8_11use_defaultESE_EEEENSA_INSB_IlSD_SE_SE_EEEEZNS1_13binary_searchIS3_S5_NSA_INS8_10device_ptrIfEEEESG_SI_NS1_21lower_bound_search_opENS9_16wrapped_functionINS8_6system6detail7generic6detail18binary_search_lessEbEEEE10hipError_tPvRmT1_T2_T3_mmT4_T5_P12ihipStream_tbEUlRKfE_EESV_SZ_S10_mS11_S14_bEUlT_E_NS1_11comp_targetILNS1_3genE8ELNS1_11target_archE1030ELNS1_3gpuE2ELNS1_3repE0EEENS1_30default_config_static_selectorELNS0_4arch9wavefront6targetE1EEEvSY_,"axG",@progbits,_ZN7rocprim17ROCPRIM_400000_NS6detail17trampoline_kernelINS0_14default_configENS1_27lower_bound_config_selectorIflEEZNS1_14transform_implILb0ES3_S5_N6thrust23THRUST_200600_302600_NS6detail15normal_iteratorINS8_7pointerIfNS8_11hip_rocprim9par_det_tENS8_11use_defaultESE_EEEENSA_INSB_IlSD_SE_SE_EEEEZNS1_13binary_searchIS3_S5_NSA_INS8_10device_ptrIfEEEESG_SI_NS1_21lower_bound_search_opENS9_16wrapped_functionINS8_6system6detail7generic6detail18binary_search_lessEbEEEE10hipError_tPvRmT1_T2_T3_mmT4_T5_P12ihipStream_tbEUlRKfE_EESV_SZ_S10_mS11_S14_bEUlT_E_NS1_11comp_targetILNS1_3genE8ELNS1_11target_archE1030ELNS1_3gpuE2ELNS1_3repE0EEENS1_30default_config_static_selectorELNS0_4arch9wavefront6targetE1EEEvSY_,comdat
	.protected	_ZN7rocprim17ROCPRIM_400000_NS6detail17trampoline_kernelINS0_14default_configENS1_27lower_bound_config_selectorIflEEZNS1_14transform_implILb0ES3_S5_N6thrust23THRUST_200600_302600_NS6detail15normal_iteratorINS8_7pointerIfNS8_11hip_rocprim9par_det_tENS8_11use_defaultESE_EEEENSA_INSB_IlSD_SE_SE_EEEEZNS1_13binary_searchIS3_S5_NSA_INS8_10device_ptrIfEEEESG_SI_NS1_21lower_bound_search_opENS9_16wrapped_functionINS8_6system6detail7generic6detail18binary_search_lessEbEEEE10hipError_tPvRmT1_T2_T3_mmT4_T5_P12ihipStream_tbEUlRKfE_EESV_SZ_S10_mS11_S14_bEUlT_E_NS1_11comp_targetILNS1_3genE8ELNS1_11target_archE1030ELNS1_3gpuE2ELNS1_3repE0EEENS1_30default_config_static_selectorELNS0_4arch9wavefront6targetE1EEEvSY_ ; -- Begin function _ZN7rocprim17ROCPRIM_400000_NS6detail17trampoline_kernelINS0_14default_configENS1_27lower_bound_config_selectorIflEEZNS1_14transform_implILb0ES3_S5_N6thrust23THRUST_200600_302600_NS6detail15normal_iteratorINS8_7pointerIfNS8_11hip_rocprim9par_det_tENS8_11use_defaultESE_EEEENSA_INSB_IlSD_SE_SE_EEEEZNS1_13binary_searchIS3_S5_NSA_INS8_10device_ptrIfEEEESG_SI_NS1_21lower_bound_search_opENS9_16wrapped_functionINS8_6system6detail7generic6detail18binary_search_lessEbEEEE10hipError_tPvRmT1_T2_T3_mmT4_T5_P12ihipStream_tbEUlRKfE_EESV_SZ_S10_mS11_S14_bEUlT_E_NS1_11comp_targetILNS1_3genE8ELNS1_11target_archE1030ELNS1_3gpuE2ELNS1_3repE0EEENS1_30default_config_static_selectorELNS0_4arch9wavefront6targetE1EEEvSY_
	.globl	_ZN7rocprim17ROCPRIM_400000_NS6detail17trampoline_kernelINS0_14default_configENS1_27lower_bound_config_selectorIflEEZNS1_14transform_implILb0ES3_S5_N6thrust23THRUST_200600_302600_NS6detail15normal_iteratorINS8_7pointerIfNS8_11hip_rocprim9par_det_tENS8_11use_defaultESE_EEEENSA_INSB_IlSD_SE_SE_EEEEZNS1_13binary_searchIS3_S5_NSA_INS8_10device_ptrIfEEEESG_SI_NS1_21lower_bound_search_opENS9_16wrapped_functionINS8_6system6detail7generic6detail18binary_search_lessEbEEEE10hipError_tPvRmT1_T2_T3_mmT4_T5_P12ihipStream_tbEUlRKfE_EESV_SZ_S10_mS11_S14_bEUlT_E_NS1_11comp_targetILNS1_3genE8ELNS1_11target_archE1030ELNS1_3gpuE2ELNS1_3repE0EEENS1_30default_config_static_selectorELNS0_4arch9wavefront6targetE1EEEvSY_
	.p2align	8
	.type	_ZN7rocprim17ROCPRIM_400000_NS6detail17trampoline_kernelINS0_14default_configENS1_27lower_bound_config_selectorIflEEZNS1_14transform_implILb0ES3_S5_N6thrust23THRUST_200600_302600_NS6detail15normal_iteratorINS8_7pointerIfNS8_11hip_rocprim9par_det_tENS8_11use_defaultESE_EEEENSA_INSB_IlSD_SE_SE_EEEEZNS1_13binary_searchIS3_S5_NSA_INS8_10device_ptrIfEEEESG_SI_NS1_21lower_bound_search_opENS9_16wrapped_functionINS8_6system6detail7generic6detail18binary_search_lessEbEEEE10hipError_tPvRmT1_T2_T3_mmT4_T5_P12ihipStream_tbEUlRKfE_EESV_SZ_S10_mS11_S14_bEUlT_E_NS1_11comp_targetILNS1_3genE8ELNS1_11target_archE1030ELNS1_3gpuE2ELNS1_3repE0EEENS1_30default_config_static_selectorELNS0_4arch9wavefront6targetE1EEEvSY_,@function
_ZN7rocprim17ROCPRIM_400000_NS6detail17trampoline_kernelINS0_14default_configENS1_27lower_bound_config_selectorIflEEZNS1_14transform_implILb0ES3_S5_N6thrust23THRUST_200600_302600_NS6detail15normal_iteratorINS8_7pointerIfNS8_11hip_rocprim9par_det_tENS8_11use_defaultESE_EEEENSA_INSB_IlSD_SE_SE_EEEEZNS1_13binary_searchIS3_S5_NSA_INS8_10device_ptrIfEEEESG_SI_NS1_21lower_bound_search_opENS9_16wrapped_functionINS8_6system6detail7generic6detail18binary_search_lessEbEEEE10hipError_tPvRmT1_T2_T3_mmT4_T5_P12ihipStream_tbEUlRKfE_EESV_SZ_S10_mS11_S14_bEUlT_E_NS1_11comp_targetILNS1_3genE8ELNS1_11target_archE1030ELNS1_3gpuE2ELNS1_3repE0EEENS1_30default_config_static_selectorELNS0_4arch9wavefront6targetE1EEEvSY_: ; @_ZN7rocprim17ROCPRIM_400000_NS6detail17trampoline_kernelINS0_14default_configENS1_27lower_bound_config_selectorIflEEZNS1_14transform_implILb0ES3_S5_N6thrust23THRUST_200600_302600_NS6detail15normal_iteratorINS8_7pointerIfNS8_11hip_rocprim9par_det_tENS8_11use_defaultESE_EEEENSA_INSB_IlSD_SE_SE_EEEEZNS1_13binary_searchIS3_S5_NSA_INS8_10device_ptrIfEEEESG_SI_NS1_21lower_bound_search_opENS9_16wrapped_functionINS8_6system6detail7generic6detail18binary_search_lessEbEEEE10hipError_tPvRmT1_T2_T3_mmT4_T5_P12ihipStream_tbEUlRKfE_EESV_SZ_S10_mS11_S14_bEUlT_E_NS1_11comp_targetILNS1_3genE8ELNS1_11target_archE1030ELNS1_3gpuE2ELNS1_3repE0EEENS1_30default_config_static_selectorELNS0_4arch9wavefront6targetE1EEEvSY_
; %bb.0:
	.section	.rodata,"a",@progbits
	.p2align	6, 0x0
	.amdhsa_kernel _ZN7rocprim17ROCPRIM_400000_NS6detail17trampoline_kernelINS0_14default_configENS1_27lower_bound_config_selectorIflEEZNS1_14transform_implILb0ES3_S5_N6thrust23THRUST_200600_302600_NS6detail15normal_iteratorINS8_7pointerIfNS8_11hip_rocprim9par_det_tENS8_11use_defaultESE_EEEENSA_INSB_IlSD_SE_SE_EEEEZNS1_13binary_searchIS3_S5_NSA_INS8_10device_ptrIfEEEESG_SI_NS1_21lower_bound_search_opENS9_16wrapped_functionINS8_6system6detail7generic6detail18binary_search_lessEbEEEE10hipError_tPvRmT1_T2_T3_mmT4_T5_P12ihipStream_tbEUlRKfE_EESV_SZ_S10_mS11_S14_bEUlT_E_NS1_11comp_targetILNS1_3genE8ELNS1_11target_archE1030ELNS1_3gpuE2ELNS1_3repE0EEENS1_30default_config_static_selectorELNS0_4arch9wavefront6targetE1EEEvSY_
		.amdhsa_group_segment_fixed_size 0
		.amdhsa_private_segment_fixed_size 0
		.amdhsa_kernarg_size 56
		.amdhsa_user_sgpr_count 6
		.amdhsa_user_sgpr_private_segment_buffer 1
		.amdhsa_user_sgpr_dispatch_ptr 0
		.amdhsa_user_sgpr_queue_ptr 0
		.amdhsa_user_sgpr_kernarg_segment_ptr 1
		.amdhsa_user_sgpr_dispatch_id 0
		.amdhsa_user_sgpr_flat_scratch_init 0
		.amdhsa_user_sgpr_private_segment_size 0
		.amdhsa_uses_dynamic_stack 0
		.amdhsa_system_sgpr_private_segment_wavefront_offset 0
		.amdhsa_system_sgpr_workgroup_id_x 1
		.amdhsa_system_sgpr_workgroup_id_y 0
		.amdhsa_system_sgpr_workgroup_id_z 0
		.amdhsa_system_sgpr_workgroup_info 0
		.amdhsa_system_vgpr_workitem_id 0
		.amdhsa_next_free_vgpr 1
		.amdhsa_next_free_sgpr 0
		.amdhsa_reserve_vcc 0
		.amdhsa_reserve_flat_scratch 0
		.amdhsa_float_round_mode_32 0
		.amdhsa_float_round_mode_16_64 0
		.amdhsa_float_denorm_mode_32 3
		.amdhsa_float_denorm_mode_16_64 3
		.amdhsa_dx10_clamp 1
		.amdhsa_ieee_mode 1
		.amdhsa_fp16_overflow 0
		.amdhsa_exception_fp_ieee_invalid_op 0
		.amdhsa_exception_fp_denorm_src 0
		.amdhsa_exception_fp_ieee_div_zero 0
		.amdhsa_exception_fp_ieee_overflow 0
		.amdhsa_exception_fp_ieee_underflow 0
		.amdhsa_exception_fp_ieee_inexact 0
		.amdhsa_exception_int_div_zero 0
	.end_amdhsa_kernel
	.section	.text._ZN7rocprim17ROCPRIM_400000_NS6detail17trampoline_kernelINS0_14default_configENS1_27lower_bound_config_selectorIflEEZNS1_14transform_implILb0ES3_S5_N6thrust23THRUST_200600_302600_NS6detail15normal_iteratorINS8_7pointerIfNS8_11hip_rocprim9par_det_tENS8_11use_defaultESE_EEEENSA_INSB_IlSD_SE_SE_EEEEZNS1_13binary_searchIS3_S5_NSA_INS8_10device_ptrIfEEEESG_SI_NS1_21lower_bound_search_opENS9_16wrapped_functionINS8_6system6detail7generic6detail18binary_search_lessEbEEEE10hipError_tPvRmT1_T2_T3_mmT4_T5_P12ihipStream_tbEUlRKfE_EESV_SZ_S10_mS11_S14_bEUlT_E_NS1_11comp_targetILNS1_3genE8ELNS1_11target_archE1030ELNS1_3gpuE2ELNS1_3repE0EEENS1_30default_config_static_selectorELNS0_4arch9wavefront6targetE1EEEvSY_,"axG",@progbits,_ZN7rocprim17ROCPRIM_400000_NS6detail17trampoline_kernelINS0_14default_configENS1_27lower_bound_config_selectorIflEEZNS1_14transform_implILb0ES3_S5_N6thrust23THRUST_200600_302600_NS6detail15normal_iteratorINS8_7pointerIfNS8_11hip_rocprim9par_det_tENS8_11use_defaultESE_EEEENSA_INSB_IlSD_SE_SE_EEEEZNS1_13binary_searchIS3_S5_NSA_INS8_10device_ptrIfEEEESG_SI_NS1_21lower_bound_search_opENS9_16wrapped_functionINS8_6system6detail7generic6detail18binary_search_lessEbEEEE10hipError_tPvRmT1_T2_T3_mmT4_T5_P12ihipStream_tbEUlRKfE_EESV_SZ_S10_mS11_S14_bEUlT_E_NS1_11comp_targetILNS1_3genE8ELNS1_11target_archE1030ELNS1_3gpuE2ELNS1_3repE0EEENS1_30default_config_static_selectorELNS0_4arch9wavefront6targetE1EEEvSY_,comdat
.Lfunc_end348:
	.size	_ZN7rocprim17ROCPRIM_400000_NS6detail17trampoline_kernelINS0_14default_configENS1_27lower_bound_config_selectorIflEEZNS1_14transform_implILb0ES3_S5_N6thrust23THRUST_200600_302600_NS6detail15normal_iteratorINS8_7pointerIfNS8_11hip_rocprim9par_det_tENS8_11use_defaultESE_EEEENSA_INSB_IlSD_SE_SE_EEEEZNS1_13binary_searchIS3_S5_NSA_INS8_10device_ptrIfEEEESG_SI_NS1_21lower_bound_search_opENS9_16wrapped_functionINS8_6system6detail7generic6detail18binary_search_lessEbEEEE10hipError_tPvRmT1_T2_T3_mmT4_T5_P12ihipStream_tbEUlRKfE_EESV_SZ_S10_mS11_S14_bEUlT_E_NS1_11comp_targetILNS1_3genE8ELNS1_11target_archE1030ELNS1_3gpuE2ELNS1_3repE0EEENS1_30default_config_static_selectorELNS0_4arch9wavefront6targetE1EEEvSY_, .Lfunc_end348-_ZN7rocprim17ROCPRIM_400000_NS6detail17trampoline_kernelINS0_14default_configENS1_27lower_bound_config_selectorIflEEZNS1_14transform_implILb0ES3_S5_N6thrust23THRUST_200600_302600_NS6detail15normal_iteratorINS8_7pointerIfNS8_11hip_rocprim9par_det_tENS8_11use_defaultESE_EEEENSA_INSB_IlSD_SE_SE_EEEEZNS1_13binary_searchIS3_S5_NSA_INS8_10device_ptrIfEEEESG_SI_NS1_21lower_bound_search_opENS9_16wrapped_functionINS8_6system6detail7generic6detail18binary_search_lessEbEEEE10hipError_tPvRmT1_T2_T3_mmT4_T5_P12ihipStream_tbEUlRKfE_EESV_SZ_S10_mS11_S14_bEUlT_E_NS1_11comp_targetILNS1_3genE8ELNS1_11target_archE1030ELNS1_3gpuE2ELNS1_3repE0EEENS1_30default_config_static_selectorELNS0_4arch9wavefront6targetE1EEEvSY_
                                        ; -- End function
	.set _ZN7rocprim17ROCPRIM_400000_NS6detail17trampoline_kernelINS0_14default_configENS1_27lower_bound_config_selectorIflEEZNS1_14transform_implILb0ES3_S5_N6thrust23THRUST_200600_302600_NS6detail15normal_iteratorINS8_7pointerIfNS8_11hip_rocprim9par_det_tENS8_11use_defaultESE_EEEENSA_INSB_IlSD_SE_SE_EEEEZNS1_13binary_searchIS3_S5_NSA_INS8_10device_ptrIfEEEESG_SI_NS1_21lower_bound_search_opENS9_16wrapped_functionINS8_6system6detail7generic6detail18binary_search_lessEbEEEE10hipError_tPvRmT1_T2_T3_mmT4_T5_P12ihipStream_tbEUlRKfE_EESV_SZ_S10_mS11_S14_bEUlT_E_NS1_11comp_targetILNS1_3genE8ELNS1_11target_archE1030ELNS1_3gpuE2ELNS1_3repE0EEENS1_30default_config_static_selectorELNS0_4arch9wavefront6targetE1EEEvSY_.num_vgpr, 0
	.set _ZN7rocprim17ROCPRIM_400000_NS6detail17trampoline_kernelINS0_14default_configENS1_27lower_bound_config_selectorIflEEZNS1_14transform_implILb0ES3_S5_N6thrust23THRUST_200600_302600_NS6detail15normal_iteratorINS8_7pointerIfNS8_11hip_rocprim9par_det_tENS8_11use_defaultESE_EEEENSA_INSB_IlSD_SE_SE_EEEEZNS1_13binary_searchIS3_S5_NSA_INS8_10device_ptrIfEEEESG_SI_NS1_21lower_bound_search_opENS9_16wrapped_functionINS8_6system6detail7generic6detail18binary_search_lessEbEEEE10hipError_tPvRmT1_T2_T3_mmT4_T5_P12ihipStream_tbEUlRKfE_EESV_SZ_S10_mS11_S14_bEUlT_E_NS1_11comp_targetILNS1_3genE8ELNS1_11target_archE1030ELNS1_3gpuE2ELNS1_3repE0EEENS1_30default_config_static_selectorELNS0_4arch9wavefront6targetE1EEEvSY_.num_agpr, 0
	.set _ZN7rocprim17ROCPRIM_400000_NS6detail17trampoline_kernelINS0_14default_configENS1_27lower_bound_config_selectorIflEEZNS1_14transform_implILb0ES3_S5_N6thrust23THRUST_200600_302600_NS6detail15normal_iteratorINS8_7pointerIfNS8_11hip_rocprim9par_det_tENS8_11use_defaultESE_EEEENSA_INSB_IlSD_SE_SE_EEEEZNS1_13binary_searchIS3_S5_NSA_INS8_10device_ptrIfEEEESG_SI_NS1_21lower_bound_search_opENS9_16wrapped_functionINS8_6system6detail7generic6detail18binary_search_lessEbEEEE10hipError_tPvRmT1_T2_T3_mmT4_T5_P12ihipStream_tbEUlRKfE_EESV_SZ_S10_mS11_S14_bEUlT_E_NS1_11comp_targetILNS1_3genE8ELNS1_11target_archE1030ELNS1_3gpuE2ELNS1_3repE0EEENS1_30default_config_static_selectorELNS0_4arch9wavefront6targetE1EEEvSY_.numbered_sgpr, 0
	.set _ZN7rocprim17ROCPRIM_400000_NS6detail17trampoline_kernelINS0_14default_configENS1_27lower_bound_config_selectorIflEEZNS1_14transform_implILb0ES3_S5_N6thrust23THRUST_200600_302600_NS6detail15normal_iteratorINS8_7pointerIfNS8_11hip_rocprim9par_det_tENS8_11use_defaultESE_EEEENSA_INSB_IlSD_SE_SE_EEEEZNS1_13binary_searchIS3_S5_NSA_INS8_10device_ptrIfEEEESG_SI_NS1_21lower_bound_search_opENS9_16wrapped_functionINS8_6system6detail7generic6detail18binary_search_lessEbEEEE10hipError_tPvRmT1_T2_T3_mmT4_T5_P12ihipStream_tbEUlRKfE_EESV_SZ_S10_mS11_S14_bEUlT_E_NS1_11comp_targetILNS1_3genE8ELNS1_11target_archE1030ELNS1_3gpuE2ELNS1_3repE0EEENS1_30default_config_static_selectorELNS0_4arch9wavefront6targetE1EEEvSY_.num_named_barrier, 0
	.set _ZN7rocprim17ROCPRIM_400000_NS6detail17trampoline_kernelINS0_14default_configENS1_27lower_bound_config_selectorIflEEZNS1_14transform_implILb0ES3_S5_N6thrust23THRUST_200600_302600_NS6detail15normal_iteratorINS8_7pointerIfNS8_11hip_rocprim9par_det_tENS8_11use_defaultESE_EEEENSA_INSB_IlSD_SE_SE_EEEEZNS1_13binary_searchIS3_S5_NSA_INS8_10device_ptrIfEEEESG_SI_NS1_21lower_bound_search_opENS9_16wrapped_functionINS8_6system6detail7generic6detail18binary_search_lessEbEEEE10hipError_tPvRmT1_T2_T3_mmT4_T5_P12ihipStream_tbEUlRKfE_EESV_SZ_S10_mS11_S14_bEUlT_E_NS1_11comp_targetILNS1_3genE8ELNS1_11target_archE1030ELNS1_3gpuE2ELNS1_3repE0EEENS1_30default_config_static_selectorELNS0_4arch9wavefront6targetE1EEEvSY_.private_seg_size, 0
	.set _ZN7rocprim17ROCPRIM_400000_NS6detail17trampoline_kernelINS0_14default_configENS1_27lower_bound_config_selectorIflEEZNS1_14transform_implILb0ES3_S5_N6thrust23THRUST_200600_302600_NS6detail15normal_iteratorINS8_7pointerIfNS8_11hip_rocprim9par_det_tENS8_11use_defaultESE_EEEENSA_INSB_IlSD_SE_SE_EEEEZNS1_13binary_searchIS3_S5_NSA_INS8_10device_ptrIfEEEESG_SI_NS1_21lower_bound_search_opENS9_16wrapped_functionINS8_6system6detail7generic6detail18binary_search_lessEbEEEE10hipError_tPvRmT1_T2_T3_mmT4_T5_P12ihipStream_tbEUlRKfE_EESV_SZ_S10_mS11_S14_bEUlT_E_NS1_11comp_targetILNS1_3genE8ELNS1_11target_archE1030ELNS1_3gpuE2ELNS1_3repE0EEENS1_30default_config_static_selectorELNS0_4arch9wavefront6targetE1EEEvSY_.uses_vcc, 0
	.set _ZN7rocprim17ROCPRIM_400000_NS6detail17trampoline_kernelINS0_14default_configENS1_27lower_bound_config_selectorIflEEZNS1_14transform_implILb0ES3_S5_N6thrust23THRUST_200600_302600_NS6detail15normal_iteratorINS8_7pointerIfNS8_11hip_rocprim9par_det_tENS8_11use_defaultESE_EEEENSA_INSB_IlSD_SE_SE_EEEEZNS1_13binary_searchIS3_S5_NSA_INS8_10device_ptrIfEEEESG_SI_NS1_21lower_bound_search_opENS9_16wrapped_functionINS8_6system6detail7generic6detail18binary_search_lessEbEEEE10hipError_tPvRmT1_T2_T3_mmT4_T5_P12ihipStream_tbEUlRKfE_EESV_SZ_S10_mS11_S14_bEUlT_E_NS1_11comp_targetILNS1_3genE8ELNS1_11target_archE1030ELNS1_3gpuE2ELNS1_3repE0EEENS1_30default_config_static_selectorELNS0_4arch9wavefront6targetE1EEEvSY_.uses_flat_scratch, 0
	.set _ZN7rocprim17ROCPRIM_400000_NS6detail17trampoline_kernelINS0_14default_configENS1_27lower_bound_config_selectorIflEEZNS1_14transform_implILb0ES3_S5_N6thrust23THRUST_200600_302600_NS6detail15normal_iteratorINS8_7pointerIfNS8_11hip_rocprim9par_det_tENS8_11use_defaultESE_EEEENSA_INSB_IlSD_SE_SE_EEEEZNS1_13binary_searchIS3_S5_NSA_INS8_10device_ptrIfEEEESG_SI_NS1_21lower_bound_search_opENS9_16wrapped_functionINS8_6system6detail7generic6detail18binary_search_lessEbEEEE10hipError_tPvRmT1_T2_T3_mmT4_T5_P12ihipStream_tbEUlRKfE_EESV_SZ_S10_mS11_S14_bEUlT_E_NS1_11comp_targetILNS1_3genE8ELNS1_11target_archE1030ELNS1_3gpuE2ELNS1_3repE0EEENS1_30default_config_static_selectorELNS0_4arch9wavefront6targetE1EEEvSY_.has_dyn_sized_stack, 0
	.set _ZN7rocprim17ROCPRIM_400000_NS6detail17trampoline_kernelINS0_14default_configENS1_27lower_bound_config_selectorIflEEZNS1_14transform_implILb0ES3_S5_N6thrust23THRUST_200600_302600_NS6detail15normal_iteratorINS8_7pointerIfNS8_11hip_rocprim9par_det_tENS8_11use_defaultESE_EEEENSA_INSB_IlSD_SE_SE_EEEEZNS1_13binary_searchIS3_S5_NSA_INS8_10device_ptrIfEEEESG_SI_NS1_21lower_bound_search_opENS9_16wrapped_functionINS8_6system6detail7generic6detail18binary_search_lessEbEEEE10hipError_tPvRmT1_T2_T3_mmT4_T5_P12ihipStream_tbEUlRKfE_EESV_SZ_S10_mS11_S14_bEUlT_E_NS1_11comp_targetILNS1_3genE8ELNS1_11target_archE1030ELNS1_3gpuE2ELNS1_3repE0EEENS1_30default_config_static_selectorELNS0_4arch9wavefront6targetE1EEEvSY_.has_recursion, 0
	.set _ZN7rocprim17ROCPRIM_400000_NS6detail17trampoline_kernelINS0_14default_configENS1_27lower_bound_config_selectorIflEEZNS1_14transform_implILb0ES3_S5_N6thrust23THRUST_200600_302600_NS6detail15normal_iteratorINS8_7pointerIfNS8_11hip_rocprim9par_det_tENS8_11use_defaultESE_EEEENSA_INSB_IlSD_SE_SE_EEEEZNS1_13binary_searchIS3_S5_NSA_INS8_10device_ptrIfEEEESG_SI_NS1_21lower_bound_search_opENS9_16wrapped_functionINS8_6system6detail7generic6detail18binary_search_lessEbEEEE10hipError_tPvRmT1_T2_T3_mmT4_T5_P12ihipStream_tbEUlRKfE_EESV_SZ_S10_mS11_S14_bEUlT_E_NS1_11comp_targetILNS1_3genE8ELNS1_11target_archE1030ELNS1_3gpuE2ELNS1_3repE0EEENS1_30default_config_static_selectorELNS0_4arch9wavefront6targetE1EEEvSY_.has_indirect_call, 0
	.section	.AMDGPU.csdata,"",@progbits
; Kernel info:
; codeLenInByte = 0
; TotalNumSgprs: 4
; NumVgprs: 0
; ScratchSize: 0
; MemoryBound: 0
; FloatMode: 240
; IeeeMode: 1
; LDSByteSize: 0 bytes/workgroup (compile time only)
; SGPRBlocks: 0
; VGPRBlocks: 0
; NumSGPRsForWavesPerEU: 4
; NumVGPRsForWavesPerEU: 1
; Occupancy: 10
; WaveLimiterHint : 0
; COMPUTE_PGM_RSRC2:SCRATCH_EN: 0
; COMPUTE_PGM_RSRC2:USER_SGPR: 6
; COMPUTE_PGM_RSRC2:TRAP_HANDLER: 0
; COMPUTE_PGM_RSRC2:TGID_X_EN: 1
; COMPUTE_PGM_RSRC2:TGID_Y_EN: 0
; COMPUTE_PGM_RSRC2:TGID_Z_EN: 0
; COMPUTE_PGM_RSRC2:TIDIG_COMP_CNT: 0
	.section	.text._ZN7rocprim17ROCPRIM_400000_NS6detail17trampoline_kernelINS0_14default_configENS1_27lower_bound_config_selectorIflEEZNS1_14transform_implILb0ES3_S5_N6thrust23THRUST_200600_302600_NS6detail15normal_iteratorINS8_7pointerIfNS8_11hip_rocprim5par_tENS8_11use_defaultESE_EEEENSA_INSB_IlSD_SE_SE_EEEEZNS1_13binary_searchIS3_S5_NSA_INS8_10device_ptrIfEEEESG_SI_NS1_21lower_bound_search_opENS9_16wrapped_functionINS8_6system6detail7generic6detail18binary_search_lessEbEEEE10hipError_tPvRmT1_T2_T3_mmT4_T5_P12ihipStream_tbEUlRKfE_EESV_SZ_S10_mS11_S14_bEUlT_E_NS1_11comp_targetILNS1_3genE0ELNS1_11target_archE4294967295ELNS1_3gpuE0ELNS1_3repE0EEENS1_30default_config_static_selectorELNS0_4arch9wavefront6targetE1EEEvSY_,"axG",@progbits,_ZN7rocprim17ROCPRIM_400000_NS6detail17trampoline_kernelINS0_14default_configENS1_27lower_bound_config_selectorIflEEZNS1_14transform_implILb0ES3_S5_N6thrust23THRUST_200600_302600_NS6detail15normal_iteratorINS8_7pointerIfNS8_11hip_rocprim5par_tENS8_11use_defaultESE_EEEENSA_INSB_IlSD_SE_SE_EEEEZNS1_13binary_searchIS3_S5_NSA_INS8_10device_ptrIfEEEESG_SI_NS1_21lower_bound_search_opENS9_16wrapped_functionINS8_6system6detail7generic6detail18binary_search_lessEbEEEE10hipError_tPvRmT1_T2_T3_mmT4_T5_P12ihipStream_tbEUlRKfE_EESV_SZ_S10_mS11_S14_bEUlT_E_NS1_11comp_targetILNS1_3genE0ELNS1_11target_archE4294967295ELNS1_3gpuE0ELNS1_3repE0EEENS1_30default_config_static_selectorELNS0_4arch9wavefront6targetE1EEEvSY_,comdat
	.protected	_ZN7rocprim17ROCPRIM_400000_NS6detail17trampoline_kernelINS0_14default_configENS1_27lower_bound_config_selectorIflEEZNS1_14transform_implILb0ES3_S5_N6thrust23THRUST_200600_302600_NS6detail15normal_iteratorINS8_7pointerIfNS8_11hip_rocprim5par_tENS8_11use_defaultESE_EEEENSA_INSB_IlSD_SE_SE_EEEEZNS1_13binary_searchIS3_S5_NSA_INS8_10device_ptrIfEEEESG_SI_NS1_21lower_bound_search_opENS9_16wrapped_functionINS8_6system6detail7generic6detail18binary_search_lessEbEEEE10hipError_tPvRmT1_T2_T3_mmT4_T5_P12ihipStream_tbEUlRKfE_EESV_SZ_S10_mS11_S14_bEUlT_E_NS1_11comp_targetILNS1_3genE0ELNS1_11target_archE4294967295ELNS1_3gpuE0ELNS1_3repE0EEENS1_30default_config_static_selectorELNS0_4arch9wavefront6targetE1EEEvSY_ ; -- Begin function _ZN7rocprim17ROCPRIM_400000_NS6detail17trampoline_kernelINS0_14default_configENS1_27lower_bound_config_selectorIflEEZNS1_14transform_implILb0ES3_S5_N6thrust23THRUST_200600_302600_NS6detail15normal_iteratorINS8_7pointerIfNS8_11hip_rocprim5par_tENS8_11use_defaultESE_EEEENSA_INSB_IlSD_SE_SE_EEEEZNS1_13binary_searchIS3_S5_NSA_INS8_10device_ptrIfEEEESG_SI_NS1_21lower_bound_search_opENS9_16wrapped_functionINS8_6system6detail7generic6detail18binary_search_lessEbEEEE10hipError_tPvRmT1_T2_T3_mmT4_T5_P12ihipStream_tbEUlRKfE_EESV_SZ_S10_mS11_S14_bEUlT_E_NS1_11comp_targetILNS1_3genE0ELNS1_11target_archE4294967295ELNS1_3gpuE0ELNS1_3repE0EEENS1_30default_config_static_selectorELNS0_4arch9wavefront6targetE1EEEvSY_
	.globl	_ZN7rocprim17ROCPRIM_400000_NS6detail17trampoline_kernelINS0_14default_configENS1_27lower_bound_config_selectorIflEEZNS1_14transform_implILb0ES3_S5_N6thrust23THRUST_200600_302600_NS6detail15normal_iteratorINS8_7pointerIfNS8_11hip_rocprim5par_tENS8_11use_defaultESE_EEEENSA_INSB_IlSD_SE_SE_EEEEZNS1_13binary_searchIS3_S5_NSA_INS8_10device_ptrIfEEEESG_SI_NS1_21lower_bound_search_opENS9_16wrapped_functionINS8_6system6detail7generic6detail18binary_search_lessEbEEEE10hipError_tPvRmT1_T2_T3_mmT4_T5_P12ihipStream_tbEUlRKfE_EESV_SZ_S10_mS11_S14_bEUlT_E_NS1_11comp_targetILNS1_3genE0ELNS1_11target_archE4294967295ELNS1_3gpuE0ELNS1_3repE0EEENS1_30default_config_static_selectorELNS0_4arch9wavefront6targetE1EEEvSY_
	.p2align	8
	.type	_ZN7rocprim17ROCPRIM_400000_NS6detail17trampoline_kernelINS0_14default_configENS1_27lower_bound_config_selectorIflEEZNS1_14transform_implILb0ES3_S5_N6thrust23THRUST_200600_302600_NS6detail15normal_iteratorINS8_7pointerIfNS8_11hip_rocprim5par_tENS8_11use_defaultESE_EEEENSA_INSB_IlSD_SE_SE_EEEEZNS1_13binary_searchIS3_S5_NSA_INS8_10device_ptrIfEEEESG_SI_NS1_21lower_bound_search_opENS9_16wrapped_functionINS8_6system6detail7generic6detail18binary_search_lessEbEEEE10hipError_tPvRmT1_T2_T3_mmT4_T5_P12ihipStream_tbEUlRKfE_EESV_SZ_S10_mS11_S14_bEUlT_E_NS1_11comp_targetILNS1_3genE0ELNS1_11target_archE4294967295ELNS1_3gpuE0ELNS1_3repE0EEENS1_30default_config_static_selectorELNS0_4arch9wavefront6targetE1EEEvSY_,@function
_ZN7rocprim17ROCPRIM_400000_NS6detail17trampoline_kernelINS0_14default_configENS1_27lower_bound_config_selectorIflEEZNS1_14transform_implILb0ES3_S5_N6thrust23THRUST_200600_302600_NS6detail15normal_iteratorINS8_7pointerIfNS8_11hip_rocprim5par_tENS8_11use_defaultESE_EEEENSA_INSB_IlSD_SE_SE_EEEEZNS1_13binary_searchIS3_S5_NSA_INS8_10device_ptrIfEEEESG_SI_NS1_21lower_bound_search_opENS9_16wrapped_functionINS8_6system6detail7generic6detail18binary_search_lessEbEEEE10hipError_tPvRmT1_T2_T3_mmT4_T5_P12ihipStream_tbEUlRKfE_EESV_SZ_S10_mS11_S14_bEUlT_E_NS1_11comp_targetILNS1_3genE0ELNS1_11target_archE4294967295ELNS1_3gpuE0ELNS1_3repE0EEENS1_30default_config_static_selectorELNS0_4arch9wavefront6targetE1EEEvSY_: ; @_ZN7rocprim17ROCPRIM_400000_NS6detail17trampoline_kernelINS0_14default_configENS1_27lower_bound_config_selectorIflEEZNS1_14transform_implILb0ES3_S5_N6thrust23THRUST_200600_302600_NS6detail15normal_iteratorINS8_7pointerIfNS8_11hip_rocprim5par_tENS8_11use_defaultESE_EEEENSA_INSB_IlSD_SE_SE_EEEEZNS1_13binary_searchIS3_S5_NSA_INS8_10device_ptrIfEEEESG_SI_NS1_21lower_bound_search_opENS9_16wrapped_functionINS8_6system6detail7generic6detail18binary_search_lessEbEEEE10hipError_tPvRmT1_T2_T3_mmT4_T5_P12ihipStream_tbEUlRKfE_EESV_SZ_S10_mS11_S14_bEUlT_E_NS1_11comp_targetILNS1_3genE0ELNS1_11target_archE4294967295ELNS1_3gpuE0ELNS1_3repE0EEENS1_30default_config_static_selectorELNS0_4arch9wavefront6targetE1EEEvSY_
; %bb.0:
	.section	.rodata,"a",@progbits
	.p2align	6, 0x0
	.amdhsa_kernel _ZN7rocprim17ROCPRIM_400000_NS6detail17trampoline_kernelINS0_14default_configENS1_27lower_bound_config_selectorIflEEZNS1_14transform_implILb0ES3_S5_N6thrust23THRUST_200600_302600_NS6detail15normal_iteratorINS8_7pointerIfNS8_11hip_rocprim5par_tENS8_11use_defaultESE_EEEENSA_INSB_IlSD_SE_SE_EEEEZNS1_13binary_searchIS3_S5_NSA_INS8_10device_ptrIfEEEESG_SI_NS1_21lower_bound_search_opENS9_16wrapped_functionINS8_6system6detail7generic6detail18binary_search_lessEbEEEE10hipError_tPvRmT1_T2_T3_mmT4_T5_P12ihipStream_tbEUlRKfE_EESV_SZ_S10_mS11_S14_bEUlT_E_NS1_11comp_targetILNS1_3genE0ELNS1_11target_archE4294967295ELNS1_3gpuE0ELNS1_3repE0EEENS1_30default_config_static_selectorELNS0_4arch9wavefront6targetE1EEEvSY_
		.amdhsa_group_segment_fixed_size 0
		.amdhsa_private_segment_fixed_size 0
		.amdhsa_kernarg_size 56
		.amdhsa_user_sgpr_count 6
		.amdhsa_user_sgpr_private_segment_buffer 1
		.amdhsa_user_sgpr_dispatch_ptr 0
		.amdhsa_user_sgpr_queue_ptr 0
		.amdhsa_user_sgpr_kernarg_segment_ptr 1
		.amdhsa_user_sgpr_dispatch_id 0
		.amdhsa_user_sgpr_flat_scratch_init 0
		.amdhsa_user_sgpr_private_segment_size 0
		.amdhsa_uses_dynamic_stack 0
		.amdhsa_system_sgpr_private_segment_wavefront_offset 0
		.amdhsa_system_sgpr_workgroup_id_x 1
		.amdhsa_system_sgpr_workgroup_id_y 0
		.amdhsa_system_sgpr_workgroup_id_z 0
		.amdhsa_system_sgpr_workgroup_info 0
		.amdhsa_system_vgpr_workitem_id 0
		.amdhsa_next_free_vgpr 1
		.amdhsa_next_free_sgpr 0
		.amdhsa_reserve_vcc 0
		.amdhsa_reserve_flat_scratch 0
		.amdhsa_float_round_mode_32 0
		.amdhsa_float_round_mode_16_64 0
		.amdhsa_float_denorm_mode_32 3
		.amdhsa_float_denorm_mode_16_64 3
		.amdhsa_dx10_clamp 1
		.amdhsa_ieee_mode 1
		.amdhsa_fp16_overflow 0
		.amdhsa_exception_fp_ieee_invalid_op 0
		.amdhsa_exception_fp_denorm_src 0
		.amdhsa_exception_fp_ieee_div_zero 0
		.amdhsa_exception_fp_ieee_overflow 0
		.amdhsa_exception_fp_ieee_underflow 0
		.amdhsa_exception_fp_ieee_inexact 0
		.amdhsa_exception_int_div_zero 0
	.end_amdhsa_kernel
	.section	.text._ZN7rocprim17ROCPRIM_400000_NS6detail17trampoline_kernelINS0_14default_configENS1_27lower_bound_config_selectorIflEEZNS1_14transform_implILb0ES3_S5_N6thrust23THRUST_200600_302600_NS6detail15normal_iteratorINS8_7pointerIfNS8_11hip_rocprim5par_tENS8_11use_defaultESE_EEEENSA_INSB_IlSD_SE_SE_EEEEZNS1_13binary_searchIS3_S5_NSA_INS8_10device_ptrIfEEEESG_SI_NS1_21lower_bound_search_opENS9_16wrapped_functionINS8_6system6detail7generic6detail18binary_search_lessEbEEEE10hipError_tPvRmT1_T2_T3_mmT4_T5_P12ihipStream_tbEUlRKfE_EESV_SZ_S10_mS11_S14_bEUlT_E_NS1_11comp_targetILNS1_3genE0ELNS1_11target_archE4294967295ELNS1_3gpuE0ELNS1_3repE0EEENS1_30default_config_static_selectorELNS0_4arch9wavefront6targetE1EEEvSY_,"axG",@progbits,_ZN7rocprim17ROCPRIM_400000_NS6detail17trampoline_kernelINS0_14default_configENS1_27lower_bound_config_selectorIflEEZNS1_14transform_implILb0ES3_S5_N6thrust23THRUST_200600_302600_NS6detail15normal_iteratorINS8_7pointerIfNS8_11hip_rocprim5par_tENS8_11use_defaultESE_EEEENSA_INSB_IlSD_SE_SE_EEEEZNS1_13binary_searchIS3_S5_NSA_INS8_10device_ptrIfEEEESG_SI_NS1_21lower_bound_search_opENS9_16wrapped_functionINS8_6system6detail7generic6detail18binary_search_lessEbEEEE10hipError_tPvRmT1_T2_T3_mmT4_T5_P12ihipStream_tbEUlRKfE_EESV_SZ_S10_mS11_S14_bEUlT_E_NS1_11comp_targetILNS1_3genE0ELNS1_11target_archE4294967295ELNS1_3gpuE0ELNS1_3repE0EEENS1_30default_config_static_selectorELNS0_4arch9wavefront6targetE1EEEvSY_,comdat
.Lfunc_end349:
	.size	_ZN7rocprim17ROCPRIM_400000_NS6detail17trampoline_kernelINS0_14default_configENS1_27lower_bound_config_selectorIflEEZNS1_14transform_implILb0ES3_S5_N6thrust23THRUST_200600_302600_NS6detail15normal_iteratorINS8_7pointerIfNS8_11hip_rocprim5par_tENS8_11use_defaultESE_EEEENSA_INSB_IlSD_SE_SE_EEEEZNS1_13binary_searchIS3_S5_NSA_INS8_10device_ptrIfEEEESG_SI_NS1_21lower_bound_search_opENS9_16wrapped_functionINS8_6system6detail7generic6detail18binary_search_lessEbEEEE10hipError_tPvRmT1_T2_T3_mmT4_T5_P12ihipStream_tbEUlRKfE_EESV_SZ_S10_mS11_S14_bEUlT_E_NS1_11comp_targetILNS1_3genE0ELNS1_11target_archE4294967295ELNS1_3gpuE0ELNS1_3repE0EEENS1_30default_config_static_selectorELNS0_4arch9wavefront6targetE1EEEvSY_, .Lfunc_end349-_ZN7rocprim17ROCPRIM_400000_NS6detail17trampoline_kernelINS0_14default_configENS1_27lower_bound_config_selectorIflEEZNS1_14transform_implILb0ES3_S5_N6thrust23THRUST_200600_302600_NS6detail15normal_iteratorINS8_7pointerIfNS8_11hip_rocprim5par_tENS8_11use_defaultESE_EEEENSA_INSB_IlSD_SE_SE_EEEEZNS1_13binary_searchIS3_S5_NSA_INS8_10device_ptrIfEEEESG_SI_NS1_21lower_bound_search_opENS9_16wrapped_functionINS8_6system6detail7generic6detail18binary_search_lessEbEEEE10hipError_tPvRmT1_T2_T3_mmT4_T5_P12ihipStream_tbEUlRKfE_EESV_SZ_S10_mS11_S14_bEUlT_E_NS1_11comp_targetILNS1_3genE0ELNS1_11target_archE4294967295ELNS1_3gpuE0ELNS1_3repE0EEENS1_30default_config_static_selectorELNS0_4arch9wavefront6targetE1EEEvSY_
                                        ; -- End function
	.set _ZN7rocprim17ROCPRIM_400000_NS6detail17trampoline_kernelINS0_14default_configENS1_27lower_bound_config_selectorIflEEZNS1_14transform_implILb0ES3_S5_N6thrust23THRUST_200600_302600_NS6detail15normal_iteratorINS8_7pointerIfNS8_11hip_rocprim5par_tENS8_11use_defaultESE_EEEENSA_INSB_IlSD_SE_SE_EEEEZNS1_13binary_searchIS3_S5_NSA_INS8_10device_ptrIfEEEESG_SI_NS1_21lower_bound_search_opENS9_16wrapped_functionINS8_6system6detail7generic6detail18binary_search_lessEbEEEE10hipError_tPvRmT1_T2_T3_mmT4_T5_P12ihipStream_tbEUlRKfE_EESV_SZ_S10_mS11_S14_bEUlT_E_NS1_11comp_targetILNS1_3genE0ELNS1_11target_archE4294967295ELNS1_3gpuE0ELNS1_3repE0EEENS1_30default_config_static_selectorELNS0_4arch9wavefront6targetE1EEEvSY_.num_vgpr, 0
	.set _ZN7rocprim17ROCPRIM_400000_NS6detail17trampoline_kernelINS0_14default_configENS1_27lower_bound_config_selectorIflEEZNS1_14transform_implILb0ES3_S5_N6thrust23THRUST_200600_302600_NS6detail15normal_iteratorINS8_7pointerIfNS8_11hip_rocprim5par_tENS8_11use_defaultESE_EEEENSA_INSB_IlSD_SE_SE_EEEEZNS1_13binary_searchIS3_S5_NSA_INS8_10device_ptrIfEEEESG_SI_NS1_21lower_bound_search_opENS9_16wrapped_functionINS8_6system6detail7generic6detail18binary_search_lessEbEEEE10hipError_tPvRmT1_T2_T3_mmT4_T5_P12ihipStream_tbEUlRKfE_EESV_SZ_S10_mS11_S14_bEUlT_E_NS1_11comp_targetILNS1_3genE0ELNS1_11target_archE4294967295ELNS1_3gpuE0ELNS1_3repE0EEENS1_30default_config_static_selectorELNS0_4arch9wavefront6targetE1EEEvSY_.num_agpr, 0
	.set _ZN7rocprim17ROCPRIM_400000_NS6detail17trampoline_kernelINS0_14default_configENS1_27lower_bound_config_selectorIflEEZNS1_14transform_implILb0ES3_S5_N6thrust23THRUST_200600_302600_NS6detail15normal_iteratorINS8_7pointerIfNS8_11hip_rocprim5par_tENS8_11use_defaultESE_EEEENSA_INSB_IlSD_SE_SE_EEEEZNS1_13binary_searchIS3_S5_NSA_INS8_10device_ptrIfEEEESG_SI_NS1_21lower_bound_search_opENS9_16wrapped_functionINS8_6system6detail7generic6detail18binary_search_lessEbEEEE10hipError_tPvRmT1_T2_T3_mmT4_T5_P12ihipStream_tbEUlRKfE_EESV_SZ_S10_mS11_S14_bEUlT_E_NS1_11comp_targetILNS1_3genE0ELNS1_11target_archE4294967295ELNS1_3gpuE0ELNS1_3repE0EEENS1_30default_config_static_selectorELNS0_4arch9wavefront6targetE1EEEvSY_.numbered_sgpr, 0
	.set _ZN7rocprim17ROCPRIM_400000_NS6detail17trampoline_kernelINS0_14default_configENS1_27lower_bound_config_selectorIflEEZNS1_14transform_implILb0ES3_S5_N6thrust23THRUST_200600_302600_NS6detail15normal_iteratorINS8_7pointerIfNS8_11hip_rocprim5par_tENS8_11use_defaultESE_EEEENSA_INSB_IlSD_SE_SE_EEEEZNS1_13binary_searchIS3_S5_NSA_INS8_10device_ptrIfEEEESG_SI_NS1_21lower_bound_search_opENS9_16wrapped_functionINS8_6system6detail7generic6detail18binary_search_lessEbEEEE10hipError_tPvRmT1_T2_T3_mmT4_T5_P12ihipStream_tbEUlRKfE_EESV_SZ_S10_mS11_S14_bEUlT_E_NS1_11comp_targetILNS1_3genE0ELNS1_11target_archE4294967295ELNS1_3gpuE0ELNS1_3repE0EEENS1_30default_config_static_selectorELNS0_4arch9wavefront6targetE1EEEvSY_.num_named_barrier, 0
	.set _ZN7rocprim17ROCPRIM_400000_NS6detail17trampoline_kernelINS0_14default_configENS1_27lower_bound_config_selectorIflEEZNS1_14transform_implILb0ES3_S5_N6thrust23THRUST_200600_302600_NS6detail15normal_iteratorINS8_7pointerIfNS8_11hip_rocprim5par_tENS8_11use_defaultESE_EEEENSA_INSB_IlSD_SE_SE_EEEEZNS1_13binary_searchIS3_S5_NSA_INS8_10device_ptrIfEEEESG_SI_NS1_21lower_bound_search_opENS9_16wrapped_functionINS8_6system6detail7generic6detail18binary_search_lessEbEEEE10hipError_tPvRmT1_T2_T3_mmT4_T5_P12ihipStream_tbEUlRKfE_EESV_SZ_S10_mS11_S14_bEUlT_E_NS1_11comp_targetILNS1_3genE0ELNS1_11target_archE4294967295ELNS1_3gpuE0ELNS1_3repE0EEENS1_30default_config_static_selectorELNS0_4arch9wavefront6targetE1EEEvSY_.private_seg_size, 0
	.set _ZN7rocprim17ROCPRIM_400000_NS6detail17trampoline_kernelINS0_14default_configENS1_27lower_bound_config_selectorIflEEZNS1_14transform_implILb0ES3_S5_N6thrust23THRUST_200600_302600_NS6detail15normal_iteratorINS8_7pointerIfNS8_11hip_rocprim5par_tENS8_11use_defaultESE_EEEENSA_INSB_IlSD_SE_SE_EEEEZNS1_13binary_searchIS3_S5_NSA_INS8_10device_ptrIfEEEESG_SI_NS1_21lower_bound_search_opENS9_16wrapped_functionINS8_6system6detail7generic6detail18binary_search_lessEbEEEE10hipError_tPvRmT1_T2_T3_mmT4_T5_P12ihipStream_tbEUlRKfE_EESV_SZ_S10_mS11_S14_bEUlT_E_NS1_11comp_targetILNS1_3genE0ELNS1_11target_archE4294967295ELNS1_3gpuE0ELNS1_3repE0EEENS1_30default_config_static_selectorELNS0_4arch9wavefront6targetE1EEEvSY_.uses_vcc, 0
	.set _ZN7rocprim17ROCPRIM_400000_NS6detail17trampoline_kernelINS0_14default_configENS1_27lower_bound_config_selectorIflEEZNS1_14transform_implILb0ES3_S5_N6thrust23THRUST_200600_302600_NS6detail15normal_iteratorINS8_7pointerIfNS8_11hip_rocprim5par_tENS8_11use_defaultESE_EEEENSA_INSB_IlSD_SE_SE_EEEEZNS1_13binary_searchIS3_S5_NSA_INS8_10device_ptrIfEEEESG_SI_NS1_21lower_bound_search_opENS9_16wrapped_functionINS8_6system6detail7generic6detail18binary_search_lessEbEEEE10hipError_tPvRmT1_T2_T3_mmT4_T5_P12ihipStream_tbEUlRKfE_EESV_SZ_S10_mS11_S14_bEUlT_E_NS1_11comp_targetILNS1_3genE0ELNS1_11target_archE4294967295ELNS1_3gpuE0ELNS1_3repE0EEENS1_30default_config_static_selectorELNS0_4arch9wavefront6targetE1EEEvSY_.uses_flat_scratch, 0
	.set _ZN7rocprim17ROCPRIM_400000_NS6detail17trampoline_kernelINS0_14default_configENS1_27lower_bound_config_selectorIflEEZNS1_14transform_implILb0ES3_S5_N6thrust23THRUST_200600_302600_NS6detail15normal_iteratorINS8_7pointerIfNS8_11hip_rocprim5par_tENS8_11use_defaultESE_EEEENSA_INSB_IlSD_SE_SE_EEEEZNS1_13binary_searchIS3_S5_NSA_INS8_10device_ptrIfEEEESG_SI_NS1_21lower_bound_search_opENS9_16wrapped_functionINS8_6system6detail7generic6detail18binary_search_lessEbEEEE10hipError_tPvRmT1_T2_T3_mmT4_T5_P12ihipStream_tbEUlRKfE_EESV_SZ_S10_mS11_S14_bEUlT_E_NS1_11comp_targetILNS1_3genE0ELNS1_11target_archE4294967295ELNS1_3gpuE0ELNS1_3repE0EEENS1_30default_config_static_selectorELNS0_4arch9wavefront6targetE1EEEvSY_.has_dyn_sized_stack, 0
	.set _ZN7rocprim17ROCPRIM_400000_NS6detail17trampoline_kernelINS0_14default_configENS1_27lower_bound_config_selectorIflEEZNS1_14transform_implILb0ES3_S5_N6thrust23THRUST_200600_302600_NS6detail15normal_iteratorINS8_7pointerIfNS8_11hip_rocprim5par_tENS8_11use_defaultESE_EEEENSA_INSB_IlSD_SE_SE_EEEEZNS1_13binary_searchIS3_S5_NSA_INS8_10device_ptrIfEEEESG_SI_NS1_21lower_bound_search_opENS9_16wrapped_functionINS8_6system6detail7generic6detail18binary_search_lessEbEEEE10hipError_tPvRmT1_T2_T3_mmT4_T5_P12ihipStream_tbEUlRKfE_EESV_SZ_S10_mS11_S14_bEUlT_E_NS1_11comp_targetILNS1_3genE0ELNS1_11target_archE4294967295ELNS1_3gpuE0ELNS1_3repE0EEENS1_30default_config_static_selectorELNS0_4arch9wavefront6targetE1EEEvSY_.has_recursion, 0
	.set _ZN7rocprim17ROCPRIM_400000_NS6detail17trampoline_kernelINS0_14default_configENS1_27lower_bound_config_selectorIflEEZNS1_14transform_implILb0ES3_S5_N6thrust23THRUST_200600_302600_NS6detail15normal_iteratorINS8_7pointerIfNS8_11hip_rocprim5par_tENS8_11use_defaultESE_EEEENSA_INSB_IlSD_SE_SE_EEEEZNS1_13binary_searchIS3_S5_NSA_INS8_10device_ptrIfEEEESG_SI_NS1_21lower_bound_search_opENS9_16wrapped_functionINS8_6system6detail7generic6detail18binary_search_lessEbEEEE10hipError_tPvRmT1_T2_T3_mmT4_T5_P12ihipStream_tbEUlRKfE_EESV_SZ_S10_mS11_S14_bEUlT_E_NS1_11comp_targetILNS1_3genE0ELNS1_11target_archE4294967295ELNS1_3gpuE0ELNS1_3repE0EEENS1_30default_config_static_selectorELNS0_4arch9wavefront6targetE1EEEvSY_.has_indirect_call, 0
	.section	.AMDGPU.csdata,"",@progbits
; Kernel info:
; codeLenInByte = 0
; TotalNumSgprs: 4
; NumVgprs: 0
; ScratchSize: 0
; MemoryBound: 0
; FloatMode: 240
; IeeeMode: 1
; LDSByteSize: 0 bytes/workgroup (compile time only)
; SGPRBlocks: 0
; VGPRBlocks: 0
; NumSGPRsForWavesPerEU: 4
; NumVGPRsForWavesPerEU: 1
; Occupancy: 10
; WaveLimiterHint : 0
; COMPUTE_PGM_RSRC2:SCRATCH_EN: 0
; COMPUTE_PGM_RSRC2:USER_SGPR: 6
; COMPUTE_PGM_RSRC2:TRAP_HANDLER: 0
; COMPUTE_PGM_RSRC2:TGID_X_EN: 1
; COMPUTE_PGM_RSRC2:TGID_Y_EN: 0
; COMPUTE_PGM_RSRC2:TGID_Z_EN: 0
; COMPUTE_PGM_RSRC2:TIDIG_COMP_CNT: 0
	.section	.text._ZN7rocprim17ROCPRIM_400000_NS6detail17trampoline_kernelINS0_14default_configENS1_27lower_bound_config_selectorIflEEZNS1_14transform_implILb0ES3_S5_N6thrust23THRUST_200600_302600_NS6detail15normal_iteratorINS8_7pointerIfNS8_11hip_rocprim5par_tENS8_11use_defaultESE_EEEENSA_INSB_IlSD_SE_SE_EEEEZNS1_13binary_searchIS3_S5_NSA_INS8_10device_ptrIfEEEESG_SI_NS1_21lower_bound_search_opENS9_16wrapped_functionINS8_6system6detail7generic6detail18binary_search_lessEbEEEE10hipError_tPvRmT1_T2_T3_mmT4_T5_P12ihipStream_tbEUlRKfE_EESV_SZ_S10_mS11_S14_bEUlT_E_NS1_11comp_targetILNS1_3genE5ELNS1_11target_archE942ELNS1_3gpuE9ELNS1_3repE0EEENS1_30default_config_static_selectorELNS0_4arch9wavefront6targetE1EEEvSY_,"axG",@progbits,_ZN7rocprim17ROCPRIM_400000_NS6detail17trampoline_kernelINS0_14default_configENS1_27lower_bound_config_selectorIflEEZNS1_14transform_implILb0ES3_S5_N6thrust23THRUST_200600_302600_NS6detail15normal_iteratorINS8_7pointerIfNS8_11hip_rocprim5par_tENS8_11use_defaultESE_EEEENSA_INSB_IlSD_SE_SE_EEEEZNS1_13binary_searchIS3_S5_NSA_INS8_10device_ptrIfEEEESG_SI_NS1_21lower_bound_search_opENS9_16wrapped_functionINS8_6system6detail7generic6detail18binary_search_lessEbEEEE10hipError_tPvRmT1_T2_T3_mmT4_T5_P12ihipStream_tbEUlRKfE_EESV_SZ_S10_mS11_S14_bEUlT_E_NS1_11comp_targetILNS1_3genE5ELNS1_11target_archE942ELNS1_3gpuE9ELNS1_3repE0EEENS1_30default_config_static_selectorELNS0_4arch9wavefront6targetE1EEEvSY_,comdat
	.protected	_ZN7rocprim17ROCPRIM_400000_NS6detail17trampoline_kernelINS0_14default_configENS1_27lower_bound_config_selectorIflEEZNS1_14transform_implILb0ES3_S5_N6thrust23THRUST_200600_302600_NS6detail15normal_iteratorINS8_7pointerIfNS8_11hip_rocprim5par_tENS8_11use_defaultESE_EEEENSA_INSB_IlSD_SE_SE_EEEEZNS1_13binary_searchIS3_S5_NSA_INS8_10device_ptrIfEEEESG_SI_NS1_21lower_bound_search_opENS9_16wrapped_functionINS8_6system6detail7generic6detail18binary_search_lessEbEEEE10hipError_tPvRmT1_T2_T3_mmT4_T5_P12ihipStream_tbEUlRKfE_EESV_SZ_S10_mS11_S14_bEUlT_E_NS1_11comp_targetILNS1_3genE5ELNS1_11target_archE942ELNS1_3gpuE9ELNS1_3repE0EEENS1_30default_config_static_selectorELNS0_4arch9wavefront6targetE1EEEvSY_ ; -- Begin function _ZN7rocprim17ROCPRIM_400000_NS6detail17trampoline_kernelINS0_14default_configENS1_27lower_bound_config_selectorIflEEZNS1_14transform_implILb0ES3_S5_N6thrust23THRUST_200600_302600_NS6detail15normal_iteratorINS8_7pointerIfNS8_11hip_rocprim5par_tENS8_11use_defaultESE_EEEENSA_INSB_IlSD_SE_SE_EEEEZNS1_13binary_searchIS3_S5_NSA_INS8_10device_ptrIfEEEESG_SI_NS1_21lower_bound_search_opENS9_16wrapped_functionINS8_6system6detail7generic6detail18binary_search_lessEbEEEE10hipError_tPvRmT1_T2_T3_mmT4_T5_P12ihipStream_tbEUlRKfE_EESV_SZ_S10_mS11_S14_bEUlT_E_NS1_11comp_targetILNS1_3genE5ELNS1_11target_archE942ELNS1_3gpuE9ELNS1_3repE0EEENS1_30default_config_static_selectorELNS0_4arch9wavefront6targetE1EEEvSY_
	.globl	_ZN7rocprim17ROCPRIM_400000_NS6detail17trampoline_kernelINS0_14default_configENS1_27lower_bound_config_selectorIflEEZNS1_14transform_implILb0ES3_S5_N6thrust23THRUST_200600_302600_NS6detail15normal_iteratorINS8_7pointerIfNS8_11hip_rocprim5par_tENS8_11use_defaultESE_EEEENSA_INSB_IlSD_SE_SE_EEEEZNS1_13binary_searchIS3_S5_NSA_INS8_10device_ptrIfEEEESG_SI_NS1_21lower_bound_search_opENS9_16wrapped_functionINS8_6system6detail7generic6detail18binary_search_lessEbEEEE10hipError_tPvRmT1_T2_T3_mmT4_T5_P12ihipStream_tbEUlRKfE_EESV_SZ_S10_mS11_S14_bEUlT_E_NS1_11comp_targetILNS1_3genE5ELNS1_11target_archE942ELNS1_3gpuE9ELNS1_3repE0EEENS1_30default_config_static_selectorELNS0_4arch9wavefront6targetE1EEEvSY_
	.p2align	8
	.type	_ZN7rocprim17ROCPRIM_400000_NS6detail17trampoline_kernelINS0_14default_configENS1_27lower_bound_config_selectorIflEEZNS1_14transform_implILb0ES3_S5_N6thrust23THRUST_200600_302600_NS6detail15normal_iteratorINS8_7pointerIfNS8_11hip_rocprim5par_tENS8_11use_defaultESE_EEEENSA_INSB_IlSD_SE_SE_EEEEZNS1_13binary_searchIS3_S5_NSA_INS8_10device_ptrIfEEEESG_SI_NS1_21lower_bound_search_opENS9_16wrapped_functionINS8_6system6detail7generic6detail18binary_search_lessEbEEEE10hipError_tPvRmT1_T2_T3_mmT4_T5_P12ihipStream_tbEUlRKfE_EESV_SZ_S10_mS11_S14_bEUlT_E_NS1_11comp_targetILNS1_3genE5ELNS1_11target_archE942ELNS1_3gpuE9ELNS1_3repE0EEENS1_30default_config_static_selectorELNS0_4arch9wavefront6targetE1EEEvSY_,@function
_ZN7rocprim17ROCPRIM_400000_NS6detail17trampoline_kernelINS0_14default_configENS1_27lower_bound_config_selectorIflEEZNS1_14transform_implILb0ES3_S5_N6thrust23THRUST_200600_302600_NS6detail15normal_iteratorINS8_7pointerIfNS8_11hip_rocprim5par_tENS8_11use_defaultESE_EEEENSA_INSB_IlSD_SE_SE_EEEEZNS1_13binary_searchIS3_S5_NSA_INS8_10device_ptrIfEEEESG_SI_NS1_21lower_bound_search_opENS9_16wrapped_functionINS8_6system6detail7generic6detail18binary_search_lessEbEEEE10hipError_tPvRmT1_T2_T3_mmT4_T5_P12ihipStream_tbEUlRKfE_EESV_SZ_S10_mS11_S14_bEUlT_E_NS1_11comp_targetILNS1_3genE5ELNS1_11target_archE942ELNS1_3gpuE9ELNS1_3repE0EEENS1_30default_config_static_selectorELNS0_4arch9wavefront6targetE1EEEvSY_: ; @_ZN7rocprim17ROCPRIM_400000_NS6detail17trampoline_kernelINS0_14default_configENS1_27lower_bound_config_selectorIflEEZNS1_14transform_implILb0ES3_S5_N6thrust23THRUST_200600_302600_NS6detail15normal_iteratorINS8_7pointerIfNS8_11hip_rocprim5par_tENS8_11use_defaultESE_EEEENSA_INSB_IlSD_SE_SE_EEEEZNS1_13binary_searchIS3_S5_NSA_INS8_10device_ptrIfEEEESG_SI_NS1_21lower_bound_search_opENS9_16wrapped_functionINS8_6system6detail7generic6detail18binary_search_lessEbEEEE10hipError_tPvRmT1_T2_T3_mmT4_T5_P12ihipStream_tbEUlRKfE_EESV_SZ_S10_mS11_S14_bEUlT_E_NS1_11comp_targetILNS1_3genE5ELNS1_11target_archE942ELNS1_3gpuE9ELNS1_3repE0EEENS1_30default_config_static_selectorELNS0_4arch9wavefront6targetE1EEEvSY_
; %bb.0:
	.section	.rodata,"a",@progbits
	.p2align	6, 0x0
	.amdhsa_kernel _ZN7rocprim17ROCPRIM_400000_NS6detail17trampoline_kernelINS0_14default_configENS1_27lower_bound_config_selectorIflEEZNS1_14transform_implILb0ES3_S5_N6thrust23THRUST_200600_302600_NS6detail15normal_iteratorINS8_7pointerIfNS8_11hip_rocprim5par_tENS8_11use_defaultESE_EEEENSA_INSB_IlSD_SE_SE_EEEEZNS1_13binary_searchIS3_S5_NSA_INS8_10device_ptrIfEEEESG_SI_NS1_21lower_bound_search_opENS9_16wrapped_functionINS8_6system6detail7generic6detail18binary_search_lessEbEEEE10hipError_tPvRmT1_T2_T3_mmT4_T5_P12ihipStream_tbEUlRKfE_EESV_SZ_S10_mS11_S14_bEUlT_E_NS1_11comp_targetILNS1_3genE5ELNS1_11target_archE942ELNS1_3gpuE9ELNS1_3repE0EEENS1_30default_config_static_selectorELNS0_4arch9wavefront6targetE1EEEvSY_
		.amdhsa_group_segment_fixed_size 0
		.amdhsa_private_segment_fixed_size 0
		.amdhsa_kernarg_size 56
		.amdhsa_user_sgpr_count 6
		.amdhsa_user_sgpr_private_segment_buffer 1
		.amdhsa_user_sgpr_dispatch_ptr 0
		.amdhsa_user_sgpr_queue_ptr 0
		.amdhsa_user_sgpr_kernarg_segment_ptr 1
		.amdhsa_user_sgpr_dispatch_id 0
		.amdhsa_user_sgpr_flat_scratch_init 0
		.amdhsa_user_sgpr_private_segment_size 0
		.amdhsa_uses_dynamic_stack 0
		.amdhsa_system_sgpr_private_segment_wavefront_offset 0
		.amdhsa_system_sgpr_workgroup_id_x 1
		.amdhsa_system_sgpr_workgroup_id_y 0
		.amdhsa_system_sgpr_workgroup_id_z 0
		.amdhsa_system_sgpr_workgroup_info 0
		.amdhsa_system_vgpr_workitem_id 0
		.amdhsa_next_free_vgpr 1
		.amdhsa_next_free_sgpr 0
		.amdhsa_reserve_vcc 0
		.amdhsa_reserve_flat_scratch 0
		.amdhsa_float_round_mode_32 0
		.amdhsa_float_round_mode_16_64 0
		.amdhsa_float_denorm_mode_32 3
		.amdhsa_float_denorm_mode_16_64 3
		.amdhsa_dx10_clamp 1
		.amdhsa_ieee_mode 1
		.amdhsa_fp16_overflow 0
		.amdhsa_exception_fp_ieee_invalid_op 0
		.amdhsa_exception_fp_denorm_src 0
		.amdhsa_exception_fp_ieee_div_zero 0
		.amdhsa_exception_fp_ieee_overflow 0
		.amdhsa_exception_fp_ieee_underflow 0
		.amdhsa_exception_fp_ieee_inexact 0
		.amdhsa_exception_int_div_zero 0
	.end_amdhsa_kernel
	.section	.text._ZN7rocprim17ROCPRIM_400000_NS6detail17trampoline_kernelINS0_14default_configENS1_27lower_bound_config_selectorIflEEZNS1_14transform_implILb0ES3_S5_N6thrust23THRUST_200600_302600_NS6detail15normal_iteratorINS8_7pointerIfNS8_11hip_rocprim5par_tENS8_11use_defaultESE_EEEENSA_INSB_IlSD_SE_SE_EEEEZNS1_13binary_searchIS3_S5_NSA_INS8_10device_ptrIfEEEESG_SI_NS1_21lower_bound_search_opENS9_16wrapped_functionINS8_6system6detail7generic6detail18binary_search_lessEbEEEE10hipError_tPvRmT1_T2_T3_mmT4_T5_P12ihipStream_tbEUlRKfE_EESV_SZ_S10_mS11_S14_bEUlT_E_NS1_11comp_targetILNS1_3genE5ELNS1_11target_archE942ELNS1_3gpuE9ELNS1_3repE0EEENS1_30default_config_static_selectorELNS0_4arch9wavefront6targetE1EEEvSY_,"axG",@progbits,_ZN7rocprim17ROCPRIM_400000_NS6detail17trampoline_kernelINS0_14default_configENS1_27lower_bound_config_selectorIflEEZNS1_14transform_implILb0ES3_S5_N6thrust23THRUST_200600_302600_NS6detail15normal_iteratorINS8_7pointerIfNS8_11hip_rocprim5par_tENS8_11use_defaultESE_EEEENSA_INSB_IlSD_SE_SE_EEEEZNS1_13binary_searchIS3_S5_NSA_INS8_10device_ptrIfEEEESG_SI_NS1_21lower_bound_search_opENS9_16wrapped_functionINS8_6system6detail7generic6detail18binary_search_lessEbEEEE10hipError_tPvRmT1_T2_T3_mmT4_T5_P12ihipStream_tbEUlRKfE_EESV_SZ_S10_mS11_S14_bEUlT_E_NS1_11comp_targetILNS1_3genE5ELNS1_11target_archE942ELNS1_3gpuE9ELNS1_3repE0EEENS1_30default_config_static_selectorELNS0_4arch9wavefront6targetE1EEEvSY_,comdat
.Lfunc_end350:
	.size	_ZN7rocprim17ROCPRIM_400000_NS6detail17trampoline_kernelINS0_14default_configENS1_27lower_bound_config_selectorIflEEZNS1_14transform_implILb0ES3_S5_N6thrust23THRUST_200600_302600_NS6detail15normal_iteratorINS8_7pointerIfNS8_11hip_rocprim5par_tENS8_11use_defaultESE_EEEENSA_INSB_IlSD_SE_SE_EEEEZNS1_13binary_searchIS3_S5_NSA_INS8_10device_ptrIfEEEESG_SI_NS1_21lower_bound_search_opENS9_16wrapped_functionINS8_6system6detail7generic6detail18binary_search_lessEbEEEE10hipError_tPvRmT1_T2_T3_mmT4_T5_P12ihipStream_tbEUlRKfE_EESV_SZ_S10_mS11_S14_bEUlT_E_NS1_11comp_targetILNS1_3genE5ELNS1_11target_archE942ELNS1_3gpuE9ELNS1_3repE0EEENS1_30default_config_static_selectorELNS0_4arch9wavefront6targetE1EEEvSY_, .Lfunc_end350-_ZN7rocprim17ROCPRIM_400000_NS6detail17trampoline_kernelINS0_14default_configENS1_27lower_bound_config_selectorIflEEZNS1_14transform_implILb0ES3_S5_N6thrust23THRUST_200600_302600_NS6detail15normal_iteratorINS8_7pointerIfNS8_11hip_rocprim5par_tENS8_11use_defaultESE_EEEENSA_INSB_IlSD_SE_SE_EEEEZNS1_13binary_searchIS3_S5_NSA_INS8_10device_ptrIfEEEESG_SI_NS1_21lower_bound_search_opENS9_16wrapped_functionINS8_6system6detail7generic6detail18binary_search_lessEbEEEE10hipError_tPvRmT1_T2_T3_mmT4_T5_P12ihipStream_tbEUlRKfE_EESV_SZ_S10_mS11_S14_bEUlT_E_NS1_11comp_targetILNS1_3genE5ELNS1_11target_archE942ELNS1_3gpuE9ELNS1_3repE0EEENS1_30default_config_static_selectorELNS0_4arch9wavefront6targetE1EEEvSY_
                                        ; -- End function
	.set _ZN7rocprim17ROCPRIM_400000_NS6detail17trampoline_kernelINS0_14default_configENS1_27lower_bound_config_selectorIflEEZNS1_14transform_implILb0ES3_S5_N6thrust23THRUST_200600_302600_NS6detail15normal_iteratorINS8_7pointerIfNS8_11hip_rocprim5par_tENS8_11use_defaultESE_EEEENSA_INSB_IlSD_SE_SE_EEEEZNS1_13binary_searchIS3_S5_NSA_INS8_10device_ptrIfEEEESG_SI_NS1_21lower_bound_search_opENS9_16wrapped_functionINS8_6system6detail7generic6detail18binary_search_lessEbEEEE10hipError_tPvRmT1_T2_T3_mmT4_T5_P12ihipStream_tbEUlRKfE_EESV_SZ_S10_mS11_S14_bEUlT_E_NS1_11comp_targetILNS1_3genE5ELNS1_11target_archE942ELNS1_3gpuE9ELNS1_3repE0EEENS1_30default_config_static_selectorELNS0_4arch9wavefront6targetE1EEEvSY_.num_vgpr, 0
	.set _ZN7rocprim17ROCPRIM_400000_NS6detail17trampoline_kernelINS0_14default_configENS1_27lower_bound_config_selectorIflEEZNS1_14transform_implILb0ES3_S5_N6thrust23THRUST_200600_302600_NS6detail15normal_iteratorINS8_7pointerIfNS8_11hip_rocprim5par_tENS8_11use_defaultESE_EEEENSA_INSB_IlSD_SE_SE_EEEEZNS1_13binary_searchIS3_S5_NSA_INS8_10device_ptrIfEEEESG_SI_NS1_21lower_bound_search_opENS9_16wrapped_functionINS8_6system6detail7generic6detail18binary_search_lessEbEEEE10hipError_tPvRmT1_T2_T3_mmT4_T5_P12ihipStream_tbEUlRKfE_EESV_SZ_S10_mS11_S14_bEUlT_E_NS1_11comp_targetILNS1_3genE5ELNS1_11target_archE942ELNS1_3gpuE9ELNS1_3repE0EEENS1_30default_config_static_selectorELNS0_4arch9wavefront6targetE1EEEvSY_.num_agpr, 0
	.set _ZN7rocprim17ROCPRIM_400000_NS6detail17trampoline_kernelINS0_14default_configENS1_27lower_bound_config_selectorIflEEZNS1_14transform_implILb0ES3_S5_N6thrust23THRUST_200600_302600_NS6detail15normal_iteratorINS8_7pointerIfNS8_11hip_rocprim5par_tENS8_11use_defaultESE_EEEENSA_INSB_IlSD_SE_SE_EEEEZNS1_13binary_searchIS3_S5_NSA_INS8_10device_ptrIfEEEESG_SI_NS1_21lower_bound_search_opENS9_16wrapped_functionINS8_6system6detail7generic6detail18binary_search_lessEbEEEE10hipError_tPvRmT1_T2_T3_mmT4_T5_P12ihipStream_tbEUlRKfE_EESV_SZ_S10_mS11_S14_bEUlT_E_NS1_11comp_targetILNS1_3genE5ELNS1_11target_archE942ELNS1_3gpuE9ELNS1_3repE0EEENS1_30default_config_static_selectorELNS0_4arch9wavefront6targetE1EEEvSY_.numbered_sgpr, 0
	.set _ZN7rocprim17ROCPRIM_400000_NS6detail17trampoline_kernelINS0_14default_configENS1_27lower_bound_config_selectorIflEEZNS1_14transform_implILb0ES3_S5_N6thrust23THRUST_200600_302600_NS6detail15normal_iteratorINS8_7pointerIfNS8_11hip_rocprim5par_tENS8_11use_defaultESE_EEEENSA_INSB_IlSD_SE_SE_EEEEZNS1_13binary_searchIS3_S5_NSA_INS8_10device_ptrIfEEEESG_SI_NS1_21lower_bound_search_opENS9_16wrapped_functionINS8_6system6detail7generic6detail18binary_search_lessEbEEEE10hipError_tPvRmT1_T2_T3_mmT4_T5_P12ihipStream_tbEUlRKfE_EESV_SZ_S10_mS11_S14_bEUlT_E_NS1_11comp_targetILNS1_3genE5ELNS1_11target_archE942ELNS1_3gpuE9ELNS1_3repE0EEENS1_30default_config_static_selectorELNS0_4arch9wavefront6targetE1EEEvSY_.num_named_barrier, 0
	.set _ZN7rocprim17ROCPRIM_400000_NS6detail17trampoline_kernelINS0_14default_configENS1_27lower_bound_config_selectorIflEEZNS1_14transform_implILb0ES3_S5_N6thrust23THRUST_200600_302600_NS6detail15normal_iteratorINS8_7pointerIfNS8_11hip_rocprim5par_tENS8_11use_defaultESE_EEEENSA_INSB_IlSD_SE_SE_EEEEZNS1_13binary_searchIS3_S5_NSA_INS8_10device_ptrIfEEEESG_SI_NS1_21lower_bound_search_opENS9_16wrapped_functionINS8_6system6detail7generic6detail18binary_search_lessEbEEEE10hipError_tPvRmT1_T2_T3_mmT4_T5_P12ihipStream_tbEUlRKfE_EESV_SZ_S10_mS11_S14_bEUlT_E_NS1_11comp_targetILNS1_3genE5ELNS1_11target_archE942ELNS1_3gpuE9ELNS1_3repE0EEENS1_30default_config_static_selectorELNS0_4arch9wavefront6targetE1EEEvSY_.private_seg_size, 0
	.set _ZN7rocprim17ROCPRIM_400000_NS6detail17trampoline_kernelINS0_14default_configENS1_27lower_bound_config_selectorIflEEZNS1_14transform_implILb0ES3_S5_N6thrust23THRUST_200600_302600_NS6detail15normal_iteratorINS8_7pointerIfNS8_11hip_rocprim5par_tENS8_11use_defaultESE_EEEENSA_INSB_IlSD_SE_SE_EEEEZNS1_13binary_searchIS3_S5_NSA_INS8_10device_ptrIfEEEESG_SI_NS1_21lower_bound_search_opENS9_16wrapped_functionINS8_6system6detail7generic6detail18binary_search_lessEbEEEE10hipError_tPvRmT1_T2_T3_mmT4_T5_P12ihipStream_tbEUlRKfE_EESV_SZ_S10_mS11_S14_bEUlT_E_NS1_11comp_targetILNS1_3genE5ELNS1_11target_archE942ELNS1_3gpuE9ELNS1_3repE0EEENS1_30default_config_static_selectorELNS0_4arch9wavefront6targetE1EEEvSY_.uses_vcc, 0
	.set _ZN7rocprim17ROCPRIM_400000_NS6detail17trampoline_kernelINS0_14default_configENS1_27lower_bound_config_selectorIflEEZNS1_14transform_implILb0ES3_S5_N6thrust23THRUST_200600_302600_NS6detail15normal_iteratorINS8_7pointerIfNS8_11hip_rocprim5par_tENS8_11use_defaultESE_EEEENSA_INSB_IlSD_SE_SE_EEEEZNS1_13binary_searchIS3_S5_NSA_INS8_10device_ptrIfEEEESG_SI_NS1_21lower_bound_search_opENS9_16wrapped_functionINS8_6system6detail7generic6detail18binary_search_lessEbEEEE10hipError_tPvRmT1_T2_T3_mmT4_T5_P12ihipStream_tbEUlRKfE_EESV_SZ_S10_mS11_S14_bEUlT_E_NS1_11comp_targetILNS1_3genE5ELNS1_11target_archE942ELNS1_3gpuE9ELNS1_3repE0EEENS1_30default_config_static_selectorELNS0_4arch9wavefront6targetE1EEEvSY_.uses_flat_scratch, 0
	.set _ZN7rocprim17ROCPRIM_400000_NS6detail17trampoline_kernelINS0_14default_configENS1_27lower_bound_config_selectorIflEEZNS1_14transform_implILb0ES3_S5_N6thrust23THRUST_200600_302600_NS6detail15normal_iteratorINS8_7pointerIfNS8_11hip_rocprim5par_tENS8_11use_defaultESE_EEEENSA_INSB_IlSD_SE_SE_EEEEZNS1_13binary_searchIS3_S5_NSA_INS8_10device_ptrIfEEEESG_SI_NS1_21lower_bound_search_opENS9_16wrapped_functionINS8_6system6detail7generic6detail18binary_search_lessEbEEEE10hipError_tPvRmT1_T2_T3_mmT4_T5_P12ihipStream_tbEUlRKfE_EESV_SZ_S10_mS11_S14_bEUlT_E_NS1_11comp_targetILNS1_3genE5ELNS1_11target_archE942ELNS1_3gpuE9ELNS1_3repE0EEENS1_30default_config_static_selectorELNS0_4arch9wavefront6targetE1EEEvSY_.has_dyn_sized_stack, 0
	.set _ZN7rocprim17ROCPRIM_400000_NS6detail17trampoline_kernelINS0_14default_configENS1_27lower_bound_config_selectorIflEEZNS1_14transform_implILb0ES3_S5_N6thrust23THRUST_200600_302600_NS6detail15normal_iteratorINS8_7pointerIfNS8_11hip_rocprim5par_tENS8_11use_defaultESE_EEEENSA_INSB_IlSD_SE_SE_EEEEZNS1_13binary_searchIS3_S5_NSA_INS8_10device_ptrIfEEEESG_SI_NS1_21lower_bound_search_opENS9_16wrapped_functionINS8_6system6detail7generic6detail18binary_search_lessEbEEEE10hipError_tPvRmT1_T2_T3_mmT4_T5_P12ihipStream_tbEUlRKfE_EESV_SZ_S10_mS11_S14_bEUlT_E_NS1_11comp_targetILNS1_3genE5ELNS1_11target_archE942ELNS1_3gpuE9ELNS1_3repE0EEENS1_30default_config_static_selectorELNS0_4arch9wavefront6targetE1EEEvSY_.has_recursion, 0
	.set _ZN7rocprim17ROCPRIM_400000_NS6detail17trampoline_kernelINS0_14default_configENS1_27lower_bound_config_selectorIflEEZNS1_14transform_implILb0ES3_S5_N6thrust23THRUST_200600_302600_NS6detail15normal_iteratorINS8_7pointerIfNS8_11hip_rocprim5par_tENS8_11use_defaultESE_EEEENSA_INSB_IlSD_SE_SE_EEEEZNS1_13binary_searchIS3_S5_NSA_INS8_10device_ptrIfEEEESG_SI_NS1_21lower_bound_search_opENS9_16wrapped_functionINS8_6system6detail7generic6detail18binary_search_lessEbEEEE10hipError_tPvRmT1_T2_T3_mmT4_T5_P12ihipStream_tbEUlRKfE_EESV_SZ_S10_mS11_S14_bEUlT_E_NS1_11comp_targetILNS1_3genE5ELNS1_11target_archE942ELNS1_3gpuE9ELNS1_3repE0EEENS1_30default_config_static_selectorELNS0_4arch9wavefront6targetE1EEEvSY_.has_indirect_call, 0
	.section	.AMDGPU.csdata,"",@progbits
; Kernel info:
; codeLenInByte = 0
; TotalNumSgprs: 4
; NumVgprs: 0
; ScratchSize: 0
; MemoryBound: 0
; FloatMode: 240
; IeeeMode: 1
; LDSByteSize: 0 bytes/workgroup (compile time only)
; SGPRBlocks: 0
; VGPRBlocks: 0
; NumSGPRsForWavesPerEU: 4
; NumVGPRsForWavesPerEU: 1
; Occupancy: 10
; WaveLimiterHint : 0
; COMPUTE_PGM_RSRC2:SCRATCH_EN: 0
; COMPUTE_PGM_RSRC2:USER_SGPR: 6
; COMPUTE_PGM_RSRC2:TRAP_HANDLER: 0
; COMPUTE_PGM_RSRC2:TGID_X_EN: 1
; COMPUTE_PGM_RSRC2:TGID_Y_EN: 0
; COMPUTE_PGM_RSRC2:TGID_Z_EN: 0
; COMPUTE_PGM_RSRC2:TIDIG_COMP_CNT: 0
	.section	.text._ZN7rocprim17ROCPRIM_400000_NS6detail17trampoline_kernelINS0_14default_configENS1_27lower_bound_config_selectorIflEEZNS1_14transform_implILb0ES3_S5_N6thrust23THRUST_200600_302600_NS6detail15normal_iteratorINS8_7pointerIfNS8_11hip_rocprim5par_tENS8_11use_defaultESE_EEEENSA_INSB_IlSD_SE_SE_EEEEZNS1_13binary_searchIS3_S5_NSA_INS8_10device_ptrIfEEEESG_SI_NS1_21lower_bound_search_opENS9_16wrapped_functionINS8_6system6detail7generic6detail18binary_search_lessEbEEEE10hipError_tPvRmT1_T2_T3_mmT4_T5_P12ihipStream_tbEUlRKfE_EESV_SZ_S10_mS11_S14_bEUlT_E_NS1_11comp_targetILNS1_3genE4ELNS1_11target_archE910ELNS1_3gpuE8ELNS1_3repE0EEENS1_30default_config_static_selectorELNS0_4arch9wavefront6targetE1EEEvSY_,"axG",@progbits,_ZN7rocprim17ROCPRIM_400000_NS6detail17trampoline_kernelINS0_14default_configENS1_27lower_bound_config_selectorIflEEZNS1_14transform_implILb0ES3_S5_N6thrust23THRUST_200600_302600_NS6detail15normal_iteratorINS8_7pointerIfNS8_11hip_rocprim5par_tENS8_11use_defaultESE_EEEENSA_INSB_IlSD_SE_SE_EEEEZNS1_13binary_searchIS3_S5_NSA_INS8_10device_ptrIfEEEESG_SI_NS1_21lower_bound_search_opENS9_16wrapped_functionINS8_6system6detail7generic6detail18binary_search_lessEbEEEE10hipError_tPvRmT1_T2_T3_mmT4_T5_P12ihipStream_tbEUlRKfE_EESV_SZ_S10_mS11_S14_bEUlT_E_NS1_11comp_targetILNS1_3genE4ELNS1_11target_archE910ELNS1_3gpuE8ELNS1_3repE0EEENS1_30default_config_static_selectorELNS0_4arch9wavefront6targetE1EEEvSY_,comdat
	.protected	_ZN7rocprim17ROCPRIM_400000_NS6detail17trampoline_kernelINS0_14default_configENS1_27lower_bound_config_selectorIflEEZNS1_14transform_implILb0ES3_S5_N6thrust23THRUST_200600_302600_NS6detail15normal_iteratorINS8_7pointerIfNS8_11hip_rocprim5par_tENS8_11use_defaultESE_EEEENSA_INSB_IlSD_SE_SE_EEEEZNS1_13binary_searchIS3_S5_NSA_INS8_10device_ptrIfEEEESG_SI_NS1_21lower_bound_search_opENS9_16wrapped_functionINS8_6system6detail7generic6detail18binary_search_lessEbEEEE10hipError_tPvRmT1_T2_T3_mmT4_T5_P12ihipStream_tbEUlRKfE_EESV_SZ_S10_mS11_S14_bEUlT_E_NS1_11comp_targetILNS1_3genE4ELNS1_11target_archE910ELNS1_3gpuE8ELNS1_3repE0EEENS1_30default_config_static_selectorELNS0_4arch9wavefront6targetE1EEEvSY_ ; -- Begin function _ZN7rocprim17ROCPRIM_400000_NS6detail17trampoline_kernelINS0_14default_configENS1_27lower_bound_config_selectorIflEEZNS1_14transform_implILb0ES3_S5_N6thrust23THRUST_200600_302600_NS6detail15normal_iteratorINS8_7pointerIfNS8_11hip_rocprim5par_tENS8_11use_defaultESE_EEEENSA_INSB_IlSD_SE_SE_EEEEZNS1_13binary_searchIS3_S5_NSA_INS8_10device_ptrIfEEEESG_SI_NS1_21lower_bound_search_opENS9_16wrapped_functionINS8_6system6detail7generic6detail18binary_search_lessEbEEEE10hipError_tPvRmT1_T2_T3_mmT4_T5_P12ihipStream_tbEUlRKfE_EESV_SZ_S10_mS11_S14_bEUlT_E_NS1_11comp_targetILNS1_3genE4ELNS1_11target_archE910ELNS1_3gpuE8ELNS1_3repE0EEENS1_30default_config_static_selectorELNS0_4arch9wavefront6targetE1EEEvSY_
	.globl	_ZN7rocprim17ROCPRIM_400000_NS6detail17trampoline_kernelINS0_14default_configENS1_27lower_bound_config_selectorIflEEZNS1_14transform_implILb0ES3_S5_N6thrust23THRUST_200600_302600_NS6detail15normal_iteratorINS8_7pointerIfNS8_11hip_rocprim5par_tENS8_11use_defaultESE_EEEENSA_INSB_IlSD_SE_SE_EEEEZNS1_13binary_searchIS3_S5_NSA_INS8_10device_ptrIfEEEESG_SI_NS1_21lower_bound_search_opENS9_16wrapped_functionINS8_6system6detail7generic6detail18binary_search_lessEbEEEE10hipError_tPvRmT1_T2_T3_mmT4_T5_P12ihipStream_tbEUlRKfE_EESV_SZ_S10_mS11_S14_bEUlT_E_NS1_11comp_targetILNS1_3genE4ELNS1_11target_archE910ELNS1_3gpuE8ELNS1_3repE0EEENS1_30default_config_static_selectorELNS0_4arch9wavefront6targetE1EEEvSY_
	.p2align	8
	.type	_ZN7rocprim17ROCPRIM_400000_NS6detail17trampoline_kernelINS0_14default_configENS1_27lower_bound_config_selectorIflEEZNS1_14transform_implILb0ES3_S5_N6thrust23THRUST_200600_302600_NS6detail15normal_iteratorINS8_7pointerIfNS8_11hip_rocprim5par_tENS8_11use_defaultESE_EEEENSA_INSB_IlSD_SE_SE_EEEEZNS1_13binary_searchIS3_S5_NSA_INS8_10device_ptrIfEEEESG_SI_NS1_21lower_bound_search_opENS9_16wrapped_functionINS8_6system6detail7generic6detail18binary_search_lessEbEEEE10hipError_tPvRmT1_T2_T3_mmT4_T5_P12ihipStream_tbEUlRKfE_EESV_SZ_S10_mS11_S14_bEUlT_E_NS1_11comp_targetILNS1_3genE4ELNS1_11target_archE910ELNS1_3gpuE8ELNS1_3repE0EEENS1_30default_config_static_selectorELNS0_4arch9wavefront6targetE1EEEvSY_,@function
_ZN7rocprim17ROCPRIM_400000_NS6detail17trampoline_kernelINS0_14default_configENS1_27lower_bound_config_selectorIflEEZNS1_14transform_implILb0ES3_S5_N6thrust23THRUST_200600_302600_NS6detail15normal_iteratorINS8_7pointerIfNS8_11hip_rocprim5par_tENS8_11use_defaultESE_EEEENSA_INSB_IlSD_SE_SE_EEEEZNS1_13binary_searchIS3_S5_NSA_INS8_10device_ptrIfEEEESG_SI_NS1_21lower_bound_search_opENS9_16wrapped_functionINS8_6system6detail7generic6detail18binary_search_lessEbEEEE10hipError_tPvRmT1_T2_T3_mmT4_T5_P12ihipStream_tbEUlRKfE_EESV_SZ_S10_mS11_S14_bEUlT_E_NS1_11comp_targetILNS1_3genE4ELNS1_11target_archE910ELNS1_3gpuE8ELNS1_3repE0EEENS1_30default_config_static_selectorELNS0_4arch9wavefront6targetE1EEEvSY_: ; @_ZN7rocprim17ROCPRIM_400000_NS6detail17trampoline_kernelINS0_14default_configENS1_27lower_bound_config_selectorIflEEZNS1_14transform_implILb0ES3_S5_N6thrust23THRUST_200600_302600_NS6detail15normal_iteratorINS8_7pointerIfNS8_11hip_rocprim5par_tENS8_11use_defaultESE_EEEENSA_INSB_IlSD_SE_SE_EEEEZNS1_13binary_searchIS3_S5_NSA_INS8_10device_ptrIfEEEESG_SI_NS1_21lower_bound_search_opENS9_16wrapped_functionINS8_6system6detail7generic6detail18binary_search_lessEbEEEE10hipError_tPvRmT1_T2_T3_mmT4_T5_P12ihipStream_tbEUlRKfE_EESV_SZ_S10_mS11_S14_bEUlT_E_NS1_11comp_targetILNS1_3genE4ELNS1_11target_archE910ELNS1_3gpuE8ELNS1_3repE0EEENS1_30default_config_static_selectorELNS0_4arch9wavefront6targetE1EEEvSY_
; %bb.0:
	.section	.rodata,"a",@progbits
	.p2align	6, 0x0
	.amdhsa_kernel _ZN7rocprim17ROCPRIM_400000_NS6detail17trampoline_kernelINS0_14default_configENS1_27lower_bound_config_selectorIflEEZNS1_14transform_implILb0ES3_S5_N6thrust23THRUST_200600_302600_NS6detail15normal_iteratorINS8_7pointerIfNS8_11hip_rocprim5par_tENS8_11use_defaultESE_EEEENSA_INSB_IlSD_SE_SE_EEEEZNS1_13binary_searchIS3_S5_NSA_INS8_10device_ptrIfEEEESG_SI_NS1_21lower_bound_search_opENS9_16wrapped_functionINS8_6system6detail7generic6detail18binary_search_lessEbEEEE10hipError_tPvRmT1_T2_T3_mmT4_T5_P12ihipStream_tbEUlRKfE_EESV_SZ_S10_mS11_S14_bEUlT_E_NS1_11comp_targetILNS1_3genE4ELNS1_11target_archE910ELNS1_3gpuE8ELNS1_3repE0EEENS1_30default_config_static_selectorELNS0_4arch9wavefront6targetE1EEEvSY_
		.amdhsa_group_segment_fixed_size 0
		.amdhsa_private_segment_fixed_size 0
		.amdhsa_kernarg_size 56
		.amdhsa_user_sgpr_count 6
		.amdhsa_user_sgpr_private_segment_buffer 1
		.amdhsa_user_sgpr_dispatch_ptr 0
		.amdhsa_user_sgpr_queue_ptr 0
		.amdhsa_user_sgpr_kernarg_segment_ptr 1
		.amdhsa_user_sgpr_dispatch_id 0
		.amdhsa_user_sgpr_flat_scratch_init 0
		.amdhsa_user_sgpr_private_segment_size 0
		.amdhsa_uses_dynamic_stack 0
		.amdhsa_system_sgpr_private_segment_wavefront_offset 0
		.amdhsa_system_sgpr_workgroup_id_x 1
		.amdhsa_system_sgpr_workgroup_id_y 0
		.amdhsa_system_sgpr_workgroup_id_z 0
		.amdhsa_system_sgpr_workgroup_info 0
		.amdhsa_system_vgpr_workitem_id 0
		.amdhsa_next_free_vgpr 1
		.amdhsa_next_free_sgpr 0
		.amdhsa_reserve_vcc 0
		.amdhsa_reserve_flat_scratch 0
		.amdhsa_float_round_mode_32 0
		.amdhsa_float_round_mode_16_64 0
		.amdhsa_float_denorm_mode_32 3
		.amdhsa_float_denorm_mode_16_64 3
		.amdhsa_dx10_clamp 1
		.amdhsa_ieee_mode 1
		.amdhsa_fp16_overflow 0
		.amdhsa_exception_fp_ieee_invalid_op 0
		.amdhsa_exception_fp_denorm_src 0
		.amdhsa_exception_fp_ieee_div_zero 0
		.amdhsa_exception_fp_ieee_overflow 0
		.amdhsa_exception_fp_ieee_underflow 0
		.amdhsa_exception_fp_ieee_inexact 0
		.amdhsa_exception_int_div_zero 0
	.end_amdhsa_kernel
	.section	.text._ZN7rocprim17ROCPRIM_400000_NS6detail17trampoline_kernelINS0_14default_configENS1_27lower_bound_config_selectorIflEEZNS1_14transform_implILb0ES3_S5_N6thrust23THRUST_200600_302600_NS6detail15normal_iteratorINS8_7pointerIfNS8_11hip_rocprim5par_tENS8_11use_defaultESE_EEEENSA_INSB_IlSD_SE_SE_EEEEZNS1_13binary_searchIS3_S5_NSA_INS8_10device_ptrIfEEEESG_SI_NS1_21lower_bound_search_opENS9_16wrapped_functionINS8_6system6detail7generic6detail18binary_search_lessEbEEEE10hipError_tPvRmT1_T2_T3_mmT4_T5_P12ihipStream_tbEUlRKfE_EESV_SZ_S10_mS11_S14_bEUlT_E_NS1_11comp_targetILNS1_3genE4ELNS1_11target_archE910ELNS1_3gpuE8ELNS1_3repE0EEENS1_30default_config_static_selectorELNS0_4arch9wavefront6targetE1EEEvSY_,"axG",@progbits,_ZN7rocprim17ROCPRIM_400000_NS6detail17trampoline_kernelINS0_14default_configENS1_27lower_bound_config_selectorIflEEZNS1_14transform_implILb0ES3_S5_N6thrust23THRUST_200600_302600_NS6detail15normal_iteratorINS8_7pointerIfNS8_11hip_rocprim5par_tENS8_11use_defaultESE_EEEENSA_INSB_IlSD_SE_SE_EEEEZNS1_13binary_searchIS3_S5_NSA_INS8_10device_ptrIfEEEESG_SI_NS1_21lower_bound_search_opENS9_16wrapped_functionINS8_6system6detail7generic6detail18binary_search_lessEbEEEE10hipError_tPvRmT1_T2_T3_mmT4_T5_P12ihipStream_tbEUlRKfE_EESV_SZ_S10_mS11_S14_bEUlT_E_NS1_11comp_targetILNS1_3genE4ELNS1_11target_archE910ELNS1_3gpuE8ELNS1_3repE0EEENS1_30default_config_static_selectorELNS0_4arch9wavefront6targetE1EEEvSY_,comdat
.Lfunc_end351:
	.size	_ZN7rocprim17ROCPRIM_400000_NS6detail17trampoline_kernelINS0_14default_configENS1_27lower_bound_config_selectorIflEEZNS1_14transform_implILb0ES3_S5_N6thrust23THRUST_200600_302600_NS6detail15normal_iteratorINS8_7pointerIfNS8_11hip_rocprim5par_tENS8_11use_defaultESE_EEEENSA_INSB_IlSD_SE_SE_EEEEZNS1_13binary_searchIS3_S5_NSA_INS8_10device_ptrIfEEEESG_SI_NS1_21lower_bound_search_opENS9_16wrapped_functionINS8_6system6detail7generic6detail18binary_search_lessEbEEEE10hipError_tPvRmT1_T2_T3_mmT4_T5_P12ihipStream_tbEUlRKfE_EESV_SZ_S10_mS11_S14_bEUlT_E_NS1_11comp_targetILNS1_3genE4ELNS1_11target_archE910ELNS1_3gpuE8ELNS1_3repE0EEENS1_30default_config_static_selectorELNS0_4arch9wavefront6targetE1EEEvSY_, .Lfunc_end351-_ZN7rocprim17ROCPRIM_400000_NS6detail17trampoline_kernelINS0_14default_configENS1_27lower_bound_config_selectorIflEEZNS1_14transform_implILb0ES3_S5_N6thrust23THRUST_200600_302600_NS6detail15normal_iteratorINS8_7pointerIfNS8_11hip_rocprim5par_tENS8_11use_defaultESE_EEEENSA_INSB_IlSD_SE_SE_EEEEZNS1_13binary_searchIS3_S5_NSA_INS8_10device_ptrIfEEEESG_SI_NS1_21lower_bound_search_opENS9_16wrapped_functionINS8_6system6detail7generic6detail18binary_search_lessEbEEEE10hipError_tPvRmT1_T2_T3_mmT4_T5_P12ihipStream_tbEUlRKfE_EESV_SZ_S10_mS11_S14_bEUlT_E_NS1_11comp_targetILNS1_3genE4ELNS1_11target_archE910ELNS1_3gpuE8ELNS1_3repE0EEENS1_30default_config_static_selectorELNS0_4arch9wavefront6targetE1EEEvSY_
                                        ; -- End function
	.set _ZN7rocprim17ROCPRIM_400000_NS6detail17trampoline_kernelINS0_14default_configENS1_27lower_bound_config_selectorIflEEZNS1_14transform_implILb0ES3_S5_N6thrust23THRUST_200600_302600_NS6detail15normal_iteratorINS8_7pointerIfNS8_11hip_rocprim5par_tENS8_11use_defaultESE_EEEENSA_INSB_IlSD_SE_SE_EEEEZNS1_13binary_searchIS3_S5_NSA_INS8_10device_ptrIfEEEESG_SI_NS1_21lower_bound_search_opENS9_16wrapped_functionINS8_6system6detail7generic6detail18binary_search_lessEbEEEE10hipError_tPvRmT1_T2_T3_mmT4_T5_P12ihipStream_tbEUlRKfE_EESV_SZ_S10_mS11_S14_bEUlT_E_NS1_11comp_targetILNS1_3genE4ELNS1_11target_archE910ELNS1_3gpuE8ELNS1_3repE0EEENS1_30default_config_static_selectorELNS0_4arch9wavefront6targetE1EEEvSY_.num_vgpr, 0
	.set _ZN7rocprim17ROCPRIM_400000_NS6detail17trampoline_kernelINS0_14default_configENS1_27lower_bound_config_selectorIflEEZNS1_14transform_implILb0ES3_S5_N6thrust23THRUST_200600_302600_NS6detail15normal_iteratorINS8_7pointerIfNS8_11hip_rocprim5par_tENS8_11use_defaultESE_EEEENSA_INSB_IlSD_SE_SE_EEEEZNS1_13binary_searchIS3_S5_NSA_INS8_10device_ptrIfEEEESG_SI_NS1_21lower_bound_search_opENS9_16wrapped_functionINS8_6system6detail7generic6detail18binary_search_lessEbEEEE10hipError_tPvRmT1_T2_T3_mmT4_T5_P12ihipStream_tbEUlRKfE_EESV_SZ_S10_mS11_S14_bEUlT_E_NS1_11comp_targetILNS1_3genE4ELNS1_11target_archE910ELNS1_3gpuE8ELNS1_3repE0EEENS1_30default_config_static_selectorELNS0_4arch9wavefront6targetE1EEEvSY_.num_agpr, 0
	.set _ZN7rocprim17ROCPRIM_400000_NS6detail17trampoline_kernelINS0_14default_configENS1_27lower_bound_config_selectorIflEEZNS1_14transform_implILb0ES3_S5_N6thrust23THRUST_200600_302600_NS6detail15normal_iteratorINS8_7pointerIfNS8_11hip_rocprim5par_tENS8_11use_defaultESE_EEEENSA_INSB_IlSD_SE_SE_EEEEZNS1_13binary_searchIS3_S5_NSA_INS8_10device_ptrIfEEEESG_SI_NS1_21lower_bound_search_opENS9_16wrapped_functionINS8_6system6detail7generic6detail18binary_search_lessEbEEEE10hipError_tPvRmT1_T2_T3_mmT4_T5_P12ihipStream_tbEUlRKfE_EESV_SZ_S10_mS11_S14_bEUlT_E_NS1_11comp_targetILNS1_3genE4ELNS1_11target_archE910ELNS1_3gpuE8ELNS1_3repE0EEENS1_30default_config_static_selectorELNS0_4arch9wavefront6targetE1EEEvSY_.numbered_sgpr, 0
	.set _ZN7rocprim17ROCPRIM_400000_NS6detail17trampoline_kernelINS0_14default_configENS1_27lower_bound_config_selectorIflEEZNS1_14transform_implILb0ES3_S5_N6thrust23THRUST_200600_302600_NS6detail15normal_iteratorINS8_7pointerIfNS8_11hip_rocprim5par_tENS8_11use_defaultESE_EEEENSA_INSB_IlSD_SE_SE_EEEEZNS1_13binary_searchIS3_S5_NSA_INS8_10device_ptrIfEEEESG_SI_NS1_21lower_bound_search_opENS9_16wrapped_functionINS8_6system6detail7generic6detail18binary_search_lessEbEEEE10hipError_tPvRmT1_T2_T3_mmT4_T5_P12ihipStream_tbEUlRKfE_EESV_SZ_S10_mS11_S14_bEUlT_E_NS1_11comp_targetILNS1_3genE4ELNS1_11target_archE910ELNS1_3gpuE8ELNS1_3repE0EEENS1_30default_config_static_selectorELNS0_4arch9wavefront6targetE1EEEvSY_.num_named_barrier, 0
	.set _ZN7rocprim17ROCPRIM_400000_NS6detail17trampoline_kernelINS0_14default_configENS1_27lower_bound_config_selectorIflEEZNS1_14transform_implILb0ES3_S5_N6thrust23THRUST_200600_302600_NS6detail15normal_iteratorINS8_7pointerIfNS8_11hip_rocprim5par_tENS8_11use_defaultESE_EEEENSA_INSB_IlSD_SE_SE_EEEEZNS1_13binary_searchIS3_S5_NSA_INS8_10device_ptrIfEEEESG_SI_NS1_21lower_bound_search_opENS9_16wrapped_functionINS8_6system6detail7generic6detail18binary_search_lessEbEEEE10hipError_tPvRmT1_T2_T3_mmT4_T5_P12ihipStream_tbEUlRKfE_EESV_SZ_S10_mS11_S14_bEUlT_E_NS1_11comp_targetILNS1_3genE4ELNS1_11target_archE910ELNS1_3gpuE8ELNS1_3repE0EEENS1_30default_config_static_selectorELNS0_4arch9wavefront6targetE1EEEvSY_.private_seg_size, 0
	.set _ZN7rocprim17ROCPRIM_400000_NS6detail17trampoline_kernelINS0_14default_configENS1_27lower_bound_config_selectorIflEEZNS1_14transform_implILb0ES3_S5_N6thrust23THRUST_200600_302600_NS6detail15normal_iteratorINS8_7pointerIfNS8_11hip_rocprim5par_tENS8_11use_defaultESE_EEEENSA_INSB_IlSD_SE_SE_EEEEZNS1_13binary_searchIS3_S5_NSA_INS8_10device_ptrIfEEEESG_SI_NS1_21lower_bound_search_opENS9_16wrapped_functionINS8_6system6detail7generic6detail18binary_search_lessEbEEEE10hipError_tPvRmT1_T2_T3_mmT4_T5_P12ihipStream_tbEUlRKfE_EESV_SZ_S10_mS11_S14_bEUlT_E_NS1_11comp_targetILNS1_3genE4ELNS1_11target_archE910ELNS1_3gpuE8ELNS1_3repE0EEENS1_30default_config_static_selectorELNS0_4arch9wavefront6targetE1EEEvSY_.uses_vcc, 0
	.set _ZN7rocprim17ROCPRIM_400000_NS6detail17trampoline_kernelINS0_14default_configENS1_27lower_bound_config_selectorIflEEZNS1_14transform_implILb0ES3_S5_N6thrust23THRUST_200600_302600_NS6detail15normal_iteratorINS8_7pointerIfNS8_11hip_rocprim5par_tENS8_11use_defaultESE_EEEENSA_INSB_IlSD_SE_SE_EEEEZNS1_13binary_searchIS3_S5_NSA_INS8_10device_ptrIfEEEESG_SI_NS1_21lower_bound_search_opENS9_16wrapped_functionINS8_6system6detail7generic6detail18binary_search_lessEbEEEE10hipError_tPvRmT1_T2_T3_mmT4_T5_P12ihipStream_tbEUlRKfE_EESV_SZ_S10_mS11_S14_bEUlT_E_NS1_11comp_targetILNS1_3genE4ELNS1_11target_archE910ELNS1_3gpuE8ELNS1_3repE0EEENS1_30default_config_static_selectorELNS0_4arch9wavefront6targetE1EEEvSY_.uses_flat_scratch, 0
	.set _ZN7rocprim17ROCPRIM_400000_NS6detail17trampoline_kernelINS0_14default_configENS1_27lower_bound_config_selectorIflEEZNS1_14transform_implILb0ES3_S5_N6thrust23THRUST_200600_302600_NS6detail15normal_iteratorINS8_7pointerIfNS8_11hip_rocprim5par_tENS8_11use_defaultESE_EEEENSA_INSB_IlSD_SE_SE_EEEEZNS1_13binary_searchIS3_S5_NSA_INS8_10device_ptrIfEEEESG_SI_NS1_21lower_bound_search_opENS9_16wrapped_functionINS8_6system6detail7generic6detail18binary_search_lessEbEEEE10hipError_tPvRmT1_T2_T3_mmT4_T5_P12ihipStream_tbEUlRKfE_EESV_SZ_S10_mS11_S14_bEUlT_E_NS1_11comp_targetILNS1_3genE4ELNS1_11target_archE910ELNS1_3gpuE8ELNS1_3repE0EEENS1_30default_config_static_selectorELNS0_4arch9wavefront6targetE1EEEvSY_.has_dyn_sized_stack, 0
	.set _ZN7rocprim17ROCPRIM_400000_NS6detail17trampoline_kernelINS0_14default_configENS1_27lower_bound_config_selectorIflEEZNS1_14transform_implILb0ES3_S5_N6thrust23THRUST_200600_302600_NS6detail15normal_iteratorINS8_7pointerIfNS8_11hip_rocprim5par_tENS8_11use_defaultESE_EEEENSA_INSB_IlSD_SE_SE_EEEEZNS1_13binary_searchIS3_S5_NSA_INS8_10device_ptrIfEEEESG_SI_NS1_21lower_bound_search_opENS9_16wrapped_functionINS8_6system6detail7generic6detail18binary_search_lessEbEEEE10hipError_tPvRmT1_T2_T3_mmT4_T5_P12ihipStream_tbEUlRKfE_EESV_SZ_S10_mS11_S14_bEUlT_E_NS1_11comp_targetILNS1_3genE4ELNS1_11target_archE910ELNS1_3gpuE8ELNS1_3repE0EEENS1_30default_config_static_selectorELNS0_4arch9wavefront6targetE1EEEvSY_.has_recursion, 0
	.set _ZN7rocprim17ROCPRIM_400000_NS6detail17trampoline_kernelINS0_14default_configENS1_27lower_bound_config_selectorIflEEZNS1_14transform_implILb0ES3_S5_N6thrust23THRUST_200600_302600_NS6detail15normal_iteratorINS8_7pointerIfNS8_11hip_rocprim5par_tENS8_11use_defaultESE_EEEENSA_INSB_IlSD_SE_SE_EEEEZNS1_13binary_searchIS3_S5_NSA_INS8_10device_ptrIfEEEESG_SI_NS1_21lower_bound_search_opENS9_16wrapped_functionINS8_6system6detail7generic6detail18binary_search_lessEbEEEE10hipError_tPvRmT1_T2_T3_mmT4_T5_P12ihipStream_tbEUlRKfE_EESV_SZ_S10_mS11_S14_bEUlT_E_NS1_11comp_targetILNS1_3genE4ELNS1_11target_archE910ELNS1_3gpuE8ELNS1_3repE0EEENS1_30default_config_static_selectorELNS0_4arch9wavefront6targetE1EEEvSY_.has_indirect_call, 0
	.section	.AMDGPU.csdata,"",@progbits
; Kernel info:
; codeLenInByte = 0
; TotalNumSgprs: 4
; NumVgprs: 0
; ScratchSize: 0
; MemoryBound: 0
; FloatMode: 240
; IeeeMode: 1
; LDSByteSize: 0 bytes/workgroup (compile time only)
; SGPRBlocks: 0
; VGPRBlocks: 0
; NumSGPRsForWavesPerEU: 4
; NumVGPRsForWavesPerEU: 1
; Occupancy: 10
; WaveLimiterHint : 0
; COMPUTE_PGM_RSRC2:SCRATCH_EN: 0
; COMPUTE_PGM_RSRC2:USER_SGPR: 6
; COMPUTE_PGM_RSRC2:TRAP_HANDLER: 0
; COMPUTE_PGM_RSRC2:TGID_X_EN: 1
; COMPUTE_PGM_RSRC2:TGID_Y_EN: 0
; COMPUTE_PGM_RSRC2:TGID_Z_EN: 0
; COMPUTE_PGM_RSRC2:TIDIG_COMP_CNT: 0
	.section	.text._ZN7rocprim17ROCPRIM_400000_NS6detail17trampoline_kernelINS0_14default_configENS1_27lower_bound_config_selectorIflEEZNS1_14transform_implILb0ES3_S5_N6thrust23THRUST_200600_302600_NS6detail15normal_iteratorINS8_7pointerIfNS8_11hip_rocprim5par_tENS8_11use_defaultESE_EEEENSA_INSB_IlSD_SE_SE_EEEEZNS1_13binary_searchIS3_S5_NSA_INS8_10device_ptrIfEEEESG_SI_NS1_21lower_bound_search_opENS9_16wrapped_functionINS8_6system6detail7generic6detail18binary_search_lessEbEEEE10hipError_tPvRmT1_T2_T3_mmT4_T5_P12ihipStream_tbEUlRKfE_EESV_SZ_S10_mS11_S14_bEUlT_E_NS1_11comp_targetILNS1_3genE3ELNS1_11target_archE908ELNS1_3gpuE7ELNS1_3repE0EEENS1_30default_config_static_selectorELNS0_4arch9wavefront6targetE1EEEvSY_,"axG",@progbits,_ZN7rocprim17ROCPRIM_400000_NS6detail17trampoline_kernelINS0_14default_configENS1_27lower_bound_config_selectorIflEEZNS1_14transform_implILb0ES3_S5_N6thrust23THRUST_200600_302600_NS6detail15normal_iteratorINS8_7pointerIfNS8_11hip_rocprim5par_tENS8_11use_defaultESE_EEEENSA_INSB_IlSD_SE_SE_EEEEZNS1_13binary_searchIS3_S5_NSA_INS8_10device_ptrIfEEEESG_SI_NS1_21lower_bound_search_opENS9_16wrapped_functionINS8_6system6detail7generic6detail18binary_search_lessEbEEEE10hipError_tPvRmT1_T2_T3_mmT4_T5_P12ihipStream_tbEUlRKfE_EESV_SZ_S10_mS11_S14_bEUlT_E_NS1_11comp_targetILNS1_3genE3ELNS1_11target_archE908ELNS1_3gpuE7ELNS1_3repE0EEENS1_30default_config_static_selectorELNS0_4arch9wavefront6targetE1EEEvSY_,comdat
	.protected	_ZN7rocprim17ROCPRIM_400000_NS6detail17trampoline_kernelINS0_14default_configENS1_27lower_bound_config_selectorIflEEZNS1_14transform_implILb0ES3_S5_N6thrust23THRUST_200600_302600_NS6detail15normal_iteratorINS8_7pointerIfNS8_11hip_rocprim5par_tENS8_11use_defaultESE_EEEENSA_INSB_IlSD_SE_SE_EEEEZNS1_13binary_searchIS3_S5_NSA_INS8_10device_ptrIfEEEESG_SI_NS1_21lower_bound_search_opENS9_16wrapped_functionINS8_6system6detail7generic6detail18binary_search_lessEbEEEE10hipError_tPvRmT1_T2_T3_mmT4_T5_P12ihipStream_tbEUlRKfE_EESV_SZ_S10_mS11_S14_bEUlT_E_NS1_11comp_targetILNS1_3genE3ELNS1_11target_archE908ELNS1_3gpuE7ELNS1_3repE0EEENS1_30default_config_static_selectorELNS0_4arch9wavefront6targetE1EEEvSY_ ; -- Begin function _ZN7rocprim17ROCPRIM_400000_NS6detail17trampoline_kernelINS0_14default_configENS1_27lower_bound_config_selectorIflEEZNS1_14transform_implILb0ES3_S5_N6thrust23THRUST_200600_302600_NS6detail15normal_iteratorINS8_7pointerIfNS8_11hip_rocprim5par_tENS8_11use_defaultESE_EEEENSA_INSB_IlSD_SE_SE_EEEEZNS1_13binary_searchIS3_S5_NSA_INS8_10device_ptrIfEEEESG_SI_NS1_21lower_bound_search_opENS9_16wrapped_functionINS8_6system6detail7generic6detail18binary_search_lessEbEEEE10hipError_tPvRmT1_T2_T3_mmT4_T5_P12ihipStream_tbEUlRKfE_EESV_SZ_S10_mS11_S14_bEUlT_E_NS1_11comp_targetILNS1_3genE3ELNS1_11target_archE908ELNS1_3gpuE7ELNS1_3repE0EEENS1_30default_config_static_selectorELNS0_4arch9wavefront6targetE1EEEvSY_
	.globl	_ZN7rocprim17ROCPRIM_400000_NS6detail17trampoline_kernelINS0_14default_configENS1_27lower_bound_config_selectorIflEEZNS1_14transform_implILb0ES3_S5_N6thrust23THRUST_200600_302600_NS6detail15normal_iteratorINS8_7pointerIfNS8_11hip_rocprim5par_tENS8_11use_defaultESE_EEEENSA_INSB_IlSD_SE_SE_EEEEZNS1_13binary_searchIS3_S5_NSA_INS8_10device_ptrIfEEEESG_SI_NS1_21lower_bound_search_opENS9_16wrapped_functionINS8_6system6detail7generic6detail18binary_search_lessEbEEEE10hipError_tPvRmT1_T2_T3_mmT4_T5_P12ihipStream_tbEUlRKfE_EESV_SZ_S10_mS11_S14_bEUlT_E_NS1_11comp_targetILNS1_3genE3ELNS1_11target_archE908ELNS1_3gpuE7ELNS1_3repE0EEENS1_30default_config_static_selectorELNS0_4arch9wavefront6targetE1EEEvSY_
	.p2align	8
	.type	_ZN7rocprim17ROCPRIM_400000_NS6detail17trampoline_kernelINS0_14default_configENS1_27lower_bound_config_selectorIflEEZNS1_14transform_implILb0ES3_S5_N6thrust23THRUST_200600_302600_NS6detail15normal_iteratorINS8_7pointerIfNS8_11hip_rocprim5par_tENS8_11use_defaultESE_EEEENSA_INSB_IlSD_SE_SE_EEEEZNS1_13binary_searchIS3_S5_NSA_INS8_10device_ptrIfEEEESG_SI_NS1_21lower_bound_search_opENS9_16wrapped_functionINS8_6system6detail7generic6detail18binary_search_lessEbEEEE10hipError_tPvRmT1_T2_T3_mmT4_T5_P12ihipStream_tbEUlRKfE_EESV_SZ_S10_mS11_S14_bEUlT_E_NS1_11comp_targetILNS1_3genE3ELNS1_11target_archE908ELNS1_3gpuE7ELNS1_3repE0EEENS1_30default_config_static_selectorELNS0_4arch9wavefront6targetE1EEEvSY_,@function
_ZN7rocprim17ROCPRIM_400000_NS6detail17trampoline_kernelINS0_14default_configENS1_27lower_bound_config_selectorIflEEZNS1_14transform_implILb0ES3_S5_N6thrust23THRUST_200600_302600_NS6detail15normal_iteratorINS8_7pointerIfNS8_11hip_rocprim5par_tENS8_11use_defaultESE_EEEENSA_INSB_IlSD_SE_SE_EEEEZNS1_13binary_searchIS3_S5_NSA_INS8_10device_ptrIfEEEESG_SI_NS1_21lower_bound_search_opENS9_16wrapped_functionINS8_6system6detail7generic6detail18binary_search_lessEbEEEE10hipError_tPvRmT1_T2_T3_mmT4_T5_P12ihipStream_tbEUlRKfE_EESV_SZ_S10_mS11_S14_bEUlT_E_NS1_11comp_targetILNS1_3genE3ELNS1_11target_archE908ELNS1_3gpuE7ELNS1_3repE0EEENS1_30default_config_static_selectorELNS0_4arch9wavefront6targetE1EEEvSY_: ; @_ZN7rocprim17ROCPRIM_400000_NS6detail17trampoline_kernelINS0_14default_configENS1_27lower_bound_config_selectorIflEEZNS1_14transform_implILb0ES3_S5_N6thrust23THRUST_200600_302600_NS6detail15normal_iteratorINS8_7pointerIfNS8_11hip_rocprim5par_tENS8_11use_defaultESE_EEEENSA_INSB_IlSD_SE_SE_EEEEZNS1_13binary_searchIS3_S5_NSA_INS8_10device_ptrIfEEEESG_SI_NS1_21lower_bound_search_opENS9_16wrapped_functionINS8_6system6detail7generic6detail18binary_search_lessEbEEEE10hipError_tPvRmT1_T2_T3_mmT4_T5_P12ihipStream_tbEUlRKfE_EESV_SZ_S10_mS11_S14_bEUlT_E_NS1_11comp_targetILNS1_3genE3ELNS1_11target_archE908ELNS1_3gpuE7ELNS1_3repE0EEENS1_30default_config_static_selectorELNS0_4arch9wavefront6targetE1EEEvSY_
; %bb.0:
	.section	.rodata,"a",@progbits
	.p2align	6, 0x0
	.amdhsa_kernel _ZN7rocprim17ROCPRIM_400000_NS6detail17trampoline_kernelINS0_14default_configENS1_27lower_bound_config_selectorIflEEZNS1_14transform_implILb0ES3_S5_N6thrust23THRUST_200600_302600_NS6detail15normal_iteratorINS8_7pointerIfNS8_11hip_rocprim5par_tENS8_11use_defaultESE_EEEENSA_INSB_IlSD_SE_SE_EEEEZNS1_13binary_searchIS3_S5_NSA_INS8_10device_ptrIfEEEESG_SI_NS1_21lower_bound_search_opENS9_16wrapped_functionINS8_6system6detail7generic6detail18binary_search_lessEbEEEE10hipError_tPvRmT1_T2_T3_mmT4_T5_P12ihipStream_tbEUlRKfE_EESV_SZ_S10_mS11_S14_bEUlT_E_NS1_11comp_targetILNS1_3genE3ELNS1_11target_archE908ELNS1_3gpuE7ELNS1_3repE0EEENS1_30default_config_static_selectorELNS0_4arch9wavefront6targetE1EEEvSY_
		.amdhsa_group_segment_fixed_size 0
		.amdhsa_private_segment_fixed_size 0
		.amdhsa_kernarg_size 56
		.amdhsa_user_sgpr_count 6
		.amdhsa_user_sgpr_private_segment_buffer 1
		.amdhsa_user_sgpr_dispatch_ptr 0
		.amdhsa_user_sgpr_queue_ptr 0
		.amdhsa_user_sgpr_kernarg_segment_ptr 1
		.amdhsa_user_sgpr_dispatch_id 0
		.amdhsa_user_sgpr_flat_scratch_init 0
		.amdhsa_user_sgpr_private_segment_size 0
		.amdhsa_uses_dynamic_stack 0
		.amdhsa_system_sgpr_private_segment_wavefront_offset 0
		.amdhsa_system_sgpr_workgroup_id_x 1
		.amdhsa_system_sgpr_workgroup_id_y 0
		.amdhsa_system_sgpr_workgroup_id_z 0
		.amdhsa_system_sgpr_workgroup_info 0
		.amdhsa_system_vgpr_workitem_id 0
		.amdhsa_next_free_vgpr 1
		.amdhsa_next_free_sgpr 0
		.amdhsa_reserve_vcc 0
		.amdhsa_reserve_flat_scratch 0
		.amdhsa_float_round_mode_32 0
		.amdhsa_float_round_mode_16_64 0
		.amdhsa_float_denorm_mode_32 3
		.amdhsa_float_denorm_mode_16_64 3
		.amdhsa_dx10_clamp 1
		.amdhsa_ieee_mode 1
		.amdhsa_fp16_overflow 0
		.amdhsa_exception_fp_ieee_invalid_op 0
		.amdhsa_exception_fp_denorm_src 0
		.amdhsa_exception_fp_ieee_div_zero 0
		.amdhsa_exception_fp_ieee_overflow 0
		.amdhsa_exception_fp_ieee_underflow 0
		.amdhsa_exception_fp_ieee_inexact 0
		.amdhsa_exception_int_div_zero 0
	.end_amdhsa_kernel
	.section	.text._ZN7rocprim17ROCPRIM_400000_NS6detail17trampoline_kernelINS0_14default_configENS1_27lower_bound_config_selectorIflEEZNS1_14transform_implILb0ES3_S5_N6thrust23THRUST_200600_302600_NS6detail15normal_iteratorINS8_7pointerIfNS8_11hip_rocprim5par_tENS8_11use_defaultESE_EEEENSA_INSB_IlSD_SE_SE_EEEEZNS1_13binary_searchIS3_S5_NSA_INS8_10device_ptrIfEEEESG_SI_NS1_21lower_bound_search_opENS9_16wrapped_functionINS8_6system6detail7generic6detail18binary_search_lessEbEEEE10hipError_tPvRmT1_T2_T3_mmT4_T5_P12ihipStream_tbEUlRKfE_EESV_SZ_S10_mS11_S14_bEUlT_E_NS1_11comp_targetILNS1_3genE3ELNS1_11target_archE908ELNS1_3gpuE7ELNS1_3repE0EEENS1_30default_config_static_selectorELNS0_4arch9wavefront6targetE1EEEvSY_,"axG",@progbits,_ZN7rocprim17ROCPRIM_400000_NS6detail17trampoline_kernelINS0_14default_configENS1_27lower_bound_config_selectorIflEEZNS1_14transform_implILb0ES3_S5_N6thrust23THRUST_200600_302600_NS6detail15normal_iteratorINS8_7pointerIfNS8_11hip_rocprim5par_tENS8_11use_defaultESE_EEEENSA_INSB_IlSD_SE_SE_EEEEZNS1_13binary_searchIS3_S5_NSA_INS8_10device_ptrIfEEEESG_SI_NS1_21lower_bound_search_opENS9_16wrapped_functionINS8_6system6detail7generic6detail18binary_search_lessEbEEEE10hipError_tPvRmT1_T2_T3_mmT4_T5_P12ihipStream_tbEUlRKfE_EESV_SZ_S10_mS11_S14_bEUlT_E_NS1_11comp_targetILNS1_3genE3ELNS1_11target_archE908ELNS1_3gpuE7ELNS1_3repE0EEENS1_30default_config_static_selectorELNS0_4arch9wavefront6targetE1EEEvSY_,comdat
.Lfunc_end352:
	.size	_ZN7rocprim17ROCPRIM_400000_NS6detail17trampoline_kernelINS0_14default_configENS1_27lower_bound_config_selectorIflEEZNS1_14transform_implILb0ES3_S5_N6thrust23THRUST_200600_302600_NS6detail15normal_iteratorINS8_7pointerIfNS8_11hip_rocprim5par_tENS8_11use_defaultESE_EEEENSA_INSB_IlSD_SE_SE_EEEEZNS1_13binary_searchIS3_S5_NSA_INS8_10device_ptrIfEEEESG_SI_NS1_21lower_bound_search_opENS9_16wrapped_functionINS8_6system6detail7generic6detail18binary_search_lessEbEEEE10hipError_tPvRmT1_T2_T3_mmT4_T5_P12ihipStream_tbEUlRKfE_EESV_SZ_S10_mS11_S14_bEUlT_E_NS1_11comp_targetILNS1_3genE3ELNS1_11target_archE908ELNS1_3gpuE7ELNS1_3repE0EEENS1_30default_config_static_selectorELNS0_4arch9wavefront6targetE1EEEvSY_, .Lfunc_end352-_ZN7rocprim17ROCPRIM_400000_NS6detail17trampoline_kernelINS0_14default_configENS1_27lower_bound_config_selectorIflEEZNS1_14transform_implILb0ES3_S5_N6thrust23THRUST_200600_302600_NS6detail15normal_iteratorINS8_7pointerIfNS8_11hip_rocprim5par_tENS8_11use_defaultESE_EEEENSA_INSB_IlSD_SE_SE_EEEEZNS1_13binary_searchIS3_S5_NSA_INS8_10device_ptrIfEEEESG_SI_NS1_21lower_bound_search_opENS9_16wrapped_functionINS8_6system6detail7generic6detail18binary_search_lessEbEEEE10hipError_tPvRmT1_T2_T3_mmT4_T5_P12ihipStream_tbEUlRKfE_EESV_SZ_S10_mS11_S14_bEUlT_E_NS1_11comp_targetILNS1_3genE3ELNS1_11target_archE908ELNS1_3gpuE7ELNS1_3repE0EEENS1_30default_config_static_selectorELNS0_4arch9wavefront6targetE1EEEvSY_
                                        ; -- End function
	.set _ZN7rocprim17ROCPRIM_400000_NS6detail17trampoline_kernelINS0_14default_configENS1_27lower_bound_config_selectorIflEEZNS1_14transform_implILb0ES3_S5_N6thrust23THRUST_200600_302600_NS6detail15normal_iteratorINS8_7pointerIfNS8_11hip_rocprim5par_tENS8_11use_defaultESE_EEEENSA_INSB_IlSD_SE_SE_EEEEZNS1_13binary_searchIS3_S5_NSA_INS8_10device_ptrIfEEEESG_SI_NS1_21lower_bound_search_opENS9_16wrapped_functionINS8_6system6detail7generic6detail18binary_search_lessEbEEEE10hipError_tPvRmT1_T2_T3_mmT4_T5_P12ihipStream_tbEUlRKfE_EESV_SZ_S10_mS11_S14_bEUlT_E_NS1_11comp_targetILNS1_3genE3ELNS1_11target_archE908ELNS1_3gpuE7ELNS1_3repE0EEENS1_30default_config_static_selectorELNS0_4arch9wavefront6targetE1EEEvSY_.num_vgpr, 0
	.set _ZN7rocprim17ROCPRIM_400000_NS6detail17trampoline_kernelINS0_14default_configENS1_27lower_bound_config_selectorIflEEZNS1_14transform_implILb0ES3_S5_N6thrust23THRUST_200600_302600_NS6detail15normal_iteratorINS8_7pointerIfNS8_11hip_rocprim5par_tENS8_11use_defaultESE_EEEENSA_INSB_IlSD_SE_SE_EEEEZNS1_13binary_searchIS3_S5_NSA_INS8_10device_ptrIfEEEESG_SI_NS1_21lower_bound_search_opENS9_16wrapped_functionINS8_6system6detail7generic6detail18binary_search_lessEbEEEE10hipError_tPvRmT1_T2_T3_mmT4_T5_P12ihipStream_tbEUlRKfE_EESV_SZ_S10_mS11_S14_bEUlT_E_NS1_11comp_targetILNS1_3genE3ELNS1_11target_archE908ELNS1_3gpuE7ELNS1_3repE0EEENS1_30default_config_static_selectorELNS0_4arch9wavefront6targetE1EEEvSY_.num_agpr, 0
	.set _ZN7rocprim17ROCPRIM_400000_NS6detail17trampoline_kernelINS0_14default_configENS1_27lower_bound_config_selectorIflEEZNS1_14transform_implILb0ES3_S5_N6thrust23THRUST_200600_302600_NS6detail15normal_iteratorINS8_7pointerIfNS8_11hip_rocprim5par_tENS8_11use_defaultESE_EEEENSA_INSB_IlSD_SE_SE_EEEEZNS1_13binary_searchIS3_S5_NSA_INS8_10device_ptrIfEEEESG_SI_NS1_21lower_bound_search_opENS9_16wrapped_functionINS8_6system6detail7generic6detail18binary_search_lessEbEEEE10hipError_tPvRmT1_T2_T3_mmT4_T5_P12ihipStream_tbEUlRKfE_EESV_SZ_S10_mS11_S14_bEUlT_E_NS1_11comp_targetILNS1_3genE3ELNS1_11target_archE908ELNS1_3gpuE7ELNS1_3repE0EEENS1_30default_config_static_selectorELNS0_4arch9wavefront6targetE1EEEvSY_.numbered_sgpr, 0
	.set _ZN7rocprim17ROCPRIM_400000_NS6detail17trampoline_kernelINS0_14default_configENS1_27lower_bound_config_selectorIflEEZNS1_14transform_implILb0ES3_S5_N6thrust23THRUST_200600_302600_NS6detail15normal_iteratorINS8_7pointerIfNS8_11hip_rocprim5par_tENS8_11use_defaultESE_EEEENSA_INSB_IlSD_SE_SE_EEEEZNS1_13binary_searchIS3_S5_NSA_INS8_10device_ptrIfEEEESG_SI_NS1_21lower_bound_search_opENS9_16wrapped_functionINS8_6system6detail7generic6detail18binary_search_lessEbEEEE10hipError_tPvRmT1_T2_T3_mmT4_T5_P12ihipStream_tbEUlRKfE_EESV_SZ_S10_mS11_S14_bEUlT_E_NS1_11comp_targetILNS1_3genE3ELNS1_11target_archE908ELNS1_3gpuE7ELNS1_3repE0EEENS1_30default_config_static_selectorELNS0_4arch9wavefront6targetE1EEEvSY_.num_named_barrier, 0
	.set _ZN7rocprim17ROCPRIM_400000_NS6detail17trampoline_kernelINS0_14default_configENS1_27lower_bound_config_selectorIflEEZNS1_14transform_implILb0ES3_S5_N6thrust23THRUST_200600_302600_NS6detail15normal_iteratorINS8_7pointerIfNS8_11hip_rocprim5par_tENS8_11use_defaultESE_EEEENSA_INSB_IlSD_SE_SE_EEEEZNS1_13binary_searchIS3_S5_NSA_INS8_10device_ptrIfEEEESG_SI_NS1_21lower_bound_search_opENS9_16wrapped_functionINS8_6system6detail7generic6detail18binary_search_lessEbEEEE10hipError_tPvRmT1_T2_T3_mmT4_T5_P12ihipStream_tbEUlRKfE_EESV_SZ_S10_mS11_S14_bEUlT_E_NS1_11comp_targetILNS1_3genE3ELNS1_11target_archE908ELNS1_3gpuE7ELNS1_3repE0EEENS1_30default_config_static_selectorELNS0_4arch9wavefront6targetE1EEEvSY_.private_seg_size, 0
	.set _ZN7rocprim17ROCPRIM_400000_NS6detail17trampoline_kernelINS0_14default_configENS1_27lower_bound_config_selectorIflEEZNS1_14transform_implILb0ES3_S5_N6thrust23THRUST_200600_302600_NS6detail15normal_iteratorINS8_7pointerIfNS8_11hip_rocprim5par_tENS8_11use_defaultESE_EEEENSA_INSB_IlSD_SE_SE_EEEEZNS1_13binary_searchIS3_S5_NSA_INS8_10device_ptrIfEEEESG_SI_NS1_21lower_bound_search_opENS9_16wrapped_functionINS8_6system6detail7generic6detail18binary_search_lessEbEEEE10hipError_tPvRmT1_T2_T3_mmT4_T5_P12ihipStream_tbEUlRKfE_EESV_SZ_S10_mS11_S14_bEUlT_E_NS1_11comp_targetILNS1_3genE3ELNS1_11target_archE908ELNS1_3gpuE7ELNS1_3repE0EEENS1_30default_config_static_selectorELNS0_4arch9wavefront6targetE1EEEvSY_.uses_vcc, 0
	.set _ZN7rocprim17ROCPRIM_400000_NS6detail17trampoline_kernelINS0_14default_configENS1_27lower_bound_config_selectorIflEEZNS1_14transform_implILb0ES3_S5_N6thrust23THRUST_200600_302600_NS6detail15normal_iteratorINS8_7pointerIfNS8_11hip_rocprim5par_tENS8_11use_defaultESE_EEEENSA_INSB_IlSD_SE_SE_EEEEZNS1_13binary_searchIS3_S5_NSA_INS8_10device_ptrIfEEEESG_SI_NS1_21lower_bound_search_opENS9_16wrapped_functionINS8_6system6detail7generic6detail18binary_search_lessEbEEEE10hipError_tPvRmT1_T2_T3_mmT4_T5_P12ihipStream_tbEUlRKfE_EESV_SZ_S10_mS11_S14_bEUlT_E_NS1_11comp_targetILNS1_3genE3ELNS1_11target_archE908ELNS1_3gpuE7ELNS1_3repE0EEENS1_30default_config_static_selectorELNS0_4arch9wavefront6targetE1EEEvSY_.uses_flat_scratch, 0
	.set _ZN7rocprim17ROCPRIM_400000_NS6detail17trampoline_kernelINS0_14default_configENS1_27lower_bound_config_selectorIflEEZNS1_14transform_implILb0ES3_S5_N6thrust23THRUST_200600_302600_NS6detail15normal_iteratorINS8_7pointerIfNS8_11hip_rocprim5par_tENS8_11use_defaultESE_EEEENSA_INSB_IlSD_SE_SE_EEEEZNS1_13binary_searchIS3_S5_NSA_INS8_10device_ptrIfEEEESG_SI_NS1_21lower_bound_search_opENS9_16wrapped_functionINS8_6system6detail7generic6detail18binary_search_lessEbEEEE10hipError_tPvRmT1_T2_T3_mmT4_T5_P12ihipStream_tbEUlRKfE_EESV_SZ_S10_mS11_S14_bEUlT_E_NS1_11comp_targetILNS1_3genE3ELNS1_11target_archE908ELNS1_3gpuE7ELNS1_3repE0EEENS1_30default_config_static_selectorELNS0_4arch9wavefront6targetE1EEEvSY_.has_dyn_sized_stack, 0
	.set _ZN7rocprim17ROCPRIM_400000_NS6detail17trampoline_kernelINS0_14default_configENS1_27lower_bound_config_selectorIflEEZNS1_14transform_implILb0ES3_S5_N6thrust23THRUST_200600_302600_NS6detail15normal_iteratorINS8_7pointerIfNS8_11hip_rocprim5par_tENS8_11use_defaultESE_EEEENSA_INSB_IlSD_SE_SE_EEEEZNS1_13binary_searchIS3_S5_NSA_INS8_10device_ptrIfEEEESG_SI_NS1_21lower_bound_search_opENS9_16wrapped_functionINS8_6system6detail7generic6detail18binary_search_lessEbEEEE10hipError_tPvRmT1_T2_T3_mmT4_T5_P12ihipStream_tbEUlRKfE_EESV_SZ_S10_mS11_S14_bEUlT_E_NS1_11comp_targetILNS1_3genE3ELNS1_11target_archE908ELNS1_3gpuE7ELNS1_3repE0EEENS1_30default_config_static_selectorELNS0_4arch9wavefront6targetE1EEEvSY_.has_recursion, 0
	.set _ZN7rocprim17ROCPRIM_400000_NS6detail17trampoline_kernelINS0_14default_configENS1_27lower_bound_config_selectorIflEEZNS1_14transform_implILb0ES3_S5_N6thrust23THRUST_200600_302600_NS6detail15normal_iteratorINS8_7pointerIfNS8_11hip_rocprim5par_tENS8_11use_defaultESE_EEEENSA_INSB_IlSD_SE_SE_EEEEZNS1_13binary_searchIS3_S5_NSA_INS8_10device_ptrIfEEEESG_SI_NS1_21lower_bound_search_opENS9_16wrapped_functionINS8_6system6detail7generic6detail18binary_search_lessEbEEEE10hipError_tPvRmT1_T2_T3_mmT4_T5_P12ihipStream_tbEUlRKfE_EESV_SZ_S10_mS11_S14_bEUlT_E_NS1_11comp_targetILNS1_3genE3ELNS1_11target_archE908ELNS1_3gpuE7ELNS1_3repE0EEENS1_30default_config_static_selectorELNS0_4arch9wavefront6targetE1EEEvSY_.has_indirect_call, 0
	.section	.AMDGPU.csdata,"",@progbits
; Kernel info:
; codeLenInByte = 0
; TotalNumSgprs: 4
; NumVgprs: 0
; ScratchSize: 0
; MemoryBound: 0
; FloatMode: 240
; IeeeMode: 1
; LDSByteSize: 0 bytes/workgroup (compile time only)
; SGPRBlocks: 0
; VGPRBlocks: 0
; NumSGPRsForWavesPerEU: 4
; NumVGPRsForWavesPerEU: 1
; Occupancy: 10
; WaveLimiterHint : 0
; COMPUTE_PGM_RSRC2:SCRATCH_EN: 0
; COMPUTE_PGM_RSRC2:USER_SGPR: 6
; COMPUTE_PGM_RSRC2:TRAP_HANDLER: 0
; COMPUTE_PGM_RSRC2:TGID_X_EN: 1
; COMPUTE_PGM_RSRC2:TGID_Y_EN: 0
; COMPUTE_PGM_RSRC2:TGID_Z_EN: 0
; COMPUTE_PGM_RSRC2:TIDIG_COMP_CNT: 0
	.section	.text._ZN7rocprim17ROCPRIM_400000_NS6detail17trampoline_kernelINS0_14default_configENS1_27lower_bound_config_selectorIflEEZNS1_14transform_implILb0ES3_S5_N6thrust23THRUST_200600_302600_NS6detail15normal_iteratorINS8_7pointerIfNS8_11hip_rocprim5par_tENS8_11use_defaultESE_EEEENSA_INSB_IlSD_SE_SE_EEEEZNS1_13binary_searchIS3_S5_NSA_INS8_10device_ptrIfEEEESG_SI_NS1_21lower_bound_search_opENS9_16wrapped_functionINS8_6system6detail7generic6detail18binary_search_lessEbEEEE10hipError_tPvRmT1_T2_T3_mmT4_T5_P12ihipStream_tbEUlRKfE_EESV_SZ_S10_mS11_S14_bEUlT_E_NS1_11comp_targetILNS1_3genE2ELNS1_11target_archE906ELNS1_3gpuE6ELNS1_3repE0EEENS1_30default_config_static_selectorELNS0_4arch9wavefront6targetE1EEEvSY_,"axG",@progbits,_ZN7rocprim17ROCPRIM_400000_NS6detail17trampoline_kernelINS0_14default_configENS1_27lower_bound_config_selectorIflEEZNS1_14transform_implILb0ES3_S5_N6thrust23THRUST_200600_302600_NS6detail15normal_iteratorINS8_7pointerIfNS8_11hip_rocprim5par_tENS8_11use_defaultESE_EEEENSA_INSB_IlSD_SE_SE_EEEEZNS1_13binary_searchIS3_S5_NSA_INS8_10device_ptrIfEEEESG_SI_NS1_21lower_bound_search_opENS9_16wrapped_functionINS8_6system6detail7generic6detail18binary_search_lessEbEEEE10hipError_tPvRmT1_T2_T3_mmT4_T5_P12ihipStream_tbEUlRKfE_EESV_SZ_S10_mS11_S14_bEUlT_E_NS1_11comp_targetILNS1_3genE2ELNS1_11target_archE906ELNS1_3gpuE6ELNS1_3repE0EEENS1_30default_config_static_selectorELNS0_4arch9wavefront6targetE1EEEvSY_,comdat
	.protected	_ZN7rocprim17ROCPRIM_400000_NS6detail17trampoline_kernelINS0_14default_configENS1_27lower_bound_config_selectorIflEEZNS1_14transform_implILb0ES3_S5_N6thrust23THRUST_200600_302600_NS6detail15normal_iteratorINS8_7pointerIfNS8_11hip_rocprim5par_tENS8_11use_defaultESE_EEEENSA_INSB_IlSD_SE_SE_EEEEZNS1_13binary_searchIS3_S5_NSA_INS8_10device_ptrIfEEEESG_SI_NS1_21lower_bound_search_opENS9_16wrapped_functionINS8_6system6detail7generic6detail18binary_search_lessEbEEEE10hipError_tPvRmT1_T2_T3_mmT4_T5_P12ihipStream_tbEUlRKfE_EESV_SZ_S10_mS11_S14_bEUlT_E_NS1_11comp_targetILNS1_3genE2ELNS1_11target_archE906ELNS1_3gpuE6ELNS1_3repE0EEENS1_30default_config_static_selectorELNS0_4arch9wavefront6targetE1EEEvSY_ ; -- Begin function _ZN7rocprim17ROCPRIM_400000_NS6detail17trampoline_kernelINS0_14default_configENS1_27lower_bound_config_selectorIflEEZNS1_14transform_implILb0ES3_S5_N6thrust23THRUST_200600_302600_NS6detail15normal_iteratorINS8_7pointerIfNS8_11hip_rocprim5par_tENS8_11use_defaultESE_EEEENSA_INSB_IlSD_SE_SE_EEEEZNS1_13binary_searchIS3_S5_NSA_INS8_10device_ptrIfEEEESG_SI_NS1_21lower_bound_search_opENS9_16wrapped_functionINS8_6system6detail7generic6detail18binary_search_lessEbEEEE10hipError_tPvRmT1_T2_T3_mmT4_T5_P12ihipStream_tbEUlRKfE_EESV_SZ_S10_mS11_S14_bEUlT_E_NS1_11comp_targetILNS1_3genE2ELNS1_11target_archE906ELNS1_3gpuE6ELNS1_3repE0EEENS1_30default_config_static_selectorELNS0_4arch9wavefront6targetE1EEEvSY_
	.globl	_ZN7rocprim17ROCPRIM_400000_NS6detail17trampoline_kernelINS0_14default_configENS1_27lower_bound_config_selectorIflEEZNS1_14transform_implILb0ES3_S5_N6thrust23THRUST_200600_302600_NS6detail15normal_iteratorINS8_7pointerIfNS8_11hip_rocprim5par_tENS8_11use_defaultESE_EEEENSA_INSB_IlSD_SE_SE_EEEEZNS1_13binary_searchIS3_S5_NSA_INS8_10device_ptrIfEEEESG_SI_NS1_21lower_bound_search_opENS9_16wrapped_functionINS8_6system6detail7generic6detail18binary_search_lessEbEEEE10hipError_tPvRmT1_T2_T3_mmT4_T5_P12ihipStream_tbEUlRKfE_EESV_SZ_S10_mS11_S14_bEUlT_E_NS1_11comp_targetILNS1_3genE2ELNS1_11target_archE906ELNS1_3gpuE6ELNS1_3repE0EEENS1_30default_config_static_selectorELNS0_4arch9wavefront6targetE1EEEvSY_
	.p2align	8
	.type	_ZN7rocprim17ROCPRIM_400000_NS6detail17trampoline_kernelINS0_14default_configENS1_27lower_bound_config_selectorIflEEZNS1_14transform_implILb0ES3_S5_N6thrust23THRUST_200600_302600_NS6detail15normal_iteratorINS8_7pointerIfNS8_11hip_rocprim5par_tENS8_11use_defaultESE_EEEENSA_INSB_IlSD_SE_SE_EEEEZNS1_13binary_searchIS3_S5_NSA_INS8_10device_ptrIfEEEESG_SI_NS1_21lower_bound_search_opENS9_16wrapped_functionINS8_6system6detail7generic6detail18binary_search_lessEbEEEE10hipError_tPvRmT1_T2_T3_mmT4_T5_P12ihipStream_tbEUlRKfE_EESV_SZ_S10_mS11_S14_bEUlT_E_NS1_11comp_targetILNS1_3genE2ELNS1_11target_archE906ELNS1_3gpuE6ELNS1_3repE0EEENS1_30default_config_static_selectorELNS0_4arch9wavefront6targetE1EEEvSY_,@function
_ZN7rocprim17ROCPRIM_400000_NS6detail17trampoline_kernelINS0_14default_configENS1_27lower_bound_config_selectorIflEEZNS1_14transform_implILb0ES3_S5_N6thrust23THRUST_200600_302600_NS6detail15normal_iteratorINS8_7pointerIfNS8_11hip_rocprim5par_tENS8_11use_defaultESE_EEEENSA_INSB_IlSD_SE_SE_EEEEZNS1_13binary_searchIS3_S5_NSA_INS8_10device_ptrIfEEEESG_SI_NS1_21lower_bound_search_opENS9_16wrapped_functionINS8_6system6detail7generic6detail18binary_search_lessEbEEEE10hipError_tPvRmT1_T2_T3_mmT4_T5_P12ihipStream_tbEUlRKfE_EESV_SZ_S10_mS11_S14_bEUlT_E_NS1_11comp_targetILNS1_3genE2ELNS1_11target_archE906ELNS1_3gpuE6ELNS1_3repE0EEENS1_30default_config_static_selectorELNS0_4arch9wavefront6targetE1EEEvSY_: ; @_ZN7rocprim17ROCPRIM_400000_NS6detail17trampoline_kernelINS0_14default_configENS1_27lower_bound_config_selectorIflEEZNS1_14transform_implILb0ES3_S5_N6thrust23THRUST_200600_302600_NS6detail15normal_iteratorINS8_7pointerIfNS8_11hip_rocprim5par_tENS8_11use_defaultESE_EEEENSA_INSB_IlSD_SE_SE_EEEEZNS1_13binary_searchIS3_S5_NSA_INS8_10device_ptrIfEEEESG_SI_NS1_21lower_bound_search_opENS9_16wrapped_functionINS8_6system6detail7generic6detail18binary_search_lessEbEEEE10hipError_tPvRmT1_T2_T3_mmT4_T5_P12ihipStream_tbEUlRKfE_EESV_SZ_S10_mS11_S14_bEUlT_E_NS1_11comp_targetILNS1_3genE2ELNS1_11target_archE906ELNS1_3gpuE6ELNS1_3repE0EEENS1_30default_config_static_selectorELNS0_4arch9wavefront6targetE1EEEvSY_
; %bb.0:
	s_load_dwordx4 s[16:19], s[4:5], 0x0
	s_load_dwordx4 s[8:11], s[4:5], 0x18
	s_load_dwordx2 s[12:13], s[4:5], 0x28
	s_load_dword s15, s[4:5], 0x38
	s_waitcnt lgkmcnt(0)
	s_lshl_b64 s[0:1], s[18:19], 2
	s_add_u32 s2, s16, s0
	s_addc_u32 s3, s17, s1
	s_lshl_b64 s[0:1], s[18:19], 3
	s_add_u32 s7, s8, s0
	s_addc_u32 s14, s9, s1
	s_lshl_b32 s8, s6, 8
	s_add_i32 s15, s15, -1
	s_mov_b32 s9, 0
	s_cmp_lg_u32 s6, s15
	s_mov_b64 s[0:1], -1
	s_cbranch_scc0 .LBB353_7
; %bb.1:
	s_cmp_eq_u64 s[12:13], 0
	s_mov_b64 s[0:1], 0
	s_cbranch_scc1 .LBB353_5
; %bb.2:
	s_lshl_b64 s[16:17], s[8:9], 2
	s_add_u32 s6, s2, s16
	s_addc_u32 s15, s3, s17
	v_lshlrev_b32_e32 v1, 2, v0
	v_mov_b32_e32 v2, s15
	v_add_co_u32_e32 v1, vcc, s6, v1
	v_addc_co_u32_e32 v2, vcc, 0, v2, vcc
	flat_load_dword v5, v[1:2]
	v_mov_b32_e32 v1, 0
	v_mov_b32_e32 v3, s12
	;; [unrolled: 1-line block ×5, first 2 shown]
.LBB353_3:                              ; =>This Inner Loop Header: Depth=1
	v_sub_co_u32_e32 v7, vcc, v3, v1
	v_subb_co_u32_e32 v8, vcc, v4, v2, vcc
	v_lshrrev_b64 v[9:10], 1, v[7:8]
	v_lshrrev_b64 v[7:8], 6, v[7:8]
	v_add_co_u32_e32 v9, vcc, v9, v1
	v_addc_co_u32_e32 v10, vcc, v10, v2, vcc
	v_add_co_u32_e32 v7, vcc, v9, v7
	v_addc_co_u32_e32 v8, vcc, v10, v8, vcc
	v_lshlrev_b64 v[9:10], 2, v[7:8]
	v_add_co_u32_e32 v9, vcc, s10, v9
	v_addc_co_u32_e32 v10, vcc, v6, v10, vcc
	global_load_dword v9, v[9:10], off
	v_add_co_u32_e32 v10, vcc, 1, v7
	v_addc_co_u32_e32 v11, vcc, 0, v8, vcc
	s_waitcnt vmcnt(0) lgkmcnt(0)
	v_cmp_lt_f32_e32 vcc, v9, v5
	v_cndmask_b32_e32 v4, v8, v4, vcc
	v_cndmask_b32_e32 v3, v7, v3, vcc
	;; [unrolled: 1-line block ×4, first 2 shown]
	v_cmp_ge_u64_e32 vcc, v[1:2], v[3:4]
	s_or_b64 s[0:1], vcc, s[0:1]
	s_andn2_b64 exec, exec, s[0:1]
	s_cbranch_execnz .LBB353_3
; %bb.4:
	s_or_b64 exec, exec, s[0:1]
	s_branch .LBB353_6
.LBB353_5:
	v_mov_b32_e32 v1, 0
	v_mov_b32_e32 v2, 0
.LBB353_6:
	s_lshl_b64 s[0:1], s[8:9], 3
	s_add_u32 s0, s7, s0
	s_addc_u32 s1, s14, s1
	v_lshlrev_b32_e32 v3, 3, v0
	v_mov_b32_e32 v4, s1
	v_add_co_u32_e32 v3, vcc, s0, v3
	v_addc_co_u32_e32 v4, vcc, 0, v4, vcc
	s_mov_b64 s[0:1], 0
	flat_store_dwordx2 v[3:4], v[1:2]
.LBB353_7:
	s_and_b64 vcc, exec, s[0:1]
	s_cbranch_vccz .LBB353_16
; %bb.8:
	s_load_dword s0, s[4:5], 0x10
                                        ; implicit-def: $vgpr5
	s_waitcnt lgkmcnt(0)
	s_sub_i32 s4, s0, s8
	v_cmp_le_u32_e64 s[0:1], s4, v0
	v_cmp_gt_u32_e32 vcc, s4, v0
	s_and_saveexec_b64 s[4:5], vcc
	s_cbranch_execz .LBB353_10
; %bb.9:
	s_lshl_b64 s[16:17], s[8:9], 2
	s_add_u32 s2, s2, s16
	s_addc_u32 s3, s3, s17
	v_lshlrev_b32_e32 v1, 2, v0
	v_mov_b32_e32 v2, s3
	v_add_co_u32_e64 v1, s[2:3], s2, v1
	v_addc_co_u32_e64 v2, s[2:3], 0, v2, s[2:3]
	flat_load_dword v5, v[1:2]
.LBB353_10:
	s_or_b64 exec, exec, s[4:5]
	s_cmp_lg_u64 s[12:13], 0
	s_cselect_b64 s[4:5], -1, 0
	s_xor_b64 s[0:1], s[0:1], -1
	v_mov_b32_e32 v1, 0
	s_mov_b64 s[2:3], 0
	v_mov_b32_e32 v2, 0
	s_and_b64 s[0:1], s[0:1], s[4:5]
	s_and_saveexec_b64 s[4:5], s[0:1]
	s_cbranch_execz .LBB353_14
; %bb.11:
	v_mov_b32_e32 v1, 0
	v_mov_b32_e32 v3, s12
	;; [unrolled: 1-line block ×5, first 2 shown]
.LBB353_12:                             ; =>This Inner Loop Header: Depth=1
	v_sub_co_u32_e64 v7, s[0:1], v3, v1
	v_subb_co_u32_e64 v8, s[0:1], v4, v2, s[0:1]
	v_lshrrev_b64 v[9:10], 1, v[7:8]
	v_lshrrev_b64 v[7:8], 6, v[7:8]
	v_add_co_u32_e64 v9, s[0:1], v9, v1
	v_addc_co_u32_e64 v10, s[0:1], v10, v2, s[0:1]
	v_add_co_u32_e64 v7, s[0:1], v9, v7
	v_addc_co_u32_e64 v8, s[0:1], v10, v8, s[0:1]
	v_lshlrev_b64 v[9:10], 2, v[7:8]
	v_add_co_u32_e64 v9, s[0:1], s10, v9
	v_addc_co_u32_e64 v10, s[0:1], v6, v10, s[0:1]
	global_load_dword v9, v[9:10], off
	v_add_co_u32_e64 v10, s[0:1], 1, v7
	v_addc_co_u32_e64 v11, s[0:1], 0, v8, s[0:1]
	s_waitcnt vmcnt(0) lgkmcnt(0)
	v_cmp_lt_f32_e64 s[0:1], v9, v5
	v_cndmask_b32_e64 v4, v8, v4, s[0:1]
	v_cndmask_b32_e64 v3, v7, v3, s[0:1]
	;; [unrolled: 1-line block ×4, first 2 shown]
	v_cmp_ge_u64_e64 s[0:1], v[1:2], v[3:4]
	s_or_b64 s[2:3], s[0:1], s[2:3]
	s_andn2_b64 exec, exec, s[2:3]
	s_cbranch_execnz .LBB353_12
; %bb.13:
	s_or_b64 exec, exec, s[2:3]
.LBB353_14:
	s_or_b64 exec, exec, s[4:5]
	s_and_saveexec_b64 s[0:1], vcc
	s_cbranch_execz .LBB353_16
; %bb.15:
	s_lshl_b64 s[0:1], s[8:9], 3
	s_add_u32 s0, s7, s0
	s_addc_u32 s1, s14, s1
	v_lshlrev_b32_e32 v0, 3, v0
	v_mov_b32_e32 v4, s1
	v_add_co_u32_e32 v3, vcc, s0, v0
	v_addc_co_u32_e32 v4, vcc, 0, v4, vcc
	flat_store_dwordx2 v[3:4], v[1:2]
.LBB353_16:
	s_endpgm
	.section	.rodata,"a",@progbits
	.p2align	6, 0x0
	.amdhsa_kernel _ZN7rocprim17ROCPRIM_400000_NS6detail17trampoline_kernelINS0_14default_configENS1_27lower_bound_config_selectorIflEEZNS1_14transform_implILb0ES3_S5_N6thrust23THRUST_200600_302600_NS6detail15normal_iteratorINS8_7pointerIfNS8_11hip_rocprim5par_tENS8_11use_defaultESE_EEEENSA_INSB_IlSD_SE_SE_EEEEZNS1_13binary_searchIS3_S5_NSA_INS8_10device_ptrIfEEEESG_SI_NS1_21lower_bound_search_opENS9_16wrapped_functionINS8_6system6detail7generic6detail18binary_search_lessEbEEEE10hipError_tPvRmT1_T2_T3_mmT4_T5_P12ihipStream_tbEUlRKfE_EESV_SZ_S10_mS11_S14_bEUlT_E_NS1_11comp_targetILNS1_3genE2ELNS1_11target_archE906ELNS1_3gpuE6ELNS1_3repE0EEENS1_30default_config_static_selectorELNS0_4arch9wavefront6targetE1EEEvSY_
		.amdhsa_group_segment_fixed_size 0
		.amdhsa_private_segment_fixed_size 0
		.amdhsa_kernarg_size 312
		.amdhsa_user_sgpr_count 6
		.amdhsa_user_sgpr_private_segment_buffer 1
		.amdhsa_user_sgpr_dispatch_ptr 0
		.amdhsa_user_sgpr_queue_ptr 0
		.amdhsa_user_sgpr_kernarg_segment_ptr 1
		.amdhsa_user_sgpr_dispatch_id 0
		.amdhsa_user_sgpr_flat_scratch_init 0
		.amdhsa_user_sgpr_private_segment_size 0
		.amdhsa_uses_dynamic_stack 0
		.amdhsa_system_sgpr_private_segment_wavefront_offset 0
		.amdhsa_system_sgpr_workgroup_id_x 1
		.amdhsa_system_sgpr_workgroup_id_y 0
		.amdhsa_system_sgpr_workgroup_id_z 0
		.amdhsa_system_sgpr_workgroup_info 0
		.amdhsa_system_vgpr_workitem_id 0
		.amdhsa_next_free_vgpr 12
		.amdhsa_next_free_sgpr 20
		.amdhsa_reserve_vcc 1
		.amdhsa_reserve_flat_scratch 0
		.amdhsa_float_round_mode_32 0
		.amdhsa_float_round_mode_16_64 0
		.amdhsa_float_denorm_mode_32 3
		.amdhsa_float_denorm_mode_16_64 3
		.amdhsa_dx10_clamp 1
		.amdhsa_ieee_mode 1
		.amdhsa_fp16_overflow 0
		.amdhsa_exception_fp_ieee_invalid_op 0
		.amdhsa_exception_fp_denorm_src 0
		.amdhsa_exception_fp_ieee_div_zero 0
		.amdhsa_exception_fp_ieee_overflow 0
		.amdhsa_exception_fp_ieee_underflow 0
		.amdhsa_exception_fp_ieee_inexact 0
		.amdhsa_exception_int_div_zero 0
	.end_amdhsa_kernel
	.section	.text._ZN7rocprim17ROCPRIM_400000_NS6detail17trampoline_kernelINS0_14default_configENS1_27lower_bound_config_selectorIflEEZNS1_14transform_implILb0ES3_S5_N6thrust23THRUST_200600_302600_NS6detail15normal_iteratorINS8_7pointerIfNS8_11hip_rocprim5par_tENS8_11use_defaultESE_EEEENSA_INSB_IlSD_SE_SE_EEEEZNS1_13binary_searchIS3_S5_NSA_INS8_10device_ptrIfEEEESG_SI_NS1_21lower_bound_search_opENS9_16wrapped_functionINS8_6system6detail7generic6detail18binary_search_lessEbEEEE10hipError_tPvRmT1_T2_T3_mmT4_T5_P12ihipStream_tbEUlRKfE_EESV_SZ_S10_mS11_S14_bEUlT_E_NS1_11comp_targetILNS1_3genE2ELNS1_11target_archE906ELNS1_3gpuE6ELNS1_3repE0EEENS1_30default_config_static_selectorELNS0_4arch9wavefront6targetE1EEEvSY_,"axG",@progbits,_ZN7rocprim17ROCPRIM_400000_NS6detail17trampoline_kernelINS0_14default_configENS1_27lower_bound_config_selectorIflEEZNS1_14transform_implILb0ES3_S5_N6thrust23THRUST_200600_302600_NS6detail15normal_iteratorINS8_7pointerIfNS8_11hip_rocprim5par_tENS8_11use_defaultESE_EEEENSA_INSB_IlSD_SE_SE_EEEEZNS1_13binary_searchIS3_S5_NSA_INS8_10device_ptrIfEEEESG_SI_NS1_21lower_bound_search_opENS9_16wrapped_functionINS8_6system6detail7generic6detail18binary_search_lessEbEEEE10hipError_tPvRmT1_T2_T3_mmT4_T5_P12ihipStream_tbEUlRKfE_EESV_SZ_S10_mS11_S14_bEUlT_E_NS1_11comp_targetILNS1_3genE2ELNS1_11target_archE906ELNS1_3gpuE6ELNS1_3repE0EEENS1_30default_config_static_selectorELNS0_4arch9wavefront6targetE1EEEvSY_,comdat
.Lfunc_end353:
	.size	_ZN7rocprim17ROCPRIM_400000_NS6detail17trampoline_kernelINS0_14default_configENS1_27lower_bound_config_selectorIflEEZNS1_14transform_implILb0ES3_S5_N6thrust23THRUST_200600_302600_NS6detail15normal_iteratorINS8_7pointerIfNS8_11hip_rocprim5par_tENS8_11use_defaultESE_EEEENSA_INSB_IlSD_SE_SE_EEEEZNS1_13binary_searchIS3_S5_NSA_INS8_10device_ptrIfEEEESG_SI_NS1_21lower_bound_search_opENS9_16wrapped_functionINS8_6system6detail7generic6detail18binary_search_lessEbEEEE10hipError_tPvRmT1_T2_T3_mmT4_T5_P12ihipStream_tbEUlRKfE_EESV_SZ_S10_mS11_S14_bEUlT_E_NS1_11comp_targetILNS1_3genE2ELNS1_11target_archE906ELNS1_3gpuE6ELNS1_3repE0EEENS1_30default_config_static_selectorELNS0_4arch9wavefront6targetE1EEEvSY_, .Lfunc_end353-_ZN7rocprim17ROCPRIM_400000_NS6detail17trampoline_kernelINS0_14default_configENS1_27lower_bound_config_selectorIflEEZNS1_14transform_implILb0ES3_S5_N6thrust23THRUST_200600_302600_NS6detail15normal_iteratorINS8_7pointerIfNS8_11hip_rocprim5par_tENS8_11use_defaultESE_EEEENSA_INSB_IlSD_SE_SE_EEEEZNS1_13binary_searchIS3_S5_NSA_INS8_10device_ptrIfEEEESG_SI_NS1_21lower_bound_search_opENS9_16wrapped_functionINS8_6system6detail7generic6detail18binary_search_lessEbEEEE10hipError_tPvRmT1_T2_T3_mmT4_T5_P12ihipStream_tbEUlRKfE_EESV_SZ_S10_mS11_S14_bEUlT_E_NS1_11comp_targetILNS1_3genE2ELNS1_11target_archE906ELNS1_3gpuE6ELNS1_3repE0EEENS1_30default_config_static_selectorELNS0_4arch9wavefront6targetE1EEEvSY_
                                        ; -- End function
	.set _ZN7rocprim17ROCPRIM_400000_NS6detail17trampoline_kernelINS0_14default_configENS1_27lower_bound_config_selectorIflEEZNS1_14transform_implILb0ES3_S5_N6thrust23THRUST_200600_302600_NS6detail15normal_iteratorINS8_7pointerIfNS8_11hip_rocprim5par_tENS8_11use_defaultESE_EEEENSA_INSB_IlSD_SE_SE_EEEEZNS1_13binary_searchIS3_S5_NSA_INS8_10device_ptrIfEEEESG_SI_NS1_21lower_bound_search_opENS9_16wrapped_functionINS8_6system6detail7generic6detail18binary_search_lessEbEEEE10hipError_tPvRmT1_T2_T3_mmT4_T5_P12ihipStream_tbEUlRKfE_EESV_SZ_S10_mS11_S14_bEUlT_E_NS1_11comp_targetILNS1_3genE2ELNS1_11target_archE906ELNS1_3gpuE6ELNS1_3repE0EEENS1_30default_config_static_selectorELNS0_4arch9wavefront6targetE1EEEvSY_.num_vgpr, 12
	.set _ZN7rocprim17ROCPRIM_400000_NS6detail17trampoline_kernelINS0_14default_configENS1_27lower_bound_config_selectorIflEEZNS1_14transform_implILb0ES3_S5_N6thrust23THRUST_200600_302600_NS6detail15normal_iteratorINS8_7pointerIfNS8_11hip_rocprim5par_tENS8_11use_defaultESE_EEEENSA_INSB_IlSD_SE_SE_EEEEZNS1_13binary_searchIS3_S5_NSA_INS8_10device_ptrIfEEEESG_SI_NS1_21lower_bound_search_opENS9_16wrapped_functionINS8_6system6detail7generic6detail18binary_search_lessEbEEEE10hipError_tPvRmT1_T2_T3_mmT4_T5_P12ihipStream_tbEUlRKfE_EESV_SZ_S10_mS11_S14_bEUlT_E_NS1_11comp_targetILNS1_3genE2ELNS1_11target_archE906ELNS1_3gpuE6ELNS1_3repE0EEENS1_30default_config_static_selectorELNS0_4arch9wavefront6targetE1EEEvSY_.num_agpr, 0
	.set _ZN7rocprim17ROCPRIM_400000_NS6detail17trampoline_kernelINS0_14default_configENS1_27lower_bound_config_selectorIflEEZNS1_14transform_implILb0ES3_S5_N6thrust23THRUST_200600_302600_NS6detail15normal_iteratorINS8_7pointerIfNS8_11hip_rocprim5par_tENS8_11use_defaultESE_EEEENSA_INSB_IlSD_SE_SE_EEEEZNS1_13binary_searchIS3_S5_NSA_INS8_10device_ptrIfEEEESG_SI_NS1_21lower_bound_search_opENS9_16wrapped_functionINS8_6system6detail7generic6detail18binary_search_lessEbEEEE10hipError_tPvRmT1_T2_T3_mmT4_T5_P12ihipStream_tbEUlRKfE_EESV_SZ_S10_mS11_S14_bEUlT_E_NS1_11comp_targetILNS1_3genE2ELNS1_11target_archE906ELNS1_3gpuE6ELNS1_3repE0EEENS1_30default_config_static_selectorELNS0_4arch9wavefront6targetE1EEEvSY_.numbered_sgpr, 20
	.set _ZN7rocprim17ROCPRIM_400000_NS6detail17trampoline_kernelINS0_14default_configENS1_27lower_bound_config_selectorIflEEZNS1_14transform_implILb0ES3_S5_N6thrust23THRUST_200600_302600_NS6detail15normal_iteratorINS8_7pointerIfNS8_11hip_rocprim5par_tENS8_11use_defaultESE_EEEENSA_INSB_IlSD_SE_SE_EEEEZNS1_13binary_searchIS3_S5_NSA_INS8_10device_ptrIfEEEESG_SI_NS1_21lower_bound_search_opENS9_16wrapped_functionINS8_6system6detail7generic6detail18binary_search_lessEbEEEE10hipError_tPvRmT1_T2_T3_mmT4_T5_P12ihipStream_tbEUlRKfE_EESV_SZ_S10_mS11_S14_bEUlT_E_NS1_11comp_targetILNS1_3genE2ELNS1_11target_archE906ELNS1_3gpuE6ELNS1_3repE0EEENS1_30default_config_static_selectorELNS0_4arch9wavefront6targetE1EEEvSY_.num_named_barrier, 0
	.set _ZN7rocprim17ROCPRIM_400000_NS6detail17trampoline_kernelINS0_14default_configENS1_27lower_bound_config_selectorIflEEZNS1_14transform_implILb0ES3_S5_N6thrust23THRUST_200600_302600_NS6detail15normal_iteratorINS8_7pointerIfNS8_11hip_rocprim5par_tENS8_11use_defaultESE_EEEENSA_INSB_IlSD_SE_SE_EEEEZNS1_13binary_searchIS3_S5_NSA_INS8_10device_ptrIfEEEESG_SI_NS1_21lower_bound_search_opENS9_16wrapped_functionINS8_6system6detail7generic6detail18binary_search_lessEbEEEE10hipError_tPvRmT1_T2_T3_mmT4_T5_P12ihipStream_tbEUlRKfE_EESV_SZ_S10_mS11_S14_bEUlT_E_NS1_11comp_targetILNS1_3genE2ELNS1_11target_archE906ELNS1_3gpuE6ELNS1_3repE0EEENS1_30default_config_static_selectorELNS0_4arch9wavefront6targetE1EEEvSY_.private_seg_size, 0
	.set _ZN7rocprim17ROCPRIM_400000_NS6detail17trampoline_kernelINS0_14default_configENS1_27lower_bound_config_selectorIflEEZNS1_14transform_implILb0ES3_S5_N6thrust23THRUST_200600_302600_NS6detail15normal_iteratorINS8_7pointerIfNS8_11hip_rocprim5par_tENS8_11use_defaultESE_EEEENSA_INSB_IlSD_SE_SE_EEEEZNS1_13binary_searchIS3_S5_NSA_INS8_10device_ptrIfEEEESG_SI_NS1_21lower_bound_search_opENS9_16wrapped_functionINS8_6system6detail7generic6detail18binary_search_lessEbEEEE10hipError_tPvRmT1_T2_T3_mmT4_T5_P12ihipStream_tbEUlRKfE_EESV_SZ_S10_mS11_S14_bEUlT_E_NS1_11comp_targetILNS1_3genE2ELNS1_11target_archE906ELNS1_3gpuE6ELNS1_3repE0EEENS1_30default_config_static_selectorELNS0_4arch9wavefront6targetE1EEEvSY_.uses_vcc, 1
	.set _ZN7rocprim17ROCPRIM_400000_NS6detail17trampoline_kernelINS0_14default_configENS1_27lower_bound_config_selectorIflEEZNS1_14transform_implILb0ES3_S5_N6thrust23THRUST_200600_302600_NS6detail15normal_iteratorINS8_7pointerIfNS8_11hip_rocprim5par_tENS8_11use_defaultESE_EEEENSA_INSB_IlSD_SE_SE_EEEEZNS1_13binary_searchIS3_S5_NSA_INS8_10device_ptrIfEEEESG_SI_NS1_21lower_bound_search_opENS9_16wrapped_functionINS8_6system6detail7generic6detail18binary_search_lessEbEEEE10hipError_tPvRmT1_T2_T3_mmT4_T5_P12ihipStream_tbEUlRKfE_EESV_SZ_S10_mS11_S14_bEUlT_E_NS1_11comp_targetILNS1_3genE2ELNS1_11target_archE906ELNS1_3gpuE6ELNS1_3repE0EEENS1_30default_config_static_selectorELNS0_4arch9wavefront6targetE1EEEvSY_.uses_flat_scratch, 0
	.set _ZN7rocprim17ROCPRIM_400000_NS6detail17trampoline_kernelINS0_14default_configENS1_27lower_bound_config_selectorIflEEZNS1_14transform_implILb0ES3_S5_N6thrust23THRUST_200600_302600_NS6detail15normal_iteratorINS8_7pointerIfNS8_11hip_rocprim5par_tENS8_11use_defaultESE_EEEENSA_INSB_IlSD_SE_SE_EEEEZNS1_13binary_searchIS3_S5_NSA_INS8_10device_ptrIfEEEESG_SI_NS1_21lower_bound_search_opENS9_16wrapped_functionINS8_6system6detail7generic6detail18binary_search_lessEbEEEE10hipError_tPvRmT1_T2_T3_mmT4_T5_P12ihipStream_tbEUlRKfE_EESV_SZ_S10_mS11_S14_bEUlT_E_NS1_11comp_targetILNS1_3genE2ELNS1_11target_archE906ELNS1_3gpuE6ELNS1_3repE0EEENS1_30default_config_static_selectorELNS0_4arch9wavefront6targetE1EEEvSY_.has_dyn_sized_stack, 0
	.set _ZN7rocprim17ROCPRIM_400000_NS6detail17trampoline_kernelINS0_14default_configENS1_27lower_bound_config_selectorIflEEZNS1_14transform_implILb0ES3_S5_N6thrust23THRUST_200600_302600_NS6detail15normal_iteratorINS8_7pointerIfNS8_11hip_rocprim5par_tENS8_11use_defaultESE_EEEENSA_INSB_IlSD_SE_SE_EEEEZNS1_13binary_searchIS3_S5_NSA_INS8_10device_ptrIfEEEESG_SI_NS1_21lower_bound_search_opENS9_16wrapped_functionINS8_6system6detail7generic6detail18binary_search_lessEbEEEE10hipError_tPvRmT1_T2_T3_mmT4_T5_P12ihipStream_tbEUlRKfE_EESV_SZ_S10_mS11_S14_bEUlT_E_NS1_11comp_targetILNS1_3genE2ELNS1_11target_archE906ELNS1_3gpuE6ELNS1_3repE0EEENS1_30default_config_static_selectorELNS0_4arch9wavefront6targetE1EEEvSY_.has_recursion, 0
	.set _ZN7rocprim17ROCPRIM_400000_NS6detail17trampoline_kernelINS0_14default_configENS1_27lower_bound_config_selectorIflEEZNS1_14transform_implILb0ES3_S5_N6thrust23THRUST_200600_302600_NS6detail15normal_iteratorINS8_7pointerIfNS8_11hip_rocprim5par_tENS8_11use_defaultESE_EEEENSA_INSB_IlSD_SE_SE_EEEEZNS1_13binary_searchIS3_S5_NSA_INS8_10device_ptrIfEEEESG_SI_NS1_21lower_bound_search_opENS9_16wrapped_functionINS8_6system6detail7generic6detail18binary_search_lessEbEEEE10hipError_tPvRmT1_T2_T3_mmT4_T5_P12ihipStream_tbEUlRKfE_EESV_SZ_S10_mS11_S14_bEUlT_E_NS1_11comp_targetILNS1_3genE2ELNS1_11target_archE906ELNS1_3gpuE6ELNS1_3repE0EEENS1_30default_config_static_selectorELNS0_4arch9wavefront6targetE1EEEvSY_.has_indirect_call, 0
	.section	.AMDGPU.csdata,"",@progbits
; Kernel info:
; codeLenInByte = 700
; TotalNumSgprs: 24
; NumVgprs: 12
; ScratchSize: 0
; MemoryBound: 0
; FloatMode: 240
; IeeeMode: 1
; LDSByteSize: 0 bytes/workgroup (compile time only)
; SGPRBlocks: 2
; VGPRBlocks: 2
; NumSGPRsForWavesPerEU: 24
; NumVGPRsForWavesPerEU: 12
; Occupancy: 10
; WaveLimiterHint : 0
; COMPUTE_PGM_RSRC2:SCRATCH_EN: 0
; COMPUTE_PGM_RSRC2:USER_SGPR: 6
; COMPUTE_PGM_RSRC2:TRAP_HANDLER: 0
; COMPUTE_PGM_RSRC2:TGID_X_EN: 1
; COMPUTE_PGM_RSRC2:TGID_Y_EN: 0
; COMPUTE_PGM_RSRC2:TGID_Z_EN: 0
; COMPUTE_PGM_RSRC2:TIDIG_COMP_CNT: 0
	.section	.text._ZN7rocprim17ROCPRIM_400000_NS6detail17trampoline_kernelINS0_14default_configENS1_27lower_bound_config_selectorIflEEZNS1_14transform_implILb0ES3_S5_N6thrust23THRUST_200600_302600_NS6detail15normal_iteratorINS8_7pointerIfNS8_11hip_rocprim5par_tENS8_11use_defaultESE_EEEENSA_INSB_IlSD_SE_SE_EEEEZNS1_13binary_searchIS3_S5_NSA_INS8_10device_ptrIfEEEESG_SI_NS1_21lower_bound_search_opENS9_16wrapped_functionINS8_6system6detail7generic6detail18binary_search_lessEbEEEE10hipError_tPvRmT1_T2_T3_mmT4_T5_P12ihipStream_tbEUlRKfE_EESV_SZ_S10_mS11_S14_bEUlT_E_NS1_11comp_targetILNS1_3genE10ELNS1_11target_archE1201ELNS1_3gpuE5ELNS1_3repE0EEENS1_30default_config_static_selectorELNS0_4arch9wavefront6targetE1EEEvSY_,"axG",@progbits,_ZN7rocprim17ROCPRIM_400000_NS6detail17trampoline_kernelINS0_14default_configENS1_27lower_bound_config_selectorIflEEZNS1_14transform_implILb0ES3_S5_N6thrust23THRUST_200600_302600_NS6detail15normal_iteratorINS8_7pointerIfNS8_11hip_rocprim5par_tENS8_11use_defaultESE_EEEENSA_INSB_IlSD_SE_SE_EEEEZNS1_13binary_searchIS3_S5_NSA_INS8_10device_ptrIfEEEESG_SI_NS1_21lower_bound_search_opENS9_16wrapped_functionINS8_6system6detail7generic6detail18binary_search_lessEbEEEE10hipError_tPvRmT1_T2_T3_mmT4_T5_P12ihipStream_tbEUlRKfE_EESV_SZ_S10_mS11_S14_bEUlT_E_NS1_11comp_targetILNS1_3genE10ELNS1_11target_archE1201ELNS1_3gpuE5ELNS1_3repE0EEENS1_30default_config_static_selectorELNS0_4arch9wavefront6targetE1EEEvSY_,comdat
	.protected	_ZN7rocprim17ROCPRIM_400000_NS6detail17trampoline_kernelINS0_14default_configENS1_27lower_bound_config_selectorIflEEZNS1_14transform_implILb0ES3_S5_N6thrust23THRUST_200600_302600_NS6detail15normal_iteratorINS8_7pointerIfNS8_11hip_rocprim5par_tENS8_11use_defaultESE_EEEENSA_INSB_IlSD_SE_SE_EEEEZNS1_13binary_searchIS3_S5_NSA_INS8_10device_ptrIfEEEESG_SI_NS1_21lower_bound_search_opENS9_16wrapped_functionINS8_6system6detail7generic6detail18binary_search_lessEbEEEE10hipError_tPvRmT1_T2_T3_mmT4_T5_P12ihipStream_tbEUlRKfE_EESV_SZ_S10_mS11_S14_bEUlT_E_NS1_11comp_targetILNS1_3genE10ELNS1_11target_archE1201ELNS1_3gpuE5ELNS1_3repE0EEENS1_30default_config_static_selectorELNS0_4arch9wavefront6targetE1EEEvSY_ ; -- Begin function _ZN7rocprim17ROCPRIM_400000_NS6detail17trampoline_kernelINS0_14default_configENS1_27lower_bound_config_selectorIflEEZNS1_14transform_implILb0ES3_S5_N6thrust23THRUST_200600_302600_NS6detail15normal_iteratorINS8_7pointerIfNS8_11hip_rocprim5par_tENS8_11use_defaultESE_EEEENSA_INSB_IlSD_SE_SE_EEEEZNS1_13binary_searchIS3_S5_NSA_INS8_10device_ptrIfEEEESG_SI_NS1_21lower_bound_search_opENS9_16wrapped_functionINS8_6system6detail7generic6detail18binary_search_lessEbEEEE10hipError_tPvRmT1_T2_T3_mmT4_T5_P12ihipStream_tbEUlRKfE_EESV_SZ_S10_mS11_S14_bEUlT_E_NS1_11comp_targetILNS1_3genE10ELNS1_11target_archE1201ELNS1_3gpuE5ELNS1_3repE0EEENS1_30default_config_static_selectorELNS0_4arch9wavefront6targetE1EEEvSY_
	.globl	_ZN7rocprim17ROCPRIM_400000_NS6detail17trampoline_kernelINS0_14default_configENS1_27lower_bound_config_selectorIflEEZNS1_14transform_implILb0ES3_S5_N6thrust23THRUST_200600_302600_NS6detail15normal_iteratorINS8_7pointerIfNS8_11hip_rocprim5par_tENS8_11use_defaultESE_EEEENSA_INSB_IlSD_SE_SE_EEEEZNS1_13binary_searchIS3_S5_NSA_INS8_10device_ptrIfEEEESG_SI_NS1_21lower_bound_search_opENS9_16wrapped_functionINS8_6system6detail7generic6detail18binary_search_lessEbEEEE10hipError_tPvRmT1_T2_T3_mmT4_T5_P12ihipStream_tbEUlRKfE_EESV_SZ_S10_mS11_S14_bEUlT_E_NS1_11comp_targetILNS1_3genE10ELNS1_11target_archE1201ELNS1_3gpuE5ELNS1_3repE0EEENS1_30default_config_static_selectorELNS0_4arch9wavefront6targetE1EEEvSY_
	.p2align	8
	.type	_ZN7rocprim17ROCPRIM_400000_NS6detail17trampoline_kernelINS0_14default_configENS1_27lower_bound_config_selectorIflEEZNS1_14transform_implILb0ES3_S5_N6thrust23THRUST_200600_302600_NS6detail15normal_iteratorINS8_7pointerIfNS8_11hip_rocprim5par_tENS8_11use_defaultESE_EEEENSA_INSB_IlSD_SE_SE_EEEEZNS1_13binary_searchIS3_S5_NSA_INS8_10device_ptrIfEEEESG_SI_NS1_21lower_bound_search_opENS9_16wrapped_functionINS8_6system6detail7generic6detail18binary_search_lessEbEEEE10hipError_tPvRmT1_T2_T3_mmT4_T5_P12ihipStream_tbEUlRKfE_EESV_SZ_S10_mS11_S14_bEUlT_E_NS1_11comp_targetILNS1_3genE10ELNS1_11target_archE1201ELNS1_3gpuE5ELNS1_3repE0EEENS1_30default_config_static_selectorELNS0_4arch9wavefront6targetE1EEEvSY_,@function
_ZN7rocprim17ROCPRIM_400000_NS6detail17trampoline_kernelINS0_14default_configENS1_27lower_bound_config_selectorIflEEZNS1_14transform_implILb0ES3_S5_N6thrust23THRUST_200600_302600_NS6detail15normal_iteratorINS8_7pointerIfNS8_11hip_rocprim5par_tENS8_11use_defaultESE_EEEENSA_INSB_IlSD_SE_SE_EEEEZNS1_13binary_searchIS3_S5_NSA_INS8_10device_ptrIfEEEESG_SI_NS1_21lower_bound_search_opENS9_16wrapped_functionINS8_6system6detail7generic6detail18binary_search_lessEbEEEE10hipError_tPvRmT1_T2_T3_mmT4_T5_P12ihipStream_tbEUlRKfE_EESV_SZ_S10_mS11_S14_bEUlT_E_NS1_11comp_targetILNS1_3genE10ELNS1_11target_archE1201ELNS1_3gpuE5ELNS1_3repE0EEENS1_30default_config_static_selectorELNS0_4arch9wavefront6targetE1EEEvSY_: ; @_ZN7rocprim17ROCPRIM_400000_NS6detail17trampoline_kernelINS0_14default_configENS1_27lower_bound_config_selectorIflEEZNS1_14transform_implILb0ES3_S5_N6thrust23THRUST_200600_302600_NS6detail15normal_iteratorINS8_7pointerIfNS8_11hip_rocprim5par_tENS8_11use_defaultESE_EEEENSA_INSB_IlSD_SE_SE_EEEEZNS1_13binary_searchIS3_S5_NSA_INS8_10device_ptrIfEEEESG_SI_NS1_21lower_bound_search_opENS9_16wrapped_functionINS8_6system6detail7generic6detail18binary_search_lessEbEEEE10hipError_tPvRmT1_T2_T3_mmT4_T5_P12ihipStream_tbEUlRKfE_EESV_SZ_S10_mS11_S14_bEUlT_E_NS1_11comp_targetILNS1_3genE10ELNS1_11target_archE1201ELNS1_3gpuE5ELNS1_3repE0EEENS1_30default_config_static_selectorELNS0_4arch9wavefront6targetE1EEEvSY_
; %bb.0:
	.section	.rodata,"a",@progbits
	.p2align	6, 0x0
	.amdhsa_kernel _ZN7rocprim17ROCPRIM_400000_NS6detail17trampoline_kernelINS0_14default_configENS1_27lower_bound_config_selectorIflEEZNS1_14transform_implILb0ES3_S5_N6thrust23THRUST_200600_302600_NS6detail15normal_iteratorINS8_7pointerIfNS8_11hip_rocprim5par_tENS8_11use_defaultESE_EEEENSA_INSB_IlSD_SE_SE_EEEEZNS1_13binary_searchIS3_S5_NSA_INS8_10device_ptrIfEEEESG_SI_NS1_21lower_bound_search_opENS9_16wrapped_functionINS8_6system6detail7generic6detail18binary_search_lessEbEEEE10hipError_tPvRmT1_T2_T3_mmT4_T5_P12ihipStream_tbEUlRKfE_EESV_SZ_S10_mS11_S14_bEUlT_E_NS1_11comp_targetILNS1_3genE10ELNS1_11target_archE1201ELNS1_3gpuE5ELNS1_3repE0EEENS1_30default_config_static_selectorELNS0_4arch9wavefront6targetE1EEEvSY_
		.amdhsa_group_segment_fixed_size 0
		.amdhsa_private_segment_fixed_size 0
		.amdhsa_kernarg_size 56
		.amdhsa_user_sgpr_count 6
		.amdhsa_user_sgpr_private_segment_buffer 1
		.amdhsa_user_sgpr_dispatch_ptr 0
		.amdhsa_user_sgpr_queue_ptr 0
		.amdhsa_user_sgpr_kernarg_segment_ptr 1
		.amdhsa_user_sgpr_dispatch_id 0
		.amdhsa_user_sgpr_flat_scratch_init 0
		.amdhsa_user_sgpr_private_segment_size 0
		.amdhsa_uses_dynamic_stack 0
		.amdhsa_system_sgpr_private_segment_wavefront_offset 0
		.amdhsa_system_sgpr_workgroup_id_x 1
		.amdhsa_system_sgpr_workgroup_id_y 0
		.amdhsa_system_sgpr_workgroup_id_z 0
		.amdhsa_system_sgpr_workgroup_info 0
		.amdhsa_system_vgpr_workitem_id 0
		.amdhsa_next_free_vgpr 1
		.amdhsa_next_free_sgpr 0
		.amdhsa_reserve_vcc 0
		.amdhsa_reserve_flat_scratch 0
		.amdhsa_float_round_mode_32 0
		.amdhsa_float_round_mode_16_64 0
		.amdhsa_float_denorm_mode_32 3
		.amdhsa_float_denorm_mode_16_64 3
		.amdhsa_dx10_clamp 1
		.amdhsa_ieee_mode 1
		.amdhsa_fp16_overflow 0
		.amdhsa_exception_fp_ieee_invalid_op 0
		.amdhsa_exception_fp_denorm_src 0
		.amdhsa_exception_fp_ieee_div_zero 0
		.amdhsa_exception_fp_ieee_overflow 0
		.amdhsa_exception_fp_ieee_underflow 0
		.amdhsa_exception_fp_ieee_inexact 0
		.amdhsa_exception_int_div_zero 0
	.end_amdhsa_kernel
	.section	.text._ZN7rocprim17ROCPRIM_400000_NS6detail17trampoline_kernelINS0_14default_configENS1_27lower_bound_config_selectorIflEEZNS1_14transform_implILb0ES3_S5_N6thrust23THRUST_200600_302600_NS6detail15normal_iteratorINS8_7pointerIfNS8_11hip_rocprim5par_tENS8_11use_defaultESE_EEEENSA_INSB_IlSD_SE_SE_EEEEZNS1_13binary_searchIS3_S5_NSA_INS8_10device_ptrIfEEEESG_SI_NS1_21lower_bound_search_opENS9_16wrapped_functionINS8_6system6detail7generic6detail18binary_search_lessEbEEEE10hipError_tPvRmT1_T2_T3_mmT4_T5_P12ihipStream_tbEUlRKfE_EESV_SZ_S10_mS11_S14_bEUlT_E_NS1_11comp_targetILNS1_3genE10ELNS1_11target_archE1201ELNS1_3gpuE5ELNS1_3repE0EEENS1_30default_config_static_selectorELNS0_4arch9wavefront6targetE1EEEvSY_,"axG",@progbits,_ZN7rocprim17ROCPRIM_400000_NS6detail17trampoline_kernelINS0_14default_configENS1_27lower_bound_config_selectorIflEEZNS1_14transform_implILb0ES3_S5_N6thrust23THRUST_200600_302600_NS6detail15normal_iteratorINS8_7pointerIfNS8_11hip_rocprim5par_tENS8_11use_defaultESE_EEEENSA_INSB_IlSD_SE_SE_EEEEZNS1_13binary_searchIS3_S5_NSA_INS8_10device_ptrIfEEEESG_SI_NS1_21lower_bound_search_opENS9_16wrapped_functionINS8_6system6detail7generic6detail18binary_search_lessEbEEEE10hipError_tPvRmT1_T2_T3_mmT4_T5_P12ihipStream_tbEUlRKfE_EESV_SZ_S10_mS11_S14_bEUlT_E_NS1_11comp_targetILNS1_3genE10ELNS1_11target_archE1201ELNS1_3gpuE5ELNS1_3repE0EEENS1_30default_config_static_selectorELNS0_4arch9wavefront6targetE1EEEvSY_,comdat
.Lfunc_end354:
	.size	_ZN7rocprim17ROCPRIM_400000_NS6detail17trampoline_kernelINS0_14default_configENS1_27lower_bound_config_selectorIflEEZNS1_14transform_implILb0ES3_S5_N6thrust23THRUST_200600_302600_NS6detail15normal_iteratorINS8_7pointerIfNS8_11hip_rocprim5par_tENS8_11use_defaultESE_EEEENSA_INSB_IlSD_SE_SE_EEEEZNS1_13binary_searchIS3_S5_NSA_INS8_10device_ptrIfEEEESG_SI_NS1_21lower_bound_search_opENS9_16wrapped_functionINS8_6system6detail7generic6detail18binary_search_lessEbEEEE10hipError_tPvRmT1_T2_T3_mmT4_T5_P12ihipStream_tbEUlRKfE_EESV_SZ_S10_mS11_S14_bEUlT_E_NS1_11comp_targetILNS1_3genE10ELNS1_11target_archE1201ELNS1_3gpuE5ELNS1_3repE0EEENS1_30default_config_static_selectorELNS0_4arch9wavefront6targetE1EEEvSY_, .Lfunc_end354-_ZN7rocprim17ROCPRIM_400000_NS6detail17trampoline_kernelINS0_14default_configENS1_27lower_bound_config_selectorIflEEZNS1_14transform_implILb0ES3_S5_N6thrust23THRUST_200600_302600_NS6detail15normal_iteratorINS8_7pointerIfNS8_11hip_rocprim5par_tENS8_11use_defaultESE_EEEENSA_INSB_IlSD_SE_SE_EEEEZNS1_13binary_searchIS3_S5_NSA_INS8_10device_ptrIfEEEESG_SI_NS1_21lower_bound_search_opENS9_16wrapped_functionINS8_6system6detail7generic6detail18binary_search_lessEbEEEE10hipError_tPvRmT1_T2_T3_mmT4_T5_P12ihipStream_tbEUlRKfE_EESV_SZ_S10_mS11_S14_bEUlT_E_NS1_11comp_targetILNS1_3genE10ELNS1_11target_archE1201ELNS1_3gpuE5ELNS1_3repE0EEENS1_30default_config_static_selectorELNS0_4arch9wavefront6targetE1EEEvSY_
                                        ; -- End function
	.set _ZN7rocprim17ROCPRIM_400000_NS6detail17trampoline_kernelINS0_14default_configENS1_27lower_bound_config_selectorIflEEZNS1_14transform_implILb0ES3_S5_N6thrust23THRUST_200600_302600_NS6detail15normal_iteratorINS8_7pointerIfNS8_11hip_rocprim5par_tENS8_11use_defaultESE_EEEENSA_INSB_IlSD_SE_SE_EEEEZNS1_13binary_searchIS3_S5_NSA_INS8_10device_ptrIfEEEESG_SI_NS1_21lower_bound_search_opENS9_16wrapped_functionINS8_6system6detail7generic6detail18binary_search_lessEbEEEE10hipError_tPvRmT1_T2_T3_mmT4_T5_P12ihipStream_tbEUlRKfE_EESV_SZ_S10_mS11_S14_bEUlT_E_NS1_11comp_targetILNS1_3genE10ELNS1_11target_archE1201ELNS1_3gpuE5ELNS1_3repE0EEENS1_30default_config_static_selectorELNS0_4arch9wavefront6targetE1EEEvSY_.num_vgpr, 0
	.set _ZN7rocprim17ROCPRIM_400000_NS6detail17trampoline_kernelINS0_14default_configENS1_27lower_bound_config_selectorIflEEZNS1_14transform_implILb0ES3_S5_N6thrust23THRUST_200600_302600_NS6detail15normal_iteratorINS8_7pointerIfNS8_11hip_rocprim5par_tENS8_11use_defaultESE_EEEENSA_INSB_IlSD_SE_SE_EEEEZNS1_13binary_searchIS3_S5_NSA_INS8_10device_ptrIfEEEESG_SI_NS1_21lower_bound_search_opENS9_16wrapped_functionINS8_6system6detail7generic6detail18binary_search_lessEbEEEE10hipError_tPvRmT1_T2_T3_mmT4_T5_P12ihipStream_tbEUlRKfE_EESV_SZ_S10_mS11_S14_bEUlT_E_NS1_11comp_targetILNS1_3genE10ELNS1_11target_archE1201ELNS1_3gpuE5ELNS1_3repE0EEENS1_30default_config_static_selectorELNS0_4arch9wavefront6targetE1EEEvSY_.num_agpr, 0
	.set _ZN7rocprim17ROCPRIM_400000_NS6detail17trampoline_kernelINS0_14default_configENS1_27lower_bound_config_selectorIflEEZNS1_14transform_implILb0ES3_S5_N6thrust23THRUST_200600_302600_NS6detail15normal_iteratorINS8_7pointerIfNS8_11hip_rocprim5par_tENS8_11use_defaultESE_EEEENSA_INSB_IlSD_SE_SE_EEEEZNS1_13binary_searchIS3_S5_NSA_INS8_10device_ptrIfEEEESG_SI_NS1_21lower_bound_search_opENS9_16wrapped_functionINS8_6system6detail7generic6detail18binary_search_lessEbEEEE10hipError_tPvRmT1_T2_T3_mmT4_T5_P12ihipStream_tbEUlRKfE_EESV_SZ_S10_mS11_S14_bEUlT_E_NS1_11comp_targetILNS1_3genE10ELNS1_11target_archE1201ELNS1_3gpuE5ELNS1_3repE0EEENS1_30default_config_static_selectorELNS0_4arch9wavefront6targetE1EEEvSY_.numbered_sgpr, 0
	.set _ZN7rocprim17ROCPRIM_400000_NS6detail17trampoline_kernelINS0_14default_configENS1_27lower_bound_config_selectorIflEEZNS1_14transform_implILb0ES3_S5_N6thrust23THRUST_200600_302600_NS6detail15normal_iteratorINS8_7pointerIfNS8_11hip_rocprim5par_tENS8_11use_defaultESE_EEEENSA_INSB_IlSD_SE_SE_EEEEZNS1_13binary_searchIS3_S5_NSA_INS8_10device_ptrIfEEEESG_SI_NS1_21lower_bound_search_opENS9_16wrapped_functionINS8_6system6detail7generic6detail18binary_search_lessEbEEEE10hipError_tPvRmT1_T2_T3_mmT4_T5_P12ihipStream_tbEUlRKfE_EESV_SZ_S10_mS11_S14_bEUlT_E_NS1_11comp_targetILNS1_3genE10ELNS1_11target_archE1201ELNS1_3gpuE5ELNS1_3repE0EEENS1_30default_config_static_selectorELNS0_4arch9wavefront6targetE1EEEvSY_.num_named_barrier, 0
	.set _ZN7rocprim17ROCPRIM_400000_NS6detail17trampoline_kernelINS0_14default_configENS1_27lower_bound_config_selectorIflEEZNS1_14transform_implILb0ES3_S5_N6thrust23THRUST_200600_302600_NS6detail15normal_iteratorINS8_7pointerIfNS8_11hip_rocprim5par_tENS8_11use_defaultESE_EEEENSA_INSB_IlSD_SE_SE_EEEEZNS1_13binary_searchIS3_S5_NSA_INS8_10device_ptrIfEEEESG_SI_NS1_21lower_bound_search_opENS9_16wrapped_functionINS8_6system6detail7generic6detail18binary_search_lessEbEEEE10hipError_tPvRmT1_T2_T3_mmT4_T5_P12ihipStream_tbEUlRKfE_EESV_SZ_S10_mS11_S14_bEUlT_E_NS1_11comp_targetILNS1_3genE10ELNS1_11target_archE1201ELNS1_3gpuE5ELNS1_3repE0EEENS1_30default_config_static_selectorELNS0_4arch9wavefront6targetE1EEEvSY_.private_seg_size, 0
	.set _ZN7rocprim17ROCPRIM_400000_NS6detail17trampoline_kernelINS0_14default_configENS1_27lower_bound_config_selectorIflEEZNS1_14transform_implILb0ES3_S5_N6thrust23THRUST_200600_302600_NS6detail15normal_iteratorINS8_7pointerIfNS8_11hip_rocprim5par_tENS8_11use_defaultESE_EEEENSA_INSB_IlSD_SE_SE_EEEEZNS1_13binary_searchIS3_S5_NSA_INS8_10device_ptrIfEEEESG_SI_NS1_21lower_bound_search_opENS9_16wrapped_functionINS8_6system6detail7generic6detail18binary_search_lessEbEEEE10hipError_tPvRmT1_T2_T3_mmT4_T5_P12ihipStream_tbEUlRKfE_EESV_SZ_S10_mS11_S14_bEUlT_E_NS1_11comp_targetILNS1_3genE10ELNS1_11target_archE1201ELNS1_3gpuE5ELNS1_3repE0EEENS1_30default_config_static_selectorELNS0_4arch9wavefront6targetE1EEEvSY_.uses_vcc, 0
	.set _ZN7rocprim17ROCPRIM_400000_NS6detail17trampoline_kernelINS0_14default_configENS1_27lower_bound_config_selectorIflEEZNS1_14transform_implILb0ES3_S5_N6thrust23THRUST_200600_302600_NS6detail15normal_iteratorINS8_7pointerIfNS8_11hip_rocprim5par_tENS8_11use_defaultESE_EEEENSA_INSB_IlSD_SE_SE_EEEEZNS1_13binary_searchIS3_S5_NSA_INS8_10device_ptrIfEEEESG_SI_NS1_21lower_bound_search_opENS9_16wrapped_functionINS8_6system6detail7generic6detail18binary_search_lessEbEEEE10hipError_tPvRmT1_T2_T3_mmT4_T5_P12ihipStream_tbEUlRKfE_EESV_SZ_S10_mS11_S14_bEUlT_E_NS1_11comp_targetILNS1_3genE10ELNS1_11target_archE1201ELNS1_3gpuE5ELNS1_3repE0EEENS1_30default_config_static_selectorELNS0_4arch9wavefront6targetE1EEEvSY_.uses_flat_scratch, 0
	.set _ZN7rocprim17ROCPRIM_400000_NS6detail17trampoline_kernelINS0_14default_configENS1_27lower_bound_config_selectorIflEEZNS1_14transform_implILb0ES3_S5_N6thrust23THRUST_200600_302600_NS6detail15normal_iteratorINS8_7pointerIfNS8_11hip_rocprim5par_tENS8_11use_defaultESE_EEEENSA_INSB_IlSD_SE_SE_EEEEZNS1_13binary_searchIS3_S5_NSA_INS8_10device_ptrIfEEEESG_SI_NS1_21lower_bound_search_opENS9_16wrapped_functionINS8_6system6detail7generic6detail18binary_search_lessEbEEEE10hipError_tPvRmT1_T2_T3_mmT4_T5_P12ihipStream_tbEUlRKfE_EESV_SZ_S10_mS11_S14_bEUlT_E_NS1_11comp_targetILNS1_3genE10ELNS1_11target_archE1201ELNS1_3gpuE5ELNS1_3repE0EEENS1_30default_config_static_selectorELNS0_4arch9wavefront6targetE1EEEvSY_.has_dyn_sized_stack, 0
	.set _ZN7rocprim17ROCPRIM_400000_NS6detail17trampoline_kernelINS0_14default_configENS1_27lower_bound_config_selectorIflEEZNS1_14transform_implILb0ES3_S5_N6thrust23THRUST_200600_302600_NS6detail15normal_iteratorINS8_7pointerIfNS8_11hip_rocprim5par_tENS8_11use_defaultESE_EEEENSA_INSB_IlSD_SE_SE_EEEEZNS1_13binary_searchIS3_S5_NSA_INS8_10device_ptrIfEEEESG_SI_NS1_21lower_bound_search_opENS9_16wrapped_functionINS8_6system6detail7generic6detail18binary_search_lessEbEEEE10hipError_tPvRmT1_T2_T3_mmT4_T5_P12ihipStream_tbEUlRKfE_EESV_SZ_S10_mS11_S14_bEUlT_E_NS1_11comp_targetILNS1_3genE10ELNS1_11target_archE1201ELNS1_3gpuE5ELNS1_3repE0EEENS1_30default_config_static_selectorELNS0_4arch9wavefront6targetE1EEEvSY_.has_recursion, 0
	.set _ZN7rocprim17ROCPRIM_400000_NS6detail17trampoline_kernelINS0_14default_configENS1_27lower_bound_config_selectorIflEEZNS1_14transform_implILb0ES3_S5_N6thrust23THRUST_200600_302600_NS6detail15normal_iteratorINS8_7pointerIfNS8_11hip_rocprim5par_tENS8_11use_defaultESE_EEEENSA_INSB_IlSD_SE_SE_EEEEZNS1_13binary_searchIS3_S5_NSA_INS8_10device_ptrIfEEEESG_SI_NS1_21lower_bound_search_opENS9_16wrapped_functionINS8_6system6detail7generic6detail18binary_search_lessEbEEEE10hipError_tPvRmT1_T2_T3_mmT4_T5_P12ihipStream_tbEUlRKfE_EESV_SZ_S10_mS11_S14_bEUlT_E_NS1_11comp_targetILNS1_3genE10ELNS1_11target_archE1201ELNS1_3gpuE5ELNS1_3repE0EEENS1_30default_config_static_selectorELNS0_4arch9wavefront6targetE1EEEvSY_.has_indirect_call, 0
	.section	.AMDGPU.csdata,"",@progbits
; Kernel info:
; codeLenInByte = 0
; TotalNumSgprs: 4
; NumVgprs: 0
; ScratchSize: 0
; MemoryBound: 0
; FloatMode: 240
; IeeeMode: 1
; LDSByteSize: 0 bytes/workgroup (compile time only)
; SGPRBlocks: 0
; VGPRBlocks: 0
; NumSGPRsForWavesPerEU: 4
; NumVGPRsForWavesPerEU: 1
; Occupancy: 10
; WaveLimiterHint : 0
; COMPUTE_PGM_RSRC2:SCRATCH_EN: 0
; COMPUTE_PGM_RSRC2:USER_SGPR: 6
; COMPUTE_PGM_RSRC2:TRAP_HANDLER: 0
; COMPUTE_PGM_RSRC2:TGID_X_EN: 1
; COMPUTE_PGM_RSRC2:TGID_Y_EN: 0
; COMPUTE_PGM_RSRC2:TGID_Z_EN: 0
; COMPUTE_PGM_RSRC2:TIDIG_COMP_CNT: 0
	.section	.text._ZN7rocprim17ROCPRIM_400000_NS6detail17trampoline_kernelINS0_14default_configENS1_27lower_bound_config_selectorIflEEZNS1_14transform_implILb0ES3_S5_N6thrust23THRUST_200600_302600_NS6detail15normal_iteratorINS8_7pointerIfNS8_11hip_rocprim5par_tENS8_11use_defaultESE_EEEENSA_INSB_IlSD_SE_SE_EEEEZNS1_13binary_searchIS3_S5_NSA_INS8_10device_ptrIfEEEESG_SI_NS1_21lower_bound_search_opENS9_16wrapped_functionINS8_6system6detail7generic6detail18binary_search_lessEbEEEE10hipError_tPvRmT1_T2_T3_mmT4_T5_P12ihipStream_tbEUlRKfE_EESV_SZ_S10_mS11_S14_bEUlT_E_NS1_11comp_targetILNS1_3genE10ELNS1_11target_archE1200ELNS1_3gpuE4ELNS1_3repE0EEENS1_30default_config_static_selectorELNS0_4arch9wavefront6targetE1EEEvSY_,"axG",@progbits,_ZN7rocprim17ROCPRIM_400000_NS6detail17trampoline_kernelINS0_14default_configENS1_27lower_bound_config_selectorIflEEZNS1_14transform_implILb0ES3_S5_N6thrust23THRUST_200600_302600_NS6detail15normal_iteratorINS8_7pointerIfNS8_11hip_rocprim5par_tENS8_11use_defaultESE_EEEENSA_INSB_IlSD_SE_SE_EEEEZNS1_13binary_searchIS3_S5_NSA_INS8_10device_ptrIfEEEESG_SI_NS1_21lower_bound_search_opENS9_16wrapped_functionINS8_6system6detail7generic6detail18binary_search_lessEbEEEE10hipError_tPvRmT1_T2_T3_mmT4_T5_P12ihipStream_tbEUlRKfE_EESV_SZ_S10_mS11_S14_bEUlT_E_NS1_11comp_targetILNS1_3genE10ELNS1_11target_archE1200ELNS1_3gpuE4ELNS1_3repE0EEENS1_30default_config_static_selectorELNS0_4arch9wavefront6targetE1EEEvSY_,comdat
	.protected	_ZN7rocprim17ROCPRIM_400000_NS6detail17trampoline_kernelINS0_14default_configENS1_27lower_bound_config_selectorIflEEZNS1_14transform_implILb0ES3_S5_N6thrust23THRUST_200600_302600_NS6detail15normal_iteratorINS8_7pointerIfNS8_11hip_rocprim5par_tENS8_11use_defaultESE_EEEENSA_INSB_IlSD_SE_SE_EEEEZNS1_13binary_searchIS3_S5_NSA_INS8_10device_ptrIfEEEESG_SI_NS1_21lower_bound_search_opENS9_16wrapped_functionINS8_6system6detail7generic6detail18binary_search_lessEbEEEE10hipError_tPvRmT1_T2_T3_mmT4_T5_P12ihipStream_tbEUlRKfE_EESV_SZ_S10_mS11_S14_bEUlT_E_NS1_11comp_targetILNS1_3genE10ELNS1_11target_archE1200ELNS1_3gpuE4ELNS1_3repE0EEENS1_30default_config_static_selectorELNS0_4arch9wavefront6targetE1EEEvSY_ ; -- Begin function _ZN7rocprim17ROCPRIM_400000_NS6detail17trampoline_kernelINS0_14default_configENS1_27lower_bound_config_selectorIflEEZNS1_14transform_implILb0ES3_S5_N6thrust23THRUST_200600_302600_NS6detail15normal_iteratorINS8_7pointerIfNS8_11hip_rocprim5par_tENS8_11use_defaultESE_EEEENSA_INSB_IlSD_SE_SE_EEEEZNS1_13binary_searchIS3_S5_NSA_INS8_10device_ptrIfEEEESG_SI_NS1_21lower_bound_search_opENS9_16wrapped_functionINS8_6system6detail7generic6detail18binary_search_lessEbEEEE10hipError_tPvRmT1_T2_T3_mmT4_T5_P12ihipStream_tbEUlRKfE_EESV_SZ_S10_mS11_S14_bEUlT_E_NS1_11comp_targetILNS1_3genE10ELNS1_11target_archE1200ELNS1_3gpuE4ELNS1_3repE0EEENS1_30default_config_static_selectorELNS0_4arch9wavefront6targetE1EEEvSY_
	.globl	_ZN7rocprim17ROCPRIM_400000_NS6detail17trampoline_kernelINS0_14default_configENS1_27lower_bound_config_selectorIflEEZNS1_14transform_implILb0ES3_S5_N6thrust23THRUST_200600_302600_NS6detail15normal_iteratorINS8_7pointerIfNS8_11hip_rocprim5par_tENS8_11use_defaultESE_EEEENSA_INSB_IlSD_SE_SE_EEEEZNS1_13binary_searchIS3_S5_NSA_INS8_10device_ptrIfEEEESG_SI_NS1_21lower_bound_search_opENS9_16wrapped_functionINS8_6system6detail7generic6detail18binary_search_lessEbEEEE10hipError_tPvRmT1_T2_T3_mmT4_T5_P12ihipStream_tbEUlRKfE_EESV_SZ_S10_mS11_S14_bEUlT_E_NS1_11comp_targetILNS1_3genE10ELNS1_11target_archE1200ELNS1_3gpuE4ELNS1_3repE0EEENS1_30default_config_static_selectorELNS0_4arch9wavefront6targetE1EEEvSY_
	.p2align	8
	.type	_ZN7rocprim17ROCPRIM_400000_NS6detail17trampoline_kernelINS0_14default_configENS1_27lower_bound_config_selectorIflEEZNS1_14transform_implILb0ES3_S5_N6thrust23THRUST_200600_302600_NS6detail15normal_iteratorINS8_7pointerIfNS8_11hip_rocprim5par_tENS8_11use_defaultESE_EEEENSA_INSB_IlSD_SE_SE_EEEEZNS1_13binary_searchIS3_S5_NSA_INS8_10device_ptrIfEEEESG_SI_NS1_21lower_bound_search_opENS9_16wrapped_functionINS8_6system6detail7generic6detail18binary_search_lessEbEEEE10hipError_tPvRmT1_T2_T3_mmT4_T5_P12ihipStream_tbEUlRKfE_EESV_SZ_S10_mS11_S14_bEUlT_E_NS1_11comp_targetILNS1_3genE10ELNS1_11target_archE1200ELNS1_3gpuE4ELNS1_3repE0EEENS1_30default_config_static_selectorELNS0_4arch9wavefront6targetE1EEEvSY_,@function
_ZN7rocprim17ROCPRIM_400000_NS6detail17trampoline_kernelINS0_14default_configENS1_27lower_bound_config_selectorIflEEZNS1_14transform_implILb0ES3_S5_N6thrust23THRUST_200600_302600_NS6detail15normal_iteratorINS8_7pointerIfNS8_11hip_rocprim5par_tENS8_11use_defaultESE_EEEENSA_INSB_IlSD_SE_SE_EEEEZNS1_13binary_searchIS3_S5_NSA_INS8_10device_ptrIfEEEESG_SI_NS1_21lower_bound_search_opENS9_16wrapped_functionINS8_6system6detail7generic6detail18binary_search_lessEbEEEE10hipError_tPvRmT1_T2_T3_mmT4_T5_P12ihipStream_tbEUlRKfE_EESV_SZ_S10_mS11_S14_bEUlT_E_NS1_11comp_targetILNS1_3genE10ELNS1_11target_archE1200ELNS1_3gpuE4ELNS1_3repE0EEENS1_30default_config_static_selectorELNS0_4arch9wavefront6targetE1EEEvSY_: ; @_ZN7rocprim17ROCPRIM_400000_NS6detail17trampoline_kernelINS0_14default_configENS1_27lower_bound_config_selectorIflEEZNS1_14transform_implILb0ES3_S5_N6thrust23THRUST_200600_302600_NS6detail15normal_iteratorINS8_7pointerIfNS8_11hip_rocprim5par_tENS8_11use_defaultESE_EEEENSA_INSB_IlSD_SE_SE_EEEEZNS1_13binary_searchIS3_S5_NSA_INS8_10device_ptrIfEEEESG_SI_NS1_21lower_bound_search_opENS9_16wrapped_functionINS8_6system6detail7generic6detail18binary_search_lessEbEEEE10hipError_tPvRmT1_T2_T3_mmT4_T5_P12ihipStream_tbEUlRKfE_EESV_SZ_S10_mS11_S14_bEUlT_E_NS1_11comp_targetILNS1_3genE10ELNS1_11target_archE1200ELNS1_3gpuE4ELNS1_3repE0EEENS1_30default_config_static_selectorELNS0_4arch9wavefront6targetE1EEEvSY_
; %bb.0:
	.section	.rodata,"a",@progbits
	.p2align	6, 0x0
	.amdhsa_kernel _ZN7rocprim17ROCPRIM_400000_NS6detail17trampoline_kernelINS0_14default_configENS1_27lower_bound_config_selectorIflEEZNS1_14transform_implILb0ES3_S5_N6thrust23THRUST_200600_302600_NS6detail15normal_iteratorINS8_7pointerIfNS8_11hip_rocprim5par_tENS8_11use_defaultESE_EEEENSA_INSB_IlSD_SE_SE_EEEEZNS1_13binary_searchIS3_S5_NSA_INS8_10device_ptrIfEEEESG_SI_NS1_21lower_bound_search_opENS9_16wrapped_functionINS8_6system6detail7generic6detail18binary_search_lessEbEEEE10hipError_tPvRmT1_T2_T3_mmT4_T5_P12ihipStream_tbEUlRKfE_EESV_SZ_S10_mS11_S14_bEUlT_E_NS1_11comp_targetILNS1_3genE10ELNS1_11target_archE1200ELNS1_3gpuE4ELNS1_3repE0EEENS1_30default_config_static_selectorELNS0_4arch9wavefront6targetE1EEEvSY_
		.amdhsa_group_segment_fixed_size 0
		.amdhsa_private_segment_fixed_size 0
		.amdhsa_kernarg_size 56
		.amdhsa_user_sgpr_count 6
		.amdhsa_user_sgpr_private_segment_buffer 1
		.amdhsa_user_sgpr_dispatch_ptr 0
		.amdhsa_user_sgpr_queue_ptr 0
		.amdhsa_user_sgpr_kernarg_segment_ptr 1
		.amdhsa_user_sgpr_dispatch_id 0
		.amdhsa_user_sgpr_flat_scratch_init 0
		.amdhsa_user_sgpr_private_segment_size 0
		.amdhsa_uses_dynamic_stack 0
		.amdhsa_system_sgpr_private_segment_wavefront_offset 0
		.amdhsa_system_sgpr_workgroup_id_x 1
		.amdhsa_system_sgpr_workgroup_id_y 0
		.amdhsa_system_sgpr_workgroup_id_z 0
		.amdhsa_system_sgpr_workgroup_info 0
		.amdhsa_system_vgpr_workitem_id 0
		.amdhsa_next_free_vgpr 1
		.amdhsa_next_free_sgpr 0
		.amdhsa_reserve_vcc 0
		.amdhsa_reserve_flat_scratch 0
		.amdhsa_float_round_mode_32 0
		.amdhsa_float_round_mode_16_64 0
		.amdhsa_float_denorm_mode_32 3
		.amdhsa_float_denorm_mode_16_64 3
		.amdhsa_dx10_clamp 1
		.amdhsa_ieee_mode 1
		.amdhsa_fp16_overflow 0
		.amdhsa_exception_fp_ieee_invalid_op 0
		.amdhsa_exception_fp_denorm_src 0
		.amdhsa_exception_fp_ieee_div_zero 0
		.amdhsa_exception_fp_ieee_overflow 0
		.amdhsa_exception_fp_ieee_underflow 0
		.amdhsa_exception_fp_ieee_inexact 0
		.amdhsa_exception_int_div_zero 0
	.end_amdhsa_kernel
	.section	.text._ZN7rocprim17ROCPRIM_400000_NS6detail17trampoline_kernelINS0_14default_configENS1_27lower_bound_config_selectorIflEEZNS1_14transform_implILb0ES3_S5_N6thrust23THRUST_200600_302600_NS6detail15normal_iteratorINS8_7pointerIfNS8_11hip_rocprim5par_tENS8_11use_defaultESE_EEEENSA_INSB_IlSD_SE_SE_EEEEZNS1_13binary_searchIS3_S5_NSA_INS8_10device_ptrIfEEEESG_SI_NS1_21lower_bound_search_opENS9_16wrapped_functionINS8_6system6detail7generic6detail18binary_search_lessEbEEEE10hipError_tPvRmT1_T2_T3_mmT4_T5_P12ihipStream_tbEUlRKfE_EESV_SZ_S10_mS11_S14_bEUlT_E_NS1_11comp_targetILNS1_3genE10ELNS1_11target_archE1200ELNS1_3gpuE4ELNS1_3repE0EEENS1_30default_config_static_selectorELNS0_4arch9wavefront6targetE1EEEvSY_,"axG",@progbits,_ZN7rocprim17ROCPRIM_400000_NS6detail17trampoline_kernelINS0_14default_configENS1_27lower_bound_config_selectorIflEEZNS1_14transform_implILb0ES3_S5_N6thrust23THRUST_200600_302600_NS6detail15normal_iteratorINS8_7pointerIfNS8_11hip_rocprim5par_tENS8_11use_defaultESE_EEEENSA_INSB_IlSD_SE_SE_EEEEZNS1_13binary_searchIS3_S5_NSA_INS8_10device_ptrIfEEEESG_SI_NS1_21lower_bound_search_opENS9_16wrapped_functionINS8_6system6detail7generic6detail18binary_search_lessEbEEEE10hipError_tPvRmT1_T2_T3_mmT4_T5_P12ihipStream_tbEUlRKfE_EESV_SZ_S10_mS11_S14_bEUlT_E_NS1_11comp_targetILNS1_3genE10ELNS1_11target_archE1200ELNS1_3gpuE4ELNS1_3repE0EEENS1_30default_config_static_selectorELNS0_4arch9wavefront6targetE1EEEvSY_,comdat
.Lfunc_end355:
	.size	_ZN7rocprim17ROCPRIM_400000_NS6detail17trampoline_kernelINS0_14default_configENS1_27lower_bound_config_selectorIflEEZNS1_14transform_implILb0ES3_S5_N6thrust23THRUST_200600_302600_NS6detail15normal_iteratorINS8_7pointerIfNS8_11hip_rocprim5par_tENS8_11use_defaultESE_EEEENSA_INSB_IlSD_SE_SE_EEEEZNS1_13binary_searchIS3_S5_NSA_INS8_10device_ptrIfEEEESG_SI_NS1_21lower_bound_search_opENS9_16wrapped_functionINS8_6system6detail7generic6detail18binary_search_lessEbEEEE10hipError_tPvRmT1_T2_T3_mmT4_T5_P12ihipStream_tbEUlRKfE_EESV_SZ_S10_mS11_S14_bEUlT_E_NS1_11comp_targetILNS1_3genE10ELNS1_11target_archE1200ELNS1_3gpuE4ELNS1_3repE0EEENS1_30default_config_static_selectorELNS0_4arch9wavefront6targetE1EEEvSY_, .Lfunc_end355-_ZN7rocprim17ROCPRIM_400000_NS6detail17trampoline_kernelINS0_14default_configENS1_27lower_bound_config_selectorIflEEZNS1_14transform_implILb0ES3_S5_N6thrust23THRUST_200600_302600_NS6detail15normal_iteratorINS8_7pointerIfNS8_11hip_rocprim5par_tENS8_11use_defaultESE_EEEENSA_INSB_IlSD_SE_SE_EEEEZNS1_13binary_searchIS3_S5_NSA_INS8_10device_ptrIfEEEESG_SI_NS1_21lower_bound_search_opENS9_16wrapped_functionINS8_6system6detail7generic6detail18binary_search_lessEbEEEE10hipError_tPvRmT1_T2_T3_mmT4_T5_P12ihipStream_tbEUlRKfE_EESV_SZ_S10_mS11_S14_bEUlT_E_NS1_11comp_targetILNS1_3genE10ELNS1_11target_archE1200ELNS1_3gpuE4ELNS1_3repE0EEENS1_30default_config_static_selectorELNS0_4arch9wavefront6targetE1EEEvSY_
                                        ; -- End function
	.set _ZN7rocprim17ROCPRIM_400000_NS6detail17trampoline_kernelINS0_14default_configENS1_27lower_bound_config_selectorIflEEZNS1_14transform_implILb0ES3_S5_N6thrust23THRUST_200600_302600_NS6detail15normal_iteratorINS8_7pointerIfNS8_11hip_rocprim5par_tENS8_11use_defaultESE_EEEENSA_INSB_IlSD_SE_SE_EEEEZNS1_13binary_searchIS3_S5_NSA_INS8_10device_ptrIfEEEESG_SI_NS1_21lower_bound_search_opENS9_16wrapped_functionINS8_6system6detail7generic6detail18binary_search_lessEbEEEE10hipError_tPvRmT1_T2_T3_mmT4_T5_P12ihipStream_tbEUlRKfE_EESV_SZ_S10_mS11_S14_bEUlT_E_NS1_11comp_targetILNS1_3genE10ELNS1_11target_archE1200ELNS1_3gpuE4ELNS1_3repE0EEENS1_30default_config_static_selectorELNS0_4arch9wavefront6targetE1EEEvSY_.num_vgpr, 0
	.set _ZN7rocprim17ROCPRIM_400000_NS6detail17trampoline_kernelINS0_14default_configENS1_27lower_bound_config_selectorIflEEZNS1_14transform_implILb0ES3_S5_N6thrust23THRUST_200600_302600_NS6detail15normal_iteratorINS8_7pointerIfNS8_11hip_rocprim5par_tENS8_11use_defaultESE_EEEENSA_INSB_IlSD_SE_SE_EEEEZNS1_13binary_searchIS3_S5_NSA_INS8_10device_ptrIfEEEESG_SI_NS1_21lower_bound_search_opENS9_16wrapped_functionINS8_6system6detail7generic6detail18binary_search_lessEbEEEE10hipError_tPvRmT1_T2_T3_mmT4_T5_P12ihipStream_tbEUlRKfE_EESV_SZ_S10_mS11_S14_bEUlT_E_NS1_11comp_targetILNS1_3genE10ELNS1_11target_archE1200ELNS1_3gpuE4ELNS1_3repE0EEENS1_30default_config_static_selectorELNS0_4arch9wavefront6targetE1EEEvSY_.num_agpr, 0
	.set _ZN7rocprim17ROCPRIM_400000_NS6detail17trampoline_kernelINS0_14default_configENS1_27lower_bound_config_selectorIflEEZNS1_14transform_implILb0ES3_S5_N6thrust23THRUST_200600_302600_NS6detail15normal_iteratorINS8_7pointerIfNS8_11hip_rocprim5par_tENS8_11use_defaultESE_EEEENSA_INSB_IlSD_SE_SE_EEEEZNS1_13binary_searchIS3_S5_NSA_INS8_10device_ptrIfEEEESG_SI_NS1_21lower_bound_search_opENS9_16wrapped_functionINS8_6system6detail7generic6detail18binary_search_lessEbEEEE10hipError_tPvRmT1_T2_T3_mmT4_T5_P12ihipStream_tbEUlRKfE_EESV_SZ_S10_mS11_S14_bEUlT_E_NS1_11comp_targetILNS1_3genE10ELNS1_11target_archE1200ELNS1_3gpuE4ELNS1_3repE0EEENS1_30default_config_static_selectorELNS0_4arch9wavefront6targetE1EEEvSY_.numbered_sgpr, 0
	.set _ZN7rocprim17ROCPRIM_400000_NS6detail17trampoline_kernelINS0_14default_configENS1_27lower_bound_config_selectorIflEEZNS1_14transform_implILb0ES3_S5_N6thrust23THRUST_200600_302600_NS6detail15normal_iteratorINS8_7pointerIfNS8_11hip_rocprim5par_tENS8_11use_defaultESE_EEEENSA_INSB_IlSD_SE_SE_EEEEZNS1_13binary_searchIS3_S5_NSA_INS8_10device_ptrIfEEEESG_SI_NS1_21lower_bound_search_opENS9_16wrapped_functionINS8_6system6detail7generic6detail18binary_search_lessEbEEEE10hipError_tPvRmT1_T2_T3_mmT4_T5_P12ihipStream_tbEUlRKfE_EESV_SZ_S10_mS11_S14_bEUlT_E_NS1_11comp_targetILNS1_3genE10ELNS1_11target_archE1200ELNS1_3gpuE4ELNS1_3repE0EEENS1_30default_config_static_selectorELNS0_4arch9wavefront6targetE1EEEvSY_.num_named_barrier, 0
	.set _ZN7rocprim17ROCPRIM_400000_NS6detail17trampoline_kernelINS0_14default_configENS1_27lower_bound_config_selectorIflEEZNS1_14transform_implILb0ES3_S5_N6thrust23THRUST_200600_302600_NS6detail15normal_iteratorINS8_7pointerIfNS8_11hip_rocprim5par_tENS8_11use_defaultESE_EEEENSA_INSB_IlSD_SE_SE_EEEEZNS1_13binary_searchIS3_S5_NSA_INS8_10device_ptrIfEEEESG_SI_NS1_21lower_bound_search_opENS9_16wrapped_functionINS8_6system6detail7generic6detail18binary_search_lessEbEEEE10hipError_tPvRmT1_T2_T3_mmT4_T5_P12ihipStream_tbEUlRKfE_EESV_SZ_S10_mS11_S14_bEUlT_E_NS1_11comp_targetILNS1_3genE10ELNS1_11target_archE1200ELNS1_3gpuE4ELNS1_3repE0EEENS1_30default_config_static_selectorELNS0_4arch9wavefront6targetE1EEEvSY_.private_seg_size, 0
	.set _ZN7rocprim17ROCPRIM_400000_NS6detail17trampoline_kernelINS0_14default_configENS1_27lower_bound_config_selectorIflEEZNS1_14transform_implILb0ES3_S5_N6thrust23THRUST_200600_302600_NS6detail15normal_iteratorINS8_7pointerIfNS8_11hip_rocprim5par_tENS8_11use_defaultESE_EEEENSA_INSB_IlSD_SE_SE_EEEEZNS1_13binary_searchIS3_S5_NSA_INS8_10device_ptrIfEEEESG_SI_NS1_21lower_bound_search_opENS9_16wrapped_functionINS8_6system6detail7generic6detail18binary_search_lessEbEEEE10hipError_tPvRmT1_T2_T3_mmT4_T5_P12ihipStream_tbEUlRKfE_EESV_SZ_S10_mS11_S14_bEUlT_E_NS1_11comp_targetILNS1_3genE10ELNS1_11target_archE1200ELNS1_3gpuE4ELNS1_3repE0EEENS1_30default_config_static_selectorELNS0_4arch9wavefront6targetE1EEEvSY_.uses_vcc, 0
	.set _ZN7rocprim17ROCPRIM_400000_NS6detail17trampoline_kernelINS0_14default_configENS1_27lower_bound_config_selectorIflEEZNS1_14transform_implILb0ES3_S5_N6thrust23THRUST_200600_302600_NS6detail15normal_iteratorINS8_7pointerIfNS8_11hip_rocprim5par_tENS8_11use_defaultESE_EEEENSA_INSB_IlSD_SE_SE_EEEEZNS1_13binary_searchIS3_S5_NSA_INS8_10device_ptrIfEEEESG_SI_NS1_21lower_bound_search_opENS9_16wrapped_functionINS8_6system6detail7generic6detail18binary_search_lessEbEEEE10hipError_tPvRmT1_T2_T3_mmT4_T5_P12ihipStream_tbEUlRKfE_EESV_SZ_S10_mS11_S14_bEUlT_E_NS1_11comp_targetILNS1_3genE10ELNS1_11target_archE1200ELNS1_3gpuE4ELNS1_3repE0EEENS1_30default_config_static_selectorELNS0_4arch9wavefront6targetE1EEEvSY_.uses_flat_scratch, 0
	.set _ZN7rocprim17ROCPRIM_400000_NS6detail17trampoline_kernelINS0_14default_configENS1_27lower_bound_config_selectorIflEEZNS1_14transform_implILb0ES3_S5_N6thrust23THRUST_200600_302600_NS6detail15normal_iteratorINS8_7pointerIfNS8_11hip_rocprim5par_tENS8_11use_defaultESE_EEEENSA_INSB_IlSD_SE_SE_EEEEZNS1_13binary_searchIS3_S5_NSA_INS8_10device_ptrIfEEEESG_SI_NS1_21lower_bound_search_opENS9_16wrapped_functionINS8_6system6detail7generic6detail18binary_search_lessEbEEEE10hipError_tPvRmT1_T2_T3_mmT4_T5_P12ihipStream_tbEUlRKfE_EESV_SZ_S10_mS11_S14_bEUlT_E_NS1_11comp_targetILNS1_3genE10ELNS1_11target_archE1200ELNS1_3gpuE4ELNS1_3repE0EEENS1_30default_config_static_selectorELNS0_4arch9wavefront6targetE1EEEvSY_.has_dyn_sized_stack, 0
	.set _ZN7rocprim17ROCPRIM_400000_NS6detail17trampoline_kernelINS0_14default_configENS1_27lower_bound_config_selectorIflEEZNS1_14transform_implILb0ES3_S5_N6thrust23THRUST_200600_302600_NS6detail15normal_iteratorINS8_7pointerIfNS8_11hip_rocprim5par_tENS8_11use_defaultESE_EEEENSA_INSB_IlSD_SE_SE_EEEEZNS1_13binary_searchIS3_S5_NSA_INS8_10device_ptrIfEEEESG_SI_NS1_21lower_bound_search_opENS9_16wrapped_functionINS8_6system6detail7generic6detail18binary_search_lessEbEEEE10hipError_tPvRmT1_T2_T3_mmT4_T5_P12ihipStream_tbEUlRKfE_EESV_SZ_S10_mS11_S14_bEUlT_E_NS1_11comp_targetILNS1_3genE10ELNS1_11target_archE1200ELNS1_3gpuE4ELNS1_3repE0EEENS1_30default_config_static_selectorELNS0_4arch9wavefront6targetE1EEEvSY_.has_recursion, 0
	.set _ZN7rocprim17ROCPRIM_400000_NS6detail17trampoline_kernelINS0_14default_configENS1_27lower_bound_config_selectorIflEEZNS1_14transform_implILb0ES3_S5_N6thrust23THRUST_200600_302600_NS6detail15normal_iteratorINS8_7pointerIfNS8_11hip_rocprim5par_tENS8_11use_defaultESE_EEEENSA_INSB_IlSD_SE_SE_EEEEZNS1_13binary_searchIS3_S5_NSA_INS8_10device_ptrIfEEEESG_SI_NS1_21lower_bound_search_opENS9_16wrapped_functionINS8_6system6detail7generic6detail18binary_search_lessEbEEEE10hipError_tPvRmT1_T2_T3_mmT4_T5_P12ihipStream_tbEUlRKfE_EESV_SZ_S10_mS11_S14_bEUlT_E_NS1_11comp_targetILNS1_3genE10ELNS1_11target_archE1200ELNS1_3gpuE4ELNS1_3repE0EEENS1_30default_config_static_selectorELNS0_4arch9wavefront6targetE1EEEvSY_.has_indirect_call, 0
	.section	.AMDGPU.csdata,"",@progbits
; Kernel info:
; codeLenInByte = 0
; TotalNumSgprs: 4
; NumVgprs: 0
; ScratchSize: 0
; MemoryBound: 0
; FloatMode: 240
; IeeeMode: 1
; LDSByteSize: 0 bytes/workgroup (compile time only)
; SGPRBlocks: 0
; VGPRBlocks: 0
; NumSGPRsForWavesPerEU: 4
; NumVGPRsForWavesPerEU: 1
; Occupancy: 10
; WaveLimiterHint : 0
; COMPUTE_PGM_RSRC2:SCRATCH_EN: 0
; COMPUTE_PGM_RSRC2:USER_SGPR: 6
; COMPUTE_PGM_RSRC2:TRAP_HANDLER: 0
; COMPUTE_PGM_RSRC2:TGID_X_EN: 1
; COMPUTE_PGM_RSRC2:TGID_Y_EN: 0
; COMPUTE_PGM_RSRC2:TGID_Z_EN: 0
; COMPUTE_PGM_RSRC2:TIDIG_COMP_CNT: 0
	.section	.text._ZN7rocprim17ROCPRIM_400000_NS6detail17trampoline_kernelINS0_14default_configENS1_27lower_bound_config_selectorIflEEZNS1_14transform_implILb0ES3_S5_N6thrust23THRUST_200600_302600_NS6detail15normal_iteratorINS8_7pointerIfNS8_11hip_rocprim5par_tENS8_11use_defaultESE_EEEENSA_INSB_IlSD_SE_SE_EEEEZNS1_13binary_searchIS3_S5_NSA_INS8_10device_ptrIfEEEESG_SI_NS1_21lower_bound_search_opENS9_16wrapped_functionINS8_6system6detail7generic6detail18binary_search_lessEbEEEE10hipError_tPvRmT1_T2_T3_mmT4_T5_P12ihipStream_tbEUlRKfE_EESV_SZ_S10_mS11_S14_bEUlT_E_NS1_11comp_targetILNS1_3genE9ELNS1_11target_archE1100ELNS1_3gpuE3ELNS1_3repE0EEENS1_30default_config_static_selectorELNS0_4arch9wavefront6targetE1EEEvSY_,"axG",@progbits,_ZN7rocprim17ROCPRIM_400000_NS6detail17trampoline_kernelINS0_14default_configENS1_27lower_bound_config_selectorIflEEZNS1_14transform_implILb0ES3_S5_N6thrust23THRUST_200600_302600_NS6detail15normal_iteratorINS8_7pointerIfNS8_11hip_rocprim5par_tENS8_11use_defaultESE_EEEENSA_INSB_IlSD_SE_SE_EEEEZNS1_13binary_searchIS3_S5_NSA_INS8_10device_ptrIfEEEESG_SI_NS1_21lower_bound_search_opENS9_16wrapped_functionINS8_6system6detail7generic6detail18binary_search_lessEbEEEE10hipError_tPvRmT1_T2_T3_mmT4_T5_P12ihipStream_tbEUlRKfE_EESV_SZ_S10_mS11_S14_bEUlT_E_NS1_11comp_targetILNS1_3genE9ELNS1_11target_archE1100ELNS1_3gpuE3ELNS1_3repE0EEENS1_30default_config_static_selectorELNS0_4arch9wavefront6targetE1EEEvSY_,comdat
	.protected	_ZN7rocprim17ROCPRIM_400000_NS6detail17trampoline_kernelINS0_14default_configENS1_27lower_bound_config_selectorIflEEZNS1_14transform_implILb0ES3_S5_N6thrust23THRUST_200600_302600_NS6detail15normal_iteratorINS8_7pointerIfNS8_11hip_rocprim5par_tENS8_11use_defaultESE_EEEENSA_INSB_IlSD_SE_SE_EEEEZNS1_13binary_searchIS3_S5_NSA_INS8_10device_ptrIfEEEESG_SI_NS1_21lower_bound_search_opENS9_16wrapped_functionINS8_6system6detail7generic6detail18binary_search_lessEbEEEE10hipError_tPvRmT1_T2_T3_mmT4_T5_P12ihipStream_tbEUlRKfE_EESV_SZ_S10_mS11_S14_bEUlT_E_NS1_11comp_targetILNS1_3genE9ELNS1_11target_archE1100ELNS1_3gpuE3ELNS1_3repE0EEENS1_30default_config_static_selectorELNS0_4arch9wavefront6targetE1EEEvSY_ ; -- Begin function _ZN7rocprim17ROCPRIM_400000_NS6detail17trampoline_kernelINS0_14default_configENS1_27lower_bound_config_selectorIflEEZNS1_14transform_implILb0ES3_S5_N6thrust23THRUST_200600_302600_NS6detail15normal_iteratorINS8_7pointerIfNS8_11hip_rocprim5par_tENS8_11use_defaultESE_EEEENSA_INSB_IlSD_SE_SE_EEEEZNS1_13binary_searchIS3_S5_NSA_INS8_10device_ptrIfEEEESG_SI_NS1_21lower_bound_search_opENS9_16wrapped_functionINS8_6system6detail7generic6detail18binary_search_lessEbEEEE10hipError_tPvRmT1_T2_T3_mmT4_T5_P12ihipStream_tbEUlRKfE_EESV_SZ_S10_mS11_S14_bEUlT_E_NS1_11comp_targetILNS1_3genE9ELNS1_11target_archE1100ELNS1_3gpuE3ELNS1_3repE0EEENS1_30default_config_static_selectorELNS0_4arch9wavefront6targetE1EEEvSY_
	.globl	_ZN7rocprim17ROCPRIM_400000_NS6detail17trampoline_kernelINS0_14default_configENS1_27lower_bound_config_selectorIflEEZNS1_14transform_implILb0ES3_S5_N6thrust23THRUST_200600_302600_NS6detail15normal_iteratorINS8_7pointerIfNS8_11hip_rocprim5par_tENS8_11use_defaultESE_EEEENSA_INSB_IlSD_SE_SE_EEEEZNS1_13binary_searchIS3_S5_NSA_INS8_10device_ptrIfEEEESG_SI_NS1_21lower_bound_search_opENS9_16wrapped_functionINS8_6system6detail7generic6detail18binary_search_lessEbEEEE10hipError_tPvRmT1_T2_T3_mmT4_T5_P12ihipStream_tbEUlRKfE_EESV_SZ_S10_mS11_S14_bEUlT_E_NS1_11comp_targetILNS1_3genE9ELNS1_11target_archE1100ELNS1_3gpuE3ELNS1_3repE0EEENS1_30default_config_static_selectorELNS0_4arch9wavefront6targetE1EEEvSY_
	.p2align	8
	.type	_ZN7rocprim17ROCPRIM_400000_NS6detail17trampoline_kernelINS0_14default_configENS1_27lower_bound_config_selectorIflEEZNS1_14transform_implILb0ES3_S5_N6thrust23THRUST_200600_302600_NS6detail15normal_iteratorINS8_7pointerIfNS8_11hip_rocprim5par_tENS8_11use_defaultESE_EEEENSA_INSB_IlSD_SE_SE_EEEEZNS1_13binary_searchIS3_S5_NSA_INS8_10device_ptrIfEEEESG_SI_NS1_21lower_bound_search_opENS9_16wrapped_functionINS8_6system6detail7generic6detail18binary_search_lessEbEEEE10hipError_tPvRmT1_T2_T3_mmT4_T5_P12ihipStream_tbEUlRKfE_EESV_SZ_S10_mS11_S14_bEUlT_E_NS1_11comp_targetILNS1_3genE9ELNS1_11target_archE1100ELNS1_3gpuE3ELNS1_3repE0EEENS1_30default_config_static_selectorELNS0_4arch9wavefront6targetE1EEEvSY_,@function
_ZN7rocprim17ROCPRIM_400000_NS6detail17trampoline_kernelINS0_14default_configENS1_27lower_bound_config_selectorIflEEZNS1_14transform_implILb0ES3_S5_N6thrust23THRUST_200600_302600_NS6detail15normal_iteratorINS8_7pointerIfNS8_11hip_rocprim5par_tENS8_11use_defaultESE_EEEENSA_INSB_IlSD_SE_SE_EEEEZNS1_13binary_searchIS3_S5_NSA_INS8_10device_ptrIfEEEESG_SI_NS1_21lower_bound_search_opENS9_16wrapped_functionINS8_6system6detail7generic6detail18binary_search_lessEbEEEE10hipError_tPvRmT1_T2_T3_mmT4_T5_P12ihipStream_tbEUlRKfE_EESV_SZ_S10_mS11_S14_bEUlT_E_NS1_11comp_targetILNS1_3genE9ELNS1_11target_archE1100ELNS1_3gpuE3ELNS1_3repE0EEENS1_30default_config_static_selectorELNS0_4arch9wavefront6targetE1EEEvSY_: ; @_ZN7rocprim17ROCPRIM_400000_NS6detail17trampoline_kernelINS0_14default_configENS1_27lower_bound_config_selectorIflEEZNS1_14transform_implILb0ES3_S5_N6thrust23THRUST_200600_302600_NS6detail15normal_iteratorINS8_7pointerIfNS8_11hip_rocprim5par_tENS8_11use_defaultESE_EEEENSA_INSB_IlSD_SE_SE_EEEEZNS1_13binary_searchIS3_S5_NSA_INS8_10device_ptrIfEEEESG_SI_NS1_21lower_bound_search_opENS9_16wrapped_functionINS8_6system6detail7generic6detail18binary_search_lessEbEEEE10hipError_tPvRmT1_T2_T3_mmT4_T5_P12ihipStream_tbEUlRKfE_EESV_SZ_S10_mS11_S14_bEUlT_E_NS1_11comp_targetILNS1_3genE9ELNS1_11target_archE1100ELNS1_3gpuE3ELNS1_3repE0EEENS1_30default_config_static_selectorELNS0_4arch9wavefront6targetE1EEEvSY_
; %bb.0:
	.section	.rodata,"a",@progbits
	.p2align	6, 0x0
	.amdhsa_kernel _ZN7rocprim17ROCPRIM_400000_NS6detail17trampoline_kernelINS0_14default_configENS1_27lower_bound_config_selectorIflEEZNS1_14transform_implILb0ES3_S5_N6thrust23THRUST_200600_302600_NS6detail15normal_iteratorINS8_7pointerIfNS8_11hip_rocprim5par_tENS8_11use_defaultESE_EEEENSA_INSB_IlSD_SE_SE_EEEEZNS1_13binary_searchIS3_S5_NSA_INS8_10device_ptrIfEEEESG_SI_NS1_21lower_bound_search_opENS9_16wrapped_functionINS8_6system6detail7generic6detail18binary_search_lessEbEEEE10hipError_tPvRmT1_T2_T3_mmT4_T5_P12ihipStream_tbEUlRKfE_EESV_SZ_S10_mS11_S14_bEUlT_E_NS1_11comp_targetILNS1_3genE9ELNS1_11target_archE1100ELNS1_3gpuE3ELNS1_3repE0EEENS1_30default_config_static_selectorELNS0_4arch9wavefront6targetE1EEEvSY_
		.amdhsa_group_segment_fixed_size 0
		.amdhsa_private_segment_fixed_size 0
		.amdhsa_kernarg_size 56
		.amdhsa_user_sgpr_count 6
		.amdhsa_user_sgpr_private_segment_buffer 1
		.amdhsa_user_sgpr_dispatch_ptr 0
		.amdhsa_user_sgpr_queue_ptr 0
		.amdhsa_user_sgpr_kernarg_segment_ptr 1
		.amdhsa_user_sgpr_dispatch_id 0
		.amdhsa_user_sgpr_flat_scratch_init 0
		.amdhsa_user_sgpr_private_segment_size 0
		.amdhsa_uses_dynamic_stack 0
		.amdhsa_system_sgpr_private_segment_wavefront_offset 0
		.amdhsa_system_sgpr_workgroup_id_x 1
		.amdhsa_system_sgpr_workgroup_id_y 0
		.amdhsa_system_sgpr_workgroup_id_z 0
		.amdhsa_system_sgpr_workgroup_info 0
		.amdhsa_system_vgpr_workitem_id 0
		.amdhsa_next_free_vgpr 1
		.amdhsa_next_free_sgpr 0
		.amdhsa_reserve_vcc 0
		.amdhsa_reserve_flat_scratch 0
		.amdhsa_float_round_mode_32 0
		.amdhsa_float_round_mode_16_64 0
		.amdhsa_float_denorm_mode_32 3
		.amdhsa_float_denorm_mode_16_64 3
		.amdhsa_dx10_clamp 1
		.amdhsa_ieee_mode 1
		.amdhsa_fp16_overflow 0
		.amdhsa_exception_fp_ieee_invalid_op 0
		.amdhsa_exception_fp_denorm_src 0
		.amdhsa_exception_fp_ieee_div_zero 0
		.amdhsa_exception_fp_ieee_overflow 0
		.amdhsa_exception_fp_ieee_underflow 0
		.amdhsa_exception_fp_ieee_inexact 0
		.amdhsa_exception_int_div_zero 0
	.end_amdhsa_kernel
	.section	.text._ZN7rocprim17ROCPRIM_400000_NS6detail17trampoline_kernelINS0_14default_configENS1_27lower_bound_config_selectorIflEEZNS1_14transform_implILb0ES3_S5_N6thrust23THRUST_200600_302600_NS6detail15normal_iteratorINS8_7pointerIfNS8_11hip_rocprim5par_tENS8_11use_defaultESE_EEEENSA_INSB_IlSD_SE_SE_EEEEZNS1_13binary_searchIS3_S5_NSA_INS8_10device_ptrIfEEEESG_SI_NS1_21lower_bound_search_opENS9_16wrapped_functionINS8_6system6detail7generic6detail18binary_search_lessEbEEEE10hipError_tPvRmT1_T2_T3_mmT4_T5_P12ihipStream_tbEUlRKfE_EESV_SZ_S10_mS11_S14_bEUlT_E_NS1_11comp_targetILNS1_3genE9ELNS1_11target_archE1100ELNS1_3gpuE3ELNS1_3repE0EEENS1_30default_config_static_selectorELNS0_4arch9wavefront6targetE1EEEvSY_,"axG",@progbits,_ZN7rocprim17ROCPRIM_400000_NS6detail17trampoline_kernelINS0_14default_configENS1_27lower_bound_config_selectorIflEEZNS1_14transform_implILb0ES3_S5_N6thrust23THRUST_200600_302600_NS6detail15normal_iteratorINS8_7pointerIfNS8_11hip_rocprim5par_tENS8_11use_defaultESE_EEEENSA_INSB_IlSD_SE_SE_EEEEZNS1_13binary_searchIS3_S5_NSA_INS8_10device_ptrIfEEEESG_SI_NS1_21lower_bound_search_opENS9_16wrapped_functionINS8_6system6detail7generic6detail18binary_search_lessEbEEEE10hipError_tPvRmT1_T2_T3_mmT4_T5_P12ihipStream_tbEUlRKfE_EESV_SZ_S10_mS11_S14_bEUlT_E_NS1_11comp_targetILNS1_3genE9ELNS1_11target_archE1100ELNS1_3gpuE3ELNS1_3repE0EEENS1_30default_config_static_selectorELNS0_4arch9wavefront6targetE1EEEvSY_,comdat
.Lfunc_end356:
	.size	_ZN7rocprim17ROCPRIM_400000_NS6detail17trampoline_kernelINS0_14default_configENS1_27lower_bound_config_selectorIflEEZNS1_14transform_implILb0ES3_S5_N6thrust23THRUST_200600_302600_NS6detail15normal_iteratorINS8_7pointerIfNS8_11hip_rocprim5par_tENS8_11use_defaultESE_EEEENSA_INSB_IlSD_SE_SE_EEEEZNS1_13binary_searchIS3_S5_NSA_INS8_10device_ptrIfEEEESG_SI_NS1_21lower_bound_search_opENS9_16wrapped_functionINS8_6system6detail7generic6detail18binary_search_lessEbEEEE10hipError_tPvRmT1_T2_T3_mmT4_T5_P12ihipStream_tbEUlRKfE_EESV_SZ_S10_mS11_S14_bEUlT_E_NS1_11comp_targetILNS1_3genE9ELNS1_11target_archE1100ELNS1_3gpuE3ELNS1_3repE0EEENS1_30default_config_static_selectorELNS0_4arch9wavefront6targetE1EEEvSY_, .Lfunc_end356-_ZN7rocprim17ROCPRIM_400000_NS6detail17trampoline_kernelINS0_14default_configENS1_27lower_bound_config_selectorIflEEZNS1_14transform_implILb0ES3_S5_N6thrust23THRUST_200600_302600_NS6detail15normal_iteratorINS8_7pointerIfNS8_11hip_rocprim5par_tENS8_11use_defaultESE_EEEENSA_INSB_IlSD_SE_SE_EEEEZNS1_13binary_searchIS3_S5_NSA_INS8_10device_ptrIfEEEESG_SI_NS1_21lower_bound_search_opENS9_16wrapped_functionINS8_6system6detail7generic6detail18binary_search_lessEbEEEE10hipError_tPvRmT1_T2_T3_mmT4_T5_P12ihipStream_tbEUlRKfE_EESV_SZ_S10_mS11_S14_bEUlT_E_NS1_11comp_targetILNS1_3genE9ELNS1_11target_archE1100ELNS1_3gpuE3ELNS1_3repE0EEENS1_30default_config_static_selectorELNS0_4arch9wavefront6targetE1EEEvSY_
                                        ; -- End function
	.set _ZN7rocprim17ROCPRIM_400000_NS6detail17trampoline_kernelINS0_14default_configENS1_27lower_bound_config_selectorIflEEZNS1_14transform_implILb0ES3_S5_N6thrust23THRUST_200600_302600_NS6detail15normal_iteratorINS8_7pointerIfNS8_11hip_rocprim5par_tENS8_11use_defaultESE_EEEENSA_INSB_IlSD_SE_SE_EEEEZNS1_13binary_searchIS3_S5_NSA_INS8_10device_ptrIfEEEESG_SI_NS1_21lower_bound_search_opENS9_16wrapped_functionINS8_6system6detail7generic6detail18binary_search_lessEbEEEE10hipError_tPvRmT1_T2_T3_mmT4_T5_P12ihipStream_tbEUlRKfE_EESV_SZ_S10_mS11_S14_bEUlT_E_NS1_11comp_targetILNS1_3genE9ELNS1_11target_archE1100ELNS1_3gpuE3ELNS1_3repE0EEENS1_30default_config_static_selectorELNS0_4arch9wavefront6targetE1EEEvSY_.num_vgpr, 0
	.set _ZN7rocprim17ROCPRIM_400000_NS6detail17trampoline_kernelINS0_14default_configENS1_27lower_bound_config_selectorIflEEZNS1_14transform_implILb0ES3_S5_N6thrust23THRUST_200600_302600_NS6detail15normal_iteratorINS8_7pointerIfNS8_11hip_rocprim5par_tENS8_11use_defaultESE_EEEENSA_INSB_IlSD_SE_SE_EEEEZNS1_13binary_searchIS3_S5_NSA_INS8_10device_ptrIfEEEESG_SI_NS1_21lower_bound_search_opENS9_16wrapped_functionINS8_6system6detail7generic6detail18binary_search_lessEbEEEE10hipError_tPvRmT1_T2_T3_mmT4_T5_P12ihipStream_tbEUlRKfE_EESV_SZ_S10_mS11_S14_bEUlT_E_NS1_11comp_targetILNS1_3genE9ELNS1_11target_archE1100ELNS1_3gpuE3ELNS1_3repE0EEENS1_30default_config_static_selectorELNS0_4arch9wavefront6targetE1EEEvSY_.num_agpr, 0
	.set _ZN7rocprim17ROCPRIM_400000_NS6detail17trampoline_kernelINS0_14default_configENS1_27lower_bound_config_selectorIflEEZNS1_14transform_implILb0ES3_S5_N6thrust23THRUST_200600_302600_NS6detail15normal_iteratorINS8_7pointerIfNS8_11hip_rocprim5par_tENS8_11use_defaultESE_EEEENSA_INSB_IlSD_SE_SE_EEEEZNS1_13binary_searchIS3_S5_NSA_INS8_10device_ptrIfEEEESG_SI_NS1_21lower_bound_search_opENS9_16wrapped_functionINS8_6system6detail7generic6detail18binary_search_lessEbEEEE10hipError_tPvRmT1_T2_T3_mmT4_T5_P12ihipStream_tbEUlRKfE_EESV_SZ_S10_mS11_S14_bEUlT_E_NS1_11comp_targetILNS1_3genE9ELNS1_11target_archE1100ELNS1_3gpuE3ELNS1_3repE0EEENS1_30default_config_static_selectorELNS0_4arch9wavefront6targetE1EEEvSY_.numbered_sgpr, 0
	.set _ZN7rocprim17ROCPRIM_400000_NS6detail17trampoline_kernelINS0_14default_configENS1_27lower_bound_config_selectorIflEEZNS1_14transform_implILb0ES3_S5_N6thrust23THRUST_200600_302600_NS6detail15normal_iteratorINS8_7pointerIfNS8_11hip_rocprim5par_tENS8_11use_defaultESE_EEEENSA_INSB_IlSD_SE_SE_EEEEZNS1_13binary_searchIS3_S5_NSA_INS8_10device_ptrIfEEEESG_SI_NS1_21lower_bound_search_opENS9_16wrapped_functionINS8_6system6detail7generic6detail18binary_search_lessEbEEEE10hipError_tPvRmT1_T2_T3_mmT4_T5_P12ihipStream_tbEUlRKfE_EESV_SZ_S10_mS11_S14_bEUlT_E_NS1_11comp_targetILNS1_3genE9ELNS1_11target_archE1100ELNS1_3gpuE3ELNS1_3repE0EEENS1_30default_config_static_selectorELNS0_4arch9wavefront6targetE1EEEvSY_.num_named_barrier, 0
	.set _ZN7rocprim17ROCPRIM_400000_NS6detail17trampoline_kernelINS0_14default_configENS1_27lower_bound_config_selectorIflEEZNS1_14transform_implILb0ES3_S5_N6thrust23THRUST_200600_302600_NS6detail15normal_iteratorINS8_7pointerIfNS8_11hip_rocprim5par_tENS8_11use_defaultESE_EEEENSA_INSB_IlSD_SE_SE_EEEEZNS1_13binary_searchIS3_S5_NSA_INS8_10device_ptrIfEEEESG_SI_NS1_21lower_bound_search_opENS9_16wrapped_functionINS8_6system6detail7generic6detail18binary_search_lessEbEEEE10hipError_tPvRmT1_T2_T3_mmT4_T5_P12ihipStream_tbEUlRKfE_EESV_SZ_S10_mS11_S14_bEUlT_E_NS1_11comp_targetILNS1_3genE9ELNS1_11target_archE1100ELNS1_3gpuE3ELNS1_3repE0EEENS1_30default_config_static_selectorELNS0_4arch9wavefront6targetE1EEEvSY_.private_seg_size, 0
	.set _ZN7rocprim17ROCPRIM_400000_NS6detail17trampoline_kernelINS0_14default_configENS1_27lower_bound_config_selectorIflEEZNS1_14transform_implILb0ES3_S5_N6thrust23THRUST_200600_302600_NS6detail15normal_iteratorINS8_7pointerIfNS8_11hip_rocprim5par_tENS8_11use_defaultESE_EEEENSA_INSB_IlSD_SE_SE_EEEEZNS1_13binary_searchIS3_S5_NSA_INS8_10device_ptrIfEEEESG_SI_NS1_21lower_bound_search_opENS9_16wrapped_functionINS8_6system6detail7generic6detail18binary_search_lessEbEEEE10hipError_tPvRmT1_T2_T3_mmT4_T5_P12ihipStream_tbEUlRKfE_EESV_SZ_S10_mS11_S14_bEUlT_E_NS1_11comp_targetILNS1_3genE9ELNS1_11target_archE1100ELNS1_3gpuE3ELNS1_3repE0EEENS1_30default_config_static_selectorELNS0_4arch9wavefront6targetE1EEEvSY_.uses_vcc, 0
	.set _ZN7rocprim17ROCPRIM_400000_NS6detail17trampoline_kernelINS0_14default_configENS1_27lower_bound_config_selectorIflEEZNS1_14transform_implILb0ES3_S5_N6thrust23THRUST_200600_302600_NS6detail15normal_iteratorINS8_7pointerIfNS8_11hip_rocprim5par_tENS8_11use_defaultESE_EEEENSA_INSB_IlSD_SE_SE_EEEEZNS1_13binary_searchIS3_S5_NSA_INS8_10device_ptrIfEEEESG_SI_NS1_21lower_bound_search_opENS9_16wrapped_functionINS8_6system6detail7generic6detail18binary_search_lessEbEEEE10hipError_tPvRmT1_T2_T3_mmT4_T5_P12ihipStream_tbEUlRKfE_EESV_SZ_S10_mS11_S14_bEUlT_E_NS1_11comp_targetILNS1_3genE9ELNS1_11target_archE1100ELNS1_3gpuE3ELNS1_3repE0EEENS1_30default_config_static_selectorELNS0_4arch9wavefront6targetE1EEEvSY_.uses_flat_scratch, 0
	.set _ZN7rocprim17ROCPRIM_400000_NS6detail17trampoline_kernelINS0_14default_configENS1_27lower_bound_config_selectorIflEEZNS1_14transform_implILb0ES3_S5_N6thrust23THRUST_200600_302600_NS6detail15normal_iteratorINS8_7pointerIfNS8_11hip_rocprim5par_tENS8_11use_defaultESE_EEEENSA_INSB_IlSD_SE_SE_EEEEZNS1_13binary_searchIS3_S5_NSA_INS8_10device_ptrIfEEEESG_SI_NS1_21lower_bound_search_opENS9_16wrapped_functionINS8_6system6detail7generic6detail18binary_search_lessEbEEEE10hipError_tPvRmT1_T2_T3_mmT4_T5_P12ihipStream_tbEUlRKfE_EESV_SZ_S10_mS11_S14_bEUlT_E_NS1_11comp_targetILNS1_3genE9ELNS1_11target_archE1100ELNS1_3gpuE3ELNS1_3repE0EEENS1_30default_config_static_selectorELNS0_4arch9wavefront6targetE1EEEvSY_.has_dyn_sized_stack, 0
	.set _ZN7rocprim17ROCPRIM_400000_NS6detail17trampoline_kernelINS0_14default_configENS1_27lower_bound_config_selectorIflEEZNS1_14transform_implILb0ES3_S5_N6thrust23THRUST_200600_302600_NS6detail15normal_iteratorINS8_7pointerIfNS8_11hip_rocprim5par_tENS8_11use_defaultESE_EEEENSA_INSB_IlSD_SE_SE_EEEEZNS1_13binary_searchIS3_S5_NSA_INS8_10device_ptrIfEEEESG_SI_NS1_21lower_bound_search_opENS9_16wrapped_functionINS8_6system6detail7generic6detail18binary_search_lessEbEEEE10hipError_tPvRmT1_T2_T3_mmT4_T5_P12ihipStream_tbEUlRKfE_EESV_SZ_S10_mS11_S14_bEUlT_E_NS1_11comp_targetILNS1_3genE9ELNS1_11target_archE1100ELNS1_3gpuE3ELNS1_3repE0EEENS1_30default_config_static_selectorELNS0_4arch9wavefront6targetE1EEEvSY_.has_recursion, 0
	.set _ZN7rocprim17ROCPRIM_400000_NS6detail17trampoline_kernelINS0_14default_configENS1_27lower_bound_config_selectorIflEEZNS1_14transform_implILb0ES3_S5_N6thrust23THRUST_200600_302600_NS6detail15normal_iteratorINS8_7pointerIfNS8_11hip_rocprim5par_tENS8_11use_defaultESE_EEEENSA_INSB_IlSD_SE_SE_EEEEZNS1_13binary_searchIS3_S5_NSA_INS8_10device_ptrIfEEEESG_SI_NS1_21lower_bound_search_opENS9_16wrapped_functionINS8_6system6detail7generic6detail18binary_search_lessEbEEEE10hipError_tPvRmT1_T2_T3_mmT4_T5_P12ihipStream_tbEUlRKfE_EESV_SZ_S10_mS11_S14_bEUlT_E_NS1_11comp_targetILNS1_3genE9ELNS1_11target_archE1100ELNS1_3gpuE3ELNS1_3repE0EEENS1_30default_config_static_selectorELNS0_4arch9wavefront6targetE1EEEvSY_.has_indirect_call, 0
	.section	.AMDGPU.csdata,"",@progbits
; Kernel info:
; codeLenInByte = 0
; TotalNumSgprs: 4
; NumVgprs: 0
; ScratchSize: 0
; MemoryBound: 0
; FloatMode: 240
; IeeeMode: 1
; LDSByteSize: 0 bytes/workgroup (compile time only)
; SGPRBlocks: 0
; VGPRBlocks: 0
; NumSGPRsForWavesPerEU: 4
; NumVGPRsForWavesPerEU: 1
; Occupancy: 10
; WaveLimiterHint : 0
; COMPUTE_PGM_RSRC2:SCRATCH_EN: 0
; COMPUTE_PGM_RSRC2:USER_SGPR: 6
; COMPUTE_PGM_RSRC2:TRAP_HANDLER: 0
; COMPUTE_PGM_RSRC2:TGID_X_EN: 1
; COMPUTE_PGM_RSRC2:TGID_Y_EN: 0
; COMPUTE_PGM_RSRC2:TGID_Z_EN: 0
; COMPUTE_PGM_RSRC2:TIDIG_COMP_CNT: 0
	.section	.text._ZN7rocprim17ROCPRIM_400000_NS6detail17trampoline_kernelINS0_14default_configENS1_27lower_bound_config_selectorIflEEZNS1_14transform_implILb0ES3_S5_N6thrust23THRUST_200600_302600_NS6detail15normal_iteratorINS8_7pointerIfNS8_11hip_rocprim5par_tENS8_11use_defaultESE_EEEENSA_INSB_IlSD_SE_SE_EEEEZNS1_13binary_searchIS3_S5_NSA_INS8_10device_ptrIfEEEESG_SI_NS1_21lower_bound_search_opENS9_16wrapped_functionINS8_6system6detail7generic6detail18binary_search_lessEbEEEE10hipError_tPvRmT1_T2_T3_mmT4_T5_P12ihipStream_tbEUlRKfE_EESV_SZ_S10_mS11_S14_bEUlT_E_NS1_11comp_targetILNS1_3genE8ELNS1_11target_archE1030ELNS1_3gpuE2ELNS1_3repE0EEENS1_30default_config_static_selectorELNS0_4arch9wavefront6targetE1EEEvSY_,"axG",@progbits,_ZN7rocprim17ROCPRIM_400000_NS6detail17trampoline_kernelINS0_14default_configENS1_27lower_bound_config_selectorIflEEZNS1_14transform_implILb0ES3_S5_N6thrust23THRUST_200600_302600_NS6detail15normal_iteratorINS8_7pointerIfNS8_11hip_rocprim5par_tENS8_11use_defaultESE_EEEENSA_INSB_IlSD_SE_SE_EEEEZNS1_13binary_searchIS3_S5_NSA_INS8_10device_ptrIfEEEESG_SI_NS1_21lower_bound_search_opENS9_16wrapped_functionINS8_6system6detail7generic6detail18binary_search_lessEbEEEE10hipError_tPvRmT1_T2_T3_mmT4_T5_P12ihipStream_tbEUlRKfE_EESV_SZ_S10_mS11_S14_bEUlT_E_NS1_11comp_targetILNS1_3genE8ELNS1_11target_archE1030ELNS1_3gpuE2ELNS1_3repE0EEENS1_30default_config_static_selectorELNS0_4arch9wavefront6targetE1EEEvSY_,comdat
	.protected	_ZN7rocprim17ROCPRIM_400000_NS6detail17trampoline_kernelINS0_14default_configENS1_27lower_bound_config_selectorIflEEZNS1_14transform_implILb0ES3_S5_N6thrust23THRUST_200600_302600_NS6detail15normal_iteratorINS8_7pointerIfNS8_11hip_rocprim5par_tENS8_11use_defaultESE_EEEENSA_INSB_IlSD_SE_SE_EEEEZNS1_13binary_searchIS3_S5_NSA_INS8_10device_ptrIfEEEESG_SI_NS1_21lower_bound_search_opENS9_16wrapped_functionINS8_6system6detail7generic6detail18binary_search_lessEbEEEE10hipError_tPvRmT1_T2_T3_mmT4_T5_P12ihipStream_tbEUlRKfE_EESV_SZ_S10_mS11_S14_bEUlT_E_NS1_11comp_targetILNS1_3genE8ELNS1_11target_archE1030ELNS1_3gpuE2ELNS1_3repE0EEENS1_30default_config_static_selectorELNS0_4arch9wavefront6targetE1EEEvSY_ ; -- Begin function _ZN7rocprim17ROCPRIM_400000_NS6detail17trampoline_kernelINS0_14default_configENS1_27lower_bound_config_selectorIflEEZNS1_14transform_implILb0ES3_S5_N6thrust23THRUST_200600_302600_NS6detail15normal_iteratorINS8_7pointerIfNS8_11hip_rocprim5par_tENS8_11use_defaultESE_EEEENSA_INSB_IlSD_SE_SE_EEEEZNS1_13binary_searchIS3_S5_NSA_INS8_10device_ptrIfEEEESG_SI_NS1_21lower_bound_search_opENS9_16wrapped_functionINS8_6system6detail7generic6detail18binary_search_lessEbEEEE10hipError_tPvRmT1_T2_T3_mmT4_T5_P12ihipStream_tbEUlRKfE_EESV_SZ_S10_mS11_S14_bEUlT_E_NS1_11comp_targetILNS1_3genE8ELNS1_11target_archE1030ELNS1_3gpuE2ELNS1_3repE0EEENS1_30default_config_static_selectorELNS0_4arch9wavefront6targetE1EEEvSY_
	.globl	_ZN7rocprim17ROCPRIM_400000_NS6detail17trampoline_kernelINS0_14default_configENS1_27lower_bound_config_selectorIflEEZNS1_14transform_implILb0ES3_S5_N6thrust23THRUST_200600_302600_NS6detail15normal_iteratorINS8_7pointerIfNS8_11hip_rocprim5par_tENS8_11use_defaultESE_EEEENSA_INSB_IlSD_SE_SE_EEEEZNS1_13binary_searchIS3_S5_NSA_INS8_10device_ptrIfEEEESG_SI_NS1_21lower_bound_search_opENS9_16wrapped_functionINS8_6system6detail7generic6detail18binary_search_lessEbEEEE10hipError_tPvRmT1_T2_T3_mmT4_T5_P12ihipStream_tbEUlRKfE_EESV_SZ_S10_mS11_S14_bEUlT_E_NS1_11comp_targetILNS1_3genE8ELNS1_11target_archE1030ELNS1_3gpuE2ELNS1_3repE0EEENS1_30default_config_static_selectorELNS0_4arch9wavefront6targetE1EEEvSY_
	.p2align	8
	.type	_ZN7rocprim17ROCPRIM_400000_NS6detail17trampoline_kernelINS0_14default_configENS1_27lower_bound_config_selectorIflEEZNS1_14transform_implILb0ES3_S5_N6thrust23THRUST_200600_302600_NS6detail15normal_iteratorINS8_7pointerIfNS8_11hip_rocprim5par_tENS8_11use_defaultESE_EEEENSA_INSB_IlSD_SE_SE_EEEEZNS1_13binary_searchIS3_S5_NSA_INS8_10device_ptrIfEEEESG_SI_NS1_21lower_bound_search_opENS9_16wrapped_functionINS8_6system6detail7generic6detail18binary_search_lessEbEEEE10hipError_tPvRmT1_T2_T3_mmT4_T5_P12ihipStream_tbEUlRKfE_EESV_SZ_S10_mS11_S14_bEUlT_E_NS1_11comp_targetILNS1_3genE8ELNS1_11target_archE1030ELNS1_3gpuE2ELNS1_3repE0EEENS1_30default_config_static_selectorELNS0_4arch9wavefront6targetE1EEEvSY_,@function
_ZN7rocprim17ROCPRIM_400000_NS6detail17trampoline_kernelINS0_14default_configENS1_27lower_bound_config_selectorIflEEZNS1_14transform_implILb0ES3_S5_N6thrust23THRUST_200600_302600_NS6detail15normal_iteratorINS8_7pointerIfNS8_11hip_rocprim5par_tENS8_11use_defaultESE_EEEENSA_INSB_IlSD_SE_SE_EEEEZNS1_13binary_searchIS3_S5_NSA_INS8_10device_ptrIfEEEESG_SI_NS1_21lower_bound_search_opENS9_16wrapped_functionINS8_6system6detail7generic6detail18binary_search_lessEbEEEE10hipError_tPvRmT1_T2_T3_mmT4_T5_P12ihipStream_tbEUlRKfE_EESV_SZ_S10_mS11_S14_bEUlT_E_NS1_11comp_targetILNS1_3genE8ELNS1_11target_archE1030ELNS1_3gpuE2ELNS1_3repE0EEENS1_30default_config_static_selectorELNS0_4arch9wavefront6targetE1EEEvSY_: ; @_ZN7rocprim17ROCPRIM_400000_NS6detail17trampoline_kernelINS0_14default_configENS1_27lower_bound_config_selectorIflEEZNS1_14transform_implILb0ES3_S5_N6thrust23THRUST_200600_302600_NS6detail15normal_iteratorINS8_7pointerIfNS8_11hip_rocprim5par_tENS8_11use_defaultESE_EEEENSA_INSB_IlSD_SE_SE_EEEEZNS1_13binary_searchIS3_S5_NSA_INS8_10device_ptrIfEEEESG_SI_NS1_21lower_bound_search_opENS9_16wrapped_functionINS8_6system6detail7generic6detail18binary_search_lessEbEEEE10hipError_tPvRmT1_T2_T3_mmT4_T5_P12ihipStream_tbEUlRKfE_EESV_SZ_S10_mS11_S14_bEUlT_E_NS1_11comp_targetILNS1_3genE8ELNS1_11target_archE1030ELNS1_3gpuE2ELNS1_3repE0EEENS1_30default_config_static_selectorELNS0_4arch9wavefront6targetE1EEEvSY_
; %bb.0:
	.section	.rodata,"a",@progbits
	.p2align	6, 0x0
	.amdhsa_kernel _ZN7rocprim17ROCPRIM_400000_NS6detail17trampoline_kernelINS0_14default_configENS1_27lower_bound_config_selectorIflEEZNS1_14transform_implILb0ES3_S5_N6thrust23THRUST_200600_302600_NS6detail15normal_iteratorINS8_7pointerIfNS8_11hip_rocprim5par_tENS8_11use_defaultESE_EEEENSA_INSB_IlSD_SE_SE_EEEEZNS1_13binary_searchIS3_S5_NSA_INS8_10device_ptrIfEEEESG_SI_NS1_21lower_bound_search_opENS9_16wrapped_functionINS8_6system6detail7generic6detail18binary_search_lessEbEEEE10hipError_tPvRmT1_T2_T3_mmT4_T5_P12ihipStream_tbEUlRKfE_EESV_SZ_S10_mS11_S14_bEUlT_E_NS1_11comp_targetILNS1_3genE8ELNS1_11target_archE1030ELNS1_3gpuE2ELNS1_3repE0EEENS1_30default_config_static_selectorELNS0_4arch9wavefront6targetE1EEEvSY_
		.amdhsa_group_segment_fixed_size 0
		.amdhsa_private_segment_fixed_size 0
		.amdhsa_kernarg_size 56
		.amdhsa_user_sgpr_count 6
		.amdhsa_user_sgpr_private_segment_buffer 1
		.amdhsa_user_sgpr_dispatch_ptr 0
		.amdhsa_user_sgpr_queue_ptr 0
		.amdhsa_user_sgpr_kernarg_segment_ptr 1
		.amdhsa_user_sgpr_dispatch_id 0
		.amdhsa_user_sgpr_flat_scratch_init 0
		.amdhsa_user_sgpr_private_segment_size 0
		.amdhsa_uses_dynamic_stack 0
		.amdhsa_system_sgpr_private_segment_wavefront_offset 0
		.amdhsa_system_sgpr_workgroup_id_x 1
		.amdhsa_system_sgpr_workgroup_id_y 0
		.amdhsa_system_sgpr_workgroup_id_z 0
		.amdhsa_system_sgpr_workgroup_info 0
		.amdhsa_system_vgpr_workitem_id 0
		.amdhsa_next_free_vgpr 1
		.amdhsa_next_free_sgpr 0
		.amdhsa_reserve_vcc 0
		.amdhsa_reserve_flat_scratch 0
		.amdhsa_float_round_mode_32 0
		.amdhsa_float_round_mode_16_64 0
		.amdhsa_float_denorm_mode_32 3
		.amdhsa_float_denorm_mode_16_64 3
		.amdhsa_dx10_clamp 1
		.amdhsa_ieee_mode 1
		.amdhsa_fp16_overflow 0
		.amdhsa_exception_fp_ieee_invalid_op 0
		.amdhsa_exception_fp_denorm_src 0
		.amdhsa_exception_fp_ieee_div_zero 0
		.amdhsa_exception_fp_ieee_overflow 0
		.amdhsa_exception_fp_ieee_underflow 0
		.amdhsa_exception_fp_ieee_inexact 0
		.amdhsa_exception_int_div_zero 0
	.end_amdhsa_kernel
	.section	.text._ZN7rocprim17ROCPRIM_400000_NS6detail17trampoline_kernelINS0_14default_configENS1_27lower_bound_config_selectorIflEEZNS1_14transform_implILb0ES3_S5_N6thrust23THRUST_200600_302600_NS6detail15normal_iteratorINS8_7pointerIfNS8_11hip_rocprim5par_tENS8_11use_defaultESE_EEEENSA_INSB_IlSD_SE_SE_EEEEZNS1_13binary_searchIS3_S5_NSA_INS8_10device_ptrIfEEEESG_SI_NS1_21lower_bound_search_opENS9_16wrapped_functionINS8_6system6detail7generic6detail18binary_search_lessEbEEEE10hipError_tPvRmT1_T2_T3_mmT4_T5_P12ihipStream_tbEUlRKfE_EESV_SZ_S10_mS11_S14_bEUlT_E_NS1_11comp_targetILNS1_3genE8ELNS1_11target_archE1030ELNS1_3gpuE2ELNS1_3repE0EEENS1_30default_config_static_selectorELNS0_4arch9wavefront6targetE1EEEvSY_,"axG",@progbits,_ZN7rocprim17ROCPRIM_400000_NS6detail17trampoline_kernelINS0_14default_configENS1_27lower_bound_config_selectorIflEEZNS1_14transform_implILb0ES3_S5_N6thrust23THRUST_200600_302600_NS6detail15normal_iteratorINS8_7pointerIfNS8_11hip_rocprim5par_tENS8_11use_defaultESE_EEEENSA_INSB_IlSD_SE_SE_EEEEZNS1_13binary_searchIS3_S5_NSA_INS8_10device_ptrIfEEEESG_SI_NS1_21lower_bound_search_opENS9_16wrapped_functionINS8_6system6detail7generic6detail18binary_search_lessEbEEEE10hipError_tPvRmT1_T2_T3_mmT4_T5_P12ihipStream_tbEUlRKfE_EESV_SZ_S10_mS11_S14_bEUlT_E_NS1_11comp_targetILNS1_3genE8ELNS1_11target_archE1030ELNS1_3gpuE2ELNS1_3repE0EEENS1_30default_config_static_selectorELNS0_4arch9wavefront6targetE1EEEvSY_,comdat
.Lfunc_end357:
	.size	_ZN7rocprim17ROCPRIM_400000_NS6detail17trampoline_kernelINS0_14default_configENS1_27lower_bound_config_selectorIflEEZNS1_14transform_implILb0ES3_S5_N6thrust23THRUST_200600_302600_NS6detail15normal_iteratorINS8_7pointerIfNS8_11hip_rocprim5par_tENS8_11use_defaultESE_EEEENSA_INSB_IlSD_SE_SE_EEEEZNS1_13binary_searchIS3_S5_NSA_INS8_10device_ptrIfEEEESG_SI_NS1_21lower_bound_search_opENS9_16wrapped_functionINS8_6system6detail7generic6detail18binary_search_lessEbEEEE10hipError_tPvRmT1_T2_T3_mmT4_T5_P12ihipStream_tbEUlRKfE_EESV_SZ_S10_mS11_S14_bEUlT_E_NS1_11comp_targetILNS1_3genE8ELNS1_11target_archE1030ELNS1_3gpuE2ELNS1_3repE0EEENS1_30default_config_static_selectorELNS0_4arch9wavefront6targetE1EEEvSY_, .Lfunc_end357-_ZN7rocprim17ROCPRIM_400000_NS6detail17trampoline_kernelINS0_14default_configENS1_27lower_bound_config_selectorIflEEZNS1_14transform_implILb0ES3_S5_N6thrust23THRUST_200600_302600_NS6detail15normal_iteratorINS8_7pointerIfNS8_11hip_rocprim5par_tENS8_11use_defaultESE_EEEENSA_INSB_IlSD_SE_SE_EEEEZNS1_13binary_searchIS3_S5_NSA_INS8_10device_ptrIfEEEESG_SI_NS1_21lower_bound_search_opENS9_16wrapped_functionINS8_6system6detail7generic6detail18binary_search_lessEbEEEE10hipError_tPvRmT1_T2_T3_mmT4_T5_P12ihipStream_tbEUlRKfE_EESV_SZ_S10_mS11_S14_bEUlT_E_NS1_11comp_targetILNS1_3genE8ELNS1_11target_archE1030ELNS1_3gpuE2ELNS1_3repE0EEENS1_30default_config_static_selectorELNS0_4arch9wavefront6targetE1EEEvSY_
                                        ; -- End function
	.set _ZN7rocprim17ROCPRIM_400000_NS6detail17trampoline_kernelINS0_14default_configENS1_27lower_bound_config_selectorIflEEZNS1_14transform_implILb0ES3_S5_N6thrust23THRUST_200600_302600_NS6detail15normal_iteratorINS8_7pointerIfNS8_11hip_rocprim5par_tENS8_11use_defaultESE_EEEENSA_INSB_IlSD_SE_SE_EEEEZNS1_13binary_searchIS3_S5_NSA_INS8_10device_ptrIfEEEESG_SI_NS1_21lower_bound_search_opENS9_16wrapped_functionINS8_6system6detail7generic6detail18binary_search_lessEbEEEE10hipError_tPvRmT1_T2_T3_mmT4_T5_P12ihipStream_tbEUlRKfE_EESV_SZ_S10_mS11_S14_bEUlT_E_NS1_11comp_targetILNS1_3genE8ELNS1_11target_archE1030ELNS1_3gpuE2ELNS1_3repE0EEENS1_30default_config_static_selectorELNS0_4arch9wavefront6targetE1EEEvSY_.num_vgpr, 0
	.set _ZN7rocprim17ROCPRIM_400000_NS6detail17trampoline_kernelINS0_14default_configENS1_27lower_bound_config_selectorIflEEZNS1_14transform_implILb0ES3_S5_N6thrust23THRUST_200600_302600_NS6detail15normal_iteratorINS8_7pointerIfNS8_11hip_rocprim5par_tENS8_11use_defaultESE_EEEENSA_INSB_IlSD_SE_SE_EEEEZNS1_13binary_searchIS3_S5_NSA_INS8_10device_ptrIfEEEESG_SI_NS1_21lower_bound_search_opENS9_16wrapped_functionINS8_6system6detail7generic6detail18binary_search_lessEbEEEE10hipError_tPvRmT1_T2_T3_mmT4_T5_P12ihipStream_tbEUlRKfE_EESV_SZ_S10_mS11_S14_bEUlT_E_NS1_11comp_targetILNS1_3genE8ELNS1_11target_archE1030ELNS1_3gpuE2ELNS1_3repE0EEENS1_30default_config_static_selectorELNS0_4arch9wavefront6targetE1EEEvSY_.num_agpr, 0
	.set _ZN7rocprim17ROCPRIM_400000_NS6detail17trampoline_kernelINS0_14default_configENS1_27lower_bound_config_selectorIflEEZNS1_14transform_implILb0ES3_S5_N6thrust23THRUST_200600_302600_NS6detail15normal_iteratorINS8_7pointerIfNS8_11hip_rocprim5par_tENS8_11use_defaultESE_EEEENSA_INSB_IlSD_SE_SE_EEEEZNS1_13binary_searchIS3_S5_NSA_INS8_10device_ptrIfEEEESG_SI_NS1_21lower_bound_search_opENS9_16wrapped_functionINS8_6system6detail7generic6detail18binary_search_lessEbEEEE10hipError_tPvRmT1_T2_T3_mmT4_T5_P12ihipStream_tbEUlRKfE_EESV_SZ_S10_mS11_S14_bEUlT_E_NS1_11comp_targetILNS1_3genE8ELNS1_11target_archE1030ELNS1_3gpuE2ELNS1_3repE0EEENS1_30default_config_static_selectorELNS0_4arch9wavefront6targetE1EEEvSY_.numbered_sgpr, 0
	.set _ZN7rocprim17ROCPRIM_400000_NS6detail17trampoline_kernelINS0_14default_configENS1_27lower_bound_config_selectorIflEEZNS1_14transform_implILb0ES3_S5_N6thrust23THRUST_200600_302600_NS6detail15normal_iteratorINS8_7pointerIfNS8_11hip_rocprim5par_tENS8_11use_defaultESE_EEEENSA_INSB_IlSD_SE_SE_EEEEZNS1_13binary_searchIS3_S5_NSA_INS8_10device_ptrIfEEEESG_SI_NS1_21lower_bound_search_opENS9_16wrapped_functionINS8_6system6detail7generic6detail18binary_search_lessEbEEEE10hipError_tPvRmT1_T2_T3_mmT4_T5_P12ihipStream_tbEUlRKfE_EESV_SZ_S10_mS11_S14_bEUlT_E_NS1_11comp_targetILNS1_3genE8ELNS1_11target_archE1030ELNS1_3gpuE2ELNS1_3repE0EEENS1_30default_config_static_selectorELNS0_4arch9wavefront6targetE1EEEvSY_.num_named_barrier, 0
	.set _ZN7rocprim17ROCPRIM_400000_NS6detail17trampoline_kernelINS0_14default_configENS1_27lower_bound_config_selectorIflEEZNS1_14transform_implILb0ES3_S5_N6thrust23THRUST_200600_302600_NS6detail15normal_iteratorINS8_7pointerIfNS8_11hip_rocprim5par_tENS8_11use_defaultESE_EEEENSA_INSB_IlSD_SE_SE_EEEEZNS1_13binary_searchIS3_S5_NSA_INS8_10device_ptrIfEEEESG_SI_NS1_21lower_bound_search_opENS9_16wrapped_functionINS8_6system6detail7generic6detail18binary_search_lessEbEEEE10hipError_tPvRmT1_T2_T3_mmT4_T5_P12ihipStream_tbEUlRKfE_EESV_SZ_S10_mS11_S14_bEUlT_E_NS1_11comp_targetILNS1_3genE8ELNS1_11target_archE1030ELNS1_3gpuE2ELNS1_3repE0EEENS1_30default_config_static_selectorELNS0_4arch9wavefront6targetE1EEEvSY_.private_seg_size, 0
	.set _ZN7rocprim17ROCPRIM_400000_NS6detail17trampoline_kernelINS0_14default_configENS1_27lower_bound_config_selectorIflEEZNS1_14transform_implILb0ES3_S5_N6thrust23THRUST_200600_302600_NS6detail15normal_iteratorINS8_7pointerIfNS8_11hip_rocprim5par_tENS8_11use_defaultESE_EEEENSA_INSB_IlSD_SE_SE_EEEEZNS1_13binary_searchIS3_S5_NSA_INS8_10device_ptrIfEEEESG_SI_NS1_21lower_bound_search_opENS9_16wrapped_functionINS8_6system6detail7generic6detail18binary_search_lessEbEEEE10hipError_tPvRmT1_T2_T3_mmT4_T5_P12ihipStream_tbEUlRKfE_EESV_SZ_S10_mS11_S14_bEUlT_E_NS1_11comp_targetILNS1_3genE8ELNS1_11target_archE1030ELNS1_3gpuE2ELNS1_3repE0EEENS1_30default_config_static_selectorELNS0_4arch9wavefront6targetE1EEEvSY_.uses_vcc, 0
	.set _ZN7rocprim17ROCPRIM_400000_NS6detail17trampoline_kernelINS0_14default_configENS1_27lower_bound_config_selectorIflEEZNS1_14transform_implILb0ES3_S5_N6thrust23THRUST_200600_302600_NS6detail15normal_iteratorINS8_7pointerIfNS8_11hip_rocprim5par_tENS8_11use_defaultESE_EEEENSA_INSB_IlSD_SE_SE_EEEEZNS1_13binary_searchIS3_S5_NSA_INS8_10device_ptrIfEEEESG_SI_NS1_21lower_bound_search_opENS9_16wrapped_functionINS8_6system6detail7generic6detail18binary_search_lessEbEEEE10hipError_tPvRmT1_T2_T3_mmT4_T5_P12ihipStream_tbEUlRKfE_EESV_SZ_S10_mS11_S14_bEUlT_E_NS1_11comp_targetILNS1_3genE8ELNS1_11target_archE1030ELNS1_3gpuE2ELNS1_3repE0EEENS1_30default_config_static_selectorELNS0_4arch9wavefront6targetE1EEEvSY_.uses_flat_scratch, 0
	.set _ZN7rocprim17ROCPRIM_400000_NS6detail17trampoline_kernelINS0_14default_configENS1_27lower_bound_config_selectorIflEEZNS1_14transform_implILb0ES3_S5_N6thrust23THRUST_200600_302600_NS6detail15normal_iteratorINS8_7pointerIfNS8_11hip_rocprim5par_tENS8_11use_defaultESE_EEEENSA_INSB_IlSD_SE_SE_EEEEZNS1_13binary_searchIS3_S5_NSA_INS8_10device_ptrIfEEEESG_SI_NS1_21lower_bound_search_opENS9_16wrapped_functionINS8_6system6detail7generic6detail18binary_search_lessEbEEEE10hipError_tPvRmT1_T2_T3_mmT4_T5_P12ihipStream_tbEUlRKfE_EESV_SZ_S10_mS11_S14_bEUlT_E_NS1_11comp_targetILNS1_3genE8ELNS1_11target_archE1030ELNS1_3gpuE2ELNS1_3repE0EEENS1_30default_config_static_selectorELNS0_4arch9wavefront6targetE1EEEvSY_.has_dyn_sized_stack, 0
	.set _ZN7rocprim17ROCPRIM_400000_NS6detail17trampoline_kernelINS0_14default_configENS1_27lower_bound_config_selectorIflEEZNS1_14transform_implILb0ES3_S5_N6thrust23THRUST_200600_302600_NS6detail15normal_iteratorINS8_7pointerIfNS8_11hip_rocprim5par_tENS8_11use_defaultESE_EEEENSA_INSB_IlSD_SE_SE_EEEEZNS1_13binary_searchIS3_S5_NSA_INS8_10device_ptrIfEEEESG_SI_NS1_21lower_bound_search_opENS9_16wrapped_functionINS8_6system6detail7generic6detail18binary_search_lessEbEEEE10hipError_tPvRmT1_T2_T3_mmT4_T5_P12ihipStream_tbEUlRKfE_EESV_SZ_S10_mS11_S14_bEUlT_E_NS1_11comp_targetILNS1_3genE8ELNS1_11target_archE1030ELNS1_3gpuE2ELNS1_3repE0EEENS1_30default_config_static_selectorELNS0_4arch9wavefront6targetE1EEEvSY_.has_recursion, 0
	.set _ZN7rocprim17ROCPRIM_400000_NS6detail17trampoline_kernelINS0_14default_configENS1_27lower_bound_config_selectorIflEEZNS1_14transform_implILb0ES3_S5_N6thrust23THRUST_200600_302600_NS6detail15normal_iteratorINS8_7pointerIfNS8_11hip_rocprim5par_tENS8_11use_defaultESE_EEEENSA_INSB_IlSD_SE_SE_EEEEZNS1_13binary_searchIS3_S5_NSA_INS8_10device_ptrIfEEEESG_SI_NS1_21lower_bound_search_opENS9_16wrapped_functionINS8_6system6detail7generic6detail18binary_search_lessEbEEEE10hipError_tPvRmT1_T2_T3_mmT4_T5_P12ihipStream_tbEUlRKfE_EESV_SZ_S10_mS11_S14_bEUlT_E_NS1_11comp_targetILNS1_3genE8ELNS1_11target_archE1030ELNS1_3gpuE2ELNS1_3repE0EEENS1_30default_config_static_selectorELNS0_4arch9wavefront6targetE1EEEvSY_.has_indirect_call, 0
	.section	.AMDGPU.csdata,"",@progbits
; Kernel info:
; codeLenInByte = 0
; TotalNumSgprs: 4
; NumVgprs: 0
; ScratchSize: 0
; MemoryBound: 0
; FloatMode: 240
; IeeeMode: 1
; LDSByteSize: 0 bytes/workgroup (compile time only)
; SGPRBlocks: 0
; VGPRBlocks: 0
; NumSGPRsForWavesPerEU: 4
; NumVGPRsForWavesPerEU: 1
; Occupancy: 10
; WaveLimiterHint : 0
; COMPUTE_PGM_RSRC2:SCRATCH_EN: 0
; COMPUTE_PGM_RSRC2:USER_SGPR: 6
; COMPUTE_PGM_RSRC2:TRAP_HANDLER: 0
; COMPUTE_PGM_RSRC2:TGID_X_EN: 1
; COMPUTE_PGM_RSRC2:TGID_Y_EN: 0
; COMPUTE_PGM_RSRC2:TGID_Z_EN: 0
; COMPUTE_PGM_RSRC2:TIDIG_COMP_CNT: 0
	.section	.text._ZN7rocprim17ROCPRIM_400000_NS6detail17trampoline_kernelINS0_14default_configENS1_27lower_bound_config_selectorIylEEZNS1_14transform_implILb0ES3_S5_N6thrust23THRUST_200600_302600_NS6detail15normal_iteratorINS8_7pointerIyNS8_11hip_rocprim5par_tENS8_11use_defaultESE_EEEENSA_INSB_IlSD_SE_SE_EEEEZNS1_13binary_searchIS3_S5_NSA_INS8_10device_ptrIyEEEESG_SI_NS1_21lower_bound_search_opENS9_16wrapped_functionINS8_6system6detail7generic6detail18binary_search_lessEbEEEE10hipError_tPvRmT1_T2_T3_mmT4_T5_P12ihipStream_tbEUlRKyE_EESV_SZ_S10_mS11_S14_bEUlT_E_NS1_11comp_targetILNS1_3genE0ELNS1_11target_archE4294967295ELNS1_3gpuE0ELNS1_3repE0EEENS1_30default_config_static_selectorELNS0_4arch9wavefront6targetE1EEEvSY_,"axG",@progbits,_ZN7rocprim17ROCPRIM_400000_NS6detail17trampoline_kernelINS0_14default_configENS1_27lower_bound_config_selectorIylEEZNS1_14transform_implILb0ES3_S5_N6thrust23THRUST_200600_302600_NS6detail15normal_iteratorINS8_7pointerIyNS8_11hip_rocprim5par_tENS8_11use_defaultESE_EEEENSA_INSB_IlSD_SE_SE_EEEEZNS1_13binary_searchIS3_S5_NSA_INS8_10device_ptrIyEEEESG_SI_NS1_21lower_bound_search_opENS9_16wrapped_functionINS8_6system6detail7generic6detail18binary_search_lessEbEEEE10hipError_tPvRmT1_T2_T3_mmT4_T5_P12ihipStream_tbEUlRKyE_EESV_SZ_S10_mS11_S14_bEUlT_E_NS1_11comp_targetILNS1_3genE0ELNS1_11target_archE4294967295ELNS1_3gpuE0ELNS1_3repE0EEENS1_30default_config_static_selectorELNS0_4arch9wavefront6targetE1EEEvSY_,comdat
	.protected	_ZN7rocprim17ROCPRIM_400000_NS6detail17trampoline_kernelINS0_14default_configENS1_27lower_bound_config_selectorIylEEZNS1_14transform_implILb0ES3_S5_N6thrust23THRUST_200600_302600_NS6detail15normal_iteratorINS8_7pointerIyNS8_11hip_rocprim5par_tENS8_11use_defaultESE_EEEENSA_INSB_IlSD_SE_SE_EEEEZNS1_13binary_searchIS3_S5_NSA_INS8_10device_ptrIyEEEESG_SI_NS1_21lower_bound_search_opENS9_16wrapped_functionINS8_6system6detail7generic6detail18binary_search_lessEbEEEE10hipError_tPvRmT1_T2_T3_mmT4_T5_P12ihipStream_tbEUlRKyE_EESV_SZ_S10_mS11_S14_bEUlT_E_NS1_11comp_targetILNS1_3genE0ELNS1_11target_archE4294967295ELNS1_3gpuE0ELNS1_3repE0EEENS1_30default_config_static_selectorELNS0_4arch9wavefront6targetE1EEEvSY_ ; -- Begin function _ZN7rocprim17ROCPRIM_400000_NS6detail17trampoline_kernelINS0_14default_configENS1_27lower_bound_config_selectorIylEEZNS1_14transform_implILb0ES3_S5_N6thrust23THRUST_200600_302600_NS6detail15normal_iteratorINS8_7pointerIyNS8_11hip_rocprim5par_tENS8_11use_defaultESE_EEEENSA_INSB_IlSD_SE_SE_EEEEZNS1_13binary_searchIS3_S5_NSA_INS8_10device_ptrIyEEEESG_SI_NS1_21lower_bound_search_opENS9_16wrapped_functionINS8_6system6detail7generic6detail18binary_search_lessEbEEEE10hipError_tPvRmT1_T2_T3_mmT4_T5_P12ihipStream_tbEUlRKyE_EESV_SZ_S10_mS11_S14_bEUlT_E_NS1_11comp_targetILNS1_3genE0ELNS1_11target_archE4294967295ELNS1_3gpuE0ELNS1_3repE0EEENS1_30default_config_static_selectorELNS0_4arch9wavefront6targetE1EEEvSY_
	.globl	_ZN7rocprim17ROCPRIM_400000_NS6detail17trampoline_kernelINS0_14default_configENS1_27lower_bound_config_selectorIylEEZNS1_14transform_implILb0ES3_S5_N6thrust23THRUST_200600_302600_NS6detail15normal_iteratorINS8_7pointerIyNS8_11hip_rocprim5par_tENS8_11use_defaultESE_EEEENSA_INSB_IlSD_SE_SE_EEEEZNS1_13binary_searchIS3_S5_NSA_INS8_10device_ptrIyEEEESG_SI_NS1_21lower_bound_search_opENS9_16wrapped_functionINS8_6system6detail7generic6detail18binary_search_lessEbEEEE10hipError_tPvRmT1_T2_T3_mmT4_T5_P12ihipStream_tbEUlRKyE_EESV_SZ_S10_mS11_S14_bEUlT_E_NS1_11comp_targetILNS1_3genE0ELNS1_11target_archE4294967295ELNS1_3gpuE0ELNS1_3repE0EEENS1_30default_config_static_selectorELNS0_4arch9wavefront6targetE1EEEvSY_
	.p2align	8
	.type	_ZN7rocprim17ROCPRIM_400000_NS6detail17trampoline_kernelINS0_14default_configENS1_27lower_bound_config_selectorIylEEZNS1_14transform_implILb0ES3_S5_N6thrust23THRUST_200600_302600_NS6detail15normal_iteratorINS8_7pointerIyNS8_11hip_rocprim5par_tENS8_11use_defaultESE_EEEENSA_INSB_IlSD_SE_SE_EEEEZNS1_13binary_searchIS3_S5_NSA_INS8_10device_ptrIyEEEESG_SI_NS1_21lower_bound_search_opENS9_16wrapped_functionINS8_6system6detail7generic6detail18binary_search_lessEbEEEE10hipError_tPvRmT1_T2_T3_mmT4_T5_P12ihipStream_tbEUlRKyE_EESV_SZ_S10_mS11_S14_bEUlT_E_NS1_11comp_targetILNS1_3genE0ELNS1_11target_archE4294967295ELNS1_3gpuE0ELNS1_3repE0EEENS1_30default_config_static_selectorELNS0_4arch9wavefront6targetE1EEEvSY_,@function
_ZN7rocprim17ROCPRIM_400000_NS6detail17trampoline_kernelINS0_14default_configENS1_27lower_bound_config_selectorIylEEZNS1_14transform_implILb0ES3_S5_N6thrust23THRUST_200600_302600_NS6detail15normal_iteratorINS8_7pointerIyNS8_11hip_rocprim5par_tENS8_11use_defaultESE_EEEENSA_INSB_IlSD_SE_SE_EEEEZNS1_13binary_searchIS3_S5_NSA_INS8_10device_ptrIyEEEESG_SI_NS1_21lower_bound_search_opENS9_16wrapped_functionINS8_6system6detail7generic6detail18binary_search_lessEbEEEE10hipError_tPvRmT1_T2_T3_mmT4_T5_P12ihipStream_tbEUlRKyE_EESV_SZ_S10_mS11_S14_bEUlT_E_NS1_11comp_targetILNS1_3genE0ELNS1_11target_archE4294967295ELNS1_3gpuE0ELNS1_3repE0EEENS1_30default_config_static_selectorELNS0_4arch9wavefront6targetE1EEEvSY_: ; @_ZN7rocprim17ROCPRIM_400000_NS6detail17trampoline_kernelINS0_14default_configENS1_27lower_bound_config_selectorIylEEZNS1_14transform_implILb0ES3_S5_N6thrust23THRUST_200600_302600_NS6detail15normal_iteratorINS8_7pointerIyNS8_11hip_rocprim5par_tENS8_11use_defaultESE_EEEENSA_INSB_IlSD_SE_SE_EEEEZNS1_13binary_searchIS3_S5_NSA_INS8_10device_ptrIyEEEESG_SI_NS1_21lower_bound_search_opENS9_16wrapped_functionINS8_6system6detail7generic6detail18binary_search_lessEbEEEE10hipError_tPvRmT1_T2_T3_mmT4_T5_P12ihipStream_tbEUlRKyE_EESV_SZ_S10_mS11_S14_bEUlT_E_NS1_11comp_targetILNS1_3genE0ELNS1_11target_archE4294967295ELNS1_3gpuE0ELNS1_3repE0EEENS1_30default_config_static_selectorELNS0_4arch9wavefront6targetE1EEEvSY_
; %bb.0:
	.section	.rodata,"a",@progbits
	.p2align	6, 0x0
	.amdhsa_kernel _ZN7rocprim17ROCPRIM_400000_NS6detail17trampoline_kernelINS0_14default_configENS1_27lower_bound_config_selectorIylEEZNS1_14transform_implILb0ES3_S5_N6thrust23THRUST_200600_302600_NS6detail15normal_iteratorINS8_7pointerIyNS8_11hip_rocprim5par_tENS8_11use_defaultESE_EEEENSA_INSB_IlSD_SE_SE_EEEEZNS1_13binary_searchIS3_S5_NSA_INS8_10device_ptrIyEEEESG_SI_NS1_21lower_bound_search_opENS9_16wrapped_functionINS8_6system6detail7generic6detail18binary_search_lessEbEEEE10hipError_tPvRmT1_T2_T3_mmT4_T5_P12ihipStream_tbEUlRKyE_EESV_SZ_S10_mS11_S14_bEUlT_E_NS1_11comp_targetILNS1_3genE0ELNS1_11target_archE4294967295ELNS1_3gpuE0ELNS1_3repE0EEENS1_30default_config_static_selectorELNS0_4arch9wavefront6targetE1EEEvSY_
		.amdhsa_group_segment_fixed_size 0
		.amdhsa_private_segment_fixed_size 0
		.amdhsa_kernarg_size 56
		.amdhsa_user_sgpr_count 6
		.amdhsa_user_sgpr_private_segment_buffer 1
		.amdhsa_user_sgpr_dispatch_ptr 0
		.amdhsa_user_sgpr_queue_ptr 0
		.amdhsa_user_sgpr_kernarg_segment_ptr 1
		.amdhsa_user_sgpr_dispatch_id 0
		.amdhsa_user_sgpr_flat_scratch_init 0
		.amdhsa_user_sgpr_private_segment_size 0
		.amdhsa_uses_dynamic_stack 0
		.amdhsa_system_sgpr_private_segment_wavefront_offset 0
		.amdhsa_system_sgpr_workgroup_id_x 1
		.amdhsa_system_sgpr_workgroup_id_y 0
		.amdhsa_system_sgpr_workgroup_id_z 0
		.amdhsa_system_sgpr_workgroup_info 0
		.amdhsa_system_vgpr_workitem_id 0
		.amdhsa_next_free_vgpr 1
		.amdhsa_next_free_sgpr 0
		.amdhsa_reserve_vcc 0
		.amdhsa_reserve_flat_scratch 0
		.amdhsa_float_round_mode_32 0
		.amdhsa_float_round_mode_16_64 0
		.amdhsa_float_denorm_mode_32 3
		.amdhsa_float_denorm_mode_16_64 3
		.amdhsa_dx10_clamp 1
		.amdhsa_ieee_mode 1
		.amdhsa_fp16_overflow 0
		.amdhsa_exception_fp_ieee_invalid_op 0
		.amdhsa_exception_fp_denorm_src 0
		.amdhsa_exception_fp_ieee_div_zero 0
		.amdhsa_exception_fp_ieee_overflow 0
		.amdhsa_exception_fp_ieee_underflow 0
		.amdhsa_exception_fp_ieee_inexact 0
		.amdhsa_exception_int_div_zero 0
	.end_amdhsa_kernel
	.section	.text._ZN7rocprim17ROCPRIM_400000_NS6detail17trampoline_kernelINS0_14default_configENS1_27lower_bound_config_selectorIylEEZNS1_14transform_implILb0ES3_S5_N6thrust23THRUST_200600_302600_NS6detail15normal_iteratorINS8_7pointerIyNS8_11hip_rocprim5par_tENS8_11use_defaultESE_EEEENSA_INSB_IlSD_SE_SE_EEEEZNS1_13binary_searchIS3_S5_NSA_INS8_10device_ptrIyEEEESG_SI_NS1_21lower_bound_search_opENS9_16wrapped_functionINS8_6system6detail7generic6detail18binary_search_lessEbEEEE10hipError_tPvRmT1_T2_T3_mmT4_T5_P12ihipStream_tbEUlRKyE_EESV_SZ_S10_mS11_S14_bEUlT_E_NS1_11comp_targetILNS1_3genE0ELNS1_11target_archE4294967295ELNS1_3gpuE0ELNS1_3repE0EEENS1_30default_config_static_selectorELNS0_4arch9wavefront6targetE1EEEvSY_,"axG",@progbits,_ZN7rocprim17ROCPRIM_400000_NS6detail17trampoline_kernelINS0_14default_configENS1_27lower_bound_config_selectorIylEEZNS1_14transform_implILb0ES3_S5_N6thrust23THRUST_200600_302600_NS6detail15normal_iteratorINS8_7pointerIyNS8_11hip_rocprim5par_tENS8_11use_defaultESE_EEEENSA_INSB_IlSD_SE_SE_EEEEZNS1_13binary_searchIS3_S5_NSA_INS8_10device_ptrIyEEEESG_SI_NS1_21lower_bound_search_opENS9_16wrapped_functionINS8_6system6detail7generic6detail18binary_search_lessEbEEEE10hipError_tPvRmT1_T2_T3_mmT4_T5_P12ihipStream_tbEUlRKyE_EESV_SZ_S10_mS11_S14_bEUlT_E_NS1_11comp_targetILNS1_3genE0ELNS1_11target_archE4294967295ELNS1_3gpuE0ELNS1_3repE0EEENS1_30default_config_static_selectorELNS0_4arch9wavefront6targetE1EEEvSY_,comdat
.Lfunc_end358:
	.size	_ZN7rocprim17ROCPRIM_400000_NS6detail17trampoline_kernelINS0_14default_configENS1_27lower_bound_config_selectorIylEEZNS1_14transform_implILb0ES3_S5_N6thrust23THRUST_200600_302600_NS6detail15normal_iteratorINS8_7pointerIyNS8_11hip_rocprim5par_tENS8_11use_defaultESE_EEEENSA_INSB_IlSD_SE_SE_EEEEZNS1_13binary_searchIS3_S5_NSA_INS8_10device_ptrIyEEEESG_SI_NS1_21lower_bound_search_opENS9_16wrapped_functionINS8_6system6detail7generic6detail18binary_search_lessEbEEEE10hipError_tPvRmT1_T2_T3_mmT4_T5_P12ihipStream_tbEUlRKyE_EESV_SZ_S10_mS11_S14_bEUlT_E_NS1_11comp_targetILNS1_3genE0ELNS1_11target_archE4294967295ELNS1_3gpuE0ELNS1_3repE0EEENS1_30default_config_static_selectorELNS0_4arch9wavefront6targetE1EEEvSY_, .Lfunc_end358-_ZN7rocprim17ROCPRIM_400000_NS6detail17trampoline_kernelINS0_14default_configENS1_27lower_bound_config_selectorIylEEZNS1_14transform_implILb0ES3_S5_N6thrust23THRUST_200600_302600_NS6detail15normal_iteratorINS8_7pointerIyNS8_11hip_rocprim5par_tENS8_11use_defaultESE_EEEENSA_INSB_IlSD_SE_SE_EEEEZNS1_13binary_searchIS3_S5_NSA_INS8_10device_ptrIyEEEESG_SI_NS1_21lower_bound_search_opENS9_16wrapped_functionINS8_6system6detail7generic6detail18binary_search_lessEbEEEE10hipError_tPvRmT1_T2_T3_mmT4_T5_P12ihipStream_tbEUlRKyE_EESV_SZ_S10_mS11_S14_bEUlT_E_NS1_11comp_targetILNS1_3genE0ELNS1_11target_archE4294967295ELNS1_3gpuE0ELNS1_3repE0EEENS1_30default_config_static_selectorELNS0_4arch9wavefront6targetE1EEEvSY_
                                        ; -- End function
	.set _ZN7rocprim17ROCPRIM_400000_NS6detail17trampoline_kernelINS0_14default_configENS1_27lower_bound_config_selectorIylEEZNS1_14transform_implILb0ES3_S5_N6thrust23THRUST_200600_302600_NS6detail15normal_iteratorINS8_7pointerIyNS8_11hip_rocprim5par_tENS8_11use_defaultESE_EEEENSA_INSB_IlSD_SE_SE_EEEEZNS1_13binary_searchIS3_S5_NSA_INS8_10device_ptrIyEEEESG_SI_NS1_21lower_bound_search_opENS9_16wrapped_functionINS8_6system6detail7generic6detail18binary_search_lessEbEEEE10hipError_tPvRmT1_T2_T3_mmT4_T5_P12ihipStream_tbEUlRKyE_EESV_SZ_S10_mS11_S14_bEUlT_E_NS1_11comp_targetILNS1_3genE0ELNS1_11target_archE4294967295ELNS1_3gpuE0ELNS1_3repE0EEENS1_30default_config_static_selectorELNS0_4arch9wavefront6targetE1EEEvSY_.num_vgpr, 0
	.set _ZN7rocprim17ROCPRIM_400000_NS6detail17trampoline_kernelINS0_14default_configENS1_27lower_bound_config_selectorIylEEZNS1_14transform_implILb0ES3_S5_N6thrust23THRUST_200600_302600_NS6detail15normal_iteratorINS8_7pointerIyNS8_11hip_rocprim5par_tENS8_11use_defaultESE_EEEENSA_INSB_IlSD_SE_SE_EEEEZNS1_13binary_searchIS3_S5_NSA_INS8_10device_ptrIyEEEESG_SI_NS1_21lower_bound_search_opENS9_16wrapped_functionINS8_6system6detail7generic6detail18binary_search_lessEbEEEE10hipError_tPvRmT1_T2_T3_mmT4_T5_P12ihipStream_tbEUlRKyE_EESV_SZ_S10_mS11_S14_bEUlT_E_NS1_11comp_targetILNS1_3genE0ELNS1_11target_archE4294967295ELNS1_3gpuE0ELNS1_3repE0EEENS1_30default_config_static_selectorELNS0_4arch9wavefront6targetE1EEEvSY_.num_agpr, 0
	.set _ZN7rocprim17ROCPRIM_400000_NS6detail17trampoline_kernelINS0_14default_configENS1_27lower_bound_config_selectorIylEEZNS1_14transform_implILb0ES3_S5_N6thrust23THRUST_200600_302600_NS6detail15normal_iteratorINS8_7pointerIyNS8_11hip_rocprim5par_tENS8_11use_defaultESE_EEEENSA_INSB_IlSD_SE_SE_EEEEZNS1_13binary_searchIS3_S5_NSA_INS8_10device_ptrIyEEEESG_SI_NS1_21lower_bound_search_opENS9_16wrapped_functionINS8_6system6detail7generic6detail18binary_search_lessEbEEEE10hipError_tPvRmT1_T2_T3_mmT4_T5_P12ihipStream_tbEUlRKyE_EESV_SZ_S10_mS11_S14_bEUlT_E_NS1_11comp_targetILNS1_3genE0ELNS1_11target_archE4294967295ELNS1_3gpuE0ELNS1_3repE0EEENS1_30default_config_static_selectorELNS0_4arch9wavefront6targetE1EEEvSY_.numbered_sgpr, 0
	.set _ZN7rocprim17ROCPRIM_400000_NS6detail17trampoline_kernelINS0_14default_configENS1_27lower_bound_config_selectorIylEEZNS1_14transform_implILb0ES3_S5_N6thrust23THRUST_200600_302600_NS6detail15normal_iteratorINS8_7pointerIyNS8_11hip_rocprim5par_tENS8_11use_defaultESE_EEEENSA_INSB_IlSD_SE_SE_EEEEZNS1_13binary_searchIS3_S5_NSA_INS8_10device_ptrIyEEEESG_SI_NS1_21lower_bound_search_opENS9_16wrapped_functionINS8_6system6detail7generic6detail18binary_search_lessEbEEEE10hipError_tPvRmT1_T2_T3_mmT4_T5_P12ihipStream_tbEUlRKyE_EESV_SZ_S10_mS11_S14_bEUlT_E_NS1_11comp_targetILNS1_3genE0ELNS1_11target_archE4294967295ELNS1_3gpuE0ELNS1_3repE0EEENS1_30default_config_static_selectorELNS0_4arch9wavefront6targetE1EEEvSY_.num_named_barrier, 0
	.set _ZN7rocprim17ROCPRIM_400000_NS6detail17trampoline_kernelINS0_14default_configENS1_27lower_bound_config_selectorIylEEZNS1_14transform_implILb0ES3_S5_N6thrust23THRUST_200600_302600_NS6detail15normal_iteratorINS8_7pointerIyNS8_11hip_rocprim5par_tENS8_11use_defaultESE_EEEENSA_INSB_IlSD_SE_SE_EEEEZNS1_13binary_searchIS3_S5_NSA_INS8_10device_ptrIyEEEESG_SI_NS1_21lower_bound_search_opENS9_16wrapped_functionINS8_6system6detail7generic6detail18binary_search_lessEbEEEE10hipError_tPvRmT1_T2_T3_mmT4_T5_P12ihipStream_tbEUlRKyE_EESV_SZ_S10_mS11_S14_bEUlT_E_NS1_11comp_targetILNS1_3genE0ELNS1_11target_archE4294967295ELNS1_3gpuE0ELNS1_3repE0EEENS1_30default_config_static_selectorELNS0_4arch9wavefront6targetE1EEEvSY_.private_seg_size, 0
	.set _ZN7rocprim17ROCPRIM_400000_NS6detail17trampoline_kernelINS0_14default_configENS1_27lower_bound_config_selectorIylEEZNS1_14transform_implILb0ES3_S5_N6thrust23THRUST_200600_302600_NS6detail15normal_iteratorINS8_7pointerIyNS8_11hip_rocprim5par_tENS8_11use_defaultESE_EEEENSA_INSB_IlSD_SE_SE_EEEEZNS1_13binary_searchIS3_S5_NSA_INS8_10device_ptrIyEEEESG_SI_NS1_21lower_bound_search_opENS9_16wrapped_functionINS8_6system6detail7generic6detail18binary_search_lessEbEEEE10hipError_tPvRmT1_T2_T3_mmT4_T5_P12ihipStream_tbEUlRKyE_EESV_SZ_S10_mS11_S14_bEUlT_E_NS1_11comp_targetILNS1_3genE0ELNS1_11target_archE4294967295ELNS1_3gpuE0ELNS1_3repE0EEENS1_30default_config_static_selectorELNS0_4arch9wavefront6targetE1EEEvSY_.uses_vcc, 0
	.set _ZN7rocprim17ROCPRIM_400000_NS6detail17trampoline_kernelINS0_14default_configENS1_27lower_bound_config_selectorIylEEZNS1_14transform_implILb0ES3_S5_N6thrust23THRUST_200600_302600_NS6detail15normal_iteratorINS8_7pointerIyNS8_11hip_rocprim5par_tENS8_11use_defaultESE_EEEENSA_INSB_IlSD_SE_SE_EEEEZNS1_13binary_searchIS3_S5_NSA_INS8_10device_ptrIyEEEESG_SI_NS1_21lower_bound_search_opENS9_16wrapped_functionINS8_6system6detail7generic6detail18binary_search_lessEbEEEE10hipError_tPvRmT1_T2_T3_mmT4_T5_P12ihipStream_tbEUlRKyE_EESV_SZ_S10_mS11_S14_bEUlT_E_NS1_11comp_targetILNS1_3genE0ELNS1_11target_archE4294967295ELNS1_3gpuE0ELNS1_3repE0EEENS1_30default_config_static_selectorELNS0_4arch9wavefront6targetE1EEEvSY_.uses_flat_scratch, 0
	.set _ZN7rocprim17ROCPRIM_400000_NS6detail17trampoline_kernelINS0_14default_configENS1_27lower_bound_config_selectorIylEEZNS1_14transform_implILb0ES3_S5_N6thrust23THRUST_200600_302600_NS6detail15normal_iteratorINS8_7pointerIyNS8_11hip_rocprim5par_tENS8_11use_defaultESE_EEEENSA_INSB_IlSD_SE_SE_EEEEZNS1_13binary_searchIS3_S5_NSA_INS8_10device_ptrIyEEEESG_SI_NS1_21lower_bound_search_opENS9_16wrapped_functionINS8_6system6detail7generic6detail18binary_search_lessEbEEEE10hipError_tPvRmT1_T2_T3_mmT4_T5_P12ihipStream_tbEUlRKyE_EESV_SZ_S10_mS11_S14_bEUlT_E_NS1_11comp_targetILNS1_3genE0ELNS1_11target_archE4294967295ELNS1_3gpuE0ELNS1_3repE0EEENS1_30default_config_static_selectorELNS0_4arch9wavefront6targetE1EEEvSY_.has_dyn_sized_stack, 0
	.set _ZN7rocprim17ROCPRIM_400000_NS6detail17trampoline_kernelINS0_14default_configENS1_27lower_bound_config_selectorIylEEZNS1_14transform_implILb0ES3_S5_N6thrust23THRUST_200600_302600_NS6detail15normal_iteratorINS8_7pointerIyNS8_11hip_rocprim5par_tENS8_11use_defaultESE_EEEENSA_INSB_IlSD_SE_SE_EEEEZNS1_13binary_searchIS3_S5_NSA_INS8_10device_ptrIyEEEESG_SI_NS1_21lower_bound_search_opENS9_16wrapped_functionINS8_6system6detail7generic6detail18binary_search_lessEbEEEE10hipError_tPvRmT1_T2_T3_mmT4_T5_P12ihipStream_tbEUlRKyE_EESV_SZ_S10_mS11_S14_bEUlT_E_NS1_11comp_targetILNS1_3genE0ELNS1_11target_archE4294967295ELNS1_3gpuE0ELNS1_3repE0EEENS1_30default_config_static_selectorELNS0_4arch9wavefront6targetE1EEEvSY_.has_recursion, 0
	.set _ZN7rocprim17ROCPRIM_400000_NS6detail17trampoline_kernelINS0_14default_configENS1_27lower_bound_config_selectorIylEEZNS1_14transform_implILb0ES3_S5_N6thrust23THRUST_200600_302600_NS6detail15normal_iteratorINS8_7pointerIyNS8_11hip_rocprim5par_tENS8_11use_defaultESE_EEEENSA_INSB_IlSD_SE_SE_EEEEZNS1_13binary_searchIS3_S5_NSA_INS8_10device_ptrIyEEEESG_SI_NS1_21lower_bound_search_opENS9_16wrapped_functionINS8_6system6detail7generic6detail18binary_search_lessEbEEEE10hipError_tPvRmT1_T2_T3_mmT4_T5_P12ihipStream_tbEUlRKyE_EESV_SZ_S10_mS11_S14_bEUlT_E_NS1_11comp_targetILNS1_3genE0ELNS1_11target_archE4294967295ELNS1_3gpuE0ELNS1_3repE0EEENS1_30default_config_static_selectorELNS0_4arch9wavefront6targetE1EEEvSY_.has_indirect_call, 0
	.section	.AMDGPU.csdata,"",@progbits
; Kernel info:
; codeLenInByte = 0
; TotalNumSgprs: 4
; NumVgprs: 0
; ScratchSize: 0
; MemoryBound: 0
; FloatMode: 240
; IeeeMode: 1
; LDSByteSize: 0 bytes/workgroup (compile time only)
; SGPRBlocks: 0
; VGPRBlocks: 0
; NumSGPRsForWavesPerEU: 4
; NumVGPRsForWavesPerEU: 1
; Occupancy: 10
; WaveLimiterHint : 0
; COMPUTE_PGM_RSRC2:SCRATCH_EN: 0
; COMPUTE_PGM_RSRC2:USER_SGPR: 6
; COMPUTE_PGM_RSRC2:TRAP_HANDLER: 0
; COMPUTE_PGM_RSRC2:TGID_X_EN: 1
; COMPUTE_PGM_RSRC2:TGID_Y_EN: 0
; COMPUTE_PGM_RSRC2:TGID_Z_EN: 0
; COMPUTE_PGM_RSRC2:TIDIG_COMP_CNT: 0
	.section	.text._ZN7rocprim17ROCPRIM_400000_NS6detail17trampoline_kernelINS0_14default_configENS1_27lower_bound_config_selectorIylEEZNS1_14transform_implILb0ES3_S5_N6thrust23THRUST_200600_302600_NS6detail15normal_iteratorINS8_7pointerIyNS8_11hip_rocprim5par_tENS8_11use_defaultESE_EEEENSA_INSB_IlSD_SE_SE_EEEEZNS1_13binary_searchIS3_S5_NSA_INS8_10device_ptrIyEEEESG_SI_NS1_21lower_bound_search_opENS9_16wrapped_functionINS8_6system6detail7generic6detail18binary_search_lessEbEEEE10hipError_tPvRmT1_T2_T3_mmT4_T5_P12ihipStream_tbEUlRKyE_EESV_SZ_S10_mS11_S14_bEUlT_E_NS1_11comp_targetILNS1_3genE5ELNS1_11target_archE942ELNS1_3gpuE9ELNS1_3repE0EEENS1_30default_config_static_selectorELNS0_4arch9wavefront6targetE1EEEvSY_,"axG",@progbits,_ZN7rocprim17ROCPRIM_400000_NS6detail17trampoline_kernelINS0_14default_configENS1_27lower_bound_config_selectorIylEEZNS1_14transform_implILb0ES3_S5_N6thrust23THRUST_200600_302600_NS6detail15normal_iteratorINS8_7pointerIyNS8_11hip_rocprim5par_tENS8_11use_defaultESE_EEEENSA_INSB_IlSD_SE_SE_EEEEZNS1_13binary_searchIS3_S5_NSA_INS8_10device_ptrIyEEEESG_SI_NS1_21lower_bound_search_opENS9_16wrapped_functionINS8_6system6detail7generic6detail18binary_search_lessEbEEEE10hipError_tPvRmT1_T2_T3_mmT4_T5_P12ihipStream_tbEUlRKyE_EESV_SZ_S10_mS11_S14_bEUlT_E_NS1_11comp_targetILNS1_3genE5ELNS1_11target_archE942ELNS1_3gpuE9ELNS1_3repE0EEENS1_30default_config_static_selectorELNS0_4arch9wavefront6targetE1EEEvSY_,comdat
	.protected	_ZN7rocprim17ROCPRIM_400000_NS6detail17trampoline_kernelINS0_14default_configENS1_27lower_bound_config_selectorIylEEZNS1_14transform_implILb0ES3_S5_N6thrust23THRUST_200600_302600_NS6detail15normal_iteratorINS8_7pointerIyNS8_11hip_rocprim5par_tENS8_11use_defaultESE_EEEENSA_INSB_IlSD_SE_SE_EEEEZNS1_13binary_searchIS3_S5_NSA_INS8_10device_ptrIyEEEESG_SI_NS1_21lower_bound_search_opENS9_16wrapped_functionINS8_6system6detail7generic6detail18binary_search_lessEbEEEE10hipError_tPvRmT1_T2_T3_mmT4_T5_P12ihipStream_tbEUlRKyE_EESV_SZ_S10_mS11_S14_bEUlT_E_NS1_11comp_targetILNS1_3genE5ELNS1_11target_archE942ELNS1_3gpuE9ELNS1_3repE0EEENS1_30default_config_static_selectorELNS0_4arch9wavefront6targetE1EEEvSY_ ; -- Begin function _ZN7rocprim17ROCPRIM_400000_NS6detail17trampoline_kernelINS0_14default_configENS1_27lower_bound_config_selectorIylEEZNS1_14transform_implILb0ES3_S5_N6thrust23THRUST_200600_302600_NS6detail15normal_iteratorINS8_7pointerIyNS8_11hip_rocprim5par_tENS8_11use_defaultESE_EEEENSA_INSB_IlSD_SE_SE_EEEEZNS1_13binary_searchIS3_S5_NSA_INS8_10device_ptrIyEEEESG_SI_NS1_21lower_bound_search_opENS9_16wrapped_functionINS8_6system6detail7generic6detail18binary_search_lessEbEEEE10hipError_tPvRmT1_T2_T3_mmT4_T5_P12ihipStream_tbEUlRKyE_EESV_SZ_S10_mS11_S14_bEUlT_E_NS1_11comp_targetILNS1_3genE5ELNS1_11target_archE942ELNS1_3gpuE9ELNS1_3repE0EEENS1_30default_config_static_selectorELNS0_4arch9wavefront6targetE1EEEvSY_
	.globl	_ZN7rocprim17ROCPRIM_400000_NS6detail17trampoline_kernelINS0_14default_configENS1_27lower_bound_config_selectorIylEEZNS1_14transform_implILb0ES3_S5_N6thrust23THRUST_200600_302600_NS6detail15normal_iteratorINS8_7pointerIyNS8_11hip_rocprim5par_tENS8_11use_defaultESE_EEEENSA_INSB_IlSD_SE_SE_EEEEZNS1_13binary_searchIS3_S5_NSA_INS8_10device_ptrIyEEEESG_SI_NS1_21lower_bound_search_opENS9_16wrapped_functionINS8_6system6detail7generic6detail18binary_search_lessEbEEEE10hipError_tPvRmT1_T2_T3_mmT4_T5_P12ihipStream_tbEUlRKyE_EESV_SZ_S10_mS11_S14_bEUlT_E_NS1_11comp_targetILNS1_3genE5ELNS1_11target_archE942ELNS1_3gpuE9ELNS1_3repE0EEENS1_30default_config_static_selectorELNS0_4arch9wavefront6targetE1EEEvSY_
	.p2align	8
	.type	_ZN7rocprim17ROCPRIM_400000_NS6detail17trampoline_kernelINS0_14default_configENS1_27lower_bound_config_selectorIylEEZNS1_14transform_implILb0ES3_S5_N6thrust23THRUST_200600_302600_NS6detail15normal_iteratorINS8_7pointerIyNS8_11hip_rocprim5par_tENS8_11use_defaultESE_EEEENSA_INSB_IlSD_SE_SE_EEEEZNS1_13binary_searchIS3_S5_NSA_INS8_10device_ptrIyEEEESG_SI_NS1_21lower_bound_search_opENS9_16wrapped_functionINS8_6system6detail7generic6detail18binary_search_lessEbEEEE10hipError_tPvRmT1_T2_T3_mmT4_T5_P12ihipStream_tbEUlRKyE_EESV_SZ_S10_mS11_S14_bEUlT_E_NS1_11comp_targetILNS1_3genE5ELNS1_11target_archE942ELNS1_3gpuE9ELNS1_3repE0EEENS1_30default_config_static_selectorELNS0_4arch9wavefront6targetE1EEEvSY_,@function
_ZN7rocprim17ROCPRIM_400000_NS6detail17trampoline_kernelINS0_14default_configENS1_27lower_bound_config_selectorIylEEZNS1_14transform_implILb0ES3_S5_N6thrust23THRUST_200600_302600_NS6detail15normal_iteratorINS8_7pointerIyNS8_11hip_rocprim5par_tENS8_11use_defaultESE_EEEENSA_INSB_IlSD_SE_SE_EEEEZNS1_13binary_searchIS3_S5_NSA_INS8_10device_ptrIyEEEESG_SI_NS1_21lower_bound_search_opENS9_16wrapped_functionINS8_6system6detail7generic6detail18binary_search_lessEbEEEE10hipError_tPvRmT1_T2_T3_mmT4_T5_P12ihipStream_tbEUlRKyE_EESV_SZ_S10_mS11_S14_bEUlT_E_NS1_11comp_targetILNS1_3genE5ELNS1_11target_archE942ELNS1_3gpuE9ELNS1_3repE0EEENS1_30default_config_static_selectorELNS0_4arch9wavefront6targetE1EEEvSY_: ; @_ZN7rocprim17ROCPRIM_400000_NS6detail17trampoline_kernelINS0_14default_configENS1_27lower_bound_config_selectorIylEEZNS1_14transform_implILb0ES3_S5_N6thrust23THRUST_200600_302600_NS6detail15normal_iteratorINS8_7pointerIyNS8_11hip_rocprim5par_tENS8_11use_defaultESE_EEEENSA_INSB_IlSD_SE_SE_EEEEZNS1_13binary_searchIS3_S5_NSA_INS8_10device_ptrIyEEEESG_SI_NS1_21lower_bound_search_opENS9_16wrapped_functionINS8_6system6detail7generic6detail18binary_search_lessEbEEEE10hipError_tPvRmT1_T2_T3_mmT4_T5_P12ihipStream_tbEUlRKyE_EESV_SZ_S10_mS11_S14_bEUlT_E_NS1_11comp_targetILNS1_3genE5ELNS1_11target_archE942ELNS1_3gpuE9ELNS1_3repE0EEENS1_30default_config_static_selectorELNS0_4arch9wavefront6targetE1EEEvSY_
; %bb.0:
	.section	.rodata,"a",@progbits
	.p2align	6, 0x0
	.amdhsa_kernel _ZN7rocprim17ROCPRIM_400000_NS6detail17trampoline_kernelINS0_14default_configENS1_27lower_bound_config_selectorIylEEZNS1_14transform_implILb0ES3_S5_N6thrust23THRUST_200600_302600_NS6detail15normal_iteratorINS8_7pointerIyNS8_11hip_rocprim5par_tENS8_11use_defaultESE_EEEENSA_INSB_IlSD_SE_SE_EEEEZNS1_13binary_searchIS3_S5_NSA_INS8_10device_ptrIyEEEESG_SI_NS1_21lower_bound_search_opENS9_16wrapped_functionINS8_6system6detail7generic6detail18binary_search_lessEbEEEE10hipError_tPvRmT1_T2_T3_mmT4_T5_P12ihipStream_tbEUlRKyE_EESV_SZ_S10_mS11_S14_bEUlT_E_NS1_11comp_targetILNS1_3genE5ELNS1_11target_archE942ELNS1_3gpuE9ELNS1_3repE0EEENS1_30default_config_static_selectorELNS0_4arch9wavefront6targetE1EEEvSY_
		.amdhsa_group_segment_fixed_size 0
		.amdhsa_private_segment_fixed_size 0
		.amdhsa_kernarg_size 56
		.amdhsa_user_sgpr_count 6
		.amdhsa_user_sgpr_private_segment_buffer 1
		.amdhsa_user_sgpr_dispatch_ptr 0
		.amdhsa_user_sgpr_queue_ptr 0
		.amdhsa_user_sgpr_kernarg_segment_ptr 1
		.amdhsa_user_sgpr_dispatch_id 0
		.amdhsa_user_sgpr_flat_scratch_init 0
		.amdhsa_user_sgpr_private_segment_size 0
		.amdhsa_uses_dynamic_stack 0
		.amdhsa_system_sgpr_private_segment_wavefront_offset 0
		.amdhsa_system_sgpr_workgroup_id_x 1
		.amdhsa_system_sgpr_workgroup_id_y 0
		.amdhsa_system_sgpr_workgroup_id_z 0
		.amdhsa_system_sgpr_workgroup_info 0
		.amdhsa_system_vgpr_workitem_id 0
		.amdhsa_next_free_vgpr 1
		.amdhsa_next_free_sgpr 0
		.amdhsa_reserve_vcc 0
		.amdhsa_reserve_flat_scratch 0
		.amdhsa_float_round_mode_32 0
		.amdhsa_float_round_mode_16_64 0
		.amdhsa_float_denorm_mode_32 3
		.amdhsa_float_denorm_mode_16_64 3
		.amdhsa_dx10_clamp 1
		.amdhsa_ieee_mode 1
		.amdhsa_fp16_overflow 0
		.amdhsa_exception_fp_ieee_invalid_op 0
		.amdhsa_exception_fp_denorm_src 0
		.amdhsa_exception_fp_ieee_div_zero 0
		.amdhsa_exception_fp_ieee_overflow 0
		.amdhsa_exception_fp_ieee_underflow 0
		.amdhsa_exception_fp_ieee_inexact 0
		.amdhsa_exception_int_div_zero 0
	.end_amdhsa_kernel
	.section	.text._ZN7rocprim17ROCPRIM_400000_NS6detail17trampoline_kernelINS0_14default_configENS1_27lower_bound_config_selectorIylEEZNS1_14transform_implILb0ES3_S5_N6thrust23THRUST_200600_302600_NS6detail15normal_iteratorINS8_7pointerIyNS8_11hip_rocprim5par_tENS8_11use_defaultESE_EEEENSA_INSB_IlSD_SE_SE_EEEEZNS1_13binary_searchIS3_S5_NSA_INS8_10device_ptrIyEEEESG_SI_NS1_21lower_bound_search_opENS9_16wrapped_functionINS8_6system6detail7generic6detail18binary_search_lessEbEEEE10hipError_tPvRmT1_T2_T3_mmT4_T5_P12ihipStream_tbEUlRKyE_EESV_SZ_S10_mS11_S14_bEUlT_E_NS1_11comp_targetILNS1_3genE5ELNS1_11target_archE942ELNS1_3gpuE9ELNS1_3repE0EEENS1_30default_config_static_selectorELNS0_4arch9wavefront6targetE1EEEvSY_,"axG",@progbits,_ZN7rocprim17ROCPRIM_400000_NS6detail17trampoline_kernelINS0_14default_configENS1_27lower_bound_config_selectorIylEEZNS1_14transform_implILb0ES3_S5_N6thrust23THRUST_200600_302600_NS6detail15normal_iteratorINS8_7pointerIyNS8_11hip_rocprim5par_tENS8_11use_defaultESE_EEEENSA_INSB_IlSD_SE_SE_EEEEZNS1_13binary_searchIS3_S5_NSA_INS8_10device_ptrIyEEEESG_SI_NS1_21lower_bound_search_opENS9_16wrapped_functionINS8_6system6detail7generic6detail18binary_search_lessEbEEEE10hipError_tPvRmT1_T2_T3_mmT4_T5_P12ihipStream_tbEUlRKyE_EESV_SZ_S10_mS11_S14_bEUlT_E_NS1_11comp_targetILNS1_3genE5ELNS1_11target_archE942ELNS1_3gpuE9ELNS1_3repE0EEENS1_30default_config_static_selectorELNS0_4arch9wavefront6targetE1EEEvSY_,comdat
.Lfunc_end359:
	.size	_ZN7rocprim17ROCPRIM_400000_NS6detail17trampoline_kernelINS0_14default_configENS1_27lower_bound_config_selectorIylEEZNS1_14transform_implILb0ES3_S5_N6thrust23THRUST_200600_302600_NS6detail15normal_iteratorINS8_7pointerIyNS8_11hip_rocprim5par_tENS8_11use_defaultESE_EEEENSA_INSB_IlSD_SE_SE_EEEEZNS1_13binary_searchIS3_S5_NSA_INS8_10device_ptrIyEEEESG_SI_NS1_21lower_bound_search_opENS9_16wrapped_functionINS8_6system6detail7generic6detail18binary_search_lessEbEEEE10hipError_tPvRmT1_T2_T3_mmT4_T5_P12ihipStream_tbEUlRKyE_EESV_SZ_S10_mS11_S14_bEUlT_E_NS1_11comp_targetILNS1_3genE5ELNS1_11target_archE942ELNS1_3gpuE9ELNS1_3repE0EEENS1_30default_config_static_selectorELNS0_4arch9wavefront6targetE1EEEvSY_, .Lfunc_end359-_ZN7rocprim17ROCPRIM_400000_NS6detail17trampoline_kernelINS0_14default_configENS1_27lower_bound_config_selectorIylEEZNS1_14transform_implILb0ES3_S5_N6thrust23THRUST_200600_302600_NS6detail15normal_iteratorINS8_7pointerIyNS8_11hip_rocprim5par_tENS8_11use_defaultESE_EEEENSA_INSB_IlSD_SE_SE_EEEEZNS1_13binary_searchIS3_S5_NSA_INS8_10device_ptrIyEEEESG_SI_NS1_21lower_bound_search_opENS9_16wrapped_functionINS8_6system6detail7generic6detail18binary_search_lessEbEEEE10hipError_tPvRmT1_T2_T3_mmT4_T5_P12ihipStream_tbEUlRKyE_EESV_SZ_S10_mS11_S14_bEUlT_E_NS1_11comp_targetILNS1_3genE5ELNS1_11target_archE942ELNS1_3gpuE9ELNS1_3repE0EEENS1_30default_config_static_selectorELNS0_4arch9wavefront6targetE1EEEvSY_
                                        ; -- End function
	.set _ZN7rocprim17ROCPRIM_400000_NS6detail17trampoline_kernelINS0_14default_configENS1_27lower_bound_config_selectorIylEEZNS1_14transform_implILb0ES3_S5_N6thrust23THRUST_200600_302600_NS6detail15normal_iteratorINS8_7pointerIyNS8_11hip_rocprim5par_tENS8_11use_defaultESE_EEEENSA_INSB_IlSD_SE_SE_EEEEZNS1_13binary_searchIS3_S5_NSA_INS8_10device_ptrIyEEEESG_SI_NS1_21lower_bound_search_opENS9_16wrapped_functionINS8_6system6detail7generic6detail18binary_search_lessEbEEEE10hipError_tPvRmT1_T2_T3_mmT4_T5_P12ihipStream_tbEUlRKyE_EESV_SZ_S10_mS11_S14_bEUlT_E_NS1_11comp_targetILNS1_3genE5ELNS1_11target_archE942ELNS1_3gpuE9ELNS1_3repE0EEENS1_30default_config_static_selectorELNS0_4arch9wavefront6targetE1EEEvSY_.num_vgpr, 0
	.set _ZN7rocprim17ROCPRIM_400000_NS6detail17trampoline_kernelINS0_14default_configENS1_27lower_bound_config_selectorIylEEZNS1_14transform_implILb0ES3_S5_N6thrust23THRUST_200600_302600_NS6detail15normal_iteratorINS8_7pointerIyNS8_11hip_rocprim5par_tENS8_11use_defaultESE_EEEENSA_INSB_IlSD_SE_SE_EEEEZNS1_13binary_searchIS3_S5_NSA_INS8_10device_ptrIyEEEESG_SI_NS1_21lower_bound_search_opENS9_16wrapped_functionINS8_6system6detail7generic6detail18binary_search_lessEbEEEE10hipError_tPvRmT1_T2_T3_mmT4_T5_P12ihipStream_tbEUlRKyE_EESV_SZ_S10_mS11_S14_bEUlT_E_NS1_11comp_targetILNS1_3genE5ELNS1_11target_archE942ELNS1_3gpuE9ELNS1_3repE0EEENS1_30default_config_static_selectorELNS0_4arch9wavefront6targetE1EEEvSY_.num_agpr, 0
	.set _ZN7rocprim17ROCPRIM_400000_NS6detail17trampoline_kernelINS0_14default_configENS1_27lower_bound_config_selectorIylEEZNS1_14transform_implILb0ES3_S5_N6thrust23THRUST_200600_302600_NS6detail15normal_iteratorINS8_7pointerIyNS8_11hip_rocprim5par_tENS8_11use_defaultESE_EEEENSA_INSB_IlSD_SE_SE_EEEEZNS1_13binary_searchIS3_S5_NSA_INS8_10device_ptrIyEEEESG_SI_NS1_21lower_bound_search_opENS9_16wrapped_functionINS8_6system6detail7generic6detail18binary_search_lessEbEEEE10hipError_tPvRmT1_T2_T3_mmT4_T5_P12ihipStream_tbEUlRKyE_EESV_SZ_S10_mS11_S14_bEUlT_E_NS1_11comp_targetILNS1_3genE5ELNS1_11target_archE942ELNS1_3gpuE9ELNS1_3repE0EEENS1_30default_config_static_selectorELNS0_4arch9wavefront6targetE1EEEvSY_.numbered_sgpr, 0
	.set _ZN7rocprim17ROCPRIM_400000_NS6detail17trampoline_kernelINS0_14default_configENS1_27lower_bound_config_selectorIylEEZNS1_14transform_implILb0ES3_S5_N6thrust23THRUST_200600_302600_NS6detail15normal_iteratorINS8_7pointerIyNS8_11hip_rocprim5par_tENS8_11use_defaultESE_EEEENSA_INSB_IlSD_SE_SE_EEEEZNS1_13binary_searchIS3_S5_NSA_INS8_10device_ptrIyEEEESG_SI_NS1_21lower_bound_search_opENS9_16wrapped_functionINS8_6system6detail7generic6detail18binary_search_lessEbEEEE10hipError_tPvRmT1_T2_T3_mmT4_T5_P12ihipStream_tbEUlRKyE_EESV_SZ_S10_mS11_S14_bEUlT_E_NS1_11comp_targetILNS1_3genE5ELNS1_11target_archE942ELNS1_3gpuE9ELNS1_3repE0EEENS1_30default_config_static_selectorELNS0_4arch9wavefront6targetE1EEEvSY_.num_named_barrier, 0
	.set _ZN7rocprim17ROCPRIM_400000_NS6detail17trampoline_kernelINS0_14default_configENS1_27lower_bound_config_selectorIylEEZNS1_14transform_implILb0ES3_S5_N6thrust23THRUST_200600_302600_NS6detail15normal_iteratorINS8_7pointerIyNS8_11hip_rocprim5par_tENS8_11use_defaultESE_EEEENSA_INSB_IlSD_SE_SE_EEEEZNS1_13binary_searchIS3_S5_NSA_INS8_10device_ptrIyEEEESG_SI_NS1_21lower_bound_search_opENS9_16wrapped_functionINS8_6system6detail7generic6detail18binary_search_lessEbEEEE10hipError_tPvRmT1_T2_T3_mmT4_T5_P12ihipStream_tbEUlRKyE_EESV_SZ_S10_mS11_S14_bEUlT_E_NS1_11comp_targetILNS1_3genE5ELNS1_11target_archE942ELNS1_3gpuE9ELNS1_3repE0EEENS1_30default_config_static_selectorELNS0_4arch9wavefront6targetE1EEEvSY_.private_seg_size, 0
	.set _ZN7rocprim17ROCPRIM_400000_NS6detail17trampoline_kernelINS0_14default_configENS1_27lower_bound_config_selectorIylEEZNS1_14transform_implILb0ES3_S5_N6thrust23THRUST_200600_302600_NS6detail15normal_iteratorINS8_7pointerIyNS8_11hip_rocprim5par_tENS8_11use_defaultESE_EEEENSA_INSB_IlSD_SE_SE_EEEEZNS1_13binary_searchIS3_S5_NSA_INS8_10device_ptrIyEEEESG_SI_NS1_21lower_bound_search_opENS9_16wrapped_functionINS8_6system6detail7generic6detail18binary_search_lessEbEEEE10hipError_tPvRmT1_T2_T3_mmT4_T5_P12ihipStream_tbEUlRKyE_EESV_SZ_S10_mS11_S14_bEUlT_E_NS1_11comp_targetILNS1_3genE5ELNS1_11target_archE942ELNS1_3gpuE9ELNS1_3repE0EEENS1_30default_config_static_selectorELNS0_4arch9wavefront6targetE1EEEvSY_.uses_vcc, 0
	.set _ZN7rocprim17ROCPRIM_400000_NS6detail17trampoline_kernelINS0_14default_configENS1_27lower_bound_config_selectorIylEEZNS1_14transform_implILb0ES3_S5_N6thrust23THRUST_200600_302600_NS6detail15normal_iteratorINS8_7pointerIyNS8_11hip_rocprim5par_tENS8_11use_defaultESE_EEEENSA_INSB_IlSD_SE_SE_EEEEZNS1_13binary_searchIS3_S5_NSA_INS8_10device_ptrIyEEEESG_SI_NS1_21lower_bound_search_opENS9_16wrapped_functionINS8_6system6detail7generic6detail18binary_search_lessEbEEEE10hipError_tPvRmT1_T2_T3_mmT4_T5_P12ihipStream_tbEUlRKyE_EESV_SZ_S10_mS11_S14_bEUlT_E_NS1_11comp_targetILNS1_3genE5ELNS1_11target_archE942ELNS1_3gpuE9ELNS1_3repE0EEENS1_30default_config_static_selectorELNS0_4arch9wavefront6targetE1EEEvSY_.uses_flat_scratch, 0
	.set _ZN7rocprim17ROCPRIM_400000_NS6detail17trampoline_kernelINS0_14default_configENS1_27lower_bound_config_selectorIylEEZNS1_14transform_implILb0ES3_S5_N6thrust23THRUST_200600_302600_NS6detail15normal_iteratorINS8_7pointerIyNS8_11hip_rocprim5par_tENS8_11use_defaultESE_EEEENSA_INSB_IlSD_SE_SE_EEEEZNS1_13binary_searchIS3_S5_NSA_INS8_10device_ptrIyEEEESG_SI_NS1_21lower_bound_search_opENS9_16wrapped_functionINS8_6system6detail7generic6detail18binary_search_lessEbEEEE10hipError_tPvRmT1_T2_T3_mmT4_T5_P12ihipStream_tbEUlRKyE_EESV_SZ_S10_mS11_S14_bEUlT_E_NS1_11comp_targetILNS1_3genE5ELNS1_11target_archE942ELNS1_3gpuE9ELNS1_3repE0EEENS1_30default_config_static_selectorELNS0_4arch9wavefront6targetE1EEEvSY_.has_dyn_sized_stack, 0
	.set _ZN7rocprim17ROCPRIM_400000_NS6detail17trampoline_kernelINS0_14default_configENS1_27lower_bound_config_selectorIylEEZNS1_14transform_implILb0ES3_S5_N6thrust23THRUST_200600_302600_NS6detail15normal_iteratorINS8_7pointerIyNS8_11hip_rocprim5par_tENS8_11use_defaultESE_EEEENSA_INSB_IlSD_SE_SE_EEEEZNS1_13binary_searchIS3_S5_NSA_INS8_10device_ptrIyEEEESG_SI_NS1_21lower_bound_search_opENS9_16wrapped_functionINS8_6system6detail7generic6detail18binary_search_lessEbEEEE10hipError_tPvRmT1_T2_T3_mmT4_T5_P12ihipStream_tbEUlRKyE_EESV_SZ_S10_mS11_S14_bEUlT_E_NS1_11comp_targetILNS1_3genE5ELNS1_11target_archE942ELNS1_3gpuE9ELNS1_3repE0EEENS1_30default_config_static_selectorELNS0_4arch9wavefront6targetE1EEEvSY_.has_recursion, 0
	.set _ZN7rocprim17ROCPRIM_400000_NS6detail17trampoline_kernelINS0_14default_configENS1_27lower_bound_config_selectorIylEEZNS1_14transform_implILb0ES3_S5_N6thrust23THRUST_200600_302600_NS6detail15normal_iteratorINS8_7pointerIyNS8_11hip_rocprim5par_tENS8_11use_defaultESE_EEEENSA_INSB_IlSD_SE_SE_EEEEZNS1_13binary_searchIS3_S5_NSA_INS8_10device_ptrIyEEEESG_SI_NS1_21lower_bound_search_opENS9_16wrapped_functionINS8_6system6detail7generic6detail18binary_search_lessEbEEEE10hipError_tPvRmT1_T2_T3_mmT4_T5_P12ihipStream_tbEUlRKyE_EESV_SZ_S10_mS11_S14_bEUlT_E_NS1_11comp_targetILNS1_3genE5ELNS1_11target_archE942ELNS1_3gpuE9ELNS1_3repE0EEENS1_30default_config_static_selectorELNS0_4arch9wavefront6targetE1EEEvSY_.has_indirect_call, 0
	.section	.AMDGPU.csdata,"",@progbits
; Kernel info:
; codeLenInByte = 0
; TotalNumSgprs: 4
; NumVgprs: 0
; ScratchSize: 0
; MemoryBound: 0
; FloatMode: 240
; IeeeMode: 1
; LDSByteSize: 0 bytes/workgroup (compile time only)
; SGPRBlocks: 0
; VGPRBlocks: 0
; NumSGPRsForWavesPerEU: 4
; NumVGPRsForWavesPerEU: 1
; Occupancy: 10
; WaveLimiterHint : 0
; COMPUTE_PGM_RSRC2:SCRATCH_EN: 0
; COMPUTE_PGM_RSRC2:USER_SGPR: 6
; COMPUTE_PGM_RSRC2:TRAP_HANDLER: 0
; COMPUTE_PGM_RSRC2:TGID_X_EN: 1
; COMPUTE_PGM_RSRC2:TGID_Y_EN: 0
; COMPUTE_PGM_RSRC2:TGID_Z_EN: 0
; COMPUTE_PGM_RSRC2:TIDIG_COMP_CNT: 0
	.section	.text._ZN7rocprim17ROCPRIM_400000_NS6detail17trampoline_kernelINS0_14default_configENS1_27lower_bound_config_selectorIylEEZNS1_14transform_implILb0ES3_S5_N6thrust23THRUST_200600_302600_NS6detail15normal_iteratorINS8_7pointerIyNS8_11hip_rocprim5par_tENS8_11use_defaultESE_EEEENSA_INSB_IlSD_SE_SE_EEEEZNS1_13binary_searchIS3_S5_NSA_INS8_10device_ptrIyEEEESG_SI_NS1_21lower_bound_search_opENS9_16wrapped_functionINS8_6system6detail7generic6detail18binary_search_lessEbEEEE10hipError_tPvRmT1_T2_T3_mmT4_T5_P12ihipStream_tbEUlRKyE_EESV_SZ_S10_mS11_S14_bEUlT_E_NS1_11comp_targetILNS1_3genE4ELNS1_11target_archE910ELNS1_3gpuE8ELNS1_3repE0EEENS1_30default_config_static_selectorELNS0_4arch9wavefront6targetE1EEEvSY_,"axG",@progbits,_ZN7rocprim17ROCPRIM_400000_NS6detail17trampoline_kernelINS0_14default_configENS1_27lower_bound_config_selectorIylEEZNS1_14transform_implILb0ES3_S5_N6thrust23THRUST_200600_302600_NS6detail15normal_iteratorINS8_7pointerIyNS8_11hip_rocprim5par_tENS8_11use_defaultESE_EEEENSA_INSB_IlSD_SE_SE_EEEEZNS1_13binary_searchIS3_S5_NSA_INS8_10device_ptrIyEEEESG_SI_NS1_21lower_bound_search_opENS9_16wrapped_functionINS8_6system6detail7generic6detail18binary_search_lessEbEEEE10hipError_tPvRmT1_T2_T3_mmT4_T5_P12ihipStream_tbEUlRKyE_EESV_SZ_S10_mS11_S14_bEUlT_E_NS1_11comp_targetILNS1_3genE4ELNS1_11target_archE910ELNS1_3gpuE8ELNS1_3repE0EEENS1_30default_config_static_selectorELNS0_4arch9wavefront6targetE1EEEvSY_,comdat
	.protected	_ZN7rocprim17ROCPRIM_400000_NS6detail17trampoline_kernelINS0_14default_configENS1_27lower_bound_config_selectorIylEEZNS1_14transform_implILb0ES3_S5_N6thrust23THRUST_200600_302600_NS6detail15normal_iteratorINS8_7pointerIyNS8_11hip_rocprim5par_tENS8_11use_defaultESE_EEEENSA_INSB_IlSD_SE_SE_EEEEZNS1_13binary_searchIS3_S5_NSA_INS8_10device_ptrIyEEEESG_SI_NS1_21lower_bound_search_opENS9_16wrapped_functionINS8_6system6detail7generic6detail18binary_search_lessEbEEEE10hipError_tPvRmT1_T2_T3_mmT4_T5_P12ihipStream_tbEUlRKyE_EESV_SZ_S10_mS11_S14_bEUlT_E_NS1_11comp_targetILNS1_3genE4ELNS1_11target_archE910ELNS1_3gpuE8ELNS1_3repE0EEENS1_30default_config_static_selectorELNS0_4arch9wavefront6targetE1EEEvSY_ ; -- Begin function _ZN7rocprim17ROCPRIM_400000_NS6detail17trampoline_kernelINS0_14default_configENS1_27lower_bound_config_selectorIylEEZNS1_14transform_implILb0ES3_S5_N6thrust23THRUST_200600_302600_NS6detail15normal_iteratorINS8_7pointerIyNS8_11hip_rocprim5par_tENS8_11use_defaultESE_EEEENSA_INSB_IlSD_SE_SE_EEEEZNS1_13binary_searchIS3_S5_NSA_INS8_10device_ptrIyEEEESG_SI_NS1_21lower_bound_search_opENS9_16wrapped_functionINS8_6system6detail7generic6detail18binary_search_lessEbEEEE10hipError_tPvRmT1_T2_T3_mmT4_T5_P12ihipStream_tbEUlRKyE_EESV_SZ_S10_mS11_S14_bEUlT_E_NS1_11comp_targetILNS1_3genE4ELNS1_11target_archE910ELNS1_3gpuE8ELNS1_3repE0EEENS1_30default_config_static_selectorELNS0_4arch9wavefront6targetE1EEEvSY_
	.globl	_ZN7rocprim17ROCPRIM_400000_NS6detail17trampoline_kernelINS0_14default_configENS1_27lower_bound_config_selectorIylEEZNS1_14transform_implILb0ES3_S5_N6thrust23THRUST_200600_302600_NS6detail15normal_iteratorINS8_7pointerIyNS8_11hip_rocprim5par_tENS8_11use_defaultESE_EEEENSA_INSB_IlSD_SE_SE_EEEEZNS1_13binary_searchIS3_S5_NSA_INS8_10device_ptrIyEEEESG_SI_NS1_21lower_bound_search_opENS9_16wrapped_functionINS8_6system6detail7generic6detail18binary_search_lessEbEEEE10hipError_tPvRmT1_T2_T3_mmT4_T5_P12ihipStream_tbEUlRKyE_EESV_SZ_S10_mS11_S14_bEUlT_E_NS1_11comp_targetILNS1_3genE4ELNS1_11target_archE910ELNS1_3gpuE8ELNS1_3repE0EEENS1_30default_config_static_selectorELNS0_4arch9wavefront6targetE1EEEvSY_
	.p2align	8
	.type	_ZN7rocprim17ROCPRIM_400000_NS6detail17trampoline_kernelINS0_14default_configENS1_27lower_bound_config_selectorIylEEZNS1_14transform_implILb0ES3_S5_N6thrust23THRUST_200600_302600_NS6detail15normal_iteratorINS8_7pointerIyNS8_11hip_rocprim5par_tENS8_11use_defaultESE_EEEENSA_INSB_IlSD_SE_SE_EEEEZNS1_13binary_searchIS3_S5_NSA_INS8_10device_ptrIyEEEESG_SI_NS1_21lower_bound_search_opENS9_16wrapped_functionINS8_6system6detail7generic6detail18binary_search_lessEbEEEE10hipError_tPvRmT1_T2_T3_mmT4_T5_P12ihipStream_tbEUlRKyE_EESV_SZ_S10_mS11_S14_bEUlT_E_NS1_11comp_targetILNS1_3genE4ELNS1_11target_archE910ELNS1_3gpuE8ELNS1_3repE0EEENS1_30default_config_static_selectorELNS0_4arch9wavefront6targetE1EEEvSY_,@function
_ZN7rocprim17ROCPRIM_400000_NS6detail17trampoline_kernelINS0_14default_configENS1_27lower_bound_config_selectorIylEEZNS1_14transform_implILb0ES3_S5_N6thrust23THRUST_200600_302600_NS6detail15normal_iteratorINS8_7pointerIyNS8_11hip_rocprim5par_tENS8_11use_defaultESE_EEEENSA_INSB_IlSD_SE_SE_EEEEZNS1_13binary_searchIS3_S5_NSA_INS8_10device_ptrIyEEEESG_SI_NS1_21lower_bound_search_opENS9_16wrapped_functionINS8_6system6detail7generic6detail18binary_search_lessEbEEEE10hipError_tPvRmT1_T2_T3_mmT4_T5_P12ihipStream_tbEUlRKyE_EESV_SZ_S10_mS11_S14_bEUlT_E_NS1_11comp_targetILNS1_3genE4ELNS1_11target_archE910ELNS1_3gpuE8ELNS1_3repE0EEENS1_30default_config_static_selectorELNS0_4arch9wavefront6targetE1EEEvSY_: ; @_ZN7rocprim17ROCPRIM_400000_NS6detail17trampoline_kernelINS0_14default_configENS1_27lower_bound_config_selectorIylEEZNS1_14transform_implILb0ES3_S5_N6thrust23THRUST_200600_302600_NS6detail15normal_iteratorINS8_7pointerIyNS8_11hip_rocprim5par_tENS8_11use_defaultESE_EEEENSA_INSB_IlSD_SE_SE_EEEEZNS1_13binary_searchIS3_S5_NSA_INS8_10device_ptrIyEEEESG_SI_NS1_21lower_bound_search_opENS9_16wrapped_functionINS8_6system6detail7generic6detail18binary_search_lessEbEEEE10hipError_tPvRmT1_T2_T3_mmT4_T5_P12ihipStream_tbEUlRKyE_EESV_SZ_S10_mS11_S14_bEUlT_E_NS1_11comp_targetILNS1_3genE4ELNS1_11target_archE910ELNS1_3gpuE8ELNS1_3repE0EEENS1_30default_config_static_selectorELNS0_4arch9wavefront6targetE1EEEvSY_
; %bb.0:
	.section	.rodata,"a",@progbits
	.p2align	6, 0x0
	.amdhsa_kernel _ZN7rocprim17ROCPRIM_400000_NS6detail17trampoline_kernelINS0_14default_configENS1_27lower_bound_config_selectorIylEEZNS1_14transform_implILb0ES3_S5_N6thrust23THRUST_200600_302600_NS6detail15normal_iteratorINS8_7pointerIyNS8_11hip_rocprim5par_tENS8_11use_defaultESE_EEEENSA_INSB_IlSD_SE_SE_EEEEZNS1_13binary_searchIS3_S5_NSA_INS8_10device_ptrIyEEEESG_SI_NS1_21lower_bound_search_opENS9_16wrapped_functionINS8_6system6detail7generic6detail18binary_search_lessEbEEEE10hipError_tPvRmT1_T2_T3_mmT4_T5_P12ihipStream_tbEUlRKyE_EESV_SZ_S10_mS11_S14_bEUlT_E_NS1_11comp_targetILNS1_3genE4ELNS1_11target_archE910ELNS1_3gpuE8ELNS1_3repE0EEENS1_30default_config_static_selectorELNS0_4arch9wavefront6targetE1EEEvSY_
		.amdhsa_group_segment_fixed_size 0
		.amdhsa_private_segment_fixed_size 0
		.amdhsa_kernarg_size 56
		.amdhsa_user_sgpr_count 6
		.amdhsa_user_sgpr_private_segment_buffer 1
		.amdhsa_user_sgpr_dispatch_ptr 0
		.amdhsa_user_sgpr_queue_ptr 0
		.amdhsa_user_sgpr_kernarg_segment_ptr 1
		.amdhsa_user_sgpr_dispatch_id 0
		.amdhsa_user_sgpr_flat_scratch_init 0
		.amdhsa_user_sgpr_private_segment_size 0
		.amdhsa_uses_dynamic_stack 0
		.amdhsa_system_sgpr_private_segment_wavefront_offset 0
		.amdhsa_system_sgpr_workgroup_id_x 1
		.amdhsa_system_sgpr_workgroup_id_y 0
		.amdhsa_system_sgpr_workgroup_id_z 0
		.amdhsa_system_sgpr_workgroup_info 0
		.amdhsa_system_vgpr_workitem_id 0
		.amdhsa_next_free_vgpr 1
		.amdhsa_next_free_sgpr 0
		.amdhsa_reserve_vcc 0
		.amdhsa_reserve_flat_scratch 0
		.amdhsa_float_round_mode_32 0
		.amdhsa_float_round_mode_16_64 0
		.amdhsa_float_denorm_mode_32 3
		.amdhsa_float_denorm_mode_16_64 3
		.amdhsa_dx10_clamp 1
		.amdhsa_ieee_mode 1
		.amdhsa_fp16_overflow 0
		.amdhsa_exception_fp_ieee_invalid_op 0
		.amdhsa_exception_fp_denorm_src 0
		.amdhsa_exception_fp_ieee_div_zero 0
		.amdhsa_exception_fp_ieee_overflow 0
		.amdhsa_exception_fp_ieee_underflow 0
		.amdhsa_exception_fp_ieee_inexact 0
		.amdhsa_exception_int_div_zero 0
	.end_amdhsa_kernel
	.section	.text._ZN7rocprim17ROCPRIM_400000_NS6detail17trampoline_kernelINS0_14default_configENS1_27lower_bound_config_selectorIylEEZNS1_14transform_implILb0ES3_S5_N6thrust23THRUST_200600_302600_NS6detail15normal_iteratorINS8_7pointerIyNS8_11hip_rocprim5par_tENS8_11use_defaultESE_EEEENSA_INSB_IlSD_SE_SE_EEEEZNS1_13binary_searchIS3_S5_NSA_INS8_10device_ptrIyEEEESG_SI_NS1_21lower_bound_search_opENS9_16wrapped_functionINS8_6system6detail7generic6detail18binary_search_lessEbEEEE10hipError_tPvRmT1_T2_T3_mmT4_T5_P12ihipStream_tbEUlRKyE_EESV_SZ_S10_mS11_S14_bEUlT_E_NS1_11comp_targetILNS1_3genE4ELNS1_11target_archE910ELNS1_3gpuE8ELNS1_3repE0EEENS1_30default_config_static_selectorELNS0_4arch9wavefront6targetE1EEEvSY_,"axG",@progbits,_ZN7rocprim17ROCPRIM_400000_NS6detail17trampoline_kernelINS0_14default_configENS1_27lower_bound_config_selectorIylEEZNS1_14transform_implILb0ES3_S5_N6thrust23THRUST_200600_302600_NS6detail15normal_iteratorINS8_7pointerIyNS8_11hip_rocprim5par_tENS8_11use_defaultESE_EEEENSA_INSB_IlSD_SE_SE_EEEEZNS1_13binary_searchIS3_S5_NSA_INS8_10device_ptrIyEEEESG_SI_NS1_21lower_bound_search_opENS9_16wrapped_functionINS8_6system6detail7generic6detail18binary_search_lessEbEEEE10hipError_tPvRmT1_T2_T3_mmT4_T5_P12ihipStream_tbEUlRKyE_EESV_SZ_S10_mS11_S14_bEUlT_E_NS1_11comp_targetILNS1_3genE4ELNS1_11target_archE910ELNS1_3gpuE8ELNS1_3repE0EEENS1_30default_config_static_selectorELNS0_4arch9wavefront6targetE1EEEvSY_,comdat
.Lfunc_end360:
	.size	_ZN7rocprim17ROCPRIM_400000_NS6detail17trampoline_kernelINS0_14default_configENS1_27lower_bound_config_selectorIylEEZNS1_14transform_implILb0ES3_S5_N6thrust23THRUST_200600_302600_NS6detail15normal_iteratorINS8_7pointerIyNS8_11hip_rocprim5par_tENS8_11use_defaultESE_EEEENSA_INSB_IlSD_SE_SE_EEEEZNS1_13binary_searchIS3_S5_NSA_INS8_10device_ptrIyEEEESG_SI_NS1_21lower_bound_search_opENS9_16wrapped_functionINS8_6system6detail7generic6detail18binary_search_lessEbEEEE10hipError_tPvRmT1_T2_T3_mmT4_T5_P12ihipStream_tbEUlRKyE_EESV_SZ_S10_mS11_S14_bEUlT_E_NS1_11comp_targetILNS1_3genE4ELNS1_11target_archE910ELNS1_3gpuE8ELNS1_3repE0EEENS1_30default_config_static_selectorELNS0_4arch9wavefront6targetE1EEEvSY_, .Lfunc_end360-_ZN7rocprim17ROCPRIM_400000_NS6detail17trampoline_kernelINS0_14default_configENS1_27lower_bound_config_selectorIylEEZNS1_14transform_implILb0ES3_S5_N6thrust23THRUST_200600_302600_NS6detail15normal_iteratorINS8_7pointerIyNS8_11hip_rocprim5par_tENS8_11use_defaultESE_EEEENSA_INSB_IlSD_SE_SE_EEEEZNS1_13binary_searchIS3_S5_NSA_INS8_10device_ptrIyEEEESG_SI_NS1_21lower_bound_search_opENS9_16wrapped_functionINS8_6system6detail7generic6detail18binary_search_lessEbEEEE10hipError_tPvRmT1_T2_T3_mmT4_T5_P12ihipStream_tbEUlRKyE_EESV_SZ_S10_mS11_S14_bEUlT_E_NS1_11comp_targetILNS1_3genE4ELNS1_11target_archE910ELNS1_3gpuE8ELNS1_3repE0EEENS1_30default_config_static_selectorELNS0_4arch9wavefront6targetE1EEEvSY_
                                        ; -- End function
	.set _ZN7rocprim17ROCPRIM_400000_NS6detail17trampoline_kernelINS0_14default_configENS1_27lower_bound_config_selectorIylEEZNS1_14transform_implILb0ES3_S5_N6thrust23THRUST_200600_302600_NS6detail15normal_iteratorINS8_7pointerIyNS8_11hip_rocprim5par_tENS8_11use_defaultESE_EEEENSA_INSB_IlSD_SE_SE_EEEEZNS1_13binary_searchIS3_S5_NSA_INS8_10device_ptrIyEEEESG_SI_NS1_21lower_bound_search_opENS9_16wrapped_functionINS8_6system6detail7generic6detail18binary_search_lessEbEEEE10hipError_tPvRmT1_T2_T3_mmT4_T5_P12ihipStream_tbEUlRKyE_EESV_SZ_S10_mS11_S14_bEUlT_E_NS1_11comp_targetILNS1_3genE4ELNS1_11target_archE910ELNS1_3gpuE8ELNS1_3repE0EEENS1_30default_config_static_selectorELNS0_4arch9wavefront6targetE1EEEvSY_.num_vgpr, 0
	.set _ZN7rocprim17ROCPRIM_400000_NS6detail17trampoline_kernelINS0_14default_configENS1_27lower_bound_config_selectorIylEEZNS1_14transform_implILb0ES3_S5_N6thrust23THRUST_200600_302600_NS6detail15normal_iteratorINS8_7pointerIyNS8_11hip_rocprim5par_tENS8_11use_defaultESE_EEEENSA_INSB_IlSD_SE_SE_EEEEZNS1_13binary_searchIS3_S5_NSA_INS8_10device_ptrIyEEEESG_SI_NS1_21lower_bound_search_opENS9_16wrapped_functionINS8_6system6detail7generic6detail18binary_search_lessEbEEEE10hipError_tPvRmT1_T2_T3_mmT4_T5_P12ihipStream_tbEUlRKyE_EESV_SZ_S10_mS11_S14_bEUlT_E_NS1_11comp_targetILNS1_3genE4ELNS1_11target_archE910ELNS1_3gpuE8ELNS1_3repE0EEENS1_30default_config_static_selectorELNS0_4arch9wavefront6targetE1EEEvSY_.num_agpr, 0
	.set _ZN7rocprim17ROCPRIM_400000_NS6detail17trampoline_kernelINS0_14default_configENS1_27lower_bound_config_selectorIylEEZNS1_14transform_implILb0ES3_S5_N6thrust23THRUST_200600_302600_NS6detail15normal_iteratorINS8_7pointerIyNS8_11hip_rocprim5par_tENS8_11use_defaultESE_EEEENSA_INSB_IlSD_SE_SE_EEEEZNS1_13binary_searchIS3_S5_NSA_INS8_10device_ptrIyEEEESG_SI_NS1_21lower_bound_search_opENS9_16wrapped_functionINS8_6system6detail7generic6detail18binary_search_lessEbEEEE10hipError_tPvRmT1_T2_T3_mmT4_T5_P12ihipStream_tbEUlRKyE_EESV_SZ_S10_mS11_S14_bEUlT_E_NS1_11comp_targetILNS1_3genE4ELNS1_11target_archE910ELNS1_3gpuE8ELNS1_3repE0EEENS1_30default_config_static_selectorELNS0_4arch9wavefront6targetE1EEEvSY_.numbered_sgpr, 0
	.set _ZN7rocprim17ROCPRIM_400000_NS6detail17trampoline_kernelINS0_14default_configENS1_27lower_bound_config_selectorIylEEZNS1_14transform_implILb0ES3_S5_N6thrust23THRUST_200600_302600_NS6detail15normal_iteratorINS8_7pointerIyNS8_11hip_rocprim5par_tENS8_11use_defaultESE_EEEENSA_INSB_IlSD_SE_SE_EEEEZNS1_13binary_searchIS3_S5_NSA_INS8_10device_ptrIyEEEESG_SI_NS1_21lower_bound_search_opENS9_16wrapped_functionINS8_6system6detail7generic6detail18binary_search_lessEbEEEE10hipError_tPvRmT1_T2_T3_mmT4_T5_P12ihipStream_tbEUlRKyE_EESV_SZ_S10_mS11_S14_bEUlT_E_NS1_11comp_targetILNS1_3genE4ELNS1_11target_archE910ELNS1_3gpuE8ELNS1_3repE0EEENS1_30default_config_static_selectorELNS0_4arch9wavefront6targetE1EEEvSY_.num_named_barrier, 0
	.set _ZN7rocprim17ROCPRIM_400000_NS6detail17trampoline_kernelINS0_14default_configENS1_27lower_bound_config_selectorIylEEZNS1_14transform_implILb0ES3_S5_N6thrust23THRUST_200600_302600_NS6detail15normal_iteratorINS8_7pointerIyNS8_11hip_rocprim5par_tENS8_11use_defaultESE_EEEENSA_INSB_IlSD_SE_SE_EEEEZNS1_13binary_searchIS3_S5_NSA_INS8_10device_ptrIyEEEESG_SI_NS1_21lower_bound_search_opENS9_16wrapped_functionINS8_6system6detail7generic6detail18binary_search_lessEbEEEE10hipError_tPvRmT1_T2_T3_mmT4_T5_P12ihipStream_tbEUlRKyE_EESV_SZ_S10_mS11_S14_bEUlT_E_NS1_11comp_targetILNS1_3genE4ELNS1_11target_archE910ELNS1_3gpuE8ELNS1_3repE0EEENS1_30default_config_static_selectorELNS0_4arch9wavefront6targetE1EEEvSY_.private_seg_size, 0
	.set _ZN7rocprim17ROCPRIM_400000_NS6detail17trampoline_kernelINS0_14default_configENS1_27lower_bound_config_selectorIylEEZNS1_14transform_implILb0ES3_S5_N6thrust23THRUST_200600_302600_NS6detail15normal_iteratorINS8_7pointerIyNS8_11hip_rocprim5par_tENS8_11use_defaultESE_EEEENSA_INSB_IlSD_SE_SE_EEEEZNS1_13binary_searchIS3_S5_NSA_INS8_10device_ptrIyEEEESG_SI_NS1_21lower_bound_search_opENS9_16wrapped_functionINS8_6system6detail7generic6detail18binary_search_lessEbEEEE10hipError_tPvRmT1_T2_T3_mmT4_T5_P12ihipStream_tbEUlRKyE_EESV_SZ_S10_mS11_S14_bEUlT_E_NS1_11comp_targetILNS1_3genE4ELNS1_11target_archE910ELNS1_3gpuE8ELNS1_3repE0EEENS1_30default_config_static_selectorELNS0_4arch9wavefront6targetE1EEEvSY_.uses_vcc, 0
	.set _ZN7rocprim17ROCPRIM_400000_NS6detail17trampoline_kernelINS0_14default_configENS1_27lower_bound_config_selectorIylEEZNS1_14transform_implILb0ES3_S5_N6thrust23THRUST_200600_302600_NS6detail15normal_iteratorINS8_7pointerIyNS8_11hip_rocprim5par_tENS8_11use_defaultESE_EEEENSA_INSB_IlSD_SE_SE_EEEEZNS1_13binary_searchIS3_S5_NSA_INS8_10device_ptrIyEEEESG_SI_NS1_21lower_bound_search_opENS9_16wrapped_functionINS8_6system6detail7generic6detail18binary_search_lessEbEEEE10hipError_tPvRmT1_T2_T3_mmT4_T5_P12ihipStream_tbEUlRKyE_EESV_SZ_S10_mS11_S14_bEUlT_E_NS1_11comp_targetILNS1_3genE4ELNS1_11target_archE910ELNS1_3gpuE8ELNS1_3repE0EEENS1_30default_config_static_selectorELNS0_4arch9wavefront6targetE1EEEvSY_.uses_flat_scratch, 0
	.set _ZN7rocprim17ROCPRIM_400000_NS6detail17trampoline_kernelINS0_14default_configENS1_27lower_bound_config_selectorIylEEZNS1_14transform_implILb0ES3_S5_N6thrust23THRUST_200600_302600_NS6detail15normal_iteratorINS8_7pointerIyNS8_11hip_rocprim5par_tENS8_11use_defaultESE_EEEENSA_INSB_IlSD_SE_SE_EEEEZNS1_13binary_searchIS3_S5_NSA_INS8_10device_ptrIyEEEESG_SI_NS1_21lower_bound_search_opENS9_16wrapped_functionINS8_6system6detail7generic6detail18binary_search_lessEbEEEE10hipError_tPvRmT1_T2_T3_mmT4_T5_P12ihipStream_tbEUlRKyE_EESV_SZ_S10_mS11_S14_bEUlT_E_NS1_11comp_targetILNS1_3genE4ELNS1_11target_archE910ELNS1_3gpuE8ELNS1_3repE0EEENS1_30default_config_static_selectorELNS0_4arch9wavefront6targetE1EEEvSY_.has_dyn_sized_stack, 0
	.set _ZN7rocprim17ROCPRIM_400000_NS6detail17trampoline_kernelINS0_14default_configENS1_27lower_bound_config_selectorIylEEZNS1_14transform_implILb0ES3_S5_N6thrust23THRUST_200600_302600_NS6detail15normal_iteratorINS8_7pointerIyNS8_11hip_rocprim5par_tENS8_11use_defaultESE_EEEENSA_INSB_IlSD_SE_SE_EEEEZNS1_13binary_searchIS3_S5_NSA_INS8_10device_ptrIyEEEESG_SI_NS1_21lower_bound_search_opENS9_16wrapped_functionINS8_6system6detail7generic6detail18binary_search_lessEbEEEE10hipError_tPvRmT1_T2_T3_mmT4_T5_P12ihipStream_tbEUlRKyE_EESV_SZ_S10_mS11_S14_bEUlT_E_NS1_11comp_targetILNS1_3genE4ELNS1_11target_archE910ELNS1_3gpuE8ELNS1_3repE0EEENS1_30default_config_static_selectorELNS0_4arch9wavefront6targetE1EEEvSY_.has_recursion, 0
	.set _ZN7rocprim17ROCPRIM_400000_NS6detail17trampoline_kernelINS0_14default_configENS1_27lower_bound_config_selectorIylEEZNS1_14transform_implILb0ES3_S5_N6thrust23THRUST_200600_302600_NS6detail15normal_iteratorINS8_7pointerIyNS8_11hip_rocprim5par_tENS8_11use_defaultESE_EEEENSA_INSB_IlSD_SE_SE_EEEEZNS1_13binary_searchIS3_S5_NSA_INS8_10device_ptrIyEEEESG_SI_NS1_21lower_bound_search_opENS9_16wrapped_functionINS8_6system6detail7generic6detail18binary_search_lessEbEEEE10hipError_tPvRmT1_T2_T3_mmT4_T5_P12ihipStream_tbEUlRKyE_EESV_SZ_S10_mS11_S14_bEUlT_E_NS1_11comp_targetILNS1_3genE4ELNS1_11target_archE910ELNS1_3gpuE8ELNS1_3repE0EEENS1_30default_config_static_selectorELNS0_4arch9wavefront6targetE1EEEvSY_.has_indirect_call, 0
	.section	.AMDGPU.csdata,"",@progbits
; Kernel info:
; codeLenInByte = 0
; TotalNumSgprs: 4
; NumVgprs: 0
; ScratchSize: 0
; MemoryBound: 0
; FloatMode: 240
; IeeeMode: 1
; LDSByteSize: 0 bytes/workgroup (compile time only)
; SGPRBlocks: 0
; VGPRBlocks: 0
; NumSGPRsForWavesPerEU: 4
; NumVGPRsForWavesPerEU: 1
; Occupancy: 10
; WaveLimiterHint : 0
; COMPUTE_PGM_RSRC2:SCRATCH_EN: 0
; COMPUTE_PGM_RSRC2:USER_SGPR: 6
; COMPUTE_PGM_RSRC2:TRAP_HANDLER: 0
; COMPUTE_PGM_RSRC2:TGID_X_EN: 1
; COMPUTE_PGM_RSRC2:TGID_Y_EN: 0
; COMPUTE_PGM_RSRC2:TGID_Z_EN: 0
; COMPUTE_PGM_RSRC2:TIDIG_COMP_CNT: 0
	.section	.text._ZN7rocprim17ROCPRIM_400000_NS6detail17trampoline_kernelINS0_14default_configENS1_27lower_bound_config_selectorIylEEZNS1_14transform_implILb0ES3_S5_N6thrust23THRUST_200600_302600_NS6detail15normal_iteratorINS8_7pointerIyNS8_11hip_rocprim5par_tENS8_11use_defaultESE_EEEENSA_INSB_IlSD_SE_SE_EEEEZNS1_13binary_searchIS3_S5_NSA_INS8_10device_ptrIyEEEESG_SI_NS1_21lower_bound_search_opENS9_16wrapped_functionINS8_6system6detail7generic6detail18binary_search_lessEbEEEE10hipError_tPvRmT1_T2_T3_mmT4_T5_P12ihipStream_tbEUlRKyE_EESV_SZ_S10_mS11_S14_bEUlT_E_NS1_11comp_targetILNS1_3genE3ELNS1_11target_archE908ELNS1_3gpuE7ELNS1_3repE0EEENS1_30default_config_static_selectorELNS0_4arch9wavefront6targetE1EEEvSY_,"axG",@progbits,_ZN7rocprim17ROCPRIM_400000_NS6detail17trampoline_kernelINS0_14default_configENS1_27lower_bound_config_selectorIylEEZNS1_14transform_implILb0ES3_S5_N6thrust23THRUST_200600_302600_NS6detail15normal_iteratorINS8_7pointerIyNS8_11hip_rocprim5par_tENS8_11use_defaultESE_EEEENSA_INSB_IlSD_SE_SE_EEEEZNS1_13binary_searchIS3_S5_NSA_INS8_10device_ptrIyEEEESG_SI_NS1_21lower_bound_search_opENS9_16wrapped_functionINS8_6system6detail7generic6detail18binary_search_lessEbEEEE10hipError_tPvRmT1_T2_T3_mmT4_T5_P12ihipStream_tbEUlRKyE_EESV_SZ_S10_mS11_S14_bEUlT_E_NS1_11comp_targetILNS1_3genE3ELNS1_11target_archE908ELNS1_3gpuE7ELNS1_3repE0EEENS1_30default_config_static_selectorELNS0_4arch9wavefront6targetE1EEEvSY_,comdat
	.protected	_ZN7rocprim17ROCPRIM_400000_NS6detail17trampoline_kernelINS0_14default_configENS1_27lower_bound_config_selectorIylEEZNS1_14transform_implILb0ES3_S5_N6thrust23THRUST_200600_302600_NS6detail15normal_iteratorINS8_7pointerIyNS8_11hip_rocprim5par_tENS8_11use_defaultESE_EEEENSA_INSB_IlSD_SE_SE_EEEEZNS1_13binary_searchIS3_S5_NSA_INS8_10device_ptrIyEEEESG_SI_NS1_21lower_bound_search_opENS9_16wrapped_functionINS8_6system6detail7generic6detail18binary_search_lessEbEEEE10hipError_tPvRmT1_T2_T3_mmT4_T5_P12ihipStream_tbEUlRKyE_EESV_SZ_S10_mS11_S14_bEUlT_E_NS1_11comp_targetILNS1_3genE3ELNS1_11target_archE908ELNS1_3gpuE7ELNS1_3repE0EEENS1_30default_config_static_selectorELNS0_4arch9wavefront6targetE1EEEvSY_ ; -- Begin function _ZN7rocprim17ROCPRIM_400000_NS6detail17trampoline_kernelINS0_14default_configENS1_27lower_bound_config_selectorIylEEZNS1_14transform_implILb0ES3_S5_N6thrust23THRUST_200600_302600_NS6detail15normal_iteratorINS8_7pointerIyNS8_11hip_rocprim5par_tENS8_11use_defaultESE_EEEENSA_INSB_IlSD_SE_SE_EEEEZNS1_13binary_searchIS3_S5_NSA_INS8_10device_ptrIyEEEESG_SI_NS1_21lower_bound_search_opENS9_16wrapped_functionINS8_6system6detail7generic6detail18binary_search_lessEbEEEE10hipError_tPvRmT1_T2_T3_mmT4_T5_P12ihipStream_tbEUlRKyE_EESV_SZ_S10_mS11_S14_bEUlT_E_NS1_11comp_targetILNS1_3genE3ELNS1_11target_archE908ELNS1_3gpuE7ELNS1_3repE0EEENS1_30default_config_static_selectorELNS0_4arch9wavefront6targetE1EEEvSY_
	.globl	_ZN7rocprim17ROCPRIM_400000_NS6detail17trampoline_kernelINS0_14default_configENS1_27lower_bound_config_selectorIylEEZNS1_14transform_implILb0ES3_S5_N6thrust23THRUST_200600_302600_NS6detail15normal_iteratorINS8_7pointerIyNS8_11hip_rocprim5par_tENS8_11use_defaultESE_EEEENSA_INSB_IlSD_SE_SE_EEEEZNS1_13binary_searchIS3_S5_NSA_INS8_10device_ptrIyEEEESG_SI_NS1_21lower_bound_search_opENS9_16wrapped_functionINS8_6system6detail7generic6detail18binary_search_lessEbEEEE10hipError_tPvRmT1_T2_T3_mmT4_T5_P12ihipStream_tbEUlRKyE_EESV_SZ_S10_mS11_S14_bEUlT_E_NS1_11comp_targetILNS1_3genE3ELNS1_11target_archE908ELNS1_3gpuE7ELNS1_3repE0EEENS1_30default_config_static_selectorELNS0_4arch9wavefront6targetE1EEEvSY_
	.p2align	8
	.type	_ZN7rocprim17ROCPRIM_400000_NS6detail17trampoline_kernelINS0_14default_configENS1_27lower_bound_config_selectorIylEEZNS1_14transform_implILb0ES3_S5_N6thrust23THRUST_200600_302600_NS6detail15normal_iteratorINS8_7pointerIyNS8_11hip_rocprim5par_tENS8_11use_defaultESE_EEEENSA_INSB_IlSD_SE_SE_EEEEZNS1_13binary_searchIS3_S5_NSA_INS8_10device_ptrIyEEEESG_SI_NS1_21lower_bound_search_opENS9_16wrapped_functionINS8_6system6detail7generic6detail18binary_search_lessEbEEEE10hipError_tPvRmT1_T2_T3_mmT4_T5_P12ihipStream_tbEUlRKyE_EESV_SZ_S10_mS11_S14_bEUlT_E_NS1_11comp_targetILNS1_3genE3ELNS1_11target_archE908ELNS1_3gpuE7ELNS1_3repE0EEENS1_30default_config_static_selectorELNS0_4arch9wavefront6targetE1EEEvSY_,@function
_ZN7rocprim17ROCPRIM_400000_NS6detail17trampoline_kernelINS0_14default_configENS1_27lower_bound_config_selectorIylEEZNS1_14transform_implILb0ES3_S5_N6thrust23THRUST_200600_302600_NS6detail15normal_iteratorINS8_7pointerIyNS8_11hip_rocprim5par_tENS8_11use_defaultESE_EEEENSA_INSB_IlSD_SE_SE_EEEEZNS1_13binary_searchIS3_S5_NSA_INS8_10device_ptrIyEEEESG_SI_NS1_21lower_bound_search_opENS9_16wrapped_functionINS8_6system6detail7generic6detail18binary_search_lessEbEEEE10hipError_tPvRmT1_T2_T3_mmT4_T5_P12ihipStream_tbEUlRKyE_EESV_SZ_S10_mS11_S14_bEUlT_E_NS1_11comp_targetILNS1_3genE3ELNS1_11target_archE908ELNS1_3gpuE7ELNS1_3repE0EEENS1_30default_config_static_selectorELNS0_4arch9wavefront6targetE1EEEvSY_: ; @_ZN7rocprim17ROCPRIM_400000_NS6detail17trampoline_kernelINS0_14default_configENS1_27lower_bound_config_selectorIylEEZNS1_14transform_implILb0ES3_S5_N6thrust23THRUST_200600_302600_NS6detail15normal_iteratorINS8_7pointerIyNS8_11hip_rocprim5par_tENS8_11use_defaultESE_EEEENSA_INSB_IlSD_SE_SE_EEEEZNS1_13binary_searchIS3_S5_NSA_INS8_10device_ptrIyEEEESG_SI_NS1_21lower_bound_search_opENS9_16wrapped_functionINS8_6system6detail7generic6detail18binary_search_lessEbEEEE10hipError_tPvRmT1_T2_T3_mmT4_T5_P12ihipStream_tbEUlRKyE_EESV_SZ_S10_mS11_S14_bEUlT_E_NS1_11comp_targetILNS1_3genE3ELNS1_11target_archE908ELNS1_3gpuE7ELNS1_3repE0EEENS1_30default_config_static_selectorELNS0_4arch9wavefront6targetE1EEEvSY_
; %bb.0:
	.section	.rodata,"a",@progbits
	.p2align	6, 0x0
	.amdhsa_kernel _ZN7rocprim17ROCPRIM_400000_NS6detail17trampoline_kernelINS0_14default_configENS1_27lower_bound_config_selectorIylEEZNS1_14transform_implILb0ES3_S5_N6thrust23THRUST_200600_302600_NS6detail15normal_iteratorINS8_7pointerIyNS8_11hip_rocprim5par_tENS8_11use_defaultESE_EEEENSA_INSB_IlSD_SE_SE_EEEEZNS1_13binary_searchIS3_S5_NSA_INS8_10device_ptrIyEEEESG_SI_NS1_21lower_bound_search_opENS9_16wrapped_functionINS8_6system6detail7generic6detail18binary_search_lessEbEEEE10hipError_tPvRmT1_T2_T3_mmT4_T5_P12ihipStream_tbEUlRKyE_EESV_SZ_S10_mS11_S14_bEUlT_E_NS1_11comp_targetILNS1_3genE3ELNS1_11target_archE908ELNS1_3gpuE7ELNS1_3repE0EEENS1_30default_config_static_selectorELNS0_4arch9wavefront6targetE1EEEvSY_
		.amdhsa_group_segment_fixed_size 0
		.amdhsa_private_segment_fixed_size 0
		.amdhsa_kernarg_size 56
		.amdhsa_user_sgpr_count 6
		.amdhsa_user_sgpr_private_segment_buffer 1
		.amdhsa_user_sgpr_dispatch_ptr 0
		.amdhsa_user_sgpr_queue_ptr 0
		.amdhsa_user_sgpr_kernarg_segment_ptr 1
		.amdhsa_user_sgpr_dispatch_id 0
		.amdhsa_user_sgpr_flat_scratch_init 0
		.amdhsa_user_sgpr_private_segment_size 0
		.amdhsa_uses_dynamic_stack 0
		.amdhsa_system_sgpr_private_segment_wavefront_offset 0
		.amdhsa_system_sgpr_workgroup_id_x 1
		.amdhsa_system_sgpr_workgroup_id_y 0
		.amdhsa_system_sgpr_workgroup_id_z 0
		.amdhsa_system_sgpr_workgroup_info 0
		.amdhsa_system_vgpr_workitem_id 0
		.amdhsa_next_free_vgpr 1
		.amdhsa_next_free_sgpr 0
		.amdhsa_reserve_vcc 0
		.amdhsa_reserve_flat_scratch 0
		.amdhsa_float_round_mode_32 0
		.amdhsa_float_round_mode_16_64 0
		.amdhsa_float_denorm_mode_32 3
		.amdhsa_float_denorm_mode_16_64 3
		.amdhsa_dx10_clamp 1
		.amdhsa_ieee_mode 1
		.amdhsa_fp16_overflow 0
		.amdhsa_exception_fp_ieee_invalid_op 0
		.amdhsa_exception_fp_denorm_src 0
		.amdhsa_exception_fp_ieee_div_zero 0
		.amdhsa_exception_fp_ieee_overflow 0
		.amdhsa_exception_fp_ieee_underflow 0
		.amdhsa_exception_fp_ieee_inexact 0
		.amdhsa_exception_int_div_zero 0
	.end_amdhsa_kernel
	.section	.text._ZN7rocprim17ROCPRIM_400000_NS6detail17trampoline_kernelINS0_14default_configENS1_27lower_bound_config_selectorIylEEZNS1_14transform_implILb0ES3_S5_N6thrust23THRUST_200600_302600_NS6detail15normal_iteratorINS8_7pointerIyNS8_11hip_rocprim5par_tENS8_11use_defaultESE_EEEENSA_INSB_IlSD_SE_SE_EEEEZNS1_13binary_searchIS3_S5_NSA_INS8_10device_ptrIyEEEESG_SI_NS1_21lower_bound_search_opENS9_16wrapped_functionINS8_6system6detail7generic6detail18binary_search_lessEbEEEE10hipError_tPvRmT1_T2_T3_mmT4_T5_P12ihipStream_tbEUlRKyE_EESV_SZ_S10_mS11_S14_bEUlT_E_NS1_11comp_targetILNS1_3genE3ELNS1_11target_archE908ELNS1_3gpuE7ELNS1_3repE0EEENS1_30default_config_static_selectorELNS0_4arch9wavefront6targetE1EEEvSY_,"axG",@progbits,_ZN7rocprim17ROCPRIM_400000_NS6detail17trampoline_kernelINS0_14default_configENS1_27lower_bound_config_selectorIylEEZNS1_14transform_implILb0ES3_S5_N6thrust23THRUST_200600_302600_NS6detail15normal_iteratorINS8_7pointerIyNS8_11hip_rocprim5par_tENS8_11use_defaultESE_EEEENSA_INSB_IlSD_SE_SE_EEEEZNS1_13binary_searchIS3_S5_NSA_INS8_10device_ptrIyEEEESG_SI_NS1_21lower_bound_search_opENS9_16wrapped_functionINS8_6system6detail7generic6detail18binary_search_lessEbEEEE10hipError_tPvRmT1_T2_T3_mmT4_T5_P12ihipStream_tbEUlRKyE_EESV_SZ_S10_mS11_S14_bEUlT_E_NS1_11comp_targetILNS1_3genE3ELNS1_11target_archE908ELNS1_3gpuE7ELNS1_3repE0EEENS1_30default_config_static_selectorELNS0_4arch9wavefront6targetE1EEEvSY_,comdat
.Lfunc_end361:
	.size	_ZN7rocprim17ROCPRIM_400000_NS6detail17trampoline_kernelINS0_14default_configENS1_27lower_bound_config_selectorIylEEZNS1_14transform_implILb0ES3_S5_N6thrust23THRUST_200600_302600_NS6detail15normal_iteratorINS8_7pointerIyNS8_11hip_rocprim5par_tENS8_11use_defaultESE_EEEENSA_INSB_IlSD_SE_SE_EEEEZNS1_13binary_searchIS3_S5_NSA_INS8_10device_ptrIyEEEESG_SI_NS1_21lower_bound_search_opENS9_16wrapped_functionINS8_6system6detail7generic6detail18binary_search_lessEbEEEE10hipError_tPvRmT1_T2_T3_mmT4_T5_P12ihipStream_tbEUlRKyE_EESV_SZ_S10_mS11_S14_bEUlT_E_NS1_11comp_targetILNS1_3genE3ELNS1_11target_archE908ELNS1_3gpuE7ELNS1_3repE0EEENS1_30default_config_static_selectorELNS0_4arch9wavefront6targetE1EEEvSY_, .Lfunc_end361-_ZN7rocprim17ROCPRIM_400000_NS6detail17trampoline_kernelINS0_14default_configENS1_27lower_bound_config_selectorIylEEZNS1_14transform_implILb0ES3_S5_N6thrust23THRUST_200600_302600_NS6detail15normal_iteratorINS8_7pointerIyNS8_11hip_rocprim5par_tENS8_11use_defaultESE_EEEENSA_INSB_IlSD_SE_SE_EEEEZNS1_13binary_searchIS3_S5_NSA_INS8_10device_ptrIyEEEESG_SI_NS1_21lower_bound_search_opENS9_16wrapped_functionINS8_6system6detail7generic6detail18binary_search_lessEbEEEE10hipError_tPvRmT1_T2_T3_mmT4_T5_P12ihipStream_tbEUlRKyE_EESV_SZ_S10_mS11_S14_bEUlT_E_NS1_11comp_targetILNS1_3genE3ELNS1_11target_archE908ELNS1_3gpuE7ELNS1_3repE0EEENS1_30default_config_static_selectorELNS0_4arch9wavefront6targetE1EEEvSY_
                                        ; -- End function
	.set _ZN7rocprim17ROCPRIM_400000_NS6detail17trampoline_kernelINS0_14default_configENS1_27lower_bound_config_selectorIylEEZNS1_14transform_implILb0ES3_S5_N6thrust23THRUST_200600_302600_NS6detail15normal_iteratorINS8_7pointerIyNS8_11hip_rocprim5par_tENS8_11use_defaultESE_EEEENSA_INSB_IlSD_SE_SE_EEEEZNS1_13binary_searchIS3_S5_NSA_INS8_10device_ptrIyEEEESG_SI_NS1_21lower_bound_search_opENS9_16wrapped_functionINS8_6system6detail7generic6detail18binary_search_lessEbEEEE10hipError_tPvRmT1_T2_T3_mmT4_T5_P12ihipStream_tbEUlRKyE_EESV_SZ_S10_mS11_S14_bEUlT_E_NS1_11comp_targetILNS1_3genE3ELNS1_11target_archE908ELNS1_3gpuE7ELNS1_3repE0EEENS1_30default_config_static_selectorELNS0_4arch9wavefront6targetE1EEEvSY_.num_vgpr, 0
	.set _ZN7rocprim17ROCPRIM_400000_NS6detail17trampoline_kernelINS0_14default_configENS1_27lower_bound_config_selectorIylEEZNS1_14transform_implILb0ES3_S5_N6thrust23THRUST_200600_302600_NS6detail15normal_iteratorINS8_7pointerIyNS8_11hip_rocprim5par_tENS8_11use_defaultESE_EEEENSA_INSB_IlSD_SE_SE_EEEEZNS1_13binary_searchIS3_S5_NSA_INS8_10device_ptrIyEEEESG_SI_NS1_21lower_bound_search_opENS9_16wrapped_functionINS8_6system6detail7generic6detail18binary_search_lessEbEEEE10hipError_tPvRmT1_T2_T3_mmT4_T5_P12ihipStream_tbEUlRKyE_EESV_SZ_S10_mS11_S14_bEUlT_E_NS1_11comp_targetILNS1_3genE3ELNS1_11target_archE908ELNS1_3gpuE7ELNS1_3repE0EEENS1_30default_config_static_selectorELNS0_4arch9wavefront6targetE1EEEvSY_.num_agpr, 0
	.set _ZN7rocprim17ROCPRIM_400000_NS6detail17trampoline_kernelINS0_14default_configENS1_27lower_bound_config_selectorIylEEZNS1_14transform_implILb0ES3_S5_N6thrust23THRUST_200600_302600_NS6detail15normal_iteratorINS8_7pointerIyNS8_11hip_rocprim5par_tENS8_11use_defaultESE_EEEENSA_INSB_IlSD_SE_SE_EEEEZNS1_13binary_searchIS3_S5_NSA_INS8_10device_ptrIyEEEESG_SI_NS1_21lower_bound_search_opENS9_16wrapped_functionINS8_6system6detail7generic6detail18binary_search_lessEbEEEE10hipError_tPvRmT1_T2_T3_mmT4_T5_P12ihipStream_tbEUlRKyE_EESV_SZ_S10_mS11_S14_bEUlT_E_NS1_11comp_targetILNS1_3genE3ELNS1_11target_archE908ELNS1_3gpuE7ELNS1_3repE0EEENS1_30default_config_static_selectorELNS0_4arch9wavefront6targetE1EEEvSY_.numbered_sgpr, 0
	.set _ZN7rocprim17ROCPRIM_400000_NS6detail17trampoline_kernelINS0_14default_configENS1_27lower_bound_config_selectorIylEEZNS1_14transform_implILb0ES3_S5_N6thrust23THRUST_200600_302600_NS6detail15normal_iteratorINS8_7pointerIyNS8_11hip_rocprim5par_tENS8_11use_defaultESE_EEEENSA_INSB_IlSD_SE_SE_EEEEZNS1_13binary_searchIS3_S5_NSA_INS8_10device_ptrIyEEEESG_SI_NS1_21lower_bound_search_opENS9_16wrapped_functionINS8_6system6detail7generic6detail18binary_search_lessEbEEEE10hipError_tPvRmT1_T2_T3_mmT4_T5_P12ihipStream_tbEUlRKyE_EESV_SZ_S10_mS11_S14_bEUlT_E_NS1_11comp_targetILNS1_3genE3ELNS1_11target_archE908ELNS1_3gpuE7ELNS1_3repE0EEENS1_30default_config_static_selectorELNS0_4arch9wavefront6targetE1EEEvSY_.num_named_barrier, 0
	.set _ZN7rocprim17ROCPRIM_400000_NS6detail17trampoline_kernelINS0_14default_configENS1_27lower_bound_config_selectorIylEEZNS1_14transform_implILb0ES3_S5_N6thrust23THRUST_200600_302600_NS6detail15normal_iteratorINS8_7pointerIyNS8_11hip_rocprim5par_tENS8_11use_defaultESE_EEEENSA_INSB_IlSD_SE_SE_EEEEZNS1_13binary_searchIS3_S5_NSA_INS8_10device_ptrIyEEEESG_SI_NS1_21lower_bound_search_opENS9_16wrapped_functionINS8_6system6detail7generic6detail18binary_search_lessEbEEEE10hipError_tPvRmT1_T2_T3_mmT4_T5_P12ihipStream_tbEUlRKyE_EESV_SZ_S10_mS11_S14_bEUlT_E_NS1_11comp_targetILNS1_3genE3ELNS1_11target_archE908ELNS1_3gpuE7ELNS1_3repE0EEENS1_30default_config_static_selectorELNS0_4arch9wavefront6targetE1EEEvSY_.private_seg_size, 0
	.set _ZN7rocprim17ROCPRIM_400000_NS6detail17trampoline_kernelINS0_14default_configENS1_27lower_bound_config_selectorIylEEZNS1_14transform_implILb0ES3_S5_N6thrust23THRUST_200600_302600_NS6detail15normal_iteratorINS8_7pointerIyNS8_11hip_rocprim5par_tENS8_11use_defaultESE_EEEENSA_INSB_IlSD_SE_SE_EEEEZNS1_13binary_searchIS3_S5_NSA_INS8_10device_ptrIyEEEESG_SI_NS1_21lower_bound_search_opENS9_16wrapped_functionINS8_6system6detail7generic6detail18binary_search_lessEbEEEE10hipError_tPvRmT1_T2_T3_mmT4_T5_P12ihipStream_tbEUlRKyE_EESV_SZ_S10_mS11_S14_bEUlT_E_NS1_11comp_targetILNS1_3genE3ELNS1_11target_archE908ELNS1_3gpuE7ELNS1_3repE0EEENS1_30default_config_static_selectorELNS0_4arch9wavefront6targetE1EEEvSY_.uses_vcc, 0
	.set _ZN7rocprim17ROCPRIM_400000_NS6detail17trampoline_kernelINS0_14default_configENS1_27lower_bound_config_selectorIylEEZNS1_14transform_implILb0ES3_S5_N6thrust23THRUST_200600_302600_NS6detail15normal_iteratorINS8_7pointerIyNS8_11hip_rocprim5par_tENS8_11use_defaultESE_EEEENSA_INSB_IlSD_SE_SE_EEEEZNS1_13binary_searchIS3_S5_NSA_INS8_10device_ptrIyEEEESG_SI_NS1_21lower_bound_search_opENS9_16wrapped_functionINS8_6system6detail7generic6detail18binary_search_lessEbEEEE10hipError_tPvRmT1_T2_T3_mmT4_T5_P12ihipStream_tbEUlRKyE_EESV_SZ_S10_mS11_S14_bEUlT_E_NS1_11comp_targetILNS1_3genE3ELNS1_11target_archE908ELNS1_3gpuE7ELNS1_3repE0EEENS1_30default_config_static_selectorELNS0_4arch9wavefront6targetE1EEEvSY_.uses_flat_scratch, 0
	.set _ZN7rocprim17ROCPRIM_400000_NS6detail17trampoline_kernelINS0_14default_configENS1_27lower_bound_config_selectorIylEEZNS1_14transform_implILb0ES3_S5_N6thrust23THRUST_200600_302600_NS6detail15normal_iteratorINS8_7pointerIyNS8_11hip_rocprim5par_tENS8_11use_defaultESE_EEEENSA_INSB_IlSD_SE_SE_EEEEZNS1_13binary_searchIS3_S5_NSA_INS8_10device_ptrIyEEEESG_SI_NS1_21lower_bound_search_opENS9_16wrapped_functionINS8_6system6detail7generic6detail18binary_search_lessEbEEEE10hipError_tPvRmT1_T2_T3_mmT4_T5_P12ihipStream_tbEUlRKyE_EESV_SZ_S10_mS11_S14_bEUlT_E_NS1_11comp_targetILNS1_3genE3ELNS1_11target_archE908ELNS1_3gpuE7ELNS1_3repE0EEENS1_30default_config_static_selectorELNS0_4arch9wavefront6targetE1EEEvSY_.has_dyn_sized_stack, 0
	.set _ZN7rocprim17ROCPRIM_400000_NS6detail17trampoline_kernelINS0_14default_configENS1_27lower_bound_config_selectorIylEEZNS1_14transform_implILb0ES3_S5_N6thrust23THRUST_200600_302600_NS6detail15normal_iteratorINS8_7pointerIyNS8_11hip_rocprim5par_tENS8_11use_defaultESE_EEEENSA_INSB_IlSD_SE_SE_EEEEZNS1_13binary_searchIS3_S5_NSA_INS8_10device_ptrIyEEEESG_SI_NS1_21lower_bound_search_opENS9_16wrapped_functionINS8_6system6detail7generic6detail18binary_search_lessEbEEEE10hipError_tPvRmT1_T2_T3_mmT4_T5_P12ihipStream_tbEUlRKyE_EESV_SZ_S10_mS11_S14_bEUlT_E_NS1_11comp_targetILNS1_3genE3ELNS1_11target_archE908ELNS1_3gpuE7ELNS1_3repE0EEENS1_30default_config_static_selectorELNS0_4arch9wavefront6targetE1EEEvSY_.has_recursion, 0
	.set _ZN7rocprim17ROCPRIM_400000_NS6detail17trampoline_kernelINS0_14default_configENS1_27lower_bound_config_selectorIylEEZNS1_14transform_implILb0ES3_S5_N6thrust23THRUST_200600_302600_NS6detail15normal_iteratorINS8_7pointerIyNS8_11hip_rocprim5par_tENS8_11use_defaultESE_EEEENSA_INSB_IlSD_SE_SE_EEEEZNS1_13binary_searchIS3_S5_NSA_INS8_10device_ptrIyEEEESG_SI_NS1_21lower_bound_search_opENS9_16wrapped_functionINS8_6system6detail7generic6detail18binary_search_lessEbEEEE10hipError_tPvRmT1_T2_T3_mmT4_T5_P12ihipStream_tbEUlRKyE_EESV_SZ_S10_mS11_S14_bEUlT_E_NS1_11comp_targetILNS1_3genE3ELNS1_11target_archE908ELNS1_3gpuE7ELNS1_3repE0EEENS1_30default_config_static_selectorELNS0_4arch9wavefront6targetE1EEEvSY_.has_indirect_call, 0
	.section	.AMDGPU.csdata,"",@progbits
; Kernel info:
; codeLenInByte = 0
; TotalNumSgprs: 4
; NumVgprs: 0
; ScratchSize: 0
; MemoryBound: 0
; FloatMode: 240
; IeeeMode: 1
; LDSByteSize: 0 bytes/workgroup (compile time only)
; SGPRBlocks: 0
; VGPRBlocks: 0
; NumSGPRsForWavesPerEU: 4
; NumVGPRsForWavesPerEU: 1
; Occupancy: 10
; WaveLimiterHint : 0
; COMPUTE_PGM_RSRC2:SCRATCH_EN: 0
; COMPUTE_PGM_RSRC2:USER_SGPR: 6
; COMPUTE_PGM_RSRC2:TRAP_HANDLER: 0
; COMPUTE_PGM_RSRC2:TGID_X_EN: 1
; COMPUTE_PGM_RSRC2:TGID_Y_EN: 0
; COMPUTE_PGM_RSRC2:TGID_Z_EN: 0
; COMPUTE_PGM_RSRC2:TIDIG_COMP_CNT: 0
	.section	.text._ZN7rocprim17ROCPRIM_400000_NS6detail17trampoline_kernelINS0_14default_configENS1_27lower_bound_config_selectorIylEEZNS1_14transform_implILb0ES3_S5_N6thrust23THRUST_200600_302600_NS6detail15normal_iteratorINS8_7pointerIyNS8_11hip_rocprim5par_tENS8_11use_defaultESE_EEEENSA_INSB_IlSD_SE_SE_EEEEZNS1_13binary_searchIS3_S5_NSA_INS8_10device_ptrIyEEEESG_SI_NS1_21lower_bound_search_opENS9_16wrapped_functionINS8_6system6detail7generic6detail18binary_search_lessEbEEEE10hipError_tPvRmT1_T2_T3_mmT4_T5_P12ihipStream_tbEUlRKyE_EESV_SZ_S10_mS11_S14_bEUlT_E_NS1_11comp_targetILNS1_3genE2ELNS1_11target_archE906ELNS1_3gpuE6ELNS1_3repE0EEENS1_30default_config_static_selectorELNS0_4arch9wavefront6targetE1EEEvSY_,"axG",@progbits,_ZN7rocprim17ROCPRIM_400000_NS6detail17trampoline_kernelINS0_14default_configENS1_27lower_bound_config_selectorIylEEZNS1_14transform_implILb0ES3_S5_N6thrust23THRUST_200600_302600_NS6detail15normal_iteratorINS8_7pointerIyNS8_11hip_rocprim5par_tENS8_11use_defaultESE_EEEENSA_INSB_IlSD_SE_SE_EEEEZNS1_13binary_searchIS3_S5_NSA_INS8_10device_ptrIyEEEESG_SI_NS1_21lower_bound_search_opENS9_16wrapped_functionINS8_6system6detail7generic6detail18binary_search_lessEbEEEE10hipError_tPvRmT1_T2_T3_mmT4_T5_P12ihipStream_tbEUlRKyE_EESV_SZ_S10_mS11_S14_bEUlT_E_NS1_11comp_targetILNS1_3genE2ELNS1_11target_archE906ELNS1_3gpuE6ELNS1_3repE0EEENS1_30default_config_static_selectorELNS0_4arch9wavefront6targetE1EEEvSY_,comdat
	.protected	_ZN7rocprim17ROCPRIM_400000_NS6detail17trampoline_kernelINS0_14default_configENS1_27lower_bound_config_selectorIylEEZNS1_14transform_implILb0ES3_S5_N6thrust23THRUST_200600_302600_NS6detail15normal_iteratorINS8_7pointerIyNS8_11hip_rocprim5par_tENS8_11use_defaultESE_EEEENSA_INSB_IlSD_SE_SE_EEEEZNS1_13binary_searchIS3_S5_NSA_INS8_10device_ptrIyEEEESG_SI_NS1_21lower_bound_search_opENS9_16wrapped_functionINS8_6system6detail7generic6detail18binary_search_lessEbEEEE10hipError_tPvRmT1_T2_T3_mmT4_T5_P12ihipStream_tbEUlRKyE_EESV_SZ_S10_mS11_S14_bEUlT_E_NS1_11comp_targetILNS1_3genE2ELNS1_11target_archE906ELNS1_3gpuE6ELNS1_3repE0EEENS1_30default_config_static_selectorELNS0_4arch9wavefront6targetE1EEEvSY_ ; -- Begin function _ZN7rocprim17ROCPRIM_400000_NS6detail17trampoline_kernelINS0_14default_configENS1_27lower_bound_config_selectorIylEEZNS1_14transform_implILb0ES3_S5_N6thrust23THRUST_200600_302600_NS6detail15normal_iteratorINS8_7pointerIyNS8_11hip_rocprim5par_tENS8_11use_defaultESE_EEEENSA_INSB_IlSD_SE_SE_EEEEZNS1_13binary_searchIS3_S5_NSA_INS8_10device_ptrIyEEEESG_SI_NS1_21lower_bound_search_opENS9_16wrapped_functionINS8_6system6detail7generic6detail18binary_search_lessEbEEEE10hipError_tPvRmT1_T2_T3_mmT4_T5_P12ihipStream_tbEUlRKyE_EESV_SZ_S10_mS11_S14_bEUlT_E_NS1_11comp_targetILNS1_3genE2ELNS1_11target_archE906ELNS1_3gpuE6ELNS1_3repE0EEENS1_30default_config_static_selectorELNS0_4arch9wavefront6targetE1EEEvSY_
	.globl	_ZN7rocprim17ROCPRIM_400000_NS6detail17trampoline_kernelINS0_14default_configENS1_27lower_bound_config_selectorIylEEZNS1_14transform_implILb0ES3_S5_N6thrust23THRUST_200600_302600_NS6detail15normal_iteratorINS8_7pointerIyNS8_11hip_rocprim5par_tENS8_11use_defaultESE_EEEENSA_INSB_IlSD_SE_SE_EEEEZNS1_13binary_searchIS3_S5_NSA_INS8_10device_ptrIyEEEESG_SI_NS1_21lower_bound_search_opENS9_16wrapped_functionINS8_6system6detail7generic6detail18binary_search_lessEbEEEE10hipError_tPvRmT1_T2_T3_mmT4_T5_P12ihipStream_tbEUlRKyE_EESV_SZ_S10_mS11_S14_bEUlT_E_NS1_11comp_targetILNS1_3genE2ELNS1_11target_archE906ELNS1_3gpuE6ELNS1_3repE0EEENS1_30default_config_static_selectorELNS0_4arch9wavefront6targetE1EEEvSY_
	.p2align	8
	.type	_ZN7rocprim17ROCPRIM_400000_NS6detail17trampoline_kernelINS0_14default_configENS1_27lower_bound_config_selectorIylEEZNS1_14transform_implILb0ES3_S5_N6thrust23THRUST_200600_302600_NS6detail15normal_iteratorINS8_7pointerIyNS8_11hip_rocprim5par_tENS8_11use_defaultESE_EEEENSA_INSB_IlSD_SE_SE_EEEEZNS1_13binary_searchIS3_S5_NSA_INS8_10device_ptrIyEEEESG_SI_NS1_21lower_bound_search_opENS9_16wrapped_functionINS8_6system6detail7generic6detail18binary_search_lessEbEEEE10hipError_tPvRmT1_T2_T3_mmT4_T5_P12ihipStream_tbEUlRKyE_EESV_SZ_S10_mS11_S14_bEUlT_E_NS1_11comp_targetILNS1_3genE2ELNS1_11target_archE906ELNS1_3gpuE6ELNS1_3repE0EEENS1_30default_config_static_selectorELNS0_4arch9wavefront6targetE1EEEvSY_,@function
_ZN7rocprim17ROCPRIM_400000_NS6detail17trampoline_kernelINS0_14default_configENS1_27lower_bound_config_selectorIylEEZNS1_14transform_implILb0ES3_S5_N6thrust23THRUST_200600_302600_NS6detail15normal_iteratorINS8_7pointerIyNS8_11hip_rocprim5par_tENS8_11use_defaultESE_EEEENSA_INSB_IlSD_SE_SE_EEEEZNS1_13binary_searchIS3_S5_NSA_INS8_10device_ptrIyEEEESG_SI_NS1_21lower_bound_search_opENS9_16wrapped_functionINS8_6system6detail7generic6detail18binary_search_lessEbEEEE10hipError_tPvRmT1_T2_T3_mmT4_T5_P12ihipStream_tbEUlRKyE_EESV_SZ_S10_mS11_S14_bEUlT_E_NS1_11comp_targetILNS1_3genE2ELNS1_11target_archE906ELNS1_3gpuE6ELNS1_3repE0EEENS1_30default_config_static_selectorELNS0_4arch9wavefront6targetE1EEEvSY_: ; @_ZN7rocprim17ROCPRIM_400000_NS6detail17trampoline_kernelINS0_14default_configENS1_27lower_bound_config_selectorIylEEZNS1_14transform_implILb0ES3_S5_N6thrust23THRUST_200600_302600_NS6detail15normal_iteratorINS8_7pointerIyNS8_11hip_rocprim5par_tENS8_11use_defaultESE_EEEENSA_INSB_IlSD_SE_SE_EEEEZNS1_13binary_searchIS3_S5_NSA_INS8_10device_ptrIyEEEESG_SI_NS1_21lower_bound_search_opENS9_16wrapped_functionINS8_6system6detail7generic6detail18binary_search_lessEbEEEE10hipError_tPvRmT1_T2_T3_mmT4_T5_P12ihipStream_tbEUlRKyE_EESV_SZ_S10_mS11_S14_bEUlT_E_NS1_11comp_targetILNS1_3genE2ELNS1_11target_archE906ELNS1_3gpuE6ELNS1_3repE0EEENS1_30default_config_static_selectorELNS0_4arch9wavefront6targetE1EEEvSY_
; %bb.0:
	s_load_dwordx4 s[0:3], s[4:5], 0x0
	s_load_dwordx4 s[8:11], s[4:5], 0x18
	s_load_dwordx2 s[12:13], s[4:5], 0x28
	s_load_dword s16, s[4:5], 0x38
	s_waitcnt lgkmcnt(0)
	s_lshl_b64 s[14:15], s[2:3], 3
	s_add_u32 s2, s0, s14
	s_addc_u32 s3, s1, s15
	s_add_u32 s7, s8, s14
	s_addc_u32 s14, s9, s15
	s_lshl_b32 s8, s6, 8
	s_add_i32 s16, s16, -1
	s_mov_b32 s9, 0
	s_cmp_lg_u32 s6, s16
	s_mov_b64 s[0:1], -1
	s_cbranch_scc0 .LBB362_7
; %bb.1:
	s_cmp_eq_u64 s[12:13], 0
	s_mov_b64 s[0:1], 0
	s_cbranch_scc1 .LBB362_5
; %bb.2:
	s_lshl_b64 s[16:17], s[8:9], 3
	s_add_u32 s6, s2, s16
	s_addc_u32 s15, s3, s17
	v_lshlrev_b32_e32 v1, 3, v0
	v_mov_b32_e32 v2, s15
	v_add_co_u32_e32 v1, vcc, s6, v1
	v_addc_co_u32_e32 v2, vcc, 0, v2, vcc
	flat_load_dwordx2 v[3:4], v[1:2]
	v_mov_b32_e32 v1, 0
	v_mov_b32_e32 v5, s12
	;; [unrolled: 1-line block ×5, first 2 shown]
.LBB362_3:                              ; =>This Inner Loop Header: Depth=1
	v_sub_co_u32_e32 v8, vcc, v5, v1
	v_subb_co_u32_e32 v9, vcc, v6, v2, vcc
	v_lshrrev_b64 v[10:11], 1, v[8:9]
	v_lshrrev_b64 v[8:9], 6, v[8:9]
	v_add_co_u32_e32 v10, vcc, v10, v1
	v_addc_co_u32_e32 v11, vcc, v11, v2, vcc
	v_add_co_u32_e32 v8, vcc, v10, v8
	v_addc_co_u32_e32 v9, vcc, v11, v9, vcc
	v_lshlrev_b64 v[10:11], 3, v[8:9]
	v_add_co_u32_e32 v10, vcc, s10, v10
	v_addc_co_u32_e32 v11, vcc, v7, v11, vcc
	global_load_dwordx2 v[10:11], v[10:11], off
	v_add_co_u32_e32 v12, vcc, 1, v8
	v_addc_co_u32_e32 v13, vcc, 0, v9, vcc
	s_waitcnt vmcnt(0) lgkmcnt(0)
	v_cmp_lt_u64_e32 vcc, v[10:11], v[3:4]
	v_cndmask_b32_e32 v6, v9, v6, vcc
	v_cndmask_b32_e32 v5, v8, v5, vcc
	;; [unrolled: 1-line block ×4, first 2 shown]
	v_cmp_ge_u64_e32 vcc, v[1:2], v[5:6]
	s_or_b64 s[0:1], vcc, s[0:1]
	s_andn2_b64 exec, exec, s[0:1]
	s_cbranch_execnz .LBB362_3
; %bb.4:
	s_or_b64 exec, exec, s[0:1]
	s_branch .LBB362_6
.LBB362_5:
	v_mov_b32_e32 v1, 0
	v_mov_b32_e32 v2, 0
.LBB362_6:
	s_lshl_b64 s[0:1], s[8:9], 3
	s_add_u32 s0, s7, s0
	s_addc_u32 s1, s14, s1
	v_lshlrev_b32_e32 v3, 3, v0
	v_mov_b32_e32 v4, s1
	v_add_co_u32_e32 v3, vcc, s0, v3
	v_addc_co_u32_e32 v4, vcc, 0, v4, vcc
	s_mov_b64 s[0:1], 0
	flat_store_dwordx2 v[3:4], v[1:2]
.LBB362_7:
	s_and_b64 vcc, exec, s[0:1]
	s_cbranch_vccz .LBB362_16
; %bb.8:
	s_load_dword s0, s[4:5], 0x10
                                        ; implicit-def: $vgpr3_vgpr4
	s_waitcnt lgkmcnt(0)
	s_sub_i32 s4, s0, s8
	v_cmp_le_u32_e64 s[0:1], s4, v0
	v_cmp_gt_u32_e32 vcc, s4, v0
	s_and_saveexec_b64 s[4:5], vcc
	s_cbranch_execz .LBB362_10
; %bb.9:
	s_lshl_b64 s[16:17], s[8:9], 3
	s_add_u32 s2, s2, s16
	s_addc_u32 s3, s3, s17
	v_lshlrev_b32_e32 v1, 3, v0
	v_mov_b32_e32 v2, s3
	v_add_co_u32_e64 v1, s[2:3], s2, v1
	v_addc_co_u32_e64 v2, s[2:3], 0, v2, s[2:3]
	flat_load_dwordx2 v[3:4], v[1:2]
.LBB362_10:
	s_or_b64 exec, exec, s[4:5]
	s_cmp_lg_u64 s[12:13], 0
	s_cselect_b64 s[4:5], -1, 0
	s_xor_b64 s[0:1], s[0:1], -1
	v_mov_b32_e32 v1, 0
	s_mov_b64 s[2:3], 0
	v_mov_b32_e32 v2, 0
	s_and_b64 s[0:1], s[0:1], s[4:5]
	s_and_saveexec_b64 s[4:5], s[0:1]
	s_cbranch_execz .LBB362_14
; %bb.11:
	v_mov_b32_e32 v1, 0
	v_mov_b32_e32 v5, s12
	;; [unrolled: 1-line block ×5, first 2 shown]
.LBB362_12:                             ; =>This Inner Loop Header: Depth=1
	v_sub_co_u32_e64 v8, s[0:1], v5, v1
	v_subb_co_u32_e64 v9, s[0:1], v6, v2, s[0:1]
	v_lshrrev_b64 v[10:11], 1, v[8:9]
	v_lshrrev_b64 v[8:9], 6, v[8:9]
	v_add_co_u32_e64 v10, s[0:1], v10, v1
	v_addc_co_u32_e64 v11, s[0:1], v11, v2, s[0:1]
	v_add_co_u32_e64 v8, s[0:1], v10, v8
	v_addc_co_u32_e64 v9, s[0:1], v11, v9, s[0:1]
	v_lshlrev_b64 v[10:11], 3, v[8:9]
	v_add_co_u32_e64 v10, s[0:1], s10, v10
	v_addc_co_u32_e64 v11, s[0:1], v7, v11, s[0:1]
	global_load_dwordx2 v[10:11], v[10:11], off
	v_add_co_u32_e64 v12, s[0:1], 1, v8
	v_addc_co_u32_e64 v13, s[0:1], 0, v9, s[0:1]
	s_waitcnt vmcnt(0) lgkmcnt(0)
	v_cmp_lt_u64_e64 s[0:1], v[10:11], v[3:4]
	v_cndmask_b32_e64 v6, v9, v6, s[0:1]
	v_cndmask_b32_e64 v5, v8, v5, s[0:1]
	;; [unrolled: 1-line block ×4, first 2 shown]
	v_cmp_ge_u64_e64 s[0:1], v[1:2], v[5:6]
	s_or_b64 s[2:3], s[0:1], s[2:3]
	s_andn2_b64 exec, exec, s[2:3]
	s_cbranch_execnz .LBB362_12
; %bb.13:
	s_or_b64 exec, exec, s[2:3]
.LBB362_14:
	s_or_b64 exec, exec, s[4:5]
	s_and_saveexec_b64 s[0:1], vcc
	s_cbranch_execz .LBB362_16
; %bb.15:
	s_lshl_b64 s[0:1], s[8:9], 3
	s_add_u32 s0, s7, s0
	s_addc_u32 s1, s14, s1
	v_lshlrev_b32_e32 v0, 3, v0
	s_waitcnt vmcnt(0) lgkmcnt(0)
	v_mov_b32_e32 v4, s1
	v_add_co_u32_e32 v3, vcc, s0, v0
	v_addc_co_u32_e32 v4, vcc, 0, v4, vcc
	flat_store_dwordx2 v[3:4], v[1:2]
.LBB362_16:
	s_endpgm
	.section	.rodata,"a",@progbits
	.p2align	6, 0x0
	.amdhsa_kernel _ZN7rocprim17ROCPRIM_400000_NS6detail17trampoline_kernelINS0_14default_configENS1_27lower_bound_config_selectorIylEEZNS1_14transform_implILb0ES3_S5_N6thrust23THRUST_200600_302600_NS6detail15normal_iteratorINS8_7pointerIyNS8_11hip_rocprim5par_tENS8_11use_defaultESE_EEEENSA_INSB_IlSD_SE_SE_EEEEZNS1_13binary_searchIS3_S5_NSA_INS8_10device_ptrIyEEEESG_SI_NS1_21lower_bound_search_opENS9_16wrapped_functionINS8_6system6detail7generic6detail18binary_search_lessEbEEEE10hipError_tPvRmT1_T2_T3_mmT4_T5_P12ihipStream_tbEUlRKyE_EESV_SZ_S10_mS11_S14_bEUlT_E_NS1_11comp_targetILNS1_3genE2ELNS1_11target_archE906ELNS1_3gpuE6ELNS1_3repE0EEENS1_30default_config_static_selectorELNS0_4arch9wavefront6targetE1EEEvSY_
		.amdhsa_group_segment_fixed_size 0
		.amdhsa_private_segment_fixed_size 0
		.amdhsa_kernarg_size 312
		.amdhsa_user_sgpr_count 6
		.amdhsa_user_sgpr_private_segment_buffer 1
		.amdhsa_user_sgpr_dispatch_ptr 0
		.amdhsa_user_sgpr_queue_ptr 0
		.amdhsa_user_sgpr_kernarg_segment_ptr 1
		.amdhsa_user_sgpr_dispatch_id 0
		.amdhsa_user_sgpr_flat_scratch_init 0
		.amdhsa_user_sgpr_private_segment_size 0
		.amdhsa_uses_dynamic_stack 0
		.amdhsa_system_sgpr_private_segment_wavefront_offset 0
		.amdhsa_system_sgpr_workgroup_id_x 1
		.amdhsa_system_sgpr_workgroup_id_y 0
		.amdhsa_system_sgpr_workgroup_id_z 0
		.amdhsa_system_sgpr_workgroup_info 0
		.amdhsa_system_vgpr_workitem_id 0
		.amdhsa_next_free_vgpr 14
		.amdhsa_next_free_sgpr 18
		.amdhsa_reserve_vcc 1
		.amdhsa_reserve_flat_scratch 0
		.amdhsa_float_round_mode_32 0
		.amdhsa_float_round_mode_16_64 0
		.amdhsa_float_denorm_mode_32 3
		.amdhsa_float_denorm_mode_16_64 3
		.amdhsa_dx10_clamp 1
		.amdhsa_ieee_mode 1
		.amdhsa_fp16_overflow 0
		.amdhsa_exception_fp_ieee_invalid_op 0
		.amdhsa_exception_fp_denorm_src 0
		.amdhsa_exception_fp_ieee_div_zero 0
		.amdhsa_exception_fp_ieee_overflow 0
		.amdhsa_exception_fp_ieee_underflow 0
		.amdhsa_exception_fp_ieee_inexact 0
		.amdhsa_exception_int_div_zero 0
	.end_amdhsa_kernel
	.section	.text._ZN7rocprim17ROCPRIM_400000_NS6detail17trampoline_kernelINS0_14default_configENS1_27lower_bound_config_selectorIylEEZNS1_14transform_implILb0ES3_S5_N6thrust23THRUST_200600_302600_NS6detail15normal_iteratorINS8_7pointerIyNS8_11hip_rocprim5par_tENS8_11use_defaultESE_EEEENSA_INSB_IlSD_SE_SE_EEEEZNS1_13binary_searchIS3_S5_NSA_INS8_10device_ptrIyEEEESG_SI_NS1_21lower_bound_search_opENS9_16wrapped_functionINS8_6system6detail7generic6detail18binary_search_lessEbEEEE10hipError_tPvRmT1_T2_T3_mmT4_T5_P12ihipStream_tbEUlRKyE_EESV_SZ_S10_mS11_S14_bEUlT_E_NS1_11comp_targetILNS1_3genE2ELNS1_11target_archE906ELNS1_3gpuE6ELNS1_3repE0EEENS1_30default_config_static_selectorELNS0_4arch9wavefront6targetE1EEEvSY_,"axG",@progbits,_ZN7rocprim17ROCPRIM_400000_NS6detail17trampoline_kernelINS0_14default_configENS1_27lower_bound_config_selectorIylEEZNS1_14transform_implILb0ES3_S5_N6thrust23THRUST_200600_302600_NS6detail15normal_iteratorINS8_7pointerIyNS8_11hip_rocprim5par_tENS8_11use_defaultESE_EEEENSA_INSB_IlSD_SE_SE_EEEEZNS1_13binary_searchIS3_S5_NSA_INS8_10device_ptrIyEEEESG_SI_NS1_21lower_bound_search_opENS9_16wrapped_functionINS8_6system6detail7generic6detail18binary_search_lessEbEEEE10hipError_tPvRmT1_T2_T3_mmT4_T5_P12ihipStream_tbEUlRKyE_EESV_SZ_S10_mS11_S14_bEUlT_E_NS1_11comp_targetILNS1_3genE2ELNS1_11target_archE906ELNS1_3gpuE6ELNS1_3repE0EEENS1_30default_config_static_selectorELNS0_4arch9wavefront6targetE1EEEvSY_,comdat
.Lfunc_end362:
	.size	_ZN7rocprim17ROCPRIM_400000_NS6detail17trampoline_kernelINS0_14default_configENS1_27lower_bound_config_selectorIylEEZNS1_14transform_implILb0ES3_S5_N6thrust23THRUST_200600_302600_NS6detail15normal_iteratorINS8_7pointerIyNS8_11hip_rocprim5par_tENS8_11use_defaultESE_EEEENSA_INSB_IlSD_SE_SE_EEEEZNS1_13binary_searchIS3_S5_NSA_INS8_10device_ptrIyEEEESG_SI_NS1_21lower_bound_search_opENS9_16wrapped_functionINS8_6system6detail7generic6detail18binary_search_lessEbEEEE10hipError_tPvRmT1_T2_T3_mmT4_T5_P12ihipStream_tbEUlRKyE_EESV_SZ_S10_mS11_S14_bEUlT_E_NS1_11comp_targetILNS1_3genE2ELNS1_11target_archE906ELNS1_3gpuE6ELNS1_3repE0EEENS1_30default_config_static_selectorELNS0_4arch9wavefront6targetE1EEEvSY_, .Lfunc_end362-_ZN7rocprim17ROCPRIM_400000_NS6detail17trampoline_kernelINS0_14default_configENS1_27lower_bound_config_selectorIylEEZNS1_14transform_implILb0ES3_S5_N6thrust23THRUST_200600_302600_NS6detail15normal_iteratorINS8_7pointerIyNS8_11hip_rocprim5par_tENS8_11use_defaultESE_EEEENSA_INSB_IlSD_SE_SE_EEEEZNS1_13binary_searchIS3_S5_NSA_INS8_10device_ptrIyEEEESG_SI_NS1_21lower_bound_search_opENS9_16wrapped_functionINS8_6system6detail7generic6detail18binary_search_lessEbEEEE10hipError_tPvRmT1_T2_T3_mmT4_T5_P12ihipStream_tbEUlRKyE_EESV_SZ_S10_mS11_S14_bEUlT_E_NS1_11comp_targetILNS1_3genE2ELNS1_11target_archE906ELNS1_3gpuE6ELNS1_3repE0EEENS1_30default_config_static_selectorELNS0_4arch9wavefront6targetE1EEEvSY_
                                        ; -- End function
	.set _ZN7rocprim17ROCPRIM_400000_NS6detail17trampoline_kernelINS0_14default_configENS1_27lower_bound_config_selectorIylEEZNS1_14transform_implILb0ES3_S5_N6thrust23THRUST_200600_302600_NS6detail15normal_iteratorINS8_7pointerIyNS8_11hip_rocprim5par_tENS8_11use_defaultESE_EEEENSA_INSB_IlSD_SE_SE_EEEEZNS1_13binary_searchIS3_S5_NSA_INS8_10device_ptrIyEEEESG_SI_NS1_21lower_bound_search_opENS9_16wrapped_functionINS8_6system6detail7generic6detail18binary_search_lessEbEEEE10hipError_tPvRmT1_T2_T3_mmT4_T5_P12ihipStream_tbEUlRKyE_EESV_SZ_S10_mS11_S14_bEUlT_E_NS1_11comp_targetILNS1_3genE2ELNS1_11target_archE906ELNS1_3gpuE6ELNS1_3repE0EEENS1_30default_config_static_selectorELNS0_4arch9wavefront6targetE1EEEvSY_.num_vgpr, 14
	.set _ZN7rocprim17ROCPRIM_400000_NS6detail17trampoline_kernelINS0_14default_configENS1_27lower_bound_config_selectorIylEEZNS1_14transform_implILb0ES3_S5_N6thrust23THRUST_200600_302600_NS6detail15normal_iteratorINS8_7pointerIyNS8_11hip_rocprim5par_tENS8_11use_defaultESE_EEEENSA_INSB_IlSD_SE_SE_EEEEZNS1_13binary_searchIS3_S5_NSA_INS8_10device_ptrIyEEEESG_SI_NS1_21lower_bound_search_opENS9_16wrapped_functionINS8_6system6detail7generic6detail18binary_search_lessEbEEEE10hipError_tPvRmT1_T2_T3_mmT4_T5_P12ihipStream_tbEUlRKyE_EESV_SZ_S10_mS11_S14_bEUlT_E_NS1_11comp_targetILNS1_3genE2ELNS1_11target_archE906ELNS1_3gpuE6ELNS1_3repE0EEENS1_30default_config_static_selectorELNS0_4arch9wavefront6targetE1EEEvSY_.num_agpr, 0
	.set _ZN7rocprim17ROCPRIM_400000_NS6detail17trampoline_kernelINS0_14default_configENS1_27lower_bound_config_selectorIylEEZNS1_14transform_implILb0ES3_S5_N6thrust23THRUST_200600_302600_NS6detail15normal_iteratorINS8_7pointerIyNS8_11hip_rocprim5par_tENS8_11use_defaultESE_EEEENSA_INSB_IlSD_SE_SE_EEEEZNS1_13binary_searchIS3_S5_NSA_INS8_10device_ptrIyEEEESG_SI_NS1_21lower_bound_search_opENS9_16wrapped_functionINS8_6system6detail7generic6detail18binary_search_lessEbEEEE10hipError_tPvRmT1_T2_T3_mmT4_T5_P12ihipStream_tbEUlRKyE_EESV_SZ_S10_mS11_S14_bEUlT_E_NS1_11comp_targetILNS1_3genE2ELNS1_11target_archE906ELNS1_3gpuE6ELNS1_3repE0EEENS1_30default_config_static_selectorELNS0_4arch9wavefront6targetE1EEEvSY_.numbered_sgpr, 18
	.set _ZN7rocprim17ROCPRIM_400000_NS6detail17trampoline_kernelINS0_14default_configENS1_27lower_bound_config_selectorIylEEZNS1_14transform_implILb0ES3_S5_N6thrust23THRUST_200600_302600_NS6detail15normal_iteratorINS8_7pointerIyNS8_11hip_rocprim5par_tENS8_11use_defaultESE_EEEENSA_INSB_IlSD_SE_SE_EEEEZNS1_13binary_searchIS3_S5_NSA_INS8_10device_ptrIyEEEESG_SI_NS1_21lower_bound_search_opENS9_16wrapped_functionINS8_6system6detail7generic6detail18binary_search_lessEbEEEE10hipError_tPvRmT1_T2_T3_mmT4_T5_P12ihipStream_tbEUlRKyE_EESV_SZ_S10_mS11_S14_bEUlT_E_NS1_11comp_targetILNS1_3genE2ELNS1_11target_archE906ELNS1_3gpuE6ELNS1_3repE0EEENS1_30default_config_static_selectorELNS0_4arch9wavefront6targetE1EEEvSY_.num_named_barrier, 0
	.set _ZN7rocprim17ROCPRIM_400000_NS6detail17trampoline_kernelINS0_14default_configENS1_27lower_bound_config_selectorIylEEZNS1_14transform_implILb0ES3_S5_N6thrust23THRUST_200600_302600_NS6detail15normal_iteratorINS8_7pointerIyNS8_11hip_rocprim5par_tENS8_11use_defaultESE_EEEENSA_INSB_IlSD_SE_SE_EEEEZNS1_13binary_searchIS3_S5_NSA_INS8_10device_ptrIyEEEESG_SI_NS1_21lower_bound_search_opENS9_16wrapped_functionINS8_6system6detail7generic6detail18binary_search_lessEbEEEE10hipError_tPvRmT1_T2_T3_mmT4_T5_P12ihipStream_tbEUlRKyE_EESV_SZ_S10_mS11_S14_bEUlT_E_NS1_11comp_targetILNS1_3genE2ELNS1_11target_archE906ELNS1_3gpuE6ELNS1_3repE0EEENS1_30default_config_static_selectorELNS0_4arch9wavefront6targetE1EEEvSY_.private_seg_size, 0
	.set _ZN7rocprim17ROCPRIM_400000_NS6detail17trampoline_kernelINS0_14default_configENS1_27lower_bound_config_selectorIylEEZNS1_14transform_implILb0ES3_S5_N6thrust23THRUST_200600_302600_NS6detail15normal_iteratorINS8_7pointerIyNS8_11hip_rocprim5par_tENS8_11use_defaultESE_EEEENSA_INSB_IlSD_SE_SE_EEEEZNS1_13binary_searchIS3_S5_NSA_INS8_10device_ptrIyEEEESG_SI_NS1_21lower_bound_search_opENS9_16wrapped_functionINS8_6system6detail7generic6detail18binary_search_lessEbEEEE10hipError_tPvRmT1_T2_T3_mmT4_T5_P12ihipStream_tbEUlRKyE_EESV_SZ_S10_mS11_S14_bEUlT_E_NS1_11comp_targetILNS1_3genE2ELNS1_11target_archE906ELNS1_3gpuE6ELNS1_3repE0EEENS1_30default_config_static_selectorELNS0_4arch9wavefront6targetE1EEEvSY_.uses_vcc, 1
	.set _ZN7rocprim17ROCPRIM_400000_NS6detail17trampoline_kernelINS0_14default_configENS1_27lower_bound_config_selectorIylEEZNS1_14transform_implILb0ES3_S5_N6thrust23THRUST_200600_302600_NS6detail15normal_iteratorINS8_7pointerIyNS8_11hip_rocprim5par_tENS8_11use_defaultESE_EEEENSA_INSB_IlSD_SE_SE_EEEEZNS1_13binary_searchIS3_S5_NSA_INS8_10device_ptrIyEEEESG_SI_NS1_21lower_bound_search_opENS9_16wrapped_functionINS8_6system6detail7generic6detail18binary_search_lessEbEEEE10hipError_tPvRmT1_T2_T3_mmT4_T5_P12ihipStream_tbEUlRKyE_EESV_SZ_S10_mS11_S14_bEUlT_E_NS1_11comp_targetILNS1_3genE2ELNS1_11target_archE906ELNS1_3gpuE6ELNS1_3repE0EEENS1_30default_config_static_selectorELNS0_4arch9wavefront6targetE1EEEvSY_.uses_flat_scratch, 0
	.set _ZN7rocprim17ROCPRIM_400000_NS6detail17trampoline_kernelINS0_14default_configENS1_27lower_bound_config_selectorIylEEZNS1_14transform_implILb0ES3_S5_N6thrust23THRUST_200600_302600_NS6detail15normal_iteratorINS8_7pointerIyNS8_11hip_rocprim5par_tENS8_11use_defaultESE_EEEENSA_INSB_IlSD_SE_SE_EEEEZNS1_13binary_searchIS3_S5_NSA_INS8_10device_ptrIyEEEESG_SI_NS1_21lower_bound_search_opENS9_16wrapped_functionINS8_6system6detail7generic6detail18binary_search_lessEbEEEE10hipError_tPvRmT1_T2_T3_mmT4_T5_P12ihipStream_tbEUlRKyE_EESV_SZ_S10_mS11_S14_bEUlT_E_NS1_11comp_targetILNS1_3genE2ELNS1_11target_archE906ELNS1_3gpuE6ELNS1_3repE0EEENS1_30default_config_static_selectorELNS0_4arch9wavefront6targetE1EEEvSY_.has_dyn_sized_stack, 0
	.set _ZN7rocprim17ROCPRIM_400000_NS6detail17trampoline_kernelINS0_14default_configENS1_27lower_bound_config_selectorIylEEZNS1_14transform_implILb0ES3_S5_N6thrust23THRUST_200600_302600_NS6detail15normal_iteratorINS8_7pointerIyNS8_11hip_rocprim5par_tENS8_11use_defaultESE_EEEENSA_INSB_IlSD_SE_SE_EEEEZNS1_13binary_searchIS3_S5_NSA_INS8_10device_ptrIyEEEESG_SI_NS1_21lower_bound_search_opENS9_16wrapped_functionINS8_6system6detail7generic6detail18binary_search_lessEbEEEE10hipError_tPvRmT1_T2_T3_mmT4_T5_P12ihipStream_tbEUlRKyE_EESV_SZ_S10_mS11_S14_bEUlT_E_NS1_11comp_targetILNS1_3genE2ELNS1_11target_archE906ELNS1_3gpuE6ELNS1_3repE0EEENS1_30default_config_static_selectorELNS0_4arch9wavefront6targetE1EEEvSY_.has_recursion, 0
	.set _ZN7rocprim17ROCPRIM_400000_NS6detail17trampoline_kernelINS0_14default_configENS1_27lower_bound_config_selectorIylEEZNS1_14transform_implILb0ES3_S5_N6thrust23THRUST_200600_302600_NS6detail15normal_iteratorINS8_7pointerIyNS8_11hip_rocprim5par_tENS8_11use_defaultESE_EEEENSA_INSB_IlSD_SE_SE_EEEEZNS1_13binary_searchIS3_S5_NSA_INS8_10device_ptrIyEEEESG_SI_NS1_21lower_bound_search_opENS9_16wrapped_functionINS8_6system6detail7generic6detail18binary_search_lessEbEEEE10hipError_tPvRmT1_T2_T3_mmT4_T5_P12ihipStream_tbEUlRKyE_EESV_SZ_S10_mS11_S14_bEUlT_E_NS1_11comp_targetILNS1_3genE2ELNS1_11target_archE906ELNS1_3gpuE6ELNS1_3repE0EEENS1_30default_config_static_selectorELNS0_4arch9wavefront6targetE1EEEvSY_.has_indirect_call, 0
	.section	.AMDGPU.csdata,"",@progbits
; Kernel info:
; codeLenInByte = 700
; TotalNumSgprs: 22
; NumVgprs: 14
; ScratchSize: 0
; MemoryBound: 0
; FloatMode: 240
; IeeeMode: 1
; LDSByteSize: 0 bytes/workgroup (compile time only)
; SGPRBlocks: 2
; VGPRBlocks: 3
; NumSGPRsForWavesPerEU: 22
; NumVGPRsForWavesPerEU: 14
; Occupancy: 10
; WaveLimiterHint : 0
; COMPUTE_PGM_RSRC2:SCRATCH_EN: 0
; COMPUTE_PGM_RSRC2:USER_SGPR: 6
; COMPUTE_PGM_RSRC2:TRAP_HANDLER: 0
; COMPUTE_PGM_RSRC2:TGID_X_EN: 1
; COMPUTE_PGM_RSRC2:TGID_Y_EN: 0
; COMPUTE_PGM_RSRC2:TGID_Z_EN: 0
; COMPUTE_PGM_RSRC2:TIDIG_COMP_CNT: 0
	.section	.text._ZN7rocprim17ROCPRIM_400000_NS6detail17trampoline_kernelINS0_14default_configENS1_27lower_bound_config_selectorIylEEZNS1_14transform_implILb0ES3_S5_N6thrust23THRUST_200600_302600_NS6detail15normal_iteratorINS8_7pointerIyNS8_11hip_rocprim5par_tENS8_11use_defaultESE_EEEENSA_INSB_IlSD_SE_SE_EEEEZNS1_13binary_searchIS3_S5_NSA_INS8_10device_ptrIyEEEESG_SI_NS1_21lower_bound_search_opENS9_16wrapped_functionINS8_6system6detail7generic6detail18binary_search_lessEbEEEE10hipError_tPvRmT1_T2_T3_mmT4_T5_P12ihipStream_tbEUlRKyE_EESV_SZ_S10_mS11_S14_bEUlT_E_NS1_11comp_targetILNS1_3genE10ELNS1_11target_archE1201ELNS1_3gpuE5ELNS1_3repE0EEENS1_30default_config_static_selectorELNS0_4arch9wavefront6targetE1EEEvSY_,"axG",@progbits,_ZN7rocprim17ROCPRIM_400000_NS6detail17trampoline_kernelINS0_14default_configENS1_27lower_bound_config_selectorIylEEZNS1_14transform_implILb0ES3_S5_N6thrust23THRUST_200600_302600_NS6detail15normal_iteratorINS8_7pointerIyNS8_11hip_rocprim5par_tENS8_11use_defaultESE_EEEENSA_INSB_IlSD_SE_SE_EEEEZNS1_13binary_searchIS3_S5_NSA_INS8_10device_ptrIyEEEESG_SI_NS1_21lower_bound_search_opENS9_16wrapped_functionINS8_6system6detail7generic6detail18binary_search_lessEbEEEE10hipError_tPvRmT1_T2_T3_mmT4_T5_P12ihipStream_tbEUlRKyE_EESV_SZ_S10_mS11_S14_bEUlT_E_NS1_11comp_targetILNS1_3genE10ELNS1_11target_archE1201ELNS1_3gpuE5ELNS1_3repE0EEENS1_30default_config_static_selectorELNS0_4arch9wavefront6targetE1EEEvSY_,comdat
	.protected	_ZN7rocprim17ROCPRIM_400000_NS6detail17trampoline_kernelINS0_14default_configENS1_27lower_bound_config_selectorIylEEZNS1_14transform_implILb0ES3_S5_N6thrust23THRUST_200600_302600_NS6detail15normal_iteratorINS8_7pointerIyNS8_11hip_rocprim5par_tENS8_11use_defaultESE_EEEENSA_INSB_IlSD_SE_SE_EEEEZNS1_13binary_searchIS3_S5_NSA_INS8_10device_ptrIyEEEESG_SI_NS1_21lower_bound_search_opENS9_16wrapped_functionINS8_6system6detail7generic6detail18binary_search_lessEbEEEE10hipError_tPvRmT1_T2_T3_mmT4_T5_P12ihipStream_tbEUlRKyE_EESV_SZ_S10_mS11_S14_bEUlT_E_NS1_11comp_targetILNS1_3genE10ELNS1_11target_archE1201ELNS1_3gpuE5ELNS1_3repE0EEENS1_30default_config_static_selectorELNS0_4arch9wavefront6targetE1EEEvSY_ ; -- Begin function _ZN7rocprim17ROCPRIM_400000_NS6detail17trampoline_kernelINS0_14default_configENS1_27lower_bound_config_selectorIylEEZNS1_14transform_implILb0ES3_S5_N6thrust23THRUST_200600_302600_NS6detail15normal_iteratorINS8_7pointerIyNS8_11hip_rocprim5par_tENS8_11use_defaultESE_EEEENSA_INSB_IlSD_SE_SE_EEEEZNS1_13binary_searchIS3_S5_NSA_INS8_10device_ptrIyEEEESG_SI_NS1_21lower_bound_search_opENS9_16wrapped_functionINS8_6system6detail7generic6detail18binary_search_lessEbEEEE10hipError_tPvRmT1_T2_T3_mmT4_T5_P12ihipStream_tbEUlRKyE_EESV_SZ_S10_mS11_S14_bEUlT_E_NS1_11comp_targetILNS1_3genE10ELNS1_11target_archE1201ELNS1_3gpuE5ELNS1_3repE0EEENS1_30default_config_static_selectorELNS0_4arch9wavefront6targetE1EEEvSY_
	.globl	_ZN7rocprim17ROCPRIM_400000_NS6detail17trampoline_kernelINS0_14default_configENS1_27lower_bound_config_selectorIylEEZNS1_14transform_implILb0ES3_S5_N6thrust23THRUST_200600_302600_NS6detail15normal_iteratorINS8_7pointerIyNS8_11hip_rocprim5par_tENS8_11use_defaultESE_EEEENSA_INSB_IlSD_SE_SE_EEEEZNS1_13binary_searchIS3_S5_NSA_INS8_10device_ptrIyEEEESG_SI_NS1_21lower_bound_search_opENS9_16wrapped_functionINS8_6system6detail7generic6detail18binary_search_lessEbEEEE10hipError_tPvRmT1_T2_T3_mmT4_T5_P12ihipStream_tbEUlRKyE_EESV_SZ_S10_mS11_S14_bEUlT_E_NS1_11comp_targetILNS1_3genE10ELNS1_11target_archE1201ELNS1_3gpuE5ELNS1_3repE0EEENS1_30default_config_static_selectorELNS0_4arch9wavefront6targetE1EEEvSY_
	.p2align	8
	.type	_ZN7rocprim17ROCPRIM_400000_NS6detail17trampoline_kernelINS0_14default_configENS1_27lower_bound_config_selectorIylEEZNS1_14transform_implILb0ES3_S5_N6thrust23THRUST_200600_302600_NS6detail15normal_iteratorINS8_7pointerIyNS8_11hip_rocprim5par_tENS8_11use_defaultESE_EEEENSA_INSB_IlSD_SE_SE_EEEEZNS1_13binary_searchIS3_S5_NSA_INS8_10device_ptrIyEEEESG_SI_NS1_21lower_bound_search_opENS9_16wrapped_functionINS8_6system6detail7generic6detail18binary_search_lessEbEEEE10hipError_tPvRmT1_T2_T3_mmT4_T5_P12ihipStream_tbEUlRKyE_EESV_SZ_S10_mS11_S14_bEUlT_E_NS1_11comp_targetILNS1_3genE10ELNS1_11target_archE1201ELNS1_3gpuE5ELNS1_3repE0EEENS1_30default_config_static_selectorELNS0_4arch9wavefront6targetE1EEEvSY_,@function
_ZN7rocprim17ROCPRIM_400000_NS6detail17trampoline_kernelINS0_14default_configENS1_27lower_bound_config_selectorIylEEZNS1_14transform_implILb0ES3_S5_N6thrust23THRUST_200600_302600_NS6detail15normal_iteratorINS8_7pointerIyNS8_11hip_rocprim5par_tENS8_11use_defaultESE_EEEENSA_INSB_IlSD_SE_SE_EEEEZNS1_13binary_searchIS3_S5_NSA_INS8_10device_ptrIyEEEESG_SI_NS1_21lower_bound_search_opENS9_16wrapped_functionINS8_6system6detail7generic6detail18binary_search_lessEbEEEE10hipError_tPvRmT1_T2_T3_mmT4_T5_P12ihipStream_tbEUlRKyE_EESV_SZ_S10_mS11_S14_bEUlT_E_NS1_11comp_targetILNS1_3genE10ELNS1_11target_archE1201ELNS1_3gpuE5ELNS1_3repE0EEENS1_30default_config_static_selectorELNS0_4arch9wavefront6targetE1EEEvSY_: ; @_ZN7rocprim17ROCPRIM_400000_NS6detail17trampoline_kernelINS0_14default_configENS1_27lower_bound_config_selectorIylEEZNS1_14transform_implILb0ES3_S5_N6thrust23THRUST_200600_302600_NS6detail15normal_iteratorINS8_7pointerIyNS8_11hip_rocprim5par_tENS8_11use_defaultESE_EEEENSA_INSB_IlSD_SE_SE_EEEEZNS1_13binary_searchIS3_S5_NSA_INS8_10device_ptrIyEEEESG_SI_NS1_21lower_bound_search_opENS9_16wrapped_functionINS8_6system6detail7generic6detail18binary_search_lessEbEEEE10hipError_tPvRmT1_T2_T3_mmT4_T5_P12ihipStream_tbEUlRKyE_EESV_SZ_S10_mS11_S14_bEUlT_E_NS1_11comp_targetILNS1_3genE10ELNS1_11target_archE1201ELNS1_3gpuE5ELNS1_3repE0EEENS1_30default_config_static_selectorELNS0_4arch9wavefront6targetE1EEEvSY_
; %bb.0:
	.section	.rodata,"a",@progbits
	.p2align	6, 0x0
	.amdhsa_kernel _ZN7rocprim17ROCPRIM_400000_NS6detail17trampoline_kernelINS0_14default_configENS1_27lower_bound_config_selectorIylEEZNS1_14transform_implILb0ES3_S5_N6thrust23THRUST_200600_302600_NS6detail15normal_iteratorINS8_7pointerIyNS8_11hip_rocprim5par_tENS8_11use_defaultESE_EEEENSA_INSB_IlSD_SE_SE_EEEEZNS1_13binary_searchIS3_S5_NSA_INS8_10device_ptrIyEEEESG_SI_NS1_21lower_bound_search_opENS9_16wrapped_functionINS8_6system6detail7generic6detail18binary_search_lessEbEEEE10hipError_tPvRmT1_T2_T3_mmT4_T5_P12ihipStream_tbEUlRKyE_EESV_SZ_S10_mS11_S14_bEUlT_E_NS1_11comp_targetILNS1_3genE10ELNS1_11target_archE1201ELNS1_3gpuE5ELNS1_3repE0EEENS1_30default_config_static_selectorELNS0_4arch9wavefront6targetE1EEEvSY_
		.amdhsa_group_segment_fixed_size 0
		.amdhsa_private_segment_fixed_size 0
		.amdhsa_kernarg_size 56
		.amdhsa_user_sgpr_count 6
		.amdhsa_user_sgpr_private_segment_buffer 1
		.amdhsa_user_sgpr_dispatch_ptr 0
		.amdhsa_user_sgpr_queue_ptr 0
		.amdhsa_user_sgpr_kernarg_segment_ptr 1
		.amdhsa_user_sgpr_dispatch_id 0
		.amdhsa_user_sgpr_flat_scratch_init 0
		.amdhsa_user_sgpr_private_segment_size 0
		.amdhsa_uses_dynamic_stack 0
		.amdhsa_system_sgpr_private_segment_wavefront_offset 0
		.amdhsa_system_sgpr_workgroup_id_x 1
		.amdhsa_system_sgpr_workgroup_id_y 0
		.amdhsa_system_sgpr_workgroup_id_z 0
		.amdhsa_system_sgpr_workgroup_info 0
		.amdhsa_system_vgpr_workitem_id 0
		.amdhsa_next_free_vgpr 1
		.amdhsa_next_free_sgpr 0
		.amdhsa_reserve_vcc 0
		.amdhsa_reserve_flat_scratch 0
		.amdhsa_float_round_mode_32 0
		.amdhsa_float_round_mode_16_64 0
		.amdhsa_float_denorm_mode_32 3
		.amdhsa_float_denorm_mode_16_64 3
		.amdhsa_dx10_clamp 1
		.amdhsa_ieee_mode 1
		.amdhsa_fp16_overflow 0
		.amdhsa_exception_fp_ieee_invalid_op 0
		.amdhsa_exception_fp_denorm_src 0
		.amdhsa_exception_fp_ieee_div_zero 0
		.amdhsa_exception_fp_ieee_overflow 0
		.amdhsa_exception_fp_ieee_underflow 0
		.amdhsa_exception_fp_ieee_inexact 0
		.amdhsa_exception_int_div_zero 0
	.end_amdhsa_kernel
	.section	.text._ZN7rocprim17ROCPRIM_400000_NS6detail17trampoline_kernelINS0_14default_configENS1_27lower_bound_config_selectorIylEEZNS1_14transform_implILb0ES3_S5_N6thrust23THRUST_200600_302600_NS6detail15normal_iteratorINS8_7pointerIyNS8_11hip_rocprim5par_tENS8_11use_defaultESE_EEEENSA_INSB_IlSD_SE_SE_EEEEZNS1_13binary_searchIS3_S5_NSA_INS8_10device_ptrIyEEEESG_SI_NS1_21lower_bound_search_opENS9_16wrapped_functionINS8_6system6detail7generic6detail18binary_search_lessEbEEEE10hipError_tPvRmT1_T2_T3_mmT4_T5_P12ihipStream_tbEUlRKyE_EESV_SZ_S10_mS11_S14_bEUlT_E_NS1_11comp_targetILNS1_3genE10ELNS1_11target_archE1201ELNS1_3gpuE5ELNS1_3repE0EEENS1_30default_config_static_selectorELNS0_4arch9wavefront6targetE1EEEvSY_,"axG",@progbits,_ZN7rocprim17ROCPRIM_400000_NS6detail17trampoline_kernelINS0_14default_configENS1_27lower_bound_config_selectorIylEEZNS1_14transform_implILb0ES3_S5_N6thrust23THRUST_200600_302600_NS6detail15normal_iteratorINS8_7pointerIyNS8_11hip_rocprim5par_tENS8_11use_defaultESE_EEEENSA_INSB_IlSD_SE_SE_EEEEZNS1_13binary_searchIS3_S5_NSA_INS8_10device_ptrIyEEEESG_SI_NS1_21lower_bound_search_opENS9_16wrapped_functionINS8_6system6detail7generic6detail18binary_search_lessEbEEEE10hipError_tPvRmT1_T2_T3_mmT4_T5_P12ihipStream_tbEUlRKyE_EESV_SZ_S10_mS11_S14_bEUlT_E_NS1_11comp_targetILNS1_3genE10ELNS1_11target_archE1201ELNS1_3gpuE5ELNS1_3repE0EEENS1_30default_config_static_selectorELNS0_4arch9wavefront6targetE1EEEvSY_,comdat
.Lfunc_end363:
	.size	_ZN7rocprim17ROCPRIM_400000_NS6detail17trampoline_kernelINS0_14default_configENS1_27lower_bound_config_selectorIylEEZNS1_14transform_implILb0ES3_S5_N6thrust23THRUST_200600_302600_NS6detail15normal_iteratorINS8_7pointerIyNS8_11hip_rocprim5par_tENS8_11use_defaultESE_EEEENSA_INSB_IlSD_SE_SE_EEEEZNS1_13binary_searchIS3_S5_NSA_INS8_10device_ptrIyEEEESG_SI_NS1_21lower_bound_search_opENS9_16wrapped_functionINS8_6system6detail7generic6detail18binary_search_lessEbEEEE10hipError_tPvRmT1_T2_T3_mmT4_T5_P12ihipStream_tbEUlRKyE_EESV_SZ_S10_mS11_S14_bEUlT_E_NS1_11comp_targetILNS1_3genE10ELNS1_11target_archE1201ELNS1_3gpuE5ELNS1_3repE0EEENS1_30default_config_static_selectorELNS0_4arch9wavefront6targetE1EEEvSY_, .Lfunc_end363-_ZN7rocprim17ROCPRIM_400000_NS6detail17trampoline_kernelINS0_14default_configENS1_27lower_bound_config_selectorIylEEZNS1_14transform_implILb0ES3_S5_N6thrust23THRUST_200600_302600_NS6detail15normal_iteratorINS8_7pointerIyNS8_11hip_rocprim5par_tENS8_11use_defaultESE_EEEENSA_INSB_IlSD_SE_SE_EEEEZNS1_13binary_searchIS3_S5_NSA_INS8_10device_ptrIyEEEESG_SI_NS1_21lower_bound_search_opENS9_16wrapped_functionINS8_6system6detail7generic6detail18binary_search_lessEbEEEE10hipError_tPvRmT1_T2_T3_mmT4_T5_P12ihipStream_tbEUlRKyE_EESV_SZ_S10_mS11_S14_bEUlT_E_NS1_11comp_targetILNS1_3genE10ELNS1_11target_archE1201ELNS1_3gpuE5ELNS1_3repE0EEENS1_30default_config_static_selectorELNS0_4arch9wavefront6targetE1EEEvSY_
                                        ; -- End function
	.set _ZN7rocprim17ROCPRIM_400000_NS6detail17trampoline_kernelINS0_14default_configENS1_27lower_bound_config_selectorIylEEZNS1_14transform_implILb0ES3_S5_N6thrust23THRUST_200600_302600_NS6detail15normal_iteratorINS8_7pointerIyNS8_11hip_rocprim5par_tENS8_11use_defaultESE_EEEENSA_INSB_IlSD_SE_SE_EEEEZNS1_13binary_searchIS3_S5_NSA_INS8_10device_ptrIyEEEESG_SI_NS1_21lower_bound_search_opENS9_16wrapped_functionINS8_6system6detail7generic6detail18binary_search_lessEbEEEE10hipError_tPvRmT1_T2_T3_mmT4_T5_P12ihipStream_tbEUlRKyE_EESV_SZ_S10_mS11_S14_bEUlT_E_NS1_11comp_targetILNS1_3genE10ELNS1_11target_archE1201ELNS1_3gpuE5ELNS1_3repE0EEENS1_30default_config_static_selectorELNS0_4arch9wavefront6targetE1EEEvSY_.num_vgpr, 0
	.set _ZN7rocprim17ROCPRIM_400000_NS6detail17trampoline_kernelINS0_14default_configENS1_27lower_bound_config_selectorIylEEZNS1_14transform_implILb0ES3_S5_N6thrust23THRUST_200600_302600_NS6detail15normal_iteratorINS8_7pointerIyNS8_11hip_rocprim5par_tENS8_11use_defaultESE_EEEENSA_INSB_IlSD_SE_SE_EEEEZNS1_13binary_searchIS3_S5_NSA_INS8_10device_ptrIyEEEESG_SI_NS1_21lower_bound_search_opENS9_16wrapped_functionINS8_6system6detail7generic6detail18binary_search_lessEbEEEE10hipError_tPvRmT1_T2_T3_mmT4_T5_P12ihipStream_tbEUlRKyE_EESV_SZ_S10_mS11_S14_bEUlT_E_NS1_11comp_targetILNS1_3genE10ELNS1_11target_archE1201ELNS1_3gpuE5ELNS1_3repE0EEENS1_30default_config_static_selectorELNS0_4arch9wavefront6targetE1EEEvSY_.num_agpr, 0
	.set _ZN7rocprim17ROCPRIM_400000_NS6detail17trampoline_kernelINS0_14default_configENS1_27lower_bound_config_selectorIylEEZNS1_14transform_implILb0ES3_S5_N6thrust23THRUST_200600_302600_NS6detail15normal_iteratorINS8_7pointerIyNS8_11hip_rocprim5par_tENS8_11use_defaultESE_EEEENSA_INSB_IlSD_SE_SE_EEEEZNS1_13binary_searchIS3_S5_NSA_INS8_10device_ptrIyEEEESG_SI_NS1_21lower_bound_search_opENS9_16wrapped_functionINS8_6system6detail7generic6detail18binary_search_lessEbEEEE10hipError_tPvRmT1_T2_T3_mmT4_T5_P12ihipStream_tbEUlRKyE_EESV_SZ_S10_mS11_S14_bEUlT_E_NS1_11comp_targetILNS1_3genE10ELNS1_11target_archE1201ELNS1_3gpuE5ELNS1_3repE0EEENS1_30default_config_static_selectorELNS0_4arch9wavefront6targetE1EEEvSY_.numbered_sgpr, 0
	.set _ZN7rocprim17ROCPRIM_400000_NS6detail17trampoline_kernelINS0_14default_configENS1_27lower_bound_config_selectorIylEEZNS1_14transform_implILb0ES3_S5_N6thrust23THRUST_200600_302600_NS6detail15normal_iteratorINS8_7pointerIyNS8_11hip_rocprim5par_tENS8_11use_defaultESE_EEEENSA_INSB_IlSD_SE_SE_EEEEZNS1_13binary_searchIS3_S5_NSA_INS8_10device_ptrIyEEEESG_SI_NS1_21lower_bound_search_opENS9_16wrapped_functionINS8_6system6detail7generic6detail18binary_search_lessEbEEEE10hipError_tPvRmT1_T2_T3_mmT4_T5_P12ihipStream_tbEUlRKyE_EESV_SZ_S10_mS11_S14_bEUlT_E_NS1_11comp_targetILNS1_3genE10ELNS1_11target_archE1201ELNS1_3gpuE5ELNS1_3repE0EEENS1_30default_config_static_selectorELNS0_4arch9wavefront6targetE1EEEvSY_.num_named_barrier, 0
	.set _ZN7rocprim17ROCPRIM_400000_NS6detail17trampoline_kernelINS0_14default_configENS1_27lower_bound_config_selectorIylEEZNS1_14transform_implILb0ES3_S5_N6thrust23THRUST_200600_302600_NS6detail15normal_iteratorINS8_7pointerIyNS8_11hip_rocprim5par_tENS8_11use_defaultESE_EEEENSA_INSB_IlSD_SE_SE_EEEEZNS1_13binary_searchIS3_S5_NSA_INS8_10device_ptrIyEEEESG_SI_NS1_21lower_bound_search_opENS9_16wrapped_functionINS8_6system6detail7generic6detail18binary_search_lessEbEEEE10hipError_tPvRmT1_T2_T3_mmT4_T5_P12ihipStream_tbEUlRKyE_EESV_SZ_S10_mS11_S14_bEUlT_E_NS1_11comp_targetILNS1_3genE10ELNS1_11target_archE1201ELNS1_3gpuE5ELNS1_3repE0EEENS1_30default_config_static_selectorELNS0_4arch9wavefront6targetE1EEEvSY_.private_seg_size, 0
	.set _ZN7rocprim17ROCPRIM_400000_NS6detail17trampoline_kernelINS0_14default_configENS1_27lower_bound_config_selectorIylEEZNS1_14transform_implILb0ES3_S5_N6thrust23THRUST_200600_302600_NS6detail15normal_iteratorINS8_7pointerIyNS8_11hip_rocprim5par_tENS8_11use_defaultESE_EEEENSA_INSB_IlSD_SE_SE_EEEEZNS1_13binary_searchIS3_S5_NSA_INS8_10device_ptrIyEEEESG_SI_NS1_21lower_bound_search_opENS9_16wrapped_functionINS8_6system6detail7generic6detail18binary_search_lessEbEEEE10hipError_tPvRmT1_T2_T3_mmT4_T5_P12ihipStream_tbEUlRKyE_EESV_SZ_S10_mS11_S14_bEUlT_E_NS1_11comp_targetILNS1_3genE10ELNS1_11target_archE1201ELNS1_3gpuE5ELNS1_3repE0EEENS1_30default_config_static_selectorELNS0_4arch9wavefront6targetE1EEEvSY_.uses_vcc, 0
	.set _ZN7rocprim17ROCPRIM_400000_NS6detail17trampoline_kernelINS0_14default_configENS1_27lower_bound_config_selectorIylEEZNS1_14transform_implILb0ES3_S5_N6thrust23THRUST_200600_302600_NS6detail15normal_iteratorINS8_7pointerIyNS8_11hip_rocprim5par_tENS8_11use_defaultESE_EEEENSA_INSB_IlSD_SE_SE_EEEEZNS1_13binary_searchIS3_S5_NSA_INS8_10device_ptrIyEEEESG_SI_NS1_21lower_bound_search_opENS9_16wrapped_functionINS8_6system6detail7generic6detail18binary_search_lessEbEEEE10hipError_tPvRmT1_T2_T3_mmT4_T5_P12ihipStream_tbEUlRKyE_EESV_SZ_S10_mS11_S14_bEUlT_E_NS1_11comp_targetILNS1_3genE10ELNS1_11target_archE1201ELNS1_3gpuE5ELNS1_3repE0EEENS1_30default_config_static_selectorELNS0_4arch9wavefront6targetE1EEEvSY_.uses_flat_scratch, 0
	.set _ZN7rocprim17ROCPRIM_400000_NS6detail17trampoline_kernelINS0_14default_configENS1_27lower_bound_config_selectorIylEEZNS1_14transform_implILb0ES3_S5_N6thrust23THRUST_200600_302600_NS6detail15normal_iteratorINS8_7pointerIyNS8_11hip_rocprim5par_tENS8_11use_defaultESE_EEEENSA_INSB_IlSD_SE_SE_EEEEZNS1_13binary_searchIS3_S5_NSA_INS8_10device_ptrIyEEEESG_SI_NS1_21lower_bound_search_opENS9_16wrapped_functionINS8_6system6detail7generic6detail18binary_search_lessEbEEEE10hipError_tPvRmT1_T2_T3_mmT4_T5_P12ihipStream_tbEUlRKyE_EESV_SZ_S10_mS11_S14_bEUlT_E_NS1_11comp_targetILNS1_3genE10ELNS1_11target_archE1201ELNS1_3gpuE5ELNS1_3repE0EEENS1_30default_config_static_selectorELNS0_4arch9wavefront6targetE1EEEvSY_.has_dyn_sized_stack, 0
	.set _ZN7rocprim17ROCPRIM_400000_NS6detail17trampoline_kernelINS0_14default_configENS1_27lower_bound_config_selectorIylEEZNS1_14transform_implILb0ES3_S5_N6thrust23THRUST_200600_302600_NS6detail15normal_iteratorINS8_7pointerIyNS8_11hip_rocprim5par_tENS8_11use_defaultESE_EEEENSA_INSB_IlSD_SE_SE_EEEEZNS1_13binary_searchIS3_S5_NSA_INS8_10device_ptrIyEEEESG_SI_NS1_21lower_bound_search_opENS9_16wrapped_functionINS8_6system6detail7generic6detail18binary_search_lessEbEEEE10hipError_tPvRmT1_T2_T3_mmT4_T5_P12ihipStream_tbEUlRKyE_EESV_SZ_S10_mS11_S14_bEUlT_E_NS1_11comp_targetILNS1_3genE10ELNS1_11target_archE1201ELNS1_3gpuE5ELNS1_3repE0EEENS1_30default_config_static_selectorELNS0_4arch9wavefront6targetE1EEEvSY_.has_recursion, 0
	.set _ZN7rocprim17ROCPRIM_400000_NS6detail17trampoline_kernelINS0_14default_configENS1_27lower_bound_config_selectorIylEEZNS1_14transform_implILb0ES3_S5_N6thrust23THRUST_200600_302600_NS6detail15normal_iteratorINS8_7pointerIyNS8_11hip_rocprim5par_tENS8_11use_defaultESE_EEEENSA_INSB_IlSD_SE_SE_EEEEZNS1_13binary_searchIS3_S5_NSA_INS8_10device_ptrIyEEEESG_SI_NS1_21lower_bound_search_opENS9_16wrapped_functionINS8_6system6detail7generic6detail18binary_search_lessEbEEEE10hipError_tPvRmT1_T2_T3_mmT4_T5_P12ihipStream_tbEUlRKyE_EESV_SZ_S10_mS11_S14_bEUlT_E_NS1_11comp_targetILNS1_3genE10ELNS1_11target_archE1201ELNS1_3gpuE5ELNS1_3repE0EEENS1_30default_config_static_selectorELNS0_4arch9wavefront6targetE1EEEvSY_.has_indirect_call, 0
	.section	.AMDGPU.csdata,"",@progbits
; Kernel info:
; codeLenInByte = 0
; TotalNumSgprs: 4
; NumVgprs: 0
; ScratchSize: 0
; MemoryBound: 0
; FloatMode: 240
; IeeeMode: 1
; LDSByteSize: 0 bytes/workgroup (compile time only)
; SGPRBlocks: 0
; VGPRBlocks: 0
; NumSGPRsForWavesPerEU: 4
; NumVGPRsForWavesPerEU: 1
; Occupancy: 10
; WaveLimiterHint : 0
; COMPUTE_PGM_RSRC2:SCRATCH_EN: 0
; COMPUTE_PGM_RSRC2:USER_SGPR: 6
; COMPUTE_PGM_RSRC2:TRAP_HANDLER: 0
; COMPUTE_PGM_RSRC2:TGID_X_EN: 1
; COMPUTE_PGM_RSRC2:TGID_Y_EN: 0
; COMPUTE_PGM_RSRC2:TGID_Z_EN: 0
; COMPUTE_PGM_RSRC2:TIDIG_COMP_CNT: 0
	.section	.text._ZN7rocprim17ROCPRIM_400000_NS6detail17trampoline_kernelINS0_14default_configENS1_27lower_bound_config_selectorIylEEZNS1_14transform_implILb0ES3_S5_N6thrust23THRUST_200600_302600_NS6detail15normal_iteratorINS8_7pointerIyNS8_11hip_rocprim5par_tENS8_11use_defaultESE_EEEENSA_INSB_IlSD_SE_SE_EEEEZNS1_13binary_searchIS3_S5_NSA_INS8_10device_ptrIyEEEESG_SI_NS1_21lower_bound_search_opENS9_16wrapped_functionINS8_6system6detail7generic6detail18binary_search_lessEbEEEE10hipError_tPvRmT1_T2_T3_mmT4_T5_P12ihipStream_tbEUlRKyE_EESV_SZ_S10_mS11_S14_bEUlT_E_NS1_11comp_targetILNS1_3genE10ELNS1_11target_archE1200ELNS1_3gpuE4ELNS1_3repE0EEENS1_30default_config_static_selectorELNS0_4arch9wavefront6targetE1EEEvSY_,"axG",@progbits,_ZN7rocprim17ROCPRIM_400000_NS6detail17trampoline_kernelINS0_14default_configENS1_27lower_bound_config_selectorIylEEZNS1_14transform_implILb0ES3_S5_N6thrust23THRUST_200600_302600_NS6detail15normal_iteratorINS8_7pointerIyNS8_11hip_rocprim5par_tENS8_11use_defaultESE_EEEENSA_INSB_IlSD_SE_SE_EEEEZNS1_13binary_searchIS3_S5_NSA_INS8_10device_ptrIyEEEESG_SI_NS1_21lower_bound_search_opENS9_16wrapped_functionINS8_6system6detail7generic6detail18binary_search_lessEbEEEE10hipError_tPvRmT1_T2_T3_mmT4_T5_P12ihipStream_tbEUlRKyE_EESV_SZ_S10_mS11_S14_bEUlT_E_NS1_11comp_targetILNS1_3genE10ELNS1_11target_archE1200ELNS1_3gpuE4ELNS1_3repE0EEENS1_30default_config_static_selectorELNS0_4arch9wavefront6targetE1EEEvSY_,comdat
	.protected	_ZN7rocprim17ROCPRIM_400000_NS6detail17trampoline_kernelINS0_14default_configENS1_27lower_bound_config_selectorIylEEZNS1_14transform_implILb0ES3_S5_N6thrust23THRUST_200600_302600_NS6detail15normal_iteratorINS8_7pointerIyNS8_11hip_rocprim5par_tENS8_11use_defaultESE_EEEENSA_INSB_IlSD_SE_SE_EEEEZNS1_13binary_searchIS3_S5_NSA_INS8_10device_ptrIyEEEESG_SI_NS1_21lower_bound_search_opENS9_16wrapped_functionINS8_6system6detail7generic6detail18binary_search_lessEbEEEE10hipError_tPvRmT1_T2_T3_mmT4_T5_P12ihipStream_tbEUlRKyE_EESV_SZ_S10_mS11_S14_bEUlT_E_NS1_11comp_targetILNS1_3genE10ELNS1_11target_archE1200ELNS1_3gpuE4ELNS1_3repE0EEENS1_30default_config_static_selectorELNS0_4arch9wavefront6targetE1EEEvSY_ ; -- Begin function _ZN7rocprim17ROCPRIM_400000_NS6detail17trampoline_kernelINS0_14default_configENS1_27lower_bound_config_selectorIylEEZNS1_14transform_implILb0ES3_S5_N6thrust23THRUST_200600_302600_NS6detail15normal_iteratorINS8_7pointerIyNS8_11hip_rocprim5par_tENS8_11use_defaultESE_EEEENSA_INSB_IlSD_SE_SE_EEEEZNS1_13binary_searchIS3_S5_NSA_INS8_10device_ptrIyEEEESG_SI_NS1_21lower_bound_search_opENS9_16wrapped_functionINS8_6system6detail7generic6detail18binary_search_lessEbEEEE10hipError_tPvRmT1_T2_T3_mmT4_T5_P12ihipStream_tbEUlRKyE_EESV_SZ_S10_mS11_S14_bEUlT_E_NS1_11comp_targetILNS1_3genE10ELNS1_11target_archE1200ELNS1_3gpuE4ELNS1_3repE0EEENS1_30default_config_static_selectorELNS0_4arch9wavefront6targetE1EEEvSY_
	.globl	_ZN7rocprim17ROCPRIM_400000_NS6detail17trampoline_kernelINS0_14default_configENS1_27lower_bound_config_selectorIylEEZNS1_14transform_implILb0ES3_S5_N6thrust23THRUST_200600_302600_NS6detail15normal_iteratorINS8_7pointerIyNS8_11hip_rocprim5par_tENS8_11use_defaultESE_EEEENSA_INSB_IlSD_SE_SE_EEEEZNS1_13binary_searchIS3_S5_NSA_INS8_10device_ptrIyEEEESG_SI_NS1_21lower_bound_search_opENS9_16wrapped_functionINS8_6system6detail7generic6detail18binary_search_lessEbEEEE10hipError_tPvRmT1_T2_T3_mmT4_T5_P12ihipStream_tbEUlRKyE_EESV_SZ_S10_mS11_S14_bEUlT_E_NS1_11comp_targetILNS1_3genE10ELNS1_11target_archE1200ELNS1_3gpuE4ELNS1_3repE0EEENS1_30default_config_static_selectorELNS0_4arch9wavefront6targetE1EEEvSY_
	.p2align	8
	.type	_ZN7rocprim17ROCPRIM_400000_NS6detail17trampoline_kernelINS0_14default_configENS1_27lower_bound_config_selectorIylEEZNS1_14transform_implILb0ES3_S5_N6thrust23THRUST_200600_302600_NS6detail15normal_iteratorINS8_7pointerIyNS8_11hip_rocprim5par_tENS8_11use_defaultESE_EEEENSA_INSB_IlSD_SE_SE_EEEEZNS1_13binary_searchIS3_S5_NSA_INS8_10device_ptrIyEEEESG_SI_NS1_21lower_bound_search_opENS9_16wrapped_functionINS8_6system6detail7generic6detail18binary_search_lessEbEEEE10hipError_tPvRmT1_T2_T3_mmT4_T5_P12ihipStream_tbEUlRKyE_EESV_SZ_S10_mS11_S14_bEUlT_E_NS1_11comp_targetILNS1_3genE10ELNS1_11target_archE1200ELNS1_3gpuE4ELNS1_3repE0EEENS1_30default_config_static_selectorELNS0_4arch9wavefront6targetE1EEEvSY_,@function
_ZN7rocprim17ROCPRIM_400000_NS6detail17trampoline_kernelINS0_14default_configENS1_27lower_bound_config_selectorIylEEZNS1_14transform_implILb0ES3_S5_N6thrust23THRUST_200600_302600_NS6detail15normal_iteratorINS8_7pointerIyNS8_11hip_rocprim5par_tENS8_11use_defaultESE_EEEENSA_INSB_IlSD_SE_SE_EEEEZNS1_13binary_searchIS3_S5_NSA_INS8_10device_ptrIyEEEESG_SI_NS1_21lower_bound_search_opENS9_16wrapped_functionINS8_6system6detail7generic6detail18binary_search_lessEbEEEE10hipError_tPvRmT1_T2_T3_mmT4_T5_P12ihipStream_tbEUlRKyE_EESV_SZ_S10_mS11_S14_bEUlT_E_NS1_11comp_targetILNS1_3genE10ELNS1_11target_archE1200ELNS1_3gpuE4ELNS1_3repE0EEENS1_30default_config_static_selectorELNS0_4arch9wavefront6targetE1EEEvSY_: ; @_ZN7rocprim17ROCPRIM_400000_NS6detail17trampoline_kernelINS0_14default_configENS1_27lower_bound_config_selectorIylEEZNS1_14transform_implILb0ES3_S5_N6thrust23THRUST_200600_302600_NS6detail15normal_iteratorINS8_7pointerIyNS8_11hip_rocprim5par_tENS8_11use_defaultESE_EEEENSA_INSB_IlSD_SE_SE_EEEEZNS1_13binary_searchIS3_S5_NSA_INS8_10device_ptrIyEEEESG_SI_NS1_21lower_bound_search_opENS9_16wrapped_functionINS8_6system6detail7generic6detail18binary_search_lessEbEEEE10hipError_tPvRmT1_T2_T3_mmT4_T5_P12ihipStream_tbEUlRKyE_EESV_SZ_S10_mS11_S14_bEUlT_E_NS1_11comp_targetILNS1_3genE10ELNS1_11target_archE1200ELNS1_3gpuE4ELNS1_3repE0EEENS1_30default_config_static_selectorELNS0_4arch9wavefront6targetE1EEEvSY_
; %bb.0:
	.section	.rodata,"a",@progbits
	.p2align	6, 0x0
	.amdhsa_kernel _ZN7rocprim17ROCPRIM_400000_NS6detail17trampoline_kernelINS0_14default_configENS1_27lower_bound_config_selectorIylEEZNS1_14transform_implILb0ES3_S5_N6thrust23THRUST_200600_302600_NS6detail15normal_iteratorINS8_7pointerIyNS8_11hip_rocprim5par_tENS8_11use_defaultESE_EEEENSA_INSB_IlSD_SE_SE_EEEEZNS1_13binary_searchIS3_S5_NSA_INS8_10device_ptrIyEEEESG_SI_NS1_21lower_bound_search_opENS9_16wrapped_functionINS8_6system6detail7generic6detail18binary_search_lessEbEEEE10hipError_tPvRmT1_T2_T3_mmT4_T5_P12ihipStream_tbEUlRKyE_EESV_SZ_S10_mS11_S14_bEUlT_E_NS1_11comp_targetILNS1_3genE10ELNS1_11target_archE1200ELNS1_3gpuE4ELNS1_3repE0EEENS1_30default_config_static_selectorELNS0_4arch9wavefront6targetE1EEEvSY_
		.amdhsa_group_segment_fixed_size 0
		.amdhsa_private_segment_fixed_size 0
		.amdhsa_kernarg_size 56
		.amdhsa_user_sgpr_count 6
		.amdhsa_user_sgpr_private_segment_buffer 1
		.amdhsa_user_sgpr_dispatch_ptr 0
		.amdhsa_user_sgpr_queue_ptr 0
		.amdhsa_user_sgpr_kernarg_segment_ptr 1
		.amdhsa_user_sgpr_dispatch_id 0
		.amdhsa_user_sgpr_flat_scratch_init 0
		.amdhsa_user_sgpr_private_segment_size 0
		.amdhsa_uses_dynamic_stack 0
		.amdhsa_system_sgpr_private_segment_wavefront_offset 0
		.amdhsa_system_sgpr_workgroup_id_x 1
		.amdhsa_system_sgpr_workgroup_id_y 0
		.amdhsa_system_sgpr_workgroup_id_z 0
		.amdhsa_system_sgpr_workgroup_info 0
		.amdhsa_system_vgpr_workitem_id 0
		.amdhsa_next_free_vgpr 1
		.amdhsa_next_free_sgpr 0
		.amdhsa_reserve_vcc 0
		.amdhsa_reserve_flat_scratch 0
		.amdhsa_float_round_mode_32 0
		.amdhsa_float_round_mode_16_64 0
		.amdhsa_float_denorm_mode_32 3
		.amdhsa_float_denorm_mode_16_64 3
		.amdhsa_dx10_clamp 1
		.amdhsa_ieee_mode 1
		.amdhsa_fp16_overflow 0
		.amdhsa_exception_fp_ieee_invalid_op 0
		.amdhsa_exception_fp_denorm_src 0
		.amdhsa_exception_fp_ieee_div_zero 0
		.amdhsa_exception_fp_ieee_overflow 0
		.amdhsa_exception_fp_ieee_underflow 0
		.amdhsa_exception_fp_ieee_inexact 0
		.amdhsa_exception_int_div_zero 0
	.end_amdhsa_kernel
	.section	.text._ZN7rocprim17ROCPRIM_400000_NS6detail17trampoline_kernelINS0_14default_configENS1_27lower_bound_config_selectorIylEEZNS1_14transform_implILb0ES3_S5_N6thrust23THRUST_200600_302600_NS6detail15normal_iteratorINS8_7pointerIyNS8_11hip_rocprim5par_tENS8_11use_defaultESE_EEEENSA_INSB_IlSD_SE_SE_EEEEZNS1_13binary_searchIS3_S5_NSA_INS8_10device_ptrIyEEEESG_SI_NS1_21lower_bound_search_opENS9_16wrapped_functionINS8_6system6detail7generic6detail18binary_search_lessEbEEEE10hipError_tPvRmT1_T2_T3_mmT4_T5_P12ihipStream_tbEUlRKyE_EESV_SZ_S10_mS11_S14_bEUlT_E_NS1_11comp_targetILNS1_3genE10ELNS1_11target_archE1200ELNS1_3gpuE4ELNS1_3repE0EEENS1_30default_config_static_selectorELNS0_4arch9wavefront6targetE1EEEvSY_,"axG",@progbits,_ZN7rocprim17ROCPRIM_400000_NS6detail17trampoline_kernelINS0_14default_configENS1_27lower_bound_config_selectorIylEEZNS1_14transform_implILb0ES3_S5_N6thrust23THRUST_200600_302600_NS6detail15normal_iteratorINS8_7pointerIyNS8_11hip_rocprim5par_tENS8_11use_defaultESE_EEEENSA_INSB_IlSD_SE_SE_EEEEZNS1_13binary_searchIS3_S5_NSA_INS8_10device_ptrIyEEEESG_SI_NS1_21lower_bound_search_opENS9_16wrapped_functionINS8_6system6detail7generic6detail18binary_search_lessEbEEEE10hipError_tPvRmT1_T2_T3_mmT4_T5_P12ihipStream_tbEUlRKyE_EESV_SZ_S10_mS11_S14_bEUlT_E_NS1_11comp_targetILNS1_3genE10ELNS1_11target_archE1200ELNS1_3gpuE4ELNS1_3repE0EEENS1_30default_config_static_selectorELNS0_4arch9wavefront6targetE1EEEvSY_,comdat
.Lfunc_end364:
	.size	_ZN7rocprim17ROCPRIM_400000_NS6detail17trampoline_kernelINS0_14default_configENS1_27lower_bound_config_selectorIylEEZNS1_14transform_implILb0ES3_S5_N6thrust23THRUST_200600_302600_NS6detail15normal_iteratorINS8_7pointerIyNS8_11hip_rocprim5par_tENS8_11use_defaultESE_EEEENSA_INSB_IlSD_SE_SE_EEEEZNS1_13binary_searchIS3_S5_NSA_INS8_10device_ptrIyEEEESG_SI_NS1_21lower_bound_search_opENS9_16wrapped_functionINS8_6system6detail7generic6detail18binary_search_lessEbEEEE10hipError_tPvRmT1_T2_T3_mmT4_T5_P12ihipStream_tbEUlRKyE_EESV_SZ_S10_mS11_S14_bEUlT_E_NS1_11comp_targetILNS1_3genE10ELNS1_11target_archE1200ELNS1_3gpuE4ELNS1_3repE0EEENS1_30default_config_static_selectorELNS0_4arch9wavefront6targetE1EEEvSY_, .Lfunc_end364-_ZN7rocprim17ROCPRIM_400000_NS6detail17trampoline_kernelINS0_14default_configENS1_27lower_bound_config_selectorIylEEZNS1_14transform_implILb0ES3_S5_N6thrust23THRUST_200600_302600_NS6detail15normal_iteratorINS8_7pointerIyNS8_11hip_rocprim5par_tENS8_11use_defaultESE_EEEENSA_INSB_IlSD_SE_SE_EEEEZNS1_13binary_searchIS3_S5_NSA_INS8_10device_ptrIyEEEESG_SI_NS1_21lower_bound_search_opENS9_16wrapped_functionINS8_6system6detail7generic6detail18binary_search_lessEbEEEE10hipError_tPvRmT1_T2_T3_mmT4_T5_P12ihipStream_tbEUlRKyE_EESV_SZ_S10_mS11_S14_bEUlT_E_NS1_11comp_targetILNS1_3genE10ELNS1_11target_archE1200ELNS1_3gpuE4ELNS1_3repE0EEENS1_30default_config_static_selectorELNS0_4arch9wavefront6targetE1EEEvSY_
                                        ; -- End function
	.set _ZN7rocprim17ROCPRIM_400000_NS6detail17trampoline_kernelINS0_14default_configENS1_27lower_bound_config_selectorIylEEZNS1_14transform_implILb0ES3_S5_N6thrust23THRUST_200600_302600_NS6detail15normal_iteratorINS8_7pointerIyNS8_11hip_rocprim5par_tENS8_11use_defaultESE_EEEENSA_INSB_IlSD_SE_SE_EEEEZNS1_13binary_searchIS3_S5_NSA_INS8_10device_ptrIyEEEESG_SI_NS1_21lower_bound_search_opENS9_16wrapped_functionINS8_6system6detail7generic6detail18binary_search_lessEbEEEE10hipError_tPvRmT1_T2_T3_mmT4_T5_P12ihipStream_tbEUlRKyE_EESV_SZ_S10_mS11_S14_bEUlT_E_NS1_11comp_targetILNS1_3genE10ELNS1_11target_archE1200ELNS1_3gpuE4ELNS1_3repE0EEENS1_30default_config_static_selectorELNS0_4arch9wavefront6targetE1EEEvSY_.num_vgpr, 0
	.set _ZN7rocprim17ROCPRIM_400000_NS6detail17trampoline_kernelINS0_14default_configENS1_27lower_bound_config_selectorIylEEZNS1_14transform_implILb0ES3_S5_N6thrust23THRUST_200600_302600_NS6detail15normal_iteratorINS8_7pointerIyNS8_11hip_rocprim5par_tENS8_11use_defaultESE_EEEENSA_INSB_IlSD_SE_SE_EEEEZNS1_13binary_searchIS3_S5_NSA_INS8_10device_ptrIyEEEESG_SI_NS1_21lower_bound_search_opENS9_16wrapped_functionINS8_6system6detail7generic6detail18binary_search_lessEbEEEE10hipError_tPvRmT1_T2_T3_mmT4_T5_P12ihipStream_tbEUlRKyE_EESV_SZ_S10_mS11_S14_bEUlT_E_NS1_11comp_targetILNS1_3genE10ELNS1_11target_archE1200ELNS1_3gpuE4ELNS1_3repE0EEENS1_30default_config_static_selectorELNS0_4arch9wavefront6targetE1EEEvSY_.num_agpr, 0
	.set _ZN7rocprim17ROCPRIM_400000_NS6detail17trampoline_kernelINS0_14default_configENS1_27lower_bound_config_selectorIylEEZNS1_14transform_implILb0ES3_S5_N6thrust23THRUST_200600_302600_NS6detail15normal_iteratorINS8_7pointerIyNS8_11hip_rocprim5par_tENS8_11use_defaultESE_EEEENSA_INSB_IlSD_SE_SE_EEEEZNS1_13binary_searchIS3_S5_NSA_INS8_10device_ptrIyEEEESG_SI_NS1_21lower_bound_search_opENS9_16wrapped_functionINS8_6system6detail7generic6detail18binary_search_lessEbEEEE10hipError_tPvRmT1_T2_T3_mmT4_T5_P12ihipStream_tbEUlRKyE_EESV_SZ_S10_mS11_S14_bEUlT_E_NS1_11comp_targetILNS1_3genE10ELNS1_11target_archE1200ELNS1_3gpuE4ELNS1_3repE0EEENS1_30default_config_static_selectorELNS0_4arch9wavefront6targetE1EEEvSY_.numbered_sgpr, 0
	.set _ZN7rocprim17ROCPRIM_400000_NS6detail17trampoline_kernelINS0_14default_configENS1_27lower_bound_config_selectorIylEEZNS1_14transform_implILb0ES3_S5_N6thrust23THRUST_200600_302600_NS6detail15normal_iteratorINS8_7pointerIyNS8_11hip_rocprim5par_tENS8_11use_defaultESE_EEEENSA_INSB_IlSD_SE_SE_EEEEZNS1_13binary_searchIS3_S5_NSA_INS8_10device_ptrIyEEEESG_SI_NS1_21lower_bound_search_opENS9_16wrapped_functionINS8_6system6detail7generic6detail18binary_search_lessEbEEEE10hipError_tPvRmT1_T2_T3_mmT4_T5_P12ihipStream_tbEUlRKyE_EESV_SZ_S10_mS11_S14_bEUlT_E_NS1_11comp_targetILNS1_3genE10ELNS1_11target_archE1200ELNS1_3gpuE4ELNS1_3repE0EEENS1_30default_config_static_selectorELNS0_4arch9wavefront6targetE1EEEvSY_.num_named_barrier, 0
	.set _ZN7rocprim17ROCPRIM_400000_NS6detail17trampoline_kernelINS0_14default_configENS1_27lower_bound_config_selectorIylEEZNS1_14transform_implILb0ES3_S5_N6thrust23THRUST_200600_302600_NS6detail15normal_iteratorINS8_7pointerIyNS8_11hip_rocprim5par_tENS8_11use_defaultESE_EEEENSA_INSB_IlSD_SE_SE_EEEEZNS1_13binary_searchIS3_S5_NSA_INS8_10device_ptrIyEEEESG_SI_NS1_21lower_bound_search_opENS9_16wrapped_functionINS8_6system6detail7generic6detail18binary_search_lessEbEEEE10hipError_tPvRmT1_T2_T3_mmT4_T5_P12ihipStream_tbEUlRKyE_EESV_SZ_S10_mS11_S14_bEUlT_E_NS1_11comp_targetILNS1_3genE10ELNS1_11target_archE1200ELNS1_3gpuE4ELNS1_3repE0EEENS1_30default_config_static_selectorELNS0_4arch9wavefront6targetE1EEEvSY_.private_seg_size, 0
	.set _ZN7rocprim17ROCPRIM_400000_NS6detail17trampoline_kernelINS0_14default_configENS1_27lower_bound_config_selectorIylEEZNS1_14transform_implILb0ES3_S5_N6thrust23THRUST_200600_302600_NS6detail15normal_iteratorINS8_7pointerIyNS8_11hip_rocprim5par_tENS8_11use_defaultESE_EEEENSA_INSB_IlSD_SE_SE_EEEEZNS1_13binary_searchIS3_S5_NSA_INS8_10device_ptrIyEEEESG_SI_NS1_21lower_bound_search_opENS9_16wrapped_functionINS8_6system6detail7generic6detail18binary_search_lessEbEEEE10hipError_tPvRmT1_T2_T3_mmT4_T5_P12ihipStream_tbEUlRKyE_EESV_SZ_S10_mS11_S14_bEUlT_E_NS1_11comp_targetILNS1_3genE10ELNS1_11target_archE1200ELNS1_3gpuE4ELNS1_3repE0EEENS1_30default_config_static_selectorELNS0_4arch9wavefront6targetE1EEEvSY_.uses_vcc, 0
	.set _ZN7rocprim17ROCPRIM_400000_NS6detail17trampoline_kernelINS0_14default_configENS1_27lower_bound_config_selectorIylEEZNS1_14transform_implILb0ES3_S5_N6thrust23THRUST_200600_302600_NS6detail15normal_iteratorINS8_7pointerIyNS8_11hip_rocprim5par_tENS8_11use_defaultESE_EEEENSA_INSB_IlSD_SE_SE_EEEEZNS1_13binary_searchIS3_S5_NSA_INS8_10device_ptrIyEEEESG_SI_NS1_21lower_bound_search_opENS9_16wrapped_functionINS8_6system6detail7generic6detail18binary_search_lessEbEEEE10hipError_tPvRmT1_T2_T3_mmT4_T5_P12ihipStream_tbEUlRKyE_EESV_SZ_S10_mS11_S14_bEUlT_E_NS1_11comp_targetILNS1_3genE10ELNS1_11target_archE1200ELNS1_3gpuE4ELNS1_3repE0EEENS1_30default_config_static_selectorELNS0_4arch9wavefront6targetE1EEEvSY_.uses_flat_scratch, 0
	.set _ZN7rocprim17ROCPRIM_400000_NS6detail17trampoline_kernelINS0_14default_configENS1_27lower_bound_config_selectorIylEEZNS1_14transform_implILb0ES3_S5_N6thrust23THRUST_200600_302600_NS6detail15normal_iteratorINS8_7pointerIyNS8_11hip_rocprim5par_tENS8_11use_defaultESE_EEEENSA_INSB_IlSD_SE_SE_EEEEZNS1_13binary_searchIS3_S5_NSA_INS8_10device_ptrIyEEEESG_SI_NS1_21lower_bound_search_opENS9_16wrapped_functionINS8_6system6detail7generic6detail18binary_search_lessEbEEEE10hipError_tPvRmT1_T2_T3_mmT4_T5_P12ihipStream_tbEUlRKyE_EESV_SZ_S10_mS11_S14_bEUlT_E_NS1_11comp_targetILNS1_3genE10ELNS1_11target_archE1200ELNS1_3gpuE4ELNS1_3repE0EEENS1_30default_config_static_selectorELNS0_4arch9wavefront6targetE1EEEvSY_.has_dyn_sized_stack, 0
	.set _ZN7rocprim17ROCPRIM_400000_NS6detail17trampoline_kernelINS0_14default_configENS1_27lower_bound_config_selectorIylEEZNS1_14transform_implILb0ES3_S5_N6thrust23THRUST_200600_302600_NS6detail15normal_iteratorINS8_7pointerIyNS8_11hip_rocprim5par_tENS8_11use_defaultESE_EEEENSA_INSB_IlSD_SE_SE_EEEEZNS1_13binary_searchIS3_S5_NSA_INS8_10device_ptrIyEEEESG_SI_NS1_21lower_bound_search_opENS9_16wrapped_functionINS8_6system6detail7generic6detail18binary_search_lessEbEEEE10hipError_tPvRmT1_T2_T3_mmT4_T5_P12ihipStream_tbEUlRKyE_EESV_SZ_S10_mS11_S14_bEUlT_E_NS1_11comp_targetILNS1_3genE10ELNS1_11target_archE1200ELNS1_3gpuE4ELNS1_3repE0EEENS1_30default_config_static_selectorELNS0_4arch9wavefront6targetE1EEEvSY_.has_recursion, 0
	.set _ZN7rocprim17ROCPRIM_400000_NS6detail17trampoline_kernelINS0_14default_configENS1_27lower_bound_config_selectorIylEEZNS1_14transform_implILb0ES3_S5_N6thrust23THRUST_200600_302600_NS6detail15normal_iteratorINS8_7pointerIyNS8_11hip_rocprim5par_tENS8_11use_defaultESE_EEEENSA_INSB_IlSD_SE_SE_EEEEZNS1_13binary_searchIS3_S5_NSA_INS8_10device_ptrIyEEEESG_SI_NS1_21lower_bound_search_opENS9_16wrapped_functionINS8_6system6detail7generic6detail18binary_search_lessEbEEEE10hipError_tPvRmT1_T2_T3_mmT4_T5_P12ihipStream_tbEUlRKyE_EESV_SZ_S10_mS11_S14_bEUlT_E_NS1_11comp_targetILNS1_3genE10ELNS1_11target_archE1200ELNS1_3gpuE4ELNS1_3repE0EEENS1_30default_config_static_selectorELNS0_4arch9wavefront6targetE1EEEvSY_.has_indirect_call, 0
	.section	.AMDGPU.csdata,"",@progbits
; Kernel info:
; codeLenInByte = 0
; TotalNumSgprs: 4
; NumVgprs: 0
; ScratchSize: 0
; MemoryBound: 0
; FloatMode: 240
; IeeeMode: 1
; LDSByteSize: 0 bytes/workgroup (compile time only)
; SGPRBlocks: 0
; VGPRBlocks: 0
; NumSGPRsForWavesPerEU: 4
; NumVGPRsForWavesPerEU: 1
; Occupancy: 10
; WaveLimiterHint : 0
; COMPUTE_PGM_RSRC2:SCRATCH_EN: 0
; COMPUTE_PGM_RSRC2:USER_SGPR: 6
; COMPUTE_PGM_RSRC2:TRAP_HANDLER: 0
; COMPUTE_PGM_RSRC2:TGID_X_EN: 1
; COMPUTE_PGM_RSRC2:TGID_Y_EN: 0
; COMPUTE_PGM_RSRC2:TGID_Z_EN: 0
; COMPUTE_PGM_RSRC2:TIDIG_COMP_CNT: 0
	.section	.text._ZN7rocprim17ROCPRIM_400000_NS6detail17trampoline_kernelINS0_14default_configENS1_27lower_bound_config_selectorIylEEZNS1_14transform_implILb0ES3_S5_N6thrust23THRUST_200600_302600_NS6detail15normal_iteratorINS8_7pointerIyNS8_11hip_rocprim5par_tENS8_11use_defaultESE_EEEENSA_INSB_IlSD_SE_SE_EEEEZNS1_13binary_searchIS3_S5_NSA_INS8_10device_ptrIyEEEESG_SI_NS1_21lower_bound_search_opENS9_16wrapped_functionINS8_6system6detail7generic6detail18binary_search_lessEbEEEE10hipError_tPvRmT1_T2_T3_mmT4_T5_P12ihipStream_tbEUlRKyE_EESV_SZ_S10_mS11_S14_bEUlT_E_NS1_11comp_targetILNS1_3genE9ELNS1_11target_archE1100ELNS1_3gpuE3ELNS1_3repE0EEENS1_30default_config_static_selectorELNS0_4arch9wavefront6targetE1EEEvSY_,"axG",@progbits,_ZN7rocprim17ROCPRIM_400000_NS6detail17trampoline_kernelINS0_14default_configENS1_27lower_bound_config_selectorIylEEZNS1_14transform_implILb0ES3_S5_N6thrust23THRUST_200600_302600_NS6detail15normal_iteratorINS8_7pointerIyNS8_11hip_rocprim5par_tENS8_11use_defaultESE_EEEENSA_INSB_IlSD_SE_SE_EEEEZNS1_13binary_searchIS3_S5_NSA_INS8_10device_ptrIyEEEESG_SI_NS1_21lower_bound_search_opENS9_16wrapped_functionINS8_6system6detail7generic6detail18binary_search_lessEbEEEE10hipError_tPvRmT1_T2_T3_mmT4_T5_P12ihipStream_tbEUlRKyE_EESV_SZ_S10_mS11_S14_bEUlT_E_NS1_11comp_targetILNS1_3genE9ELNS1_11target_archE1100ELNS1_3gpuE3ELNS1_3repE0EEENS1_30default_config_static_selectorELNS0_4arch9wavefront6targetE1EEEvSY_,comdat
	.protected	_ZN7rocprim17ROCPRIM_400000_NS6detail17trampoline_kernelINS0_14default_configENS1_27lower_bound_config_selectorIylEEZNS1_14transform_implILb0ES3_S5_N6thrust23THRUST_200600_302600_NS6detail15normal_iteratorINS8_7pointerIyNS8_11hip_rocprim5par_tENS8_11use_defaultESE_EEEENSA_INSB_IlSD_SE_SE_EEEEZNS1_13binary_searchIS3_S5_NSA_INS8_10device_ptrIyEEEESG_SI_NS1_21lower_bound_search_opENS9_16wrapped_functionINS8_6system6detail7generic6detail18binary_search_lessEbEEEE10hipError_tPvRmT1_T2_T3_mmT4_T5_P12ihipStream_tbEUlRKyE_EESV_SZ_S10_mS11_S14_bEUlT_E_NS1_11comp_targetILNS1_3genE9ELNS1_11target_archE1100ELNS1_3gpuE3ELNS1_3repE0EEENS1_30default_config_static_selectorELNS0_4arch9wavefront6targetE1EEEvSY_ ; -- Begin function _ZN7rocprim17ROCPRIM_400000_NS6detail17trampoline_kernelINS0_14default_configENS1_27lower_bound_config_selectorIylEEZNS1_14transform_implILb0ES3_S5_N6thrust23THRUST_200600_302600_NS6detail15normal_iteratorINS8_7pointerIyNS8_11hip_rocprim5par_tENS8_11use_defaultESE_EEEENSA_INSB_IlSD_SE_SE_EEEEZNS1_13binary_searchIS3_S5_NSA_INS8_10device_ptrIyEEEESG_SI_NS1_21lower_bound_search_opENS9_16wrapped_functionINS8_6system6detail7generic6detail18binary_search_lessEbEEEE10hipError_tPvRmT1_T2_T3_mmT4_T5_P12ihipStream_tbEUlRKyE_EESV_SZ_S10_mS11_S14_bEUlT_E_NS1_11comp_targetILNS1_3genE9ELNS1_11target_archE1100ELNS1_3gpuE3ELNS1_3repE0EEENS1_30default_config_static_selectorELNS0_4arch9wavefront6targetE1EEEvSY_
	.globl	_ZN7rocprim17ROCPRIM_400000_NS6detail17trampoline_kernelINS0_14default_configENS1_27lower_bound_config_selectorIylEEZNS1_14transform_implILb0ES3_S5_N6thrust23THRUST_200600_302600_NS6detail15normal_iteratorINS8_7pointerIyNS8_11hip_rocprim5par_tENS8_11use_defaultESE_EEEENSA_INSB_IlSD_SE_SE_EEEEZNS1_13binary_searchIS3_S5_NSA_INS8_10device_ptrIyEEEESG_SI_NS1_21lower_bound_search_opENS9_16wrapped_functionINS8_6system6detail7generic6detail18binary_search_lessEbEEEE10hipError_tPvRmT1_T2_T3_mmT4_T5_P12ihipStream_tbEUlRKyE_EESV_SZ_S10_mS11_S14_bEUlT_E_NS1_11comp_targetILNS1_3genE9ELNS1_11target_archE1100ELNS1_3gpuE3ELNS1_3repE0EEENS1_30default_config_static_selectorELNS0_4arch9wavefront6targetE1EEEvSY_
	.p2align	8
	.type	_ZN7rocprim17ROCPRIM_400000_NS6detail17trampoline_kernelINS0_14default_configENS1_27lower_bound_config_selectorIylEEZNS1_14transform_implILb0ES3_S5_N6thrust23THRUST_200600_302600_NS6detail15normal_iteratorINS8_7pointerIyNS8_11hip_rocprim5par_tENS8_11use_defaultESE_EEEENSA_INSB_IlSD_SE_SE_EEEEZNS1_13binary_searchIS3_S5_NSA_INS8_10device_ptrIyEEEESG_SI_NS1_21lower_bound_search_opENS9_16wrapped_functionINS8_6system6detail7generic6detail18binary_search_lessEbEEEE10hipError_tPvRmT1_T2_T3_mmT4_T5_P12ihipStream_tbEUlRKyE_EESV_SZ_S10_mS11_S14_bEUlT_E_NS1_11comp_targetILNS1_3genE9ELNS1_11target_archE1100ELNS1_3gpuE3ELNS1_3repE0EEENS1_30default_config_static_selectorELNS0_4arch9wavefront6targetE1EEEvSY_,@function
_ZN7rocprim17ROCPRIM_400000_NS6detail17trampoline_kernelINS0_14default_configENS1_27lower_bound_config_selectorIylEEZNS1_14transform_implILb0ES3_S5_N6thrust23THRUST_200600_302600_NS6detail15normal_iteratorINS8_7pointerIyNS8_11hip_rocprim5par_tENS8_11use_defaultESE_EEEENSA_INSB_IlSD_SE_SE_EEEEZNS1_13binary_searchIS3_S5_NSA_INS8_10device_ptrIyEEEESG_SI_NS1_21lower_bound_search_opENS9_16wrapped_functionINS8_6system6detail7generic6detail18binary_search_lessEbEEEE10hipError_tPvRmT1_T2_T3_mmT4_T5_P12ihipStream_tbEUlRKyE_EESV_SZ_S10_mS11_S14_bEUlT_E_NS1_11comp_targetILNS1_3genE9ELNS1_11target_archE1100ELNS1_3gpuE3ELNS1_3repE0EEENS1_30default_config_static_selectorELNS0_4arch9wavefront6targetE1EEEvSY_: ; @_ZN7rocprim17ROCPRIM_400000_NS6detail17trampoline_kernelINS0_14default_configENS1_27lower_bound_config_selectorIylEEZNS1_14transform_implILb0ES3_S5_N6thrust23THRUST_200600_302600_NS6detail15normal_iteratorINS8_7pointerIyNS8_11hip_rocprim5par_tENS8_11use_defaultESE_EEEENSA_INSB_IlSD_SE_SE_EEEEZNS1_13binary_searchIS3_S5_NSA_INS8_10device_ptrIyEEEESG_SI_NS1_21lower_bound_search_opENS9_16wrapped_functionINS8_6system6detail7generic6detail18binary_search_lessEbEEEE10hipError_tPvRmT1_T2_T3_mmT4_T5_P12ihipStream_tbEUlRKyE_EESV_SZ_S10_mS11_S14_bEUlT_E_NS1_11comp_targetILNS1_3genE9ELNS1_11target_archE1100ELNS1_3gpuE3ELNS1_3repE0EEENS1_30default_config_static_selectorELNS0_4arch9wavefront6targetE1EEEvSY_
; %bb.0:
	.section	.rodata,"a",@progbits
	.p2align	6, 0x0
	.amdhsa_kernel _ZN7rocprim17ROCPRIM_400000_NS6detail17trampoline_kernelINS0_14default_configENS1_27lower_bound_config_selectorIylEEZNS1_14transform_implILb0ES3_S5_N6thrust23THRUST_200600_302600_NS6detail15normal_iteratorINS8_7pointerIyNS8_11hip_rocprim5par_tENS8_11use_defaultESE_EEEENSA_INSB_IlSD_SE_SE_EEEEZNS1_13binary_searchIS3_S5_NSA_INS8_10device_ptrIyEEEESG_SI_NS1_21lower_bound_search_opENS9_16wrapped_functionINS8_6system6detail7generic6detail18binary_search_lessEbEEEE10hipError_tPvRmT1_T2_T3_mmT4_T5_P12ihipStream_tbEUlRKyE_EESV_SZ_S10_mS11_S14_bEUlT_E_NS1_11comp_targetILNS1_3genE9ELNS1_11target_archE1100ELNS1_3gpuE3ELNS1_3repE0EEENS1_30default_config_static_selectorELNS0_4arch9wavefront6targetE1EEEvSY_
		.amdhsa_group_segment_fixed_size 0
		.amdhsa_private_segment_fixed_size 0
		.amdhsa_kernarg_size 56
		.amdhsa_user_sgpr_count 6
		.amdhsa_user_sgpr_private_segment_buffer 1
		.amdhsa_user_sgpr_dispatch_ptr 0
		.amdhsa_user_sgpr_queue_ptr 0
		.amdhsa_user_sgpr_kernarg_segment_ptr 1
		.amdhsa_user_sgpr_dispatch_id 0
		.amdhsa_user_sgpr_flat_scratch_init 0
		.amdhsa_user_sgpr_private_segment_size 0
		.amdhsa_uses_dynamic_stack 0
		.amdhsa_system_sgpr_private_segment_wavefront_offset 0
		.amdhsa_system_sgpr_workgroup_id_x 1
		.amdhsa_system_sgpr_workgroup_id_y 0
		.amdhsa_system_sgpr_workgroup_id_z 0
		.amdhsa_system_sgpr_workgroup_info 0
		.amdhsa_system_vgpr_workitem_id 0
		.amdhsa_next_free_vgpr 1
		.amdhsa_next_free_sgpr 0
		.amdhsa_reserve_vcc 0
		.amdhsa_reserve_flat_scratch 0
		.amdhsa_float_round_mode_32 0
		.amdhsa_float_round_mode_16_64 0
		.amdhsa_float_denorm_mode_32 3
		.amdhsa_float_denorm_mode_16_64 3
		.amdhsa_dx10_clamp 1
		.amdhsa_ieee_mode 1
		.amdhsa_fp16_overflow 0
		.amdhsa_exception_fp_ieee_invalid_op 0
		.amdhsa_exception_fp_denorm_src 0
		.amdhsa_exception_fp_ieee_div_zero 0
		.amdhsa_exception_fp_ieee_overflow 0
		.amdhsa_exception_fp_ieee_underflow 0
		.amdhsa_exception_fp_ieee_inexact 0
		.amdhsa_exception_int_div_zero 0
	.end_amdhsa_kernel
	.section	.text._ZN7rocprim17ROCPRIM_400000_NS6detail17trampoline_kernelINS0_14default_configENS1_27lower_bound_config_selectorIylEEZNS1_14transform_implILb0ES3_S5_N6thrust23THRUST_200600_302600_NS6detail15normal_iteratorINS8_7pointerIyNS8_11hip_rocprim5par_tENS8_11use_defaultESE_EEEENSA_INSB_IlSD_SE_SE_EEEEZNS1_13binary_searchIS3_S5_NSA_INS8_10device_ptrIyEEEESG_SI_NS1_21lower_bound_search_opENS9_16wrapped_functionINS8_6system6detail7generic6detail18binary_search_lessEbEEEE10hipError_tPvRmT1_T2_T3_mmT4_T5_P12ihipStream_tbEUlRKyE_EESV_SZ_S10_mS11_S14_bEUlT_E_NS1_11comp_targetILNS1_3genE9ELNS1_11target_archE1100ELNS1_3gpuE3ELNS1_3repE0EEENS1_30default_config_static_selectorELNS0_4arch9wavefront6targetE1EEEvSY_,"axG",@progbits,_ZN7rocprim17ROCPRIM_400000_NS6detail17trampoline_kernelINS0_14default_configENS1_27lower_bound_config_selectorIylEEZNS1_14transform_implILb0ES3_S5_N6thrust23THRUST_200600_302600_NS6detail15normal_iteratorINS8_7pointerIyNS8_11hip_rocprim5par_tENS8_11use_defaultESE_EEEENSA_INSB_IlSD_SE_SE_EEEEZNS1_13binary_searchIS3_S5_NSA_INS8_10device_ptrIyEEEESG_SI_NS1_21lower_bound_search_opENS9_16wrapped_functionINS8_6system6detail7generic6detail18binary_search_lessEbEEEE10hipError_tPvRmT1_T2_T3_mmT4_T5_P12ihipStream_tbEUlRKyE_EESV_SZ_S10_mS11_S14_bEUlT_E_NS1_11comp_targetILNS1_3genE9ELNS1_11target_archE1100ELNS1_3gpuE3ELNS1_3repE0EEENS1_30default_config_static_selectorELNS0_4arch9wavefront6targetE1EEEvSY_,comdat
.Lfunc_end365:
	.size	_ZN7rocprim17ROCPRIM_400000_NS6detail17trampoline_kernelINS0_14default_configENS1_27lower_bound_config_selectorIylEEZNS1_14transform_implILb0ES3_S5_N6thrust23THRUST_200600_302600_NS6detail15normal_iteratorINS8_7pointerIyNS8_11hip_rocprim5par_tENS8_11use_defaultESE_EEEENSA_INSB_IlSD_SE_SE_EEEEZNS1_13binary_searchIS3_S5_NSA_INS8_10device_ptrIyEEEESG_SI_NS1_21lower_bound_search_opENS9_16wrapped_functionINS8_6system6detail7generic6detail18binary_search_lessEbEEEE10hipError_tPvRmT1_T2_T3_mmT4_T5_P12ihipStream_tbEUlRKyE_EESV_SZ_S10_mS11_S14_bEUlT_E_NS1_11comp_targetILNS1_3genE9ELNS1_11target_archE1100ELNS1_3gpuE3ELNS1_3repE0EEENS1_30default_config_static_selectorELNS0_4arch9wavefront6targetE1EEEvSY_, .Lfunc_end365-_ZN7rocprim17ROCPRIM_400000_NS6detail17trampoline_kernelINS0_14default_configENS1_27lower_bound_config_selectorIylEEZNS1_14transform_implILb0ES3_S5_N6thrust23THRUST_200600_302600_NS6detail15normal_iteratorINS8_7pointerIyNS8_11hip_rocprim5par_tENS8_11use_defaultESE_EEEENSA_INSB_IlSD_SE_SE_EEEEZNS1_13binary_searchIS3_S5_NSA_INS8_10device_ptrIyEEEESG_SI_NS1_21lower_bound_search_opENS9_16wrapped_functionINS8_6system6detail7generic6detail18binary_search_lessEbEEEE10hipError_tPvRmT1_T2_T3_mmT4_T5_P12ihipStream_tbEUlRKyE_EESV_SZ_S10_mS11_S14_bEUlT_E_NS1_11comp_targetILNS1_3genE9ELNS1_11target_archE1100ELNS1_3gpuE3ELNS1_3repE0EEENS1_30default_config_static_selectorELNS0_4arch9wavefront6targetE1EEEvSY_
                                        ; -- End function
	.set _ZN7rocprim17ROCPRIM_400000_NS6detail17trampoline_kernelINS0_14default_configENS1_27lower_bound_config_selectorIylEEZNS1_14transform_implILb0ES3_S5_N6thrust23THRUST_200600_302600_NS6detail15normal_iteratorINS8_7pointerIyNS8_11hip_rocprim5par_tENS8_11use_defaultESE_EEEENSA_INSB_IlSD_SE_SE_EEEEZNS1_13binary_searchIS3_S5_NSA_INS8_10device_ptrIyEEEESG_SI_NS1_21lower_bound_search_opENS9_16wrapped_functionINS8_6system6detail7generic6detail18binary_search_lessEbEEEE10hipError_tPvRmT1_T2_T3_mmT4_T5_P12ihipStream_tbEUlRKyE_EESV_SZ_S10_mS11_S14_bEUlT_E_NS1_11comp_targetILNS1_3genE9ELNS1_11target_archE1100ELNS1_3gpuE3ELNS1_3repE0EEENS1_30default_config_static_selectorELNS0_4arch9wavefront6targetE1EEEvSY_.num_vgpr, 0
	.set _ZN7rocprim17ROCPRIM_400000_NS6detail17trampoline_kernelINS0_14default_configENS1_27lower_bound_config_selectorIylEEZNS1_14transform_implILb0ES3_S5_N6thrust23THRUST_200600_302600_NS6detail15normal_iteratorINS8_7pointerIyNS8_11hip_rocprim5par_tENS8_11use_defaultESE_EEEENSA_INSB_IlSD_SE_SE_EEEEZNS1_13binary_searchIS3_S5_NSA_INS8_10device_ptrIyEEEESG_SI_NS1_21lower_bound_search_opENS9_16wrapped_functionINS8_6system6detail7generic6detail18binary_search_lessEbEEEE10hipError_tPvRmT1_T2_T3_mmT4_T5_P12ihipStream_tbEUlRKyE_EESV_SZ_S10_mS11_S14_bEUlT_E_NS1_11comp_targetILNS1_3genE9ELNS1_11target_archE1100ELNS1_3gpuE3ELNS1_3repE0EEENS1_30default_config_static_selectorELNS0_4arch9wavefront6targetE1EEEvSY_.num_agpr, 0
	.set _ZN7rocprim17ROCPRIM_400000_NS6detail17trampoline_kernelINS0_14default_configENS1_27lower_bound_config_selectorIylEEZNS1_14transform_implILb0ES3_S5_N6thrust23THRUST_200600_302600_NS6detail15normal_iteratorINS8_7pointerIyNS8_11hip_rocprim5par_tENS8_11use_defaultESE_EEEENSA_INSB_IlSD_SE_SE_EEEEZNS1_13binary_searchIS3_S5_NSA_INS8_10device_ptrIyEEEESG_SI_NS1_21lower_bound_search_opENS9_16wrapped_functionINS8_6system6detail7generic6detail18binary_search_lessEbEEEE10hipError_tPvRmT1_T2_T3_mmT4_T5_P12ihipStream_tbEUlRKyE_EESV_SZ_S10_mS11_S14_bEUlT_E_NS1_11comp_targetILNS1_3genE9ELNS1_11target_archE1100ELNS1_3gpuE3ELNS1_3repE0EEENS1_30default_config_static_selectorELNS0_4arch9wavefront6targetE1EEEvSY_.numbered_sgpr, 0
	.set _ZN7rocprim17ROCPRIM_400000_NS6detail17trampoline_kernelINS0_14default_configENS1_27lower_bound_config_selectorIylEEZNS1_14transform_implILb0ES3_S5_N6thrust23THRUST_200600_302600_NS6detail15normal_iteratorINS8_7pointerIyNS8_11hip_rocprim5par_tENS8_11use_defaultESE_EEEENSA_INSB_IlSD_SE_SE_EEEEZNS1_13binary_searchIS3_S5_NSA_INS8_10device_ptrIyEEEESG_SI_NS1_21lower_bound_search_opENS9_16wrapped_functionINS8_6system6detail7generic6detail18binary_search_lessEbEEEE10hipError_tPvRmT1_T2_T3_mmT4_T5_P12ihipStream_tbEUlRKyE_EESV_SZ_S10_mS11_S14_bEUlT_E_NS1_11comp_targetILNS1_3genE9ELNS1_11target_archE1100ELNS1_3gpuE3ELNS1_3repE0EEENS1_30default_config_static_selectorELNS0_4arch9wavefront6targetE1EEEvSY_.num_named_barrier, 0
	.set _ZN7rocprim17ROCPRIM_400000_NS6detail17trampoline_kernelINS0_14default_configENS1_27lower_bound_config_selectorIylEEZNS1_14transform_implILb0ES3_S5_N6thrust23THRUST_200600_302600_NS6detail15normal_iteratorINS8_7pointerIyNS8_11hip_rocprim5par_tENS8_11use_defaultESE_EEEENSA_INSB_IlSD_SE_SE_EEEEZNS1_13binary_searchIS3_S5_NSA_INS8_10device_ptrIyEEEESG_SI_NS1_21lower_bound_search_opENS9_16wrapped_functionINS8_6system6detail7generic6detail18binary_search_lessEbEEEE10hipError_tPvRmT1_T2_T3_mmT4_T5_P12ihipStream_tbEUlRKyE_EESV_SZ_S10_mS11_S14_bEUlT_E_NS1_11comp_targetILNS1_3genE9ELNS1_11target_archE1100ELNS1_3gpuE3ELNS1_3repE0EEENS1_30default_config_static_selectorELNS0_4arch9wavefront6targetE1EEEvSY_.private_seg_size, 0
	.set _ZN7rocprim17ROCPRIM_400000_NS6detail17trampoline_kernelINS0_14default_configENS1_27lower_bound_config_selectorIylEEZNS1_14transform_implILb0ES3_S5_N6thrust23THRUST_200600_302600_NS6detail15normal_iteratorINS8_7pointerIyNS8_11hip_rocprim5par_tENS8_11use_defaultESE_EEEENSA_INSB_IlSD_SE_SE_EEEEZNS1_13binary_searchIS3_S5_NSA_INS8_10device_ptrIyEEEESG_SI_NS1_21lower_bound_search_opENS9_16wrapped_functionINS8_6system6detail7generic6detail18binary_search_lessEbEEEE10hipError_tPvRmT1_T2_T3_mmT4_T5_P12ihipStream_tbEUlRKyE_EESV_SZ_S10_mS11_S14_bEUlT_E_NS1_11comp_targetILNS1_3genE9ELNS1_11target_archE1100ELNS1_3gpuE3ELNS1_3repE0EEENS1_30default_config_static_selectorELNS0_4arch9wavefront6targetE1EEEvSY_.uses_vcc, 0
	.set _ZN7rocprim17ROCPRIM_400000_NS6detail17trampoline_kernelINS0_14default_configENS1_27lower_bound_config_selectorIylEEZNS1_14transform_implILb0ES3_S5_N6thrust23THRUST_200600_302600_NS6detail15normal_iteratorINS8_7pointerIyNS8_11hip_rocprim5par_tENS8_11use_defaultESE_EEEENSA_INSB_IlSD_SE_SE_EEEEZNS1_13binary_searchIS3_S5_NSA_INS8_10device_ptrIyEEEESG_SI_NS1_21lower_bound_search_opENS9_16wrapped_functionINS8_6system6detail7generic6detail18binary_search_lessEbEEEE10hipError_tPvRmT1_T2_T3_mmT4_T5_P12ihipStream_tbEUlRKyE_EESV_SZ_S10_mS11_S14_bEUlT_E_NS1_11comp_targetILNS1_3genE9ELNS1_11target_archE1100ELNS1_3gpuE3ELNS1_3repE0EEENS1_30default_config_static_selectorELNS0_4arch9wavefront6targetE1EEEvSY_.uses_flat_scratch, 0
	.set _ZN7rocprim17ROCPRIM_400000_NS6detail17trampoline_kernelINS0_14default_configENS1_27lower_bound_config_selectorIylEEZNS1_14transform_implILb0ES3_S5_N6thrust23THRUST_200600_302600_NS6detail15normal_iteratorINS8_7pointerIyNS8_11hip_rocprim5par_tENS8_11use_defaultESE_EEEENSA_INSB_IlSD_SE_SE_EEEEZNS1_13binary_searchIS3_S5_NSA_INS8_10device_ptrIyEEEESG_SI_NS1_21lower_bound_search_opENS9_16wrapped_functionINS8_6system6detail7generic6detail18binary_search_lessEbEEEE10hipError_tPvRmT1_T2_T3_mmT4_T5_P12ihipStream_tbEUlRKyE_EESV_SZ_S10_mS11_S14_bEUlT_E_NS1_11comp_targetILNS1_3genE9ELNS1_11target_archE1100ELNS1_3gpuE3ELNS1_3repE0EEENS1_30default_config_static_selectorELNS0_4arch9wavefront6targetE1EEEvSY_.has_dyn_sized_stack, 0
	.set _ZN7rocprim17ROCPRIM_400000_NS6detail17trampoline_kernelINS0_14default_configENS1_27lower_bound_config_selectorIylEEZNS1_14transform_implILb0ES3_S5_N6thrust23THRUST_200600_302600_NS6detail15normal_iteratorINS8_7pointerIyNS8_11hip_rocprim5par_tENS8_11use_defaultESE_EEEENSA_INSB_IlSD_SE_SE_EEEEZNS1_13binary_searchIS3_S5_NSA_INS8_10device_ptrIyEEEESG_SI_NS1_21lower_bound_search_opENS9_16wrapped_functionINS8_6system6detail7generic6detail18binary_search_lessEbEEEE10hipError_tPvRmT1_T2_T3_mmT4_T5_P12ihipStream_tbEUlRKyE_EESV_SZ_S10_mS11_S14_bEUlT_E_NS1_11comp_targetILNS1_3genE9ELNS1_11target_archE1100ELNS1_3gpuE3ELNS1_3repE0EEENS1_30default_config_static_selectorELNS0_4arch9wavefront6targetE1EEEvSY_.has_recursion, 0
	.set _ZN7rocprim17ROCPRIM_400000_NS6detail17trampoline_kernelINS0_14default_configENS1_27lower_bound_config_selectorIylEEZNS1_14transform_implILb0ES3_S5_N6thrust23THRUST_200600_302600_NS6detail15normal_iteratorINS8_7pointerIyNS8_11hip_rocprim5par_tENS8_11use_defaultESE_EEEENSA_INSB_IlSD_SE_SE_EEEEZNS1_13binary_searchIS3_S5_NSA_INS8_10device_ptrIyEEEESG_SI_NS1_21lower_bound_search_opENS9_16wrapped_functionINS8_6system6detail7generic6detail18binary_search_lessEbEEEE10hipError_tPvRmT1_T2_T3_mmT4_T5_P12ihipStream_tbEUlRKyE_EESV_SZ_S10_mS11_S14_bEUlT_E_NS1_11comp_targetILNS1_3genE9ELNS1_11target_archE1100ELNS1_3gpuE3ELNS1_3repE0EEENS1_30default_config_static_selectorELNS0_4arch9wavefront6targetE1EEEvSY_.has_indirect_call, 0
	.section	.AMDGPU.csdata,"",@progbits
; Kernel info:
; codeLenInByte = 0
; TotalNumSgprs: 4
; NumVgprs: 0
; ScratchSize: 0
; MemoryBound: 0
; FloatMode: 240
; IeeeMode: 1
; LDSByteSize: 0 bytes/workgroup (compile time only)
; SGPRBlocks: 0
; VGPRBlocks: 0
; NumSGPRsForWavesPerEU: 4
; NumVGPRsForWavesPerEU: 1
; Occupancy: 10
; WaveLimiterHint : 0
; COMPUTE_PGM_RSRC2:SCRATCH_EN: 0
; COMPUTE_PGM_RSRC2:USER_SGPR: 6
; COMPUTE_PGM_RSRC2:TRAP_HANDLER: 0
; COMPUTE_PGM_RSRC2:TGID_X_EN: 1
; COMPUTE_PGM_RSRC2:TGID_Y_EN: 0
; COMPUTE_PGM_RSRC2:TGID_Z_EN: 0
; COMPUTE_PGM_RSRC2:TIDIG_COMP_CNT: 0
	.section	.text._ZN7rocprim17ROCPRIM_400000_NS6detail17trampoline_kernelINS0_14default_configENS1_27lower_bound_config_selectorIylEEZNS1_14transform_implILb0ES3_S5_N6thrust23THRUST_200600_302600_NS6detail15normal_iteratorINS8_7pointerIyNS8_11hip_rocprim5par_tENS8_11use_defaultESE_EEEENSA_INSB_IlSD_SE_SE_EEEEZNS1_13binary_searchIS3_S5_NSA_INS8_10device_ptrIyEEEESG_SI_NS1_21lower_bound_search_opENS9_16wrapped_functionINS8_6system6detail7generic6detail18binary_search_lessEbEEEE10hipError_tPvRmT1_T2_T3_mmT4_T5_P12ihipStream_tbEUlRKyE_EESV_SZ_S10_mS11_S14_bEUlT_E_NS1_11comp_targetILNS1_3genE8ELNS1_11target_archE1030ELNS1_3gpuE2ELNS1_3repE0EEENS1_30default_config_static_selectorELNS0_4arch9wavefront6targetE1EEEvSY_,"axG",@progbits,_ZN7rocprim17ROCPRIM_400000_NS6detail17trampoline_kernelINS0_14default_configENS1_27lower_bound_config_selectorIylEEZNS1_14transform_implILb0ES3_S5_N6thrust23THRUST_200600_302600_NS6detail15normal_iteratorINS8_7pointerIyNS8_11hip_rocprim5par_tENS8_11use_defaultESE_EEEENSA_INSB_IlSD_SE_SE_EEEEZNS1_13binary_searchIS3_S5_NSA_INS8_10device_ptrIyEEEESG_SI_NS1_21lower_bound_search_opENS9_16wrapped_functionINS8_6system6detail7generic6detail18binary_search_lessEbEEEE10hipError_tPvRmT1_T2_T3_mmT4_T5_P12ihipStream_tbEUlRKyE_EESV_SZ_S10_mS11_S14_bEUlT_E_NS1_11comp_targetILNS1_3genE8ELNS1_11target_archE1030ELNS1_3gpuE2ELNS1_3repE0EEENS1_30default_config_static_selectorELNS0_4arch9wavefront6targetE1EEEvSY_,comdat
	.protected	_ZN7rocprim17ROCPRIM_400000_NS6detail17trampoline_kernelINS0_14default_configENS1_27lower_bound_config_selectorIylEEZNS1_14transform_implILb0ES3_S5_N6thrust23THRUST_200600_302600_NS6detail15normal_iteratorINS8_7pointerIyNS8_11hip_rocprim5par_tENS8_11use_defaultESE_EEEENSA_INSB_IlSD_SE_SE_EEEEZNS1_13binary_searchIS3_S5_NSA_INS8_10device_ptrIyEEEESG_SI_NS1_21lower_bound_search_opENS9_16wrapped_functionINS8_6system6detail7generic6detail18binary_search_lessEbEEEE10hipError_tPvRmT1_T2_T3_mmT4_T5_P12ihipStream_tbEUlRKyE_EESV_SZ_S10_mS11_S14_bEUlT_E_NS1_11comp_targetILNS1_3genE8ELNS1_11target_archE1030ELNS1_3gpuE2ELNS1_3repE0EEENS1_30default_config_static_selectorELNS0_4arch9wavefront6targetE1EEEvSY_ ; -- Begin function _ZN7rocprim17ROCPRIM_400000_NS6detail17trampoline_kernelINS0_14default_configENS1_27lower_bound_config_selectorIylEEZNS1_14transform_implILb0ES3_S5_N6thrust23THRUST_200600_302600_NS6detail15normal_iteratorINS8_7pointerIyNS8_11hip_rocprim5par_tENS8_11use_defaultESE_EEEENSA_INSB_IlSD_SE_SE_EEEEZNS1_13binary_searchIS3_S5_NSA_INS8_10device_ptrIyEEEESG_SI_NS1_21lower_bound_search_opENS9_16wrapped_functionINS8_6system6detail7generic6detail18binary_search_lessEbEEEE10hipError_tPvRmT1_T2_T3_mmT4_T5_P12ihipStream_tbEUlRKyE_EESV_SZ_S10_mS11_S14_bEUlT_E_NS1_11comp_targetILNS1_3genE8ELNS1_11target_archE1030ELNS1_3gpuE2ELNS1_3repE0EEENS1_30default_config_static_selectorELNS0_4arch9wavefront6targetE1EEEvSY_
	.globl	_ZN7rocprim17ROCPRIM_400000_NS6detail17trampoline_kernelINS0_14default_configENS1_27lower_bound_config_selectorIylEEZNS1_14transform_implILb0ES3_S5_N6thrust23THRUST_200600_302600_NS6detail15normal_iteratorINS8_7pointerIyNS8_11hip_rocprim5par_tENS8_11use_defaultESE_EEEENSA_INSB_IlSD_SE_SE_EEEEZNS1_13binary_searchIS3_S5_NSA_INS8_10device_ptrIyEEEESG_SI_NS1_21lower_bound_search_opENS9_16wrapped_functionINS8_6system6detail7generic6detail18binary_search_lessEbEEEE10hipError_tPvRmT1_T2_T3_mmT4_T5_P12ihipStream_tbEUlRKyE_EESV_SZ_S10_mS11_S14_bEUlT_E_NS1_11comp_targetILNS1_3genE8ELNS1_11target_archE1030ELNS1_3gpuE2ELNS1_3repE0EEENS1_30default_config_static_selectorELNS0_4arch9wavefront6targetE1EEEvSY_
	.p2align	8
	.type	_ZN7rocprim17ROCPRIM_400000_NS6detail17trampoline_kernelINS0_14default_configENS1_27lower_bound_config_selectorIylEEZNS1_14transform_implILb0ES3_S5_N6thrust23THRUST_200600_302600_NS6detail15normal_iteratorINS8_7pointerIyNS8_11hip_rocprim5par_tENS8_11use_defaultESE_EEEENSA_INSB_IlSD_SE_SE_EEEEZNS1_13binary_searchIS3_S5_NSA_INS8_10device_ptrIyEEEESG_SI_NS1_21lower_bound_search_opENS9_16wrapped_functionINS8_6system6detail7generic6detail18binary_search_lessEbEEEE10hipError_tPvRmT1_T2_T3_mmT4_T5_P12ihipStream_tbEUlRKyE_EESV_SZ_S10_mS11_S14_bEUlT_E_NS1_11comp_targetILNS1_3genE8ELNS1_11target_archE1030ELNS1_3gpuE2ELNS1_3repE0EEENS1_30default_config_static_selectorELNS0_4arch9wavefront6targetE1EEEvSY_,@function
_ZN7rocprim17ROCPRIM_400000_NS6detail17trampoline_kernelINS0_14default_configENS1_27lower_bound_config_selectorIylEEZNS1_14transform_implILb0ES3_S5_N6thrust23THRUST_200600_302600_NS6detail15normal_iteratorINS8_7pointerIyNS8_11hip_rocprim5par_tENS8_11use_defaultESE_EEEENSA_INSB_IlSD_SE_SE_EEEEZNS1_13binary_searchIS3_S5_NSA_INS8_10device_ptrIyEEEESG_SI_NS1_21lower_bound_search_opENS9_16wrapped_functionINS8_6system6detail7generic6detail18binary_search_lessEbEEEE10hipError_tPvRmT1_T2_T3_mmT4_T5_P12ihipStream_tbEUlRKyE_EESV_SZ_S10_mS11_S14_bEUlT_E_NS1_11comp_targetILNS1_3genE8ELNS1_11target_archE1030ELNS1_3gpuE2ELNS1_3repE0EEENS1_30default_config_static_selectorELNS0_4arch9wavefront6targetE1EEEvSY_: ; @_ZN7rocprim17ROCPRIM_400000_NS6detail17trampoline_kernelINS0_14default_configENS1_27lower_bound_config_selectorIylEEZNS1_14transform_implILb0ES3_S5_N6thrust23THRUST_200600_302600_NS6detail15normal_iteratorINS8_7pointerIyNS8_11hip_rocprim5par_tENS8_11use_defaultESE_EEEENSA_INSB_IlSD_SE_SE_EEEEZNS1_13binary_searchIS3_S5_NSA_INS8_10device_ptrIyEEEESG_SI_NS1_21lower_bound_search_opENS9_16wrapped_functionINS8_6system6detail7generic6detail18binary_search_lessEbEEEE10hipError_tPvRmT1_T2_T3_mmT4_T5_P12ihipStream_tbEUlRKyE_EESV_SZ_S10_mS11_S14_bEUlT_E_NS1_11comp_targetILNS1_3genE8ELNS1_11target_archE1030ELNS1_3gpuE2ELNS1_3repE0EEENS1_30default_config_static_selectorELNS0_4arch9wavefront6targetE1EEEvSY_
; %bb.0:
	.section	.rodata,"a",@progbits
	.p2align	6, 0x0
	.amdhsa_kernel _ZN7rocprim17ROCPRIM_400000_NS6detail17trampoline_kernelINS0_14default_configENS1_27lower_bound_config_selectorIylEEZNS1_14transform_implILb0ES3_S5_N6thrust23THRUST_200600_302600_NS6detail15normal_iteratorINS8_7pointerIyNS8_11hip_rocprim5par_tENS8_11use_defaultESE_EEEENSA_INSB_IlSD_SE_SE_EEEEZNS1_13binary_searchIS3_S5_NSA_INS8_10device_ptrIyEEEESG_SI_NS1_21lower_bound_search_opENS9_16wrapped_functionINS8_6system6detail7generic6detail18binary_search_lessEbEEEE10hipError_tPvRmT1_T2_T3_mmT4_T5_P12ihipStream_tbEUlRKyE_EESV_SZ_S10_mS11_S14_bEUlT_E_NS1_11comp_targetILNS1_3genE8ELNS1_11target_archE1030ELNS1_3gpuE2ELNS1_3repE0EEENS1_30default_config_static_selectorELNS0_4arch9wavefront6targetE1EEEvSY_
		.amdhsa_group_segment_fixed_size 0
		.amdhsa_private_segment_fixed_size 0
		.amdhsa_kernarg_size 56
		.amdhsa_user_sgpr_count 6
		.amdhsa_user_sgpr_private_segment_buffer 1
		.amdhsa_user_sgpr_dispatch_ptr 0
		.amdhsa_user_sgpr_queue_ptr 0
		.amdhsa_user_sgpr_kernarg_segment_ptr 1
		.amdhsa_user_sgpr_dispatch_id 0
		.amdhsa_user_sgpr_flat_scratch_init 0
		.amdhsa_user_sgpr_private_segment_size 0
		.amdhsa_uses_dynamic_stack 0
		.amdhsa_system_sgpr_private_segment_wavefront_offset 0
		.amdhsa_system_sgpr_workgroup_id_x 1
		.amdhsa_system_sgpr_workgroup_id_y 0
		.amdhsa_system_sgpr_workgroup_id_z 0
		.amdhsa_system_sgpr_workgroup_info 0
		.amdhsa_system_vgpr_workitem_id 0
		.amdhsa_next_free_vgpr 1
		.amdhsa_next_free_sgpr 0
		.amdhsa_reserve_vcc 0
		.amdhsa_reserve_flat_scratch 0
		.amdhsa_float_round_mode_32 0
		.amdhsa_float_round_mode_16_64 0
		.amdhsa_float_denorm_mode_32 3
		.amdhsa_float_denorm_mode_16_64 3
		.amdhsa_dx10_clamp 1
		.amdhsa_ieee_mode 1
		.amdhsa_fp16_overflow 0
		.amdhsa_exception_fp_ieee_invalid_op 0
		.amdhsa_exception_fp_denorm_src 0
		.amdhsa_exception_fp_ieee_div_zero 0
		.amdhsa_exception_fp_ieee_overflow 0
		.amdhsa_exception_fp_ieee_underflow 0
		.amdhsa_exception_fp_ieee_inexact 0
		.amdhsa_exception_int_div_zero 0
	.end_amdhsa_kernel
	.section	.text._ZN7rocprim17ROCPRIM_400000_NS6detail17trampoline_kernelINS0_14default_configENS1_27lower_bound_config_selectorIylEEZNS1_14transform_implILb0ES3_S5_N6thrust23THRUST_200600_302600_NS6detail15normal_iteratorINS8_7pointerIyNS8_11hip_rocprim5par_tENS8_11use_defaultESE_EEEENSA_INSB_IlSD_SE_SE_EEEEZNS1_13binary_searchIS3_S5_NSA_INS8_10device_ptrIyEEEESG_SI_NS1_21lower_bound_search_opENS9_16wrapped_functionINS8_6system6detail7generic6detail18binary_search_lessEbEEEE10hipError_tPvRmT1_T2_T3_mmT4_T5_P12ihipStream_tbEUlRKyE_EESV_SZ_S10_mS11_S14_bEUlT_E_NS1_11comp_targetILNS1_3genE8ELNS1_11target_archE1030ELNS1_3gpuE2ELNS1_3repE0EEENS1_30default_config_static_selectorELNS0_4arch9wavefront6targetE1EEEvSY_,"axG",@progbits,_ZN7rocprim17ROCPRIM_400000_NS6detail17trampoline_kernelINS0_14default_configENS1_27lower_bound_config_selectorIylEEZNS1_14transform_implILb0ES3_S5_N6thrust23THRUST_200600_302600_NS6detail15normal_iteratorINS8_7pointerIyNS8_11hip_rocprim5par_tENS8_11use_defaultESE_EEEENSA_INSB_IlSD_SE_SE_EEEEZNS1_13binary_searchIS3_S5_NSA_INS8_10device_ptrIyEEEESG_SI_NS1_21lower_bound_search_opENS9_16wrapped_functionINS8_6system6detail7generic6detail18binary_search_lessEbEEEE10hipError_tPvRmT1_T2_T3_mmT4_T5_P12ihipStream_tbEUlRKyE_EESV_SZ_S10_mS11_S14_bEUlT_E_NS1_11comp_targetILNS1_3genE8ELNS1_11target_archE1030ELNS1_3gpuE2ELNS1_3repE0EEENS1_30default_config_static_selectorELNS0_4arch9wavefront6targetE1EEEvSY_,comdat
.Lfunc_end366:
	.size	_ZN7rocprim17ROCPRIM_400000_NS6detail17trampoline_kernelINS0_14default_configENS1_27lower_bound_config_selectorIylEEZNS1_14transform_implILb0ES3_S5_N6thrust23THRUST_200600_302600_NS6detail15normal_iteratorINS8_7pointerIyNS8_11hip_rocprim5par_tENS8_11use_defaultESE_EEEENSA_INSB_IlSD_SE_SE_EEEEZNS1_13binary_searchIS3_S5_NSA_INS8_10device_ptrIyEEEESG_SI_NS1_21lower_bound_search_opENS9_16wrapped_functionINS8_6system6detail7generic6detail18binary_search_lessEbEEEE10hipError_tPvRmT1_T2_T3_mmT4_T5_P12ihipStream_tbEUlRKyE_EESV_SZ_S10_mS11_S14_bEUlT_E_NS1_11comp_targetILNS1_3genE8ELNS1_11target_archE1030ELNS1_3gpuE2ELNS1_3repE0EEENS1_30default_config_static_selectorELNS0_4arch9wavefront6targetE1EEEvSY_, .Lfunc_end366-_ZN7rocprim17ROCPRIM_400000_NS6detail17trampoline_kernelINS0_14default_configENS1_27lower_bound_config_selectorIylEEZNS1_14transform_implILb0ES3_S5_N6thrust23THRUST_200600_302600_NS6detail15normal_iteratorINS8_7pointerIyNS8_11hip_rocprim5par_tENS8_11use_defaultESE_EEEENSA_INSB_IlSD_SE_SE_EEEEZNS1_13binary_searchIS3_S5_NSA_INS8_10device_ptrIyEEEESG_SI_NS1_21lower_bound_search_opENS9_16wrapped_functionINS8_6system6detail7generic6detail18binary_search_lessEbEEEE10hipError_tPvRmT1_T2_T3_mmT4_T5_P12ihipStream_tbEUlRKyE_EESV_SZ_S10_mS11_S14_bEUlT_E_NS1_11comp_targetILNS1_3genE8ELNS1_11target_archE1030ELNS1_3gpuE2ELNS1_3repE0EEENS1_30default_config_static_selectorELNS0_4arch9wavefront6targetE1EEEvSY_
                                        ; -- End function
	.set _ZN7rocprim17ROCPRIM_400000_NS6detail17trampoline_kernelINS0_14default_configENS1_27lower_bound_config_selectorIylEEZNS1_14transform_implILb0ES3_S5_N6thrust23THRUST_200600_302600_NS6detail15normal_iteratorINS8_7pointerIyNS8_11hip_rocprim5par_tENS8_11use_defaultESE_EEEENSA_INSB_IlSD_SE_SE_EEEEZNS1_13binary_searchIS3_S5_NSA_INS8_10device_ptrIyEEEESG_SI_NS1_21lower_bound_search_opENS9_16wrapped_functionINS8_6system6detail7generic6detail18binary_search_lessEbEEEE10hipError_tPvRmT1_T2_T3_mmT4_T5_P12ihipStream_tbEUlRKyE_EESV_SZ_S10_mS11_S14_bEUlT_E_NS1_11comp_targetILNS1_3genE8ELNS1_11target_archE1030ELNS1_3gpuE2ELNS1_3repE0EEENS1_30default_config_static_selectorELNS0_4arch9wavefront6targetE1EEEvSY_.num_vgpr, 0
	.set _ZN7rocprim17ROCPRIM_400000_NS6detail17trampoline_kernelINS0_14default_configENS1_27lower_bound_config_selectorIylEEZNS1_14transform_implILb0ES3_S5_N6thrust23THRUST_200600_302600_NS6detail15normal_iteratorINS8_7pointerIyNS8_11hip_rocprim5par_tENS8_11use_defaultESE_EEEENSA_INSB_IlSD_SE_SE_EEEEZNS1_13binary_searchIS3_S5_NSA_INS8_10device_ptrIyEEEESG_SI_NS1_21lower_bound_search_opENS9_16wrapped_functionINS8_6system6detail7generic6detail18binary_search_lessEbEEEE10hipError_tPvRmT1_T2_T3_mmT4_T5_P12ihipStream_tbEUlRKyE_EESV_SZ_S10_mS11_S14_bEUlT_E_NS1_11comp_targetILNS1_3genE8ELNS1_11target_archE1030ELNS1_3gpuE2ELNS1_3repE0EEENS1_30default_config_static_selectorELNS0_4arch9wavefront6targetE1EEEvSY_.num_agpr, 0
	.set _ZN7rocprim17ROCPRIM_400000_NS6detail17trampoline_kernelINS0_14default_configENS1_27lower_bound_config_selectorIylEEZNS1_14transform_implILb0ES3_S5_N6thrust23THRUST_200600_302600_NS6detail15normal_iteratorINS8_7pointerIyNS8_11hip_rocprim5par_tENS8_11use_defaultESE_EEEENSA_INSB_IlSD_SE_SE_EEEEZNS1_13binary_searchIS3_S5_NSA_INS8_10device_ptrIyEEEESG_SI_NS1_21lower_bound_search_opENS9_16wrapped_functionINS8_6system6detail7generic6detail18binary_search_lessEbEEEE10hipError_tPvRmT1_T2_T3_mmT4_T5_P12ihipStream_tbEUlRKyE_EESV_SZ_S10_mS11_S14_bEUlT_E_NS1_11comp_targetILNS1_3genE8ELNS1_11target_archE1030ELNS1_3gpuE2ELNS1_3repE0EEENS1_30default_config_static_selectorELNS0_4arch9wavefront6targetE1EEEvSY_.numbered_sgpr, 0
	.set _ZN7rocprim17ROCPRIM_400000_NS6detail17trampoline_kernelINS0_14default_configENS1_27lower_bound_config_selectorIylEEZNS1_14transform_implILb0ES3_S5_N6thrust23THRUST_200600_302600_NS6detail15normal_iteratorINS8_7pointerIyNS8_11hip_rocprim5par_tENS8_11use_defaultESE_EEEENSA_INSB_IlSD_SE_SE_EEEEZNS1_13binary_searchIS3_S5_NSA_INS8_10device_ptrIyEEEESG_SI_NS1_21lower_bound_search_opENS9_16wrapped_functionINS8_6system6detail7generic6detail18binary_search_lessEbEEEE10hipError_tPvRmT1_T2_T3_mmT4_T5_P12ihipStream_tbEUlRKyE_EESV_SZ_S10_mS11_S14_bEUlT_E_NS1_11comp_targetILNS1_3genE8ELNS1_11target_archE1030ELNS1_3gpuE2ELNS1_3repE0EEENS1_30default_config_static_selectorELNS0_4arch9wavefront6targetE1EEEvSY_.num_named_barrier, 0
	.set _ZN7rocprim17ROCPRIM_400000_NS6detail17trampoline_kernelINS0_14default_configENS1_27lower_bound_config_selectorIylEEZNS1_14transform_implILb0ES3_S5_N6thrust23THRUST_200600_302600_NS6detail15normal_iteratorINS8_7pointerIyNS8_11hip_rocprim5par_tENS8_11use_defaultESE_EEEENSA_INSB_IlSD_SE_SE_EEEEZNS1_13binary_searchIS3_S5_NSA_INS8_10device_ptrIyEEEESG_SI_NS1_21lower_bound_search_opENS9_16wrapped_functionINS8_6system6detail7generic6detail18binary_search_lessEbEEEE10hipError_tPvRmT1_T2_T3_mmT4_T5_P12ihipStream_tbEUlRKyE_EESV_SZ_S10_mS11_S14_bEUlT_E_NS1_11comp_targetILNS1_3genE8ELNS1_11target_archE1030ELNS1_3gpuE2ELNS1_3repE0EEENS1_30default_config_static_selectorELNS0_4arch9wavefront6targetE1EEEvSY_.private_seg_size, 0
	.set _ZN7rocprim17ROCPRIM_400000_NS6detail17trampoline_kernelINS0_14default_configENS1_27lower_bound_config_selectorIylEEZNS1_14transform_implILb0ES3_S5_N6thrust23THRUST_200600_302600_NS6detail15normal_iteratorINS8_7pointerIyNS8_11hip_rocprim5par_tENS8_11use_defaultESE_EEEENSA_INSB_IlSD_SE_SE_EEEEZNS1_13binary_searchIS3_S5_NSA_INS8_10device_ptrIyEEEESG_SI_NS1_21lower_bound_search_opENS9_16wrapped_functionINS8_6system6detail7generic6detail18binary_search_lessEbEEEE10hipError_tPvRmT1_T2_T3_mmT4_T5_P12ihipStream_tbEUlRKyE_EESV_SZ_S10_mS11_S14_bEUlT_E_NS1_11comp_targetILNS1_3genE8ELNS1_11target_archE1030ELNS1_3gpuE2ELNS1_3repE0EEENS1_30default_config_static_selectorELNS0_4arch9wavefront6targetE1EEEvSY_.uses_vcc, 0
	.set _ZN7rocprim17ROCPRIM_400000_NS6detail17trampoline_kernelINS0_14default_configENS1_27lower_bound_config_selectorIylEEZNS1_14transform_implILb0ES3_S5_N6thrust23THRUST_200600_302600_NS6detail15normal_iteratorINS8_7pointerIyNS8_11hip_rocprim5par_tENS8_11use_defaultESE_EEEENSA_INSB_IlSD_SE_SE_EEEEZNS1_13binary_searchIS3_S5_NSA_INS8_10device_ptrIyEEEESG_SI_NS1_21lower_bound_search_opENS9_16wrapped_functionINS8_6system6detail7generic6detail18binary_search_lessEbEEEE10hipError_tPvRmT1_T2_T3_mmT4_T5_P12ihipStream_tbEUlRKyE_EESV_SZ_S10_mS11_S14_bEUlT_E_NS1_11comp_targetILNS1_3genE8ELNS1_11target_archE1030ELNS1_3gpuE2ELNS1_3repE0EEENS1_30default_config_static_selectorELNS0_4arch9wavefront6targetE1EEEvSY_.uses_flat_scratch, 0
	.set _ZN7rocprim17ROCPRIM_400000_NS6detail17trampoline_kernelINS0_14default_configENS1_27lower_bound_config_selectorIylEEZNS1_14transform_implILb0ES3_S5_N6thrust23THRUST_200600_302600_NS6detail15normal_iteratorINS8_7pointerIyNS8_11hip_rocprim5par_tENS8_11use_defaultESE_EEEENSA_INSB_IlSD_SE_SE_EEEEZNS1_13binary_searchIS3_S5_NSA_INS8_10device_ptrIyEEEESG_SI_NS1_21lower_bound_search_opENS9_16wrapped_functionINS8_6system6detail7generic6detail18binary_search_lessEbEEEE10hipError_tPvRmT1_T2_T3_mmT4_T5_P12ihipStream_tbEUlRKyE_EESV_SZ_S10_mS11_S14_bEUlT_E_NS1_11comp_targetILNS1_3genE8ELNS1_11target_archE1030ELNS1_3gpuE2ELNS1_3repE0EEENS1_30default_config_static_selectorELNS0_4arch9wavefront6targetE1EEEvSY_.has_dyn_sized_stack, 0
	.set _ZN7rocprim17ROCPRIM_400000_NS6detail17trampoline_kernelINS0_14default_configENS1_27lower_bound_config_selectorIylEEZNS1_14transform_implILb0ES3_S5_N6thrust23THRUST_200600_302600_NS6detail15normal_iteratorINS8_7pointerIyNS8_11hip_rocprim5par_tENS8_11use_defaultESE_EEEENSA_INSB_IlSD_SE_SE_EEEEZNS1_13binary_searchIS3_S5_NSA_INS8_10device_ptrIyEEEESG_SI_NS1_21lower_bound_search_opENS9_16wrapped_functionINS8_6system6detail7generic6detail18binary_search_lessEbEEEE10hipError_tPvRmT1_T2_T3_mmT4_T5_P12ihipStream_tbEUlRKyE_EESV_SZ_S10_mS11_S14_bEUlT_E_NS1_11comp_targetILNS1_3genE8ELNS1_11target_archE1030ELNS1_3gpuE2ELNS1_3repE0EEENS1_30default_config_static_selectorELNS0_4arch9wavefront6targetE1EEEvSY_.has_recursion, 0
	.set _ZN7rocprim17ROCPRIM_400000_NS6detail17trampoline_kernelINS0_14default_configENS1_27lower_bound_config_selectorIylEEZNS1_14transform_implILb0ES3_S5_N6thrust23THRUST_200600_302600_NS6detail15normal_iteratorINS8_7pointerIyNS8_11hip_rocprim5par_tENS8_11use_defaultESE_EEEENSA_INSB_IlSD_SE_SE_EEEEZNS1_13binary_searchIS3_S5_NSA_INS8_10device_ptrIyEEEESG_SI_NS1_21lower_bound_search_opENS9_16wrapped_functionINS8_6system6detail7generic6detail18binary_search_lessEbEEEE10hipError_tPvRmT1_T2_T3_mmT4_T5_P12ihipStream_tbEUlRKyE_EESV_SZ_S10_mS11_S14_bEUlT_E_NS1_11comp_targetILNS1_3genE8ELNS1_11target_archE1030ELNS1_3gpuE2ELNS1_3repE0EEENS1_30default_config_static_selectorELNS0_4arch9wavefront6targetE1EEEvSY_.has_indirect_call, 0
	.section	.AMDGPU.csdata,"",@progbits
; Kernel info:
; codeLenInByte = 0
; TotalNumSgprs: 4
; NumVgprs: 0
; ScratchSize: 0
; MemoryBound: 0
; FloatMode: 240
; IeeeMode: 1
; LDSByteSize: 0 bytes/workgroup (compile time only)
; SGPRBlocks: 0
; VGPRBlocks: 0
; NumSGPRsForWavesPerEU: 4
; NumVGPRsForWavesPerEU: 1
; Occupancy: 10
; WaveLimiterHint : 0
; COMPUTE_PGM_RSRC2:SCRATCH_EN: 0
; COMPUTE_PGM_RSRC2:USER_SGPR: 6
; COMPUTE_PGM_RSRC2:TRAP_HANDLER: 0
; COMPUTE_PGM_RSRC2:TGID_X_EN: 1
; COMPUTE_PGM_RSRC2:TGID_Y_EN: 0
; COMPUTE_PGM_RSRC2:TGID_Z_EN: 0
; COMPUTE_PGM_RSRC2:TIDIG_COMP_CNT: 0
	.section	.text._ZN7rocprim17ROCPRIM_400000_NS6detail17trampoline_kernelINS0_14default_configENS1_27lower_bound_config_selectorIjlEEZNS1_14transform_implILb0ES3_S5_N6thrust23THRUST_200600_302600_NS6detail15normal_iteratorINS8_7pointerIjNS8_11hip_rocprim5par_tENS8_11use_defaultESE_EEEENSA_INSB_IlSD_SE_SE_EEEEZNS1_13binary_searchIS3_S5_NSA_INS8_10device_ptrIjEEEESG_SI_NS1_21lower_bound_search_opENS9_16wrapped_functionINS8_6system6detail7generic6detail18binary_search_lessEbEEEE10hipError_tPvRmT1_T2_T3_mmT4_T5_P12ihipStream_tbEUlRKjE_EESV_SZ_S10_mS11_S14_bEUlT_E_NS1_11comp_targetILNS1_3genE0ELNS1_11target_archE4294967295ELNS1_3gpuE0ELNS1_3repE0EEENS1_30default_config_static_selectorELNS0_4arch9wavefront6targetE1EEEvSY_,"axG",@progbits,_ZN7rocprim17ROCPRIM_400000_NS6detail17trampoline_kernelINS0_14default_configENS1_27lower_bound_config_selectorIjlEEZNS1_14transform_implILb0ES3_S5_N6thrust23THRUST_200600_302600_NS6detail15normal_iteratorINS8_7pointerIjNS8_11hip_rocprim5par_tENS8_11use_defaultESE_EEEENSA_INSB_IlSD_SE_SE_EEEEZNS1_13binary_searchIS3_S5_NSA_INS8_10device_ptrIjEEEESG_SI_NS1_21lower_bound_search_opENS9_16wrapped_functionINS8_6system6detail7generic6detail18binary_search_lessEbEEEE10hipError_tPvRmT1_T2_T3_mmT4_T5_P12ihipStream_tbEUlRKjE_EESV_SZ_S10_mS11_S14_bEUlT_E_NS1_11comp_targetILNS1_3genE0ELNS1_11target_archE4294967295ELNS1_3gpuE0ELNS1_3repE0EEENS1_30default_config_static_selectorELNS0_4arch9wavefront6targetE1EEEvSY_,comdat
	.protected	_ZN7rocprim17ROCPRIM_400000_NS6detail17trampoline_kernelINS0_14default_configENS1_27lower_bound_config_selectorIjlEEZNS1_14transform_implILb0ES3_S5_N6thrust23THRUST_200600_302600_NS6detail15normal_iteratorINS8_7pointerIjNS8_11hip_rocprim5par_tENS8_11use_defaultESE_EEEENSA_INSB_IlSD_SE_SE_EEEEZNS1_13binary_searchIS3_S5_NSA_INS8_10device_ptrIjEEEESG_SI_NS1_21lower_bound_search_opENS9_16wrapped_functionINS8_6system6detail7generic6detail18binary_search_lessEbEEEE10hipError_tPvRmT1_T2_T3_mmT4_T5_P12ihipStream_tbEUlRKjE_EESV_SZ_S10_mS11_S14_bEUlT_E_NS1_11comp_targetILNS1_3genE0ELNS1_11target_archE4294967295ELNS1_3gpuE0ELNS1_3repE0EEENS1_30default_config_static_selectorELNS0_4arch9wavefront6targetE1EEEvSY_ ; -- Begin function _ZN7rocprim17ROCPRIM_400000_NS6detail17trampoline_kernelINS0_14default_configENS1_27lower_bound_config_selectorIjlEEZNS1_14transform_implILb0ES3_S5_N6thrust23THRUST_200600_302600_NS6detail15normal_iteratorINS8_7pointerIjNS8_11hip_rocprim5par_tENS8_11use_defaultESE_EEEENSA_INSB_IlSD_SE_SE_EEEEZNS1_13binary_searchIS3_S5_NSA_INS8_10device_ptrIjEEEESG_SI_NS1_21lower_bound_search_opENS9_16wrapped_functionINS8_6system6detail7generic6detail18binary_search_lessEbEEEE10hipError_tPvRmT1_T2_T3_mmT4_T5_P12ihipStream_tbEUlRKjE_EESV_SZ_S10_mS11_S14_bEUlT_E_NS1_11comp_targetILNS1_3genE0ELNS1_11target_archE4294967295ELNS1_3gpuE0ELNS1_3repE0EEENS1_30default_config_static_selectorELNS0_4arch9wavefront6targetE1EEEvSY_
	.globl	_ZN7rocprim17ROCPRIM_400000_NS6detail17trampoline_kernelINS0_14default_configENS1_27lower_bound_config_selectorIjlEEZNS1_14transform_implILb0ES3_S5_N6thrust23THRUST_200600_302600_NS6detail15normal_iteratorINS8_7pointerIjNS8_11hip_rocprim5par_tENS8_11use_defaultESE_EEEENSA_INSB_IlSD_SE_SE_EEEEZNS1_13binary_searchIS3_S5_NSA_INS8_10device_ptrIjEEEESG_SI_NS1_21lower_bound_search_opENS9_16wrapped_functionINS8_6system6detail7generic6detail18binary_search_lessEbEEEE10hipError_tPvRmT1_T2_T3_mmT4_T5_P12ihipStream_tbEUlRKjE_EESV_SZ_S10_mS11_S14_bEUlT_E_NS1_11comp_targetILNS1_3genE0ELNS1_11target_archE4294967295ELNS1_3gpuE0ELNS1_3repE0EEENS1_30default_config_static_selectorELNS0_4arch9wavefront6targetE1EEEvSY_
	.p2align	8
	.type	_ZN7rocprim17ROCPRIM_400000_NS6detail17trampoline_kernelINS0_14default_configENS1_27lower_bound_config_selectorIjlEEZNS1_14transform_implILb0ES3_S5_N6thrust23THRUST_200600_302600_NS6detail15normal_iteratorINS8_7pointerIjNS8_11hip_rocprim5par_tENS8_11use_defaultESE_EEEENSA_INSB_IlSD_SE_SE_EEEEZNS1_13binary_searchIS3_S5_NSA_INS8_10device_ptrIjEEEESG_SI_NS1_21lower_bound_search_opENS9_16wrapped_functionINS8_6system6detail7generic6detail18binary_search_lessEbEEEE10hipError_tPvRmT1_T2_T3_mmT4_T5_P12ihipStream_tbEUlRKjE_EESV_SZ_S10_mS11_S14_bEUlT_E_NS1_11comp_targetILNS1_3genE0ELNS1_11target_archE4294967295ELNS1_3gpuE0ELNS1_3repE0EEENS1_30default_config_static_selectorELNS0_4arch9wavefront6targetE1EEEvSY_,@function
_ZN7rocprim17ROCPRIM_400000_NS6detail17trampoline_kernelINS0_14default_configENS1_27lower_bound_config_selectorIjlEEZNS1_14transform_implILb0ES3_S5_N6thrust23THRUST_200600_302600_NS6detail15normal_iteratorINS8_7pointerIjNS8_11hip_rocprim5par_tENS8_11use_defaultESE_EEEENSA_INSB_IlSD_SE_SE_EEEEZNS1_13binary_searchIS3_S5_NSA_INS8_10device_ptrIjEEEESG_SI_NS1_21lower_bound_search_opENS9_16wrapped_functionINS8_6system6detail7generic6detail18binary_search_lessEbEEEE10hipError_tPvRmT1_T2_T3_mmT4_T5_P12ihipStream_tbEUlRKjE_EESV_SZ_S10_mS11_S14_bEUlT_E_NS1_11comp_targetILNS1_3genE0ELNS1_11target_archE4294967295ELNS1_3gpuE0ELNS1_3repE0EEENS1_30default_config_static_selectorELNS0_4arch9wavefront6targetE1EEEvSY_: ; @_ZN7rocprim17ROCPRIM_400000_NS6detail17trampoline_kernelINS0_14default_configENS1_27lower_bound_config_selectorIjlEEZNS1_14transform_implILb0ES3_S5_N6thrust23THRUST_200600_302600_NS6detail15normal_iteratorINS8_7pointerIjNS8_11hip_rocprim5par_tENS8_11use_defaultESE_EEEENSA_INSB_IlSD_SE_SE_EEEEZNS1_13binary_searchIS3_S5_NSA_INS8_10device_ptrIjEEEESG_SI_NS1_21lower_bound_search_opENS9_16wrapped_functionINS8_6system6detail7generic6detail18binary_search_lessEbEEEE10hipError_tPvRmT1_T2_T3_mmT4_T5_P12ihipStream_tbEUlRKjE_EESV_SZ_S10_mS11_S14_bEUlT_E_NS1_11comp_targetILNS1_3genE0ELNS1_11target_archE4294967295ELNS1_3gpuE0ELNS1_3repE0EEENS1_30default_config_static_selectorELNS0_4arch9wavefront6targetE1EEEvSY_
; %bb.0:
	.section	.rodata,"a",@progbits
	.p2align	6, 0x0
	.amdhsa_kernel _ZN7rocprim17ROCPRIM_400000_NS6detail17trampoline_kernelINS0_14default_configENS1_27lower_bound_config_selectorIjlEEZNS1_14transform_implILb0ES3_S5_N6thrust23THRUST_200600_302600_NS6detail15normal_iteratorINS8_7pointerIjNS8_11hip_rocprim5par_tENS8_11use_defaultESE_EEEENSA_INSB_IlSD_SE_SE_EEEEZNS1_13binary_searchIS3_S5_NSA_INS8_10device_ptrIjEEEESG_SI_NS1_21lower_bound_search_opENS9_16wrapped_functionINS8_6system6detail7generic6detail18binary_search_lessEbEEEE10hipError_tPvRmT1_T2_T3_mmT4_T5_P12ihipStream_tbEUlRKjE_EESV_SZ_S10_mS11_S14_bEUlT_E_NS1_11comp_targetILNS1_3genE0ELNS1_11target_archE4294967295ELNS1_3gpuE0ELNS1_3repE0EEENS1_30default_config_static_selectorELNS0_4arch9wavefront6targetE1EEEvSY_
		.amdhsa_group_segment_fixed_size 0
		.amdhsa_private_segment_fixed_size 0
		.amdhsa_kernarg_size 56
		.amdhsa_user_sgpr_count 6
		.amdhsa_user_sgpr_private_segment_buffer 1
		.amdhsa_user_sgpr_dispatch_ptr 0
		.amdhsa_user_sgpr_queue_ptr 0
		.amdhsa_user_sgpr_kernarg_segment_ptr 1
		.amdhsa_user_sgpr_dispatch_id 0
		.amdhsa_user_sgpr_flat_scratch_init 0
		.amdhsa_user_sgpr_private_segment_size 0
		.amdhsa_uses_dynamic_stack 0
		.amdhsa_system_sgpr_private_segment_wavefront_offset 0
		.amdhsa_system_sgpr_workgroup_id_x 1
		.amdhsa_system_sgpr_workgroup_id_y 0
		.amdhsa_system_sgpr_workgroup_id_z 0
		.amdhsa_system_sgpr_workgroup_info 0
		.amdhsa_system_vgpr_workitem_id 0
		.amdhsa_next_free_vgpr 1
		.amdhsa_next_free_sgpr 0
		.amdhsa_reserve_vcc 0
		.amdhsa_reserve_flat_scratch 0
		.amdhsa_float_round_mode_32 0
		.amdhsa_float_round_mode_16_64 0
		.amdhsa_float_denorm_mode_32 3
		.amdhsa_float_denorm_mode_16_64 3
		.amdhsa_dx10_clamp 1
		.amdhsa_ieee_mode 1
		.amdhsa_fp16_overflow 0
		.amdhsa_exception_fp_ieee_invalid_op 0
		.amdhsa_exception_fp_denorm_src 0
		.amdhsa_exception_fp_ieee_div_zero 0
		.amdhsa_exception_fp_ieee_overflow 0
		.amdhsa_exception_fp_ieee_underflow 0
		.amdhsa_exception_fp_ieee_inexact 0
		.amdhsa_exception_int_div_zero 0
	.end_amdhsa_kernel
	.section	.text._ZN7rocprim17ROCPRIM_400000_NS6detail17trampoline_kernelINS0_14default_configENS1_27lower_bound_config_selectorIjlEEZNS1_14transform_implILb0ES3_S5_N6thrust23THRUST_200600_302600_NS6detail15normal_iteratorINS8_7pointerIjNS8_11hip_rocprim5par_tENS8_11use_defaultESE_EEEENSA_INSB_IlSD_SE_SE_EEEEZNS1_13binary_searchIS3_S5_NSA_INS8_10device_ptrIjEEEESG_SI_NS1_21lower_bound_search_opENS9_16wrapped_functionINS8_6system6detail7generic6detail18binary_search_lessEbEEEE10hipError_tPvRmT1_T2_T3_mmT4_T5_P12ihipStream_tbEUlRKjE_EESV_SZ_S10_mS11_S14_bEUlT_E_NS1_11comp_targetILNS1_3genE0ELNS1_11target_archE4294967295ELNS1_3gpuE0ELNS1_3repE0EEENS1_30default_config_static_selectorELNS0_4arch9wavefront6targetE1EEEvSY_,"axG",@progbits,_ZN7rocprim17ROCPRIM_400000_NS6detail17trampoline_kernelINS0_14default_configENS1_27lower_bound_config_selectorIjlEEZNS1_14transform_implILb0ES3_S5_N6thrust23THRUST_200600_302600_NS6detail15normal_iteratorINS8_7pointerIjNS8_11hip_rocprim5par_tENS8_11use_defaultESE_EEEENSA_INSB_IlSD_SE_SE_EEEEZNS1_13binary_searchIS3_S5_NSA_INS8_10device_ptrIjEEEESG_SI_NS1_21lower_bound_search_opENS9_16wrapped_functionINS8_6system6detail7generic6detail18binary_search_lessEbEEEE10hipError_tPvRmT1_T2_T3_mmT4_T5_P12ihipStream_tbEUlRKjE_EESV_SZ_S10_mS11_S14_bEUlT_E_NS1_11comp_targetILNS1_3genE0ELNS1_11target_archE4294967295ELNS1_3gpuE0ELNS1_3repE0EEENS1_30default_config_static_selectorELNS0_4arch9wavefront6targetE1EEEvSY_,comdat
.Lfunc_end367:
	.size	_ZN7rocprim17ROCPRIM_400000_NS6detail17trampoline_kernelINS0_14default_configENS1_27lower_bound_config_selectorIjlEEZNS1_14transform_implILb0ES3_S5_N6thrust23THRUST_200600_302600_NS6detail15normal_iteratorINS8_7pointerIjNS8_11hip_rocprim5par_tENS8_11use_defaultESE_EEEENSA_INSB_IlSD_SE_SE_EEEEZNS1_13binary_searchIS3_S5_NSA_INS8_10device_ptrIjEEEESG_SI_NS1_21lower_bound_search_opENS9_16wrapped_functionINS8_6system6detail7generic6detail18binary_search_lessEbEEEE10hipError_tPvRmT1_T2_T3_mmT4_T5_P12ihipStream_tbEUlRKjE_EESV_SZ_S10_mS11_S14_bEUlT_E_NS1_11comp_targetILNS1_3genE0ELNS1_11target_archE4294967295ELNS1_3gpuE0ELNS1_3repE0EEENS1_30default_config_static_selectorELNS0_4arch9wavefront6targetE1EEEvSY_, .Lfunc_end367-_ZN7rocprim17ROCPRIM_400000_NS6detail17trampoline_kernelINS0_14default_configENS1_27lower_bound_config_selectorIjlEEZNS1_14transform_implILb0ES3_S5_N6thrust23THRUST_200600_302600_NS6detail15normal_iteratorINS8_7pointerIjNS8_11hip_rocprim5par_tENS8_11use_defaultESE_EEEENSA_INSB_IlSD_SE_SE_EEEEZNS1_13binary_searchIS3_S5_NSA_INS8_10device_ptrIjEEEESG_SI_NS1_21lower_bound_search_opENS9_16wrapped_functionINS8_6system6detail7generic6detail18binary_search_lessEbEEEE10hipError_tPvRmT1_T2_T3_mmT4_T5_P12ihipStream_tbEUlRKjE_EESV_SZ_S10_mS11_S14_bEUlT_E_NS1_11comp_targetILNS1_3genE0ELNS1_11target_archE4294967295ELNS1_3gpuE0ELNS1_3repE0EEENS1_30default_config_static_selectorELNS0_4arch9wavefront6targetE1EEEvSY_
                                        ; -- End function
	.set _ZN7rocprim17ROCPRIM_400000_NS6detail17trampoline_kernelINS0_14default_configENS1_27lower_bound_config_selectorIjlEEZNS1_14transform_implILb0ES3_S5_N6thrust23THRUST_200600_302600_NS6detail15normal_iteratorINS8_7pointerIjNS8_11hip_rocprim5par_tENS8_11use_defaultESE_EEEENSA_INSB_IlSD_SE_SE_EEEEZNS1_13binary_searchIS3_S5_NSA_INS8_10device_ptrIjEEEESG_SI_NS1_21lower_bound_search_opENS9_16wrapped_functionINS8_6system6detail7generic6detail18binary_search_lessEbEEEE10hipError_tPvRmT1_T2_T3_mmT4_T5_P12ihipStream_tbEUlRKjE_EESV_SZ_S10_mS11_S14_bEUlT_E_NS1_11comp_targetILNS1_3genE0ELNS1_11target_archE4294967295ELNS1_3gpuE0ELNS1_3repE0EEENS1_30default_config_static_selectorELNS0_4arch9wavefront6targetE1EEEvSY_.num_vgpr, 0
	.set _ZN7rocprim17ROCPRIM_400000_NS6detail17trampoline_kernelINS0_14default_configENS1_27lower_bound_config_selectorIjlEEZNS1_14transform_implILb0ES3_S5_N6thrust23THRUST_200600_302600_NS6detail15normal_iteratorINS8_7pointerIjNS8_11hip_rocprim5par_tENS8_11use_defaultESE_EEEENSA_INSB_IlSD_SE_SE_EEEEZNS1_13binary_searchIS3_S5_NSA_INS8_10device_ptrIjEEEESG_SI_NS1_21lower_bound_search_opENS9_16wrapped_functionINS8_6system6detail7generic6detail18binary_search_lessEbEEEE10hipError_tPvRmT1_T2_T3_mmT4_T5_P12ihipStream_tbEUlRKjE_EESV_SZ_S10_mS11_S14_bEUlT_E_NS1_11comp_targetILNS1_3genE0ELNS1_11target_archE4294967295ELNS1_3gpuE0ELNS1_3repE0EEENS1_30default_config_static_selectorELNS0_4arch9wavefront6targetE1EEEvSY_.num_agpr, 0
	.set _ZN7rocprim17ROCPRIM_400000_NS6detail17trampoline_kernelINS0_14default_configENS1_27lower_bound_config_selectorIjlEEZNS1_14transform_implILb0ES3_S5_N6thrust23THRUST_200600_302600_NS6detail15normal_iteratorINS8_7pointerIjNS8_11hip_rocprim5par_tENS8_11use_defaultESE_EEEENSA_INSB_IlSD_SE_SE_EEEEZNS1_13binary_searchIS3_S5_NSA_INS8_10device_ptrIjEEEESG_SI_NS1_21lower_bound_search_opENS9_16wrapped_functionINS8_6system6detail7generic6detail18binary_search_lessEbEEEE10hipError_tPvRmT1_T2_T3_mmT4_T5_P12ihipStream_tbEUlRKjE_EESV_SZ_S10_mS11_S14_bEUlT_E_NS1_11comp_targetILNS1_3genE0ELNS1_11target_archE4294967295ELNS1_3gpuE0ELNS1_3repE0EEENS1_30default_config_static_selectorELNS0_4arch9wavefront6targetE1EEEvSY_.numbered_sgpr, 0
	.set _ZN7rocprim17ROCPRIM_400000_NS6detail17trampoline_kernelINS0_14default_configENS1_27lower_bound_config_selectorIjlEEZNS1_14transform_implILb0ES3_S5_N6thrust23THRUST_200600_302600_NS6detail15normal_iteratorINS8_7pointerIjNS8_11hip_rocprim5par_tENS8_11use_defaultESE_EEEENSA_INSB_IlSD_SE_SE_EEEEZNS1_13binary_searchIS3_S5_NSA_INS8_10device_ptrIjEEEESG_SI_NS1_21lower_bound_search_opENS9_16wrapped_functionINS8_6system6detail7generic6detail18binary_search_lessEbEEEE10hipError_tPvRmT1_T2_T3_mmT4_T5_P12ihipStream_tbEUlRKjE_EESV_SZ_S10_mS11_S14_bEUlT_E_NS1_11comp_targetILNS1_3genE0ELNS1_11target_archE4294967295ELNS1_3gpuE0ELNS1_3repE0EEENS1_30default_config_static_selectorELNS0_4arch9wavefront6targetE1EEEvSY_.num_named_barrier, 0
	.set _ZN7rocprim17ROCPRIM_400000_NS6detail17trampoline_kernelINS0_14default_configENS1_27lower_bound_config_selectorIjlEEZNS1_14transform_implILb0ES3_S5_N6thrust23THRUST_200600_302600_NS6detail15normal_iteratorINS8_7pointerIjNS8_11hip_rocprim5par_tENS8_11use_defaultESE_EEEENSA_INSB_IlSD_SE_SE_EEEEZNS1_13binary_searchIS3_S5_NSA_INS8_10device_ptrIjEEEESG_SI_NS1_21lower_bound_search_opENS9_16wrapped_functionINS8_6system6detail7generic6detail18binary_search_lessEbEEEE10hipError_tPvRmT1_T2_T3_mmT4_T5_P12ihipStream_tbEUlRKjE_EESV_SZ_S10_mS11_S14_bEUlT_E_NS1_11comp_targetILNS1_3genE0ELNS1_11target_archE4294967295ELNS1_3gpuE0ELNS1_3repE0EEENS1_30default_config_static_selectorELNS0_4arch9wavefront6targetE1EEEvSY_.private_seg_size, 0
	.set _ZN7rocprim17ROCPRIM_400000_NS6detail17trampoline_kernelINS0_14default_configENS1_27lower_bound_config_selectorIjlEEZNS1_14transform_implILb0ES3_S5_N6thrust23THRUST_200600_302600_NS6detail15normal_iteratorINS8_7pointerIjNS8_11hip_rocprim5par_tENS8_11use_defaultESE_EEEENSA_INSB_IlSD_SE_SE_EEEEZNS1_13binary_searchIS3_S5_NSA_INS8_10device_ptrIjEEEESG_SI_NS1_21lower_bound_search_opENS9_16wrapped_functionINS8_6system6detail7generic6detail18binary_search_lessEbEEEE10hipError_tPvRmT1_T2_T3_mmT4_T5_P12ihipStream_tbEUlRKjE_EESV_SZ_S10_mS11_S14_bEUlT_E_NS1_11comp_targetILNS1_3genE0ELNS1_11target_archE4294967295ELNS1_3gpuE0ELNS1_3repE0EEENS1_30default_config_static_selectorELNS0_4arch9wavefront6targetE1EEEvSY_.uses_vcc, 0
	.set _ZN7rocprim17ROCPRIM_400000_NS6detail17trampoline_kernelINS0_14default_configENS1_27lower_bound_config_selectorIjlEEZNS1_14transform_implILb0ES3_S5_N6thrust23THRUST_200600_302600_NS6detail15normal_iteratorINS8_7pointerIjNS8_11hip_rocprim5par_tENS8_11use_defaultESE_EEEENSA_INSB_IlSD_SE_SE_EEEEZNS1_13binary_searchIS3_S5_NSA_INS8_10device_ptrIjEEEESG_SI_NS1_21lower_bound_search_opENS9_16wrapped_functionINS8_6system6detail7generic6detail18binary_search_lessEbEEEE10hipError_tPvRmT1_T2_T3_mmT4_T5_P12ihipStream_tbEUlRKjE_EESV_SZ_S10_mS11_S14_bEUlT_E_NS1_11comp_targetILNS1_3genE0ELNS1_11target_archE4294967295ELNS1_3gpuE0ELNS1_3repE0EEENS1_30default_config_static_selectorELNS0_4arch9wavefront6targetE1EEEvSY_.uses_flat_scratch, 0
	.set _ZN7rocprim17ROCPRIM_400000_NS6detail17trampoline_kernelINS0_14default_configENS1_27lower_bound_config_selectorIjlEEZNS1_14transform_implILb0ES3_S5_N6thrust23THRUST_200600_302600_NS6detail15normal_iteratorINS8_7pointerIjNS8_11hip_rocprim5par_tENS8_11use_defaultESE_EEEENSA_INSB_IlSD_SE_SE_EEEEZNS1_13binary_searchIS3_S5_NSA_INS8_10device_ptrIjEEEESG_SI_NS1_21lower_bound_search_opENS9_16wrapped_functionINS8_6system6detail7generic6detail18binary_search_lessEbEEEE10hipError_tPvRmT1_T2_T3_mmT4_T5_P12ihipStream_tbEUlRKjE_EESV_SZ_S10_mS11_S14_bEUlT_E_NS1_11comp_targetILNS1_3genE0ELNS1_11target_archE4294967295ELNS1_3gpuE0ELNS1_3repE0EEENS1_30default_config_static_selectorELNS0_4arch9wavefront6targetE1EEEvSY_.has_dyn_sized_stack, 0
	.set _ZN7rocprim17ROCPRIM_400000_NS6detail17trampoline_kernelINS0_14default_configENS1_27lower_bound_config_selectorIjlEEZNS1_14transform_implILb0ES3_S5_N6thrust23THRUST_200600_302600_NS6detail15normal_iteratorINS8_7pointerIjNS8_11hip_rocprim5par_tENS8_11use_defaultESE_EEEENSA_INSB_IlSD_SE_SE_EEEEZNS1_13binary_searchIS3_S5_NSA_INS8_10device_ptrIjEEEESG_SI_NS1_21lower_bound_search_opENS9_16wrapped_functionINS8_6system6detail7generic6detail18binary_search_lessEbEEEE10hipError_tPvRmT1_T2_T3_mmT4_T5_P12ihipStream_tbEUlRKjE_EESV_SZ_S10_mS11_S14_bEUlT_E_NS1_11comp_targetILNS1_3genE0ELNS1_11target_archE4294967295ELNS1_3gpuE0ELNS1_3repE0EEENS1_30default_config_static_selectorELNS0_4arch9wavefront6targetE1EEEvSY_.has_recursion, 0
	.set _ZN7rocprim17ROCPRIM_400000_NS6detail17trampoline_kernelINS0_14default_configENS1_27lower_bound_config_selectorIjlEEZNS1_14transform_implILb0ES3_S5_N6thrust23THRUST_200600_302600_NS6detail15normal_iteratorINS8_7pointerIjNS8_11hip_rocprim5par_tENS8_11use_defaultESE_EEEENSA_INSB_IlSD_SE_SE_EEEEZNS1_13binary_searchIS3_S5_NSA_INS8_10device_ptrIjEEEESG_SI_NS1_21lower_bound_search_opENS9_16wrapped_functionINS8_6system6detail7generic6detail18binary_search_lessEbEEEE10hipError_tPvRmT1_T2_T3_mmT4_T5_P12ihipStream_tbEUlRKjE_EESV_SZ_S10_mS11_S14_bEUlT_E_NS1_11comp_targetILNS1_3genE0ELNS1_11target_archE4294967295ELNS1_3gpuE0ELNS1_3repE0EEENS1_30default_config_static_selectorELNS0_4arch9wavefront6targetE1EEEvSY_.has_indirect_call, 0
	.section	.AMDGPU.csdata,"",@progbits
; Kernel info:
; codeLenInByte = 0
; TotalNumSgprs: 4
; NumVgprs: 0
; ScratchSize: 0
; MemoryBound: 0
; FloatMode: 240
; IeeeMode: 1
; LDSByteSize: 0 bytes/workgroup (compile time only)
; SGPRBlocks: 0
; VGPRBlocks: 0
; NumSGPRsForWavesPerEU: 4
; NumVGPRsForWavesPerEU: 1
; Occupancy: 10
; WaveLimiterHint : 0
; COMPUTE_PGM_RSRC2:SCRATCH_EN: 0
; COMPUTE_PGM_RSRC2:USER_SGPR: 6
; COMPUTE_PGM_RSRC2:TRAP_HANDLER: 0
; COMPUTE_PGM_RSRC2:TGID_X_EN: 1
; COMPUTE_PGM_RSRC2:TGID_Y_EN: 0
; COMPUTE_PGM_RSRC2:TGID_Z_EN: 0
; COMPUTE_PGM_RSRC2:TIDIG_COMP_CNT: 0
	.section	.text._ZN7rocprim17ROCPRIM_400000_NS6detail17trampoline_kernelINS0_14default_configENS1_27lower_bound_config_selectorIjlEEZNS1_14transform_implILb0ES3_S5_N6thrust23THRUST_200600_302600_NS6detail15normal_iteratorINS8_7pointerIjNS8_11hip_rocprim5par_tENS8_11use_defaultESE_EEEENSA_INSB_IlSD_SE_SE_EEEEZNS1_13binary_searchIS3_S5_NSA_INS8_10device_ptrIjEEEESG_SI_NS1_21lower_bound_search_opENS9_16wrapped_functionINS8_6system6detail7generic6detail18binary_search_lessEbEEEE10hipError_tPvRmT1_T2_T3_mmT4_T5_P12ihipStream_tbEUlRKjE_EESV_SZ_S10_mS11_S14_bEUlT_E_NS1_11comp_targetILNS1_3genE5ELNS1_11target_archE942ELNS1_3gpuE9ELNS1_3repE0EEENS1_30default_config_static_selectorELNS0_4arch9wavefront6targetE1EEEvSY_,"axG",@progbits,_ZN7rocprim17ROCPRIM_400000_NS6detail17trampoline_kernelINS0_14default_configENS1_27lower_bound_config_selectorIjlEEZNS1_14transform_implILb0ES3_S5_N6thrust23THRUST_200600_302600_NS6detail15normal_iteratorINS8_7pointerIjNS8_11hip_rocprim5par_tENS8_11use_defaultESE_EEEENSA_INSB_IlSD_SE_SE_EEEEZNS1_13binary_searchIS3_S5_NSA_INS8_10device_ptrIjEEEESG_SI_NS1_21lower_bound_search_opENS9_16wrapped_functionINS8_6system6detail7generic6detail18binary_search_lessEbEEEE10hipError_tPvRmT1_T2_T3_mmT4_T5_P12ihipStream_tbEUlRKjE_EESV_SZ_S10_mS11_S14_bEUlT_E_NS1_11comp_targetILNS1_3genE5ELNS1_11target_archE942ELNS1_3gpuE9ELNS1_3repE0EEENS1_30default_config_static_selectorELNS0_4arch9wavefront6targetE1EEEvSY_,comdat
	.protected	_ZN7rocprim17ROCPRIM_400000_NS6detail17trampoline_kernelINS0_14default_configENS1_27lower_bound_config_selectorIjlEEZNS1_14transform_implILb0ES3_S5_N6thrust23THRUST_200600_302600_NS6detail15normal_iteratorINS8_7pointerIjNS8_11hip_rocprim5par_tENS8_11use_defaultESE_EEEENSA_INSB_IlSD_SE_SE_EEEEZNS1_13binary_searchIS3_S5_NSA_INS8_10device_ptrIjEEEESG_SI_NS1_21lower_bound_search_opENS9_16wrapped_functionINS8_6system6detail7generic6detail18binary_search_lessEbEEEE10hipError_tPvRmT1_T2_T3_mmT4_T5_P12ihipStream_tbEUlRKjE_EESV_SZ_S10_mS11_S14_bEUlT_E_NS1_11comp_targetILNS1_3genE5ELNS1_11target_archE942ELNS1_3gpuE9ELNS1_3repE0EEENS1_30default_config_static_selectorELNS0_4arch9wavefront6targetE1EEEvSY_ ; -- Begin function _ZN7rocprim17ROCPRIM_400000_NS6detail17trampoline_kernelINS0_14default_configENS1_27lower_bound_config_selectorIjlEEZNS1_14transform_implILb0ES3_S5_N6thrust23THRUST_200600_302600_NS6detail15normal_iteratorINS8_7pointerIjNS8_11hip_rocprim5par_tENS8_11use_defaultESE_EEEENSA_INSB_IlSD_SE_SE_EEEEZNS1_13binary_searchIS3_S5_NSA_INS8_10device_ptrIjEEEESG_SI_NS1_21lower_bound_search_opENS9_16wrapped_functionINS8_6system6detail7generic6detail18binary_search_lessEbEEEE10hipError_tPvRmT1_T2_T3_mmT4_T5_P12ihipStream_tbEUlRKjE_EESV_SZ_S10_mS11_S14_bEUlT_E_NS1_11comp_targetILNS1_3genE5ELNS1_11target_archE942ELNS1_3gpuE9ELNS1_3repE0EEENS1_30default_config_static_selectorELNS0_4arch9wavefront6targetE1EEEvSY_
	.globl	_ZN7rocprim17ROCPRIM_400000_NS6detail17trampoline_kernelINS0_14default_configENS1_27lower_bound_config_selectorIjlEEZNS1_14transform_implILb0ES3_S5_N6thrust23THRUST_200600_302600_NS6detail15normal_iteratorINS8_7pointerIjNS8_11hip_rocprim5par_tENS8_11use_defaultESE_EEEENSA_INSB_IlSD_SE_SE_EEEEZNS1_13binary_searchIS3_S5_NSA_INS8_10device_ptrIjEEEESG_SI_NS1_21lower_bound_search_opENS9_16wrapped_functionINS8_6system6detail7generic6detail18binary_search_lessEbEEEE10hipError_tPvRmT1_T2_T3_mmT4_T5_P12ihipStream_tbEUlRKjE_EESV_SZ_S10_mS11_S14_bEUlT_E_NS1_11comp_targetILNS1_3genE5ELNS1_11target_archE942ELNS1_3gpuE9ELNS1_3repE0EEENS1_30default_config_static_selectorELNS0_4arch9wavefront6targetE1EEEvSY_
	.p2align	8
	.type	_ZN7rocprim17ROCPRIM_400000_NS6detail17trampoline_kernelINS0_14default_configENS1_27lower_bound_config_selectorIjlEEZNS1_14transform_implILb0ES3_S5_N6thrust23THRUST_200600_302600_NS6detail15normal_iteratorINS8_7pointerIjNS8_11hip_rocprim5par_tENS8_11use_defaultESE_EEEENSA_INSB_IlSD_SE_SE_EEEEZNS1_13binary_searchIS3_S5_NSA_INS8_10device_ptrIjEEEESG_SI_NS1_21lower_bound_search_opENS9_16wrapped_functionINS8_6system6detail7generic6detail18binary_search_lessEbEEEE10hipError_tPvRmT1_T2_T3_mmT4_T5_P12ihipStream_tbEUlRKjE_EESV_SZ_S10_mS11_S14_bEUlT_E_NS1_11comp_targetILNS1_3genE5ELNS1_11target_archE942ELNS1_3gpuE9ELNS1_3repE0EEENS1_30default_config_static_selectorELNS0_4arch9wavefront6targetE1EEEvSY_,@function
_ZN7rocprim17ROCPRIM_400000_NS6detail17trampoline_kernelINS0_14default_configENS1_27lower_bound_config_selectorIjlEEZNS1_14transform_implILb0ES3_S5_N6thrust23THRUST_200600_302600_NS6detail15normal_iteratorINS8_7pointerIjNS8_11hip_rocprim5par_tENS8_11use_defaultESE_EEEENSA_INSB_IlSD_SE_SE_EEEEZNS1_13binary_searchIS3_S5_NSA_INS8_10device_ptrIjEEEESG_SI_NS1_21lower_bound_search_opENS9_16wrapped_functionINS8_6system6detail7generic6detail18binary_search_lessEbEEEE10hipError_tPvRmT1_T2_T3_mmT4_T5_P12ihipStream_tbEUlRKjE_EESV_SZ_S10_mS11_S14_bEUlT_E_NS1_11comp_targetILNS1_3genE5ELNS1_11target_archE942ELNS1_3gpuE9ELNS1_3repE0EEENS1_30default_config_static_selectorELNS0_4arch9wavefront6targetE1EEEvSY_: ; @_ZN7rocprim17ROCPRIM_400000_NS6detail17trampoline_kernelINS0_14default_configENS1_27lower_bound_config_selectorIjlEEZNS1_14transform_implILb0ES3_S5_N6thrust23THRUST_200600_302600_NS6detail15normal_iteratorINS8_7pointerIjNS8_11hip_rocprim5par_tENS8_11use_defaultESE_EEEENSA_INSB_IlSD_SE_SE_EEEEZNS1_13binary_searchIS3_S5_NSA_INS8_10device_ptrIjEEEESG_SI_NS1_21lower_bound_search_opENS9_16wrapped_functionINS8_6system6detail7generic6detail18binary_search_lessEbEEEE10hipError_tPvRmT1_T2_T3_mmT4_T5_P12ihipStream_tbEUlRKjE_EESV_SZ_S10_mS11_S14_bEUlT_E_NS1_11comp_targetILNS1_3genE5ELNS1_11target_archE942ELNS1_3gpuE9ELNS1_3repE0EEENS1_30default_config_static_selectorELNS0_4arch9wavefront6targetE1EEEvSY_
; %bb.0:
	.section	.rodata,"a",@progbits
	.p2align	6, 0x0
	.amdhsa_kernel _ZN7rocprim17ROCPRIM_400000_NS6detail17trampoline_kernelINS0_14default_configENS1_27lower_bound_config_selectorIjlEEZNS1_14transform_implILb0ES3_S5_N6thrust23THRUST_200600_302600_NS6detail15normal_iteratorINS8_7pointerIjNS8_11hip_rocprim5par_tENS8_11use_defaultESE_EEEENSA_INSB_IlSD_SE_SE_EEEEZNS1_13binary_searchIS3_S5_NSA_INS8_10device_ptrIjEEEESG_SI_NS1_21lower_bound_search_opENS9_16wrapped_functionINS8_6system6detail7generic6detail18binary_search_lessEbEEEE10hipError_tPvRmT1_T2_T3_mmT4_T5_P12ihipStream_tbEUlRKjE_EESV_SZ_S10_mS11_S14_bEUlT_E_NS1_11comp_targetILNS1_3genE5ELNS1_11target_archE942ELNS1_3gpuE9ELNS1_3repE0EEENS1_30default_config_static_selectorELNS0_4arch9wavefront6targetE1EEEvSY_
		.amdhsa_group_segment_fixed_size 0
		.amdhsa_private_segment_fixed_size 0
		.amdhsa_kernarg_size 56
		.amdhsa_user_sgpr_count 6
		.amdhsa_user_sgpr_private_segment_buffer 1
		.amdhsa_user_sgpr_dispatch_ptr 0
		.amdhsa_user_sgpr_queue_ptr 0
		.amdhsa_user_sgpr_kernarg_segment_ptr 1
		.amdhsa_user_sgpr_dispatch_id 0
		.amdhsa_user_sgpr_flat_scratch_init 0
		.amdhsa_user_sgpr_private_segment_size 0
		.amdhsa_uses_dynamic_stack 0
		.amdhsa_system_sgpr_private_segment_wavefront_offset 0
		.amdhsa_system_sgpr_workgroup_id_x 1
		.amdhsa_system_sgpr_workgroup_id_y 0
		.amdhsa_system_sgpr_workgroup_id_z 0
		.amdhsa_system_sgpr_workgroup_info 0
		.amdhsa_system_vgpr_workitem_id 0
		.amdhsa_next_free_vgpr 1
		.amdhsa_next_free_sgpr 0
		.amdhsa_reserve_vcc 0
		.amdhsa_reserve_flat_scratch 0
		.amdhsa_float_round_mode_32 0
		.amdhsa_float_round_mode_16_64 0
		.amdhsa_float_denorm_mode_32 3
		.amdhsa_float_denorm_mode_16_64 3
		.amdhsa_dx10_clamp 1
		.amdhsa_ieee_mode 1
		.amdhsa_fp16_overflow 0
		.amdhsa_exception_fp_ieee_invalid_op 0
		.amdhsa_exception_fp_denorm_src 0
		.amdhsa_exception_fp_ieee_div_zero 0
		.amdhsa_exception_fp_ieee_overflow 0
		.amdhsa_exception_fp_ieee_underflow 0
		.amdhsa_exception_fp_ieee_inexact 0
		.amdhsa_exception_int_div_zero 0
	.end_amdhsa_kernel
	.section	.text._ZN7rocprim17ROCPRIM_400000_NS6detail17trampoline_kernelINS0_14default_configENS1_27lower_bound_config_selectorIjlEEZNS1_14transform_implILb0ES3_S5_N6thrust23THRUST_200600_302600_NS6detail15normal_iteratorINS8_7pointerIjNS8_11hip_rocprim5par_tENS8_11use_defaultESE_EEEENSA_INSB_IlSD_SE_SE_EEEEZNS1_13binary_searchIS3_S5_NSA_INS8_10device_ptrIjEEEESG_SI_NS1_21lower_bound_search_opENS9_16wrapped_functionINS8_6system6detail7generic6detail18binary_search_lessEbEEEE10hipError_tPvRmT1_T2_T3_mmT4_T5_P12ihipStream_tbEUlRKjE_EESV_SZ_S10_mS11_S14_bEUlT_E_NS1_11comp_targetILNS1_3genE5ELNS1_11target_archE942ELNS1_3gpuE9ELNS1_3repE0EEENS1_30default_config_static_selectorELNS0_4arch9wavefront6targetE1EEEvSY_,"axG",@progbits,_ZN7rocprim17ROCPRIM_400000_NS6detail17trampoline_kernelINS0_14default_configENS1_27lower_bound_config_selectorIjlEEZNS1_14transform_implILb0ES3_S5_N6thrust23THRUST_200600_302600_NS6detail15normal_iteratorINS8_7pointerIjNS8_11hip_rocprim5par_tENS8_11use_defaultESE_EEEENSA_INSB_IlSD_SE_SE_EEEEZNS1_13binary_searchIS3_S5_NSA_INS8_10device_ptrIjEEEESG_SI_NS1_21lower_bound_search_opENS9_16wrapped_functionINS8_6system6detail7generic6detail18binary_search_lessEbEEEE10hipError_tPvRmT1_T2_T3_mmT4_T5_P12ihipStream_tbEUlRKjE_EESV_SZ_S10_mS11_S14_bEUlT_E_NS1_11comp_targetILNS1_3genE5ELNS1_11target_archE942ELNS1_3gpuE9ELNS1_3repE0EEENS1_30default_config_static_selectorELNS0_4arch9wavefront6targetE1EEEvSY_,comdat
.Lfunc_end368:
	.size	_ZN7rocprim17ROCPRIM_400000_NS6detail17trampoline_kernelINS0_14default_configENS1_27lower_bound_config_selectorIjlEEZNS1_14transform_implILb0ES3_S5_N6thrust23THRUST_200600_302600_NS6detail15normal_iteratorINS8_7pointerIjNS8_11hip_rocprim5par_tENS8_11use_defaultESE_EEEENSA_INSB_IlSD_SE_SE_EEEEZNS1_13binary_searchIS3_S5_NSA_INS8_10device_ptrIjEEEESG_SI_NS1_21lower_bound_search_opENS9_16wrapped_functionINS8_6system6detail7generic6detail18binary_search_lessEbEEEE10hipError_tPvRmT1_T2_T3_mmT4_T5_P12ihipStream_tbEUlRKjE_EESV_SZ_S10_mS11_S14_bEUlT_E_NS1_11comp_targetILNS1_3genE5ELNS1_11target_archE942ELNS1_3gpuE9ELNS1_3repE0EEENS1_30default_config_static_selectorELNS0_4arch9wavefront6targetE1EEEvSY_, .Lfunc_end368-_ZN7rocprim17ROCPRIM_400000_NS6detail17trampoline_kernelINS0_14default_configENS1_27lower_bound_config_selectorIjlEEZNS1_14transform_implILb0ES3_S5_N6thrust23THRUST_200600_302600_NS6detail15normal_iteratorINS8_7pointerIjNS8_11hip_rocprim5par_tENS8_11use_defaultESE_EEEENSA_INSB_IlSD_SE_SE_EEEEZNS1_13binary_searchIS3_S5_NSA_INS8_10device_ptrIjEEEESG_SI_NS1_21lower_bound_search_opENS9_16wrapped_functionINS8_6system6detail7generic6detail18binary_search_lessEbEEEE10hipError_tPvRmT1_T2_T3_mmT4_T5_P12ihipStream_tbEUlRKjE_EESV_SZ_S10_mS11_S14_bEUlT_E_NS1_11comp_targetILNS1_3genE5ELNS1_11target_archE942ELNS1_3gpuE9ELNS1_3repE0EEENS1_30default_config_static_selectorELNS0_4arch9wavefront6targetE1EEEvSY_
                                        ; -- End function
	.set _ZN7rocprim17ROCPRIM_400000_NS6detail17trampoline_kernelINS0_14default_configENS1_27lower_bound_config_selectorIjlEEZNS1_14transform_implILb0ES3_S5_N6thrust23THRUST_200600_302600_NS6detail15normal_iteratorINS8_7pointerIjNS8_11hip_rocprim5par_tENS8_11use_defaultESE_EEEENSA_INSB_IlSD_SE_SE_EEEEZNS1_13binary_searchIS3_S5_NSA_INS8_10device_ptrIjEEEESG_SI_NS1_21lower_bound_search_opENS9_16wrapped_functionINS8_6system6detail7generic6detail18binary_search_lessEbEEEE10hipError_tPvRmT1_T2_T3_mmT4_T5_P12ihipStream_tbEUlRKjE_EESV_SZ_S10_mS11_S14_bEUlT_E_NS1_11comp_targetILNS1_3genE5ELNS1_11target_archE942ELNS1_3gpuE9ELNS1_3repE0EEENS1_30default_config_static_selectorELNS0_4arch9wavefront6targetE1EEEvSY_.num_vgpr, 0
	.set _ZN7rocprim17ROCPRIM_400000_NS6detail17trampoline_kernelINS0_14default_configENS1_27lower_bound_config_selectorIjlEEZNS1_14transform_implILb0ES3_S5_N6thrust23THRUST_200600_302600_NS6detail15normal_iteratorINS8_7pointerIjNS8_11hip_rocprim5par_tENS8_11use_defaultESE_EEEENSA_INSB_IlSD_SE_SE_EEEEZNS1_13binary_searchIS3_S5_NSA_INS8_10device_ptrIjEEEESG_SI_NS1_21lower_bound_search_opENS9_16wrapped_functionINS8_6system6detail7generic6detail18binary_search_lessEbEEEE10hipError_tPvRmT1_T2_T3_mmT4_T5_P12ihipStream_tbEUlRKjE_EESV_SZ_S10_mS11_S14_bEUlT_E_NS1_11comp_targetILNS1_3genE5ELNS1_11target_archE942ELNS1_3gpuE9ELNS1_3repE0EEENS1_30default_config_static_selectorELNS0_4arch9wavefront6targetE1EEEvSY_.num_agpr, 0
	.set _ZN7rocprim17ROCPRIM_400000_NS6detail17trampoline_kernelINS0_14default_configENS1_27lower_bound_config_selectorIjlEEZNS1_14transform_implILb0ES3_S5_N6thrust23THRUST_200600_302600_NS6detail15normal_iteratorINS8_7pointerIjNS8_11hip_rocprim5par_tENS8_11use_defaultESE_EEEENSA_INSB_IlSD_SE_SE_EEEEZNS1_13binary_searchIS3_S5_NSA_INS8_10device_ptrIjEEEESG_SI_NS1_21lower_bound_search_opENS9_16wrapped_functionINS8_6system6detail7generic6detail18binary_search_lessEbEEEE10hipError_tPvRmT1_T2_T3_mmT4_T5_P12ihipStream_tbEUlRKjE_EESV_SZ_S10_mS11_S14_bEUlT_E_NS1_11comp_targetILNS1_3genE5ELNS1_11target_archE942ELNS1_3gpuE9ELNS1_3repE0EEENS1_30default_config_static_selectorELNS0_4arch9wavefront6targetE1EEEvSY_.numbered_sgpr, 0
	.set _ZN7rocprim17ROCPRIM_400000_NS6detail17trampoline_kernelINS0_14default_configENS1_27lower_bound_config_selectorIjlEEZNS1_14transform_implILb0ES3_S5_N6thrust23THRUST_200600_302600_NS6detail15normal_iteratorINS8_7pointerIjNS8_11hip_rocprim5par_tENS8_11use_defaultESE_EEEENSA_INSB_IlSD_SE_SE_EEEEZNS1_13binary_searchIS3_S5_NSA_INS8_10device_ptrIjEEEESG_SI_NS1_21lower_bound_search_opENS9_16wrapped_functionINS8_6system6detail7generic6detail18binary_search_lessEbEEEE10hipError_tPvRmT1_T2_T3_mmT4_T5_P12ihipStream_tbEUlRKjE_EESV_SZ_S10_mS11_S14_bEUlT_E_NS1_11comp_targetILNS1_3genE5ELNS1_11target_archE942ELNS1_3gpuE9ELNS1_3repE0EEENS1_30default_config_static_selectorELNS0_4arch9wavefront6targetE1EEEvSY_.num_named_barrier, 0
	.set _ZN7rocprim17ROCPRIM_400000_NS6detail17trampoline_kernelINS0_14default_configENS1_27lower_bound_config_selectorIjlEEZNS1_14transform_implILb0ES3_S5_N6thrust23THRUST_200600_302600_NS6detail15normal_iteratorINS8_7pointerIjNS8_11hip_rocprim5par_tENS8_11use_defaultESE_EEEENSA_INSB_IlSD_SE_SE_EEEEZNS1_13binary_searchIS3_S5_NSA_INS8_10device_ptrIjEEEESG_SI_NS1_21lower_bound_search_opENS9_16wrapped_functionINS8_6system6detail7generic6detail18binary_search_lessEbEEEE10hipError_tPvRmT1_T2_T3_mmT4_T5_P12ihipStream_tbEUlRKjE_EESV_SZ_S10_mS11_S14_bEUlT_E_NS1_11comp_targetILNS1_3genE5ELNS1_11target_archE942ELNS1_3gpuE9ELNS1_3repE0EEENS1_30default_config_static_selectorELNS0_4arch9wavefront6targetE1EEEvSY_.private_seg_size, 0
	.set _ZN7rocprim17ROCPRIM_400000_NS6detail17trampoline_kernelINS0_14default_configENS1_27lower_bound_config_selectorIjlEEZNS1_14transform_implILb0ES3_S5_N6thrust23THRUST_200600_302600_NS6detail15normal_iteratorINS8_7pointerIjNS8_11hip_rocprim5par_tENS8_11use_defaultESE_EEEENSA_INSB_IlSD_SE_SE_EEEEZNS1_13binary_searchIS3_S5_NSA_INS8_10device_ptrIjEEEESG_SI_NS1_21lower_bound_search_opENS9_16wrapped_functionINS8_6system6detail7generic6detail18binary_search_lessEbEEEE10hipError_tPvRmT1_T2_T3_mmT4_T5_P12ihipStream_tbEUlRKjE_EESV_SZ_S10_mS11_S14_bEUlT_E_NS1_11comp_targetILNS1_3genE5ELNS1_11target_archE942ELNS1_3gpuE9ELNS1_3repE0EEENS1_30default_config_static_selectorELNS0_4arch9wavefront6targetE1EEEvSY_.uses_vcc, 0
	.set _ZN7rocprim17ROCPRIM_400000_NS6detail17trampoline_kernelINS0_14default_configENS1_27lower_bound_config_selectorIjlEEZNS1_14transform_implILb0ES3_S5_N6thrust23THRUST_200600_302600_NS6detail15normal_iteratorINS8_7pointerIjNS8_11hip_rocprim5par_tENS8_11use_defaultESE_EEEENSA_INSB_IlSD_SE_SE_EEEEZNS1_13binary_searchIS3_S5_NSA_INS8_10device_ptrIjEEEESG_SI_NS1_21lower_bound_search_opENS9_16wrapped_functionINS8_6system6detail7generic6detail18binary_search_lessEbEEEE10hipError_tPvRmT1_T2_T3_mmT4_T5_P12ihipStream_tbEUlRKjE_EESV_SZ_S10_mS11_S14_bEUlT_E_NS1_11comp_targetILNS1_3genE5ELNS1_11target_archE942ELNS1_3gpuE9ELNS1_3repE0EEENS1_30default_config_static_selectorELNS0_4arch9wavefront6targetE1EEEvSY_.uses_flat_scratch, 0
	.set _ZN7rocprim17ROCPRIM_400000_NS6detail17trampoline_kernelINS0_14default_configENS1_27lower_bound_config_selectorIjlEEZNS1_14transform_implILb0ES3_S5_N6thrust23THRUST_200600_302600_NS6detail15normal_iteratorINS8_7pointerIjNS8_11hip_rocprim5par_tENS8_11use_defaultESE_EEEENSA_INSB_IlSD_SE_SE_EEEEZNS1_13binary_searchIS3_S5_NSA_INS8_10device_ptrIjEEEESG_SI_NS1_21lower_bound_search_opENS9_16wrapped_functionINS8_6system6detail7generic6detail18binary_search_lessEbEEEE10hipError_tPvRmT1_T2_T3_mmT4_T5_P12ihipStream_tbEUlRKjE_EESV_SZ_S10_mS11_S14_bEUlT_E_NS1_11comp_targetILNS1_3genE5ELNS1_11target_archE942ELNS1_3gpuE9ELNS1_3repE0EEENS1_30default_config_static_selectorELNS0_4arch9wavefront6targetE1EEEvSY_.has_dyn_sized_stack, 0
	.set _ZN7rocprim17ROCPRIM_400000_NS6detail17trampoline_kernelINS0_14default_configENS1_27lower_bound_config_selectorIjlEEZNS1_14transform_implILb0ES3_S5_N6thrust23THRUST_200600_302600_NS6detail15normal_iteratorINS8_7pointerIjNS8_11hip_rocprim5par_tENS8_11use_defaultESE_EEEENSA_INSB_IlSD_SE_SE_EEEEZNS1_13binary_searchIS3_S5_NSA_INS8_10device_ptrIjEEEESG_SI_NS1_21lower_bound_search_opENS9_16wrapped_functionINS8_6system6detail7generic6detail18binary_search_lessEbEEEE10hipError_tPvRmT1_T2_T3_mmT4_T5_P12ihipStream_tbEUlRKjE_EESV_SZ_S10_mS11_S14_bEUlT_E_NS1_11comp_targetILNS1_3genE5ELNS1_11target_archE942ELNS1_3gpuE9ELNS1_3repE0EEENS1_30default_config_static_selectorELNS0_4arch9wavefront6targetE1EEEvSY_.has_recursion, 0
	.set _ZN7rocprim17ROCPRIM_400000_NS6detail17trampoline_kernelINS0_14default_configENS1_27lower_bound_config_selectorIjlEEZNS1_14transform_implILb0ES3_S5_N6thrust23THRUST_200600_302600_NS6detail15normal_iteratorINS8_7pointerIjNS8_11hip_rocprim5par_tENS8_11use_defaultESE_EEEENSA_INSB_IlSD_SE_SE_EEEEZNS1_13binary_searchIS3_S5_NSA_INS8_10device_ptrIjEEEESG_SI_NS1_21lower_bound_search_opENS9_16wrapped_functionINS8_6system6detail7generic6detail18binary_search_lessEbEEEE10hipError_tPvRmT1_T2_T3_mmT4_T5_P12ihipStream_tbEUlRKjE_EESV_SZ_S10_mS11_S14_bEUlT_E_NS1_11comp_targetILNS1_3genE5ELNS1_11target_archE942ELNS1_3gpuE9ELNS1_3repE0EEENS1_30default_config_static_selectorELNS0_4arch9wavefront6targetE1EEEvSY_.has_indirect_call, 0
	.section	.AMDGPU.csdata,"",@progbits
; Kernel info:
; codeLenInByte = 0
; TotalNumSgprs: 4
; NumVgprs: 0
; ScratchSize: 0
; MemoryBound: 0
; FloatMode: 240
; IeeeMode: 1
; LDSByteSize: 0 bytes/workgroup (compile time only)
; SGPRBlocks: 0
; VGPRBlocks: 0
; NumSGPRsForWavesPerEU: 4
; NumVGPRsForWavesPerEU: 1
; Occupancy: 10
; WaveLimiterHint : 0
; COMPUTE_PGM_RSRC2:SCRATCH_EN: 0
; COMPUTE_PGM_RSRC2:USER_SGPR: 6
; COMPUTE_PGM_RSRC2:TRAP_HANDLER: 0
; COMPUTE_PGM_RSRC2:TGID_X_EN: 1
; COMPUTE_PGM_RSRC2:TGID_Y_EN: 0
; COMPUTE_PGM_RSRC2:TGID_Z_EN: 0
; COMPUTE_PGM_RSRC2:TIDIG_COMP_CNT: 0
	.section	.text._ZN7rocprim17ROCPRIM_400000_NS6detail17trampoline_kernelINS0_14default_configENS1_27lower_bound_config_selectorIjlEEZNS1_14transform_implILb0ES3_S5_N6thrust23THRUST_200600_302600_NS6detail15normal_iteratorINS8_7pointerIjNS8_11hip_rocprim5par_tENS8_11use_defaultESE_EEEENSA_INSB_IlSD_SE_SE_EEEEZNS1_13binary_searchIS3_S5_NSA_INS8_10device_ptrIjEEEESG_SI_NS1_21lower_bound_search_opENS9_16wrapped_functionINS8_6system6detail7generic6detail18binary_search_lessEbEEEE10hipError_tPvRmT1_T2_T3_mmT4_T5_P12ihipStream_tbEUlRKjE_EESV_SZ_S10_mS11_S14_bEUlT_E_NS1_11comp_targetILNS1_3genE4ELNS1_11target_archE910ELNS1_3gpuE8ELNS1_3repE0EEENS1_30default_config_static_selectorELNS0_4arch9wavefront6targetE1EEEvSY_,"axG",@progbits,_ZN7rocprim17ROCPRIM_400000_NS6detail17trampoline_kernelINS0_14default_configENS1_27lower_bound_config_selectorIjlEEZNS1_14transform_implILb0ES3_S5_N6thrust23THRUST_200600_302600_NS6detail15normal_iteratorINS8_7pointerIjNS8_11hip_rocprim5par_tENS8_11use_defaultESE_EEEENSA_INSB_IlSD_SE_SE_EEEEZNS1_13binary_searchIS3_S5_NSA_INS8_10device_ptrIjEEEESG_SI_NS1_21lower_bound_search_opENS9_16wrapped_functionINS8_6system6detail7generic6detail18binary_search_lessEbEEEE10hipError_tPvRmT1_T2_T3_mmT4_T5_P12ihipStream_tbEUlRKjE_EESV_SZ_S10_mS11_S14_bEUlT_E_NS1_11comp_targetILNS1_3genE4ELNS1_11target_archE910ELNS1_3gpuE8ELNS1_3repE0EEENS1_30default_config_static_selectorELNS0_4arch9wavefront6targetE1EEEvSY_,comdat
	.protected	_ZN7rocprim17ROCPRIM_400000_NS6detail17trampoline_kernelINS0_14default_configENS1_27lower_bound_config_selectorIjlEEZNS1_14transform_implILb0ES3_S5_N6thrust23THRUST_200600_302600_NS6detail15normal_iteratorINS8_7pointerIjNS8_11hip_rocprim5par_tENS8_11use_defaultESE_EEEENSA_INSB_IlSD_SE_SE_EEEEZNS1_13binary_searchIS3_S5_NSA_INS8_10device_ptrIjEEEESG_SI_NS1_21lower_bound_search_opENS9_16wrapped_functionINS8_6system6detail7generic6detail18binary_search_lessEbEEEE10hipError_tPvRmT1_T2_T3_mmT4_T5_P12ihipStream_tbEUlRKjE_EESV_SZ_S10_mS11_S14_bEUlT_E_NS1_11comp_targetILNS1_3genE4ELNS1_11target_archE910ELNS1_3gpuE8ELNS1_3repE0EEENS1_30default_config_static_selectorELNS0_4arch9wavefront6targetE1EEEvSY_ ; -- Begin function _ZN7rocprim17ROCPRIM_400000_NS6detail17trampoline_kernelINS0_14default_configENS1_27lower_bound_config_selectorIjlEEZNS1_14transform_implILb0ES3_S5_N6thrust23THRUST_200600_302600_NS6detail15normal_iteratorINS8_7pointerIjNS8_11hip_rocprim5par_tENS8_11use_defaultESE_EEEENSA_INSB_IlSD_SE_SE_EEEEZNS1_13binary_searchIS3_S5_NSA_INS8_10device_ptrIjEEEESG_SI_NS1_21lower_bound_search_opENS9_16wrapped_functionINS8_6system6detail7generic6detail18binary_search_lessEbEEEE10hipError_tPvRmT1_T2_T3_mmT4_T5_P12ihipStream_tbEUlRKjE_EESV_SZ_S10_mS11_S14_bEUlT_E_NS1_11comp_targetILNS1_3genE4ELNS1_11target_archE910ELNS1_3gpuE8ELNS1_3repE0EEENS1_30default_config_static_selectorELNS0_4arch9wavefront6targetE1EEEvSY_
	.globl	_ZN7rocprim17ROCPRIM_400000_NS6detail17trampoline_kernelINS0_14default_configENS1_27lower_bound_config_selectorIjlEEZNS1_14transform_implILb0ES3_S5_N6thrust23THRUST_200600_302600_NS6detail15normal_iteratorINS8_7pointerIjNS8_11hip_rocprim5par_tENS8_11use_defaultESE_EEEENSA_INSB_IlSD_SE_SE_EEEEZNS1_13binary_searchIS3_S5_NSA_INS8_10device_ptrIjEEEESG_SI_NS1_21lower_bound_search_opENS9_16wrapped_functionINS8_6system6detail7generic6detail18binary_search_lessEbEEEE10hipError_tPvRmT1_T2_T3_mmT4_T5_P12ihipStream_tbEUlRKjE_EESV_SZ_S10_mS11_S14_bEUlT_E_NS1_11comp_targetILNS1_3genE4ELNS1_11target_archE910ELNS1_3gpuE8ELNS1_3repE0EEENS1_30default_config_static_selectorELNS0_4arch9wavefront6targetE1EEEvSY_
	.p2align	8
	.type	_ZN7rocprim17ROCPRIM_400000_NS6detail17trampoline_kernelINS0_14default_configENS1_27lower_bound_config_selectorIjlEEZNS1_14transform_implILb0ES3_S5_N6thrust23THRUST_200600_302600_NS6detail15normal_iteratorINS8_7pointerIjNS8_11hip_rocprim5par_tENS8_11use_defaultESE_EEEENSA_INSB_IlSD_SE_SE_EEEEZNS1_13binary_searchIS3_S5_NSA_INS8_10device_ptrIjEEEESG_SI_NS1_21lower_bound_search_opENS9_16wrapped_functionINS8_6system6detail7generic6detail18binary_search_lessEbEEEE10hipError_tPvRmT1_T2_T3_mmT4_T5_P12ihipStream_tbEUlRKjE_EESV_SZ_S10_mS11_S14_bEUlT_E_NS1_11comp_targetILNS1_3genE4ELNS1_11target_archE910ELNS1_3gpuE8ELNS1_3repE0EEENS1_30default_config_static_selectorELNS0_4arch9wavefront6targetE1EEEvSY_,@function
_ZN7rocprim17ROCPRIM_400000_NS6detail17trampoline_kernelINS0_14default_configENS1_27lower_bound_config_selectorIjlEEZNS1_14transform_implILb0ES3_S5_N6thrust23THRUST_200600_302600_NS6detail15normal_iteratorINS8_7pointerIjNS8_11hip_rocprim5par_tENS8_11use_defaultESE_EEEENSA_INSB_IlSD_SE_SE_EEEEZNS1_13binary_searchIS3_S5_NSA_INS8_10device_ptrIjEEEESG_SI_NS1_21lower_bound_search_opENS9_16wrapped_functionINS8_6system6detail7generic6detail18binary_search_lessEbEEEE10hipError_tPvRmT1_T2_T3_mmT4_T5_P12ihipStream_tbEUlRKjE_EESV_SZ_S10_mS11_S14_bEUlT_E_NS1_11comp_targetILNS1_3genE4ELNS1_11target_archE910ELNS1_3gpuE8ELNS1_3repE0EEENS1_30default_config_static_selectorELNS0_4arch9wavefront6targetE1EEEvSY_: ; @_ZN7rocprim17ROCPRIM_400000_NS6detail17trampoline_kernelINS0_14default_configENS1_27lower_bound_config_selectorIjlEEZNS1_14transform_implILb0ES3_S5_N6thrust23THRUST_200600_302600_NS6detail15normal_iteratorINS8_7pointerIjNS8_11hip_rocprim5par_tENS8_11use_defaultESE_EEEENSA_INSB_IlSD_SE_SE_EEEEZNS1_13binary_searchIS3_S5_NSA_INS8_10device_ptrIjEEEESG_SI_NS1_21lower_bound_search_opENS9_16wrapped_functionINS8_6system6detail7generic6detail18binary_search_lessEbEEEE10hipError_tPvRmT1_T2_T3_mmT4_T5_P12ihipStream_tbEUlRKjE_EESV_SZ_S10_mS11_S14_bEUlT_E_NS1_11comp_targetILNS1_3genE4ELNS1_11target_archE910ELNS1_3gpuE8ELNS1_3repE0EEENS1_30default_config_static_selectorELNS0_4arch9wavefront6targetE1EEEvSY_
; %bb.0:
	.section	.rodata,"a",@progbits
	.p2align	6, 0x0
	.amdhsa_kernel _ZN7rocprim17ROCPRIM_400000_NS6detail17trampoline_kernelINS0_14default_configENS1_27lower_bound_config_selectorIjlEEZNS1_14transform_implILb0ES3_S5_N6thrust23THRUST_200600_302600_NS6detail15normal_iteratorINS8_7pointerIjNS8_11hip_rocprim5par_tENS8_11use_defaultESE_EEEENSA_INSB_IlSD_SE_SE_EEEEZNS1_13binary_searchIS3_S5_NSA_INS8_10device_ptrIjEEEESG_SI_NS1_21lower_bound_search_opENS9_16wrapped_functionINS8_6system6detail7generic6detail18binary_search_lessEbEEEE10hipError_tPvRmT1_T2_T3_mmT4_T5_P12ihipStream_tbEUlRKjE_EESV_SZ_S10_mS11_S14_bEUlT_E_NS1_11comp_targetILNS1_3genE4ELNS1_11target_archE910ELNS1_3gpuE8ELNS1_3repE0EEENS1_30default_config_static_selectorELNS0_4arch9wavefront6targetE1EEEvSY_
		.amdhsa_group_segment_fixed_size 0
		.amdhsa_private_segment_fixed_size 0
		.amdhsa_kernarg_size 56
		.amdhsa_user_sgpr_count 6
		.amdhsa_user_sgpr_private_segment_buffer 1
		.amdhsa_user_sgpr_dispatch_ptr 0
		.amdhsa_user_sgpr_queue_ptr 0
		.amdhsa_user_sgpr_kernarg_segment_ptr 1
		.amdhsa_user_sgpr_dispatch_id 0
		.amdhsa_user_sgpr_flat_scratch_init 0
		.amdhsa_user_sgpr_private_segment_size 0
		.amdhsa_uses_dynamic_stack 0
		.amdhsa_system_sgpr_private_segment_wavefront_offset 0
		.amdhsa_system_sgpr_workgroup_id_x 1
		.amdhsa_system_sgpr_workgroup_id_y 0
		.amdhsa_system_sgpr_workgroup_id_z 0
		.amdhsa_system_sgpr_workgroup_info 0
		.amdhsa_system_vgpr_workitem_id 0
		.amdhsa_next_free_vgpr 1
		.amdhsa_next_free_sgpr 0
		.amdhsa_reserve_vcc 0
		.amdhsa_reserve_flat_scratch 0
		.amdhsa_float_round_mode_32 0
		.amdhsa_float_round_mode_16_64 0
		.amdhsa_float_denorm_mode_32 3
		.amdhsa_float_denorm_mode_16_64 3
		.amdhsa_dx10_clamp 1
		.amdhsa_ieee_mode 1
		.amdhsa_fp16_overflow 0
		.amdhsa_exception_fp_ieee_invalid_op 0
		.amdhsa_exception_fp_denorm_src 0
		.amdhsa_exception_fp_ieee_div_zero 0
		.amdhsa_exception_fp_ieee_overflow 0
		.amdhsa_exception_fp_ieee_underflow 0
		.amdhsa_exception_fp_ieee_inexact 0
		.amdhsa_exception_int_div_zero 0
	.end_amdhsa_kernel
	.section	.text._ZN7rocprim17ROCPRIM_400000_NS6detail17trampoline_kernelINS0_14default_configENS1_27lower_bound_config_selectorIjlEEZNS1_14transform_implILb0ES3_S5_N6thrust23THRUST_200600_302600_NS6detail15normal_iteratorINS8_7pointerIjNS8_11hip_rocprim5par_tENS8_11use_defaultESE_EEEENSA_INSB_IlSD_SE_SE_EEEEZNS1_13binary_searchIS3_S5_NSA_INS8_10device_ptrIjEEEESG_SI_NS1_21lower_bound_search_opENS9_16wrapped_functionINS8_6system6detail7generic6detail18binary_search_lessEbEEEE10hipError_tPvRmT1_T2_T3_mmT4_T5_P12ihipStream_tbEUlRKjE_EESV_SZ_S10_mS11_S14_bEUlT_E_NS1_11comp_targetILNS1_3genE4ELNS1_11target_archE910ELNS1_3gpuE8ELNS1_3repE0EEENS1_30default_config_static_selectorELNS0_4arch9wavefront6targetE1EEEvSY_,"axG",@progbits,_ZN7rocprim17ROCPRIM_400000_NS6detail17trampoline_kernelINS0_14default_configENS1_27lower_bound_config_selectorIjlEEZNS1_14transform_implILb0ES3_S5_N6thrust23THRUST_200600_302600_NS6detail15normal_iteratorINS8_7pointerIjNS8_11hip_rocprim5par_tENS8_11use_defaultESE_EEEENSA_INSB_IlSD_SE_SE_EEEEZNS1_13binary_searchIS3_S5_NSA_INS8_10device_ptrIjEEEESG_SI_NS1_21lower_bound_search_opENS9_16wrapped_functionINS8_6system6detail7generic6detail18binary_search_lessEbEEEE10hipError_tPvRmT1_T2_T3_mmT4_T5_P12ihipStream_tbEUlRKjE_EESV_SZ_S10_mS11_S14_bEUlT_E_NS1_11comp_targetILNS1_3genE4ELNS1_11target_archE910ELNS1_3gpuE8ELNS1_3repE0EEENS1_30default_config_static_selectorELNS0_4arch9wavefront6targetE1EEEvSY_,comdat
.Lfunc_end369:
	.size	_ZN7rocprim17ROCPRIM_400000_NS6detail17trampoline_kernelINS0_14default_configENS1_27lower_bound_config_selectorIjlEEZNS1_14transform_implILb0ES3_S5_N6thrust23THRUST_200600_302600_NS6detail15normal_iteratorINS8_7pointerIjNS8_11hip_rocprim5par_tENS8_11use_defaultESE_EEEENSA_INSB_IlSD_SE_SE_EEEEZNS1_13binary_searchIS3_S5_NSA_INS8_10device_ptrIjEEEESG_SI_NS1_21lower_bound_search_opENS9_16wrapped_functionINS8_6system6detail7generic6detail18binary_search_lessEbEEEE10hipError_tPvRmT1_T2_T3_mmT4_T5_P12ihipStream_tbEUlRKjE_EESV_SZ_S10_mS11_S14_bEUlT_E_NS1_11comp_targetILNS1_3genE4ELNS1_11target_archE910ELNS1_3gpuE8ELNS1_3repE0EEENS1_30default_config_static_selectorELNS0_4arch9wavefront6targetE1EEEvSY_, .Lfunc_end369-_ZN7rocprim17ROCPRIM_400000_NS6detail17trampoline_kernelINS0_14default_configENS1_27lower_bound_config_selectorIjlEEZNS1_14transform_implILb0ES3_S5_N6thrust23THRUST_200600_302600_NS6detail15normal_iteratorINS8_7pointerIjNS8_11hip_rocprim5par_tENS8_11use_defaultESE_EEEENSA_INSB_IlSD_SE_SE_EEEEZNS1_13binary_searchIS3_S5_NSA_INS8_10device_ptrIjEEEESG_SI_NS1_21lower_bound_search_opENS9_16wrapped_functionINS8_6system6detail7generic6detail18binary_search_lessEbEEEE10hipError_tPvRmT1_T2_T3_mmT4_T5_P12ihipStream_tbEUlRKjE_EESV_SZ_S10_mS11_S14_bEUlT_E_NS1_11comp_targetILNS1_3genE4ELNS1_11target_archE910ELNS1_3gpuE8ELNS1_3repE0EEENS1_30default_config_static_selectorELNS0_4arch9wavefront6targetE1EEEvSY_
                                        ; -- End function
	.set _ZN7rocprim17ROCPRIM_400000_NS6detail17trampoline_kernelINS0_14default_configENS1_27lower_bound_config_selectorIjlEEZNS1_14transform_implILb0ES3_S5_N6thrust23THRUST_200600_302600_NS6detail15normal_iteratorINS8_7pointerIjNS8_11hip_rocprim5par_tENS8_11use_defaultESE_EEEENSA_INSB_IlSD_SE_SE_EEEEZNS1_13binary_searchIS3_S5_NSA_INS8_10device_ptrIjEEEESG_SI_NS1_21lower_bound_search_opENS9_16wrapped_functionINS8_6system6detail7generic6detail18binary_search_lessEbEEEE10hipError_tPvRmT1_T2_T3_mmT4_T5_P12ihipStream_tbEUlRKjE_EESV_SZ_S10_mS11_S14_bEUlT_E_NS1_11comp_targetILNS1_3genE4ELNS1_11target_archE910ELNS1_3gpuE8ELNS1_3repE0EEENS1_30default_config_static_selectorELNS0_4arch9wavefront6targetE1EEEvSY_.num_vgpr, 0
	.set _ZN7rocprim17ROCPRIM_400000_NS6detail17trampoline_kernelINS0_14default_configENS1_27lower_bound_config_selectorIjlEEZNS1_14transform_implILb0ES3_S5_N6thrust23THRUST_200600_302600_NS6detail15normal_iteratorINS8_7pointerIjNS8_11hip_rocprim5par_tENS8_11use_defaultESE_EEEENSA_INSB_IlSD_SE_SE_EEEEZNS1_13binary_searchIS3_S5_NSA_INS8_10device_ptrIjEEEESG_SI_NS1_21lower_bound_search_opENS9_16wrapped_functionINS8_6system6detail7generic6detail18binary_search_lessEbEEEE10hipError_tPvRmT1_T2_T3_mmT4_T5_P12ihipStream_tbEUlRKjE_EESV_SZ_S10_mS11_S14_bEUlT_E_NS1_11comp_targetILNS1_3genE4ELNS1_11target_archE910ELNS1_3gpuE8ELNS1_3repE0EEENS1_30default_config_static_selectorELNS0_4arch9wavefront6targetE1EEEvSY_.num_agpr, 0
	.set _ZN7rocprim17ROCPRIM_400000_NS6detail17trampoline_kernelINS0_14default_configENS1_27lower_bound_config_selectorIjlEEZNS1_14transform_implILb0ES3_S5_N6thrust23THRUST_200600_302600_NS6detail15normal_iteratorINS8_7pointerIjNS8_11hip_rocprim5par_tENS8_11use_defaultESE_EEEENSA_INSB_IlSD_SE_SE_EEEEZNS1_13binary_searchIS3_S5_NSA_INS8_10device_ptrIjEEEESG_SI_NS1_21lower_bound_search_opENS9_16wrapped_functionINS8_6system6detail7generic6detail18binary_search_lessEbEEEE10hipError_tPvRmT1_T2_T3_mmT4_T5_P12ihipStream_tbEUlRKjE_EESV_SZ_S10_mS11_S14_bEUlT_E_NS1_11comp_targetILNS1_3genE4ELNS1_11target_archE910ELNS1_3gpuE8ELNS1_3repE0EEENS1_30default_config_static_selectorELNS0_4arch9wavefront6targetE1EEEvSY_.numbered_sgpr, 0
	.set _ZN7rocprim17ROCPRIM_400000_NS6detail17trampoline_kernelINS0_14default_configENS1_27lower_bound_config_selectorIjlEEZNS1_14transform_implILb0ES3_S5_N6thrust23THRUST_200600_302600_NS6detail15normal_iteratorINS8_7pointerIjNS8_11hip_rocprim5par_tENS8_11use_defaultESE_EEEENSA_INSB_IlSD_SE_SE_EEEEZNS1_13binary_searchIS3_S5_NSA_INS8_10device_ptrIjEEEESG_SI_NS1_21lower_bound_search_opENS9_16wrapped_functionINS8_6system6detail7generic6detail18binary_search_lessEbEEEE10hipError_tPvRmT1_T2_T3_mmT4_T5_P12ihipStream_tbEUlRKjE_EESV_SZ_S10_mS11_S14_bEUlT_E_NS1_11comp_targetILNS1_3genE4ELNS1_11target_archE910ELNS1_3gpuE8ELNS1_3repE0EEENS1_30default_config_static_selectorELNS0_4arch9wavefront6targetE1EEEvSY_.num_named_barrier, 0
	.set _ZN7rocprim17ROCPRIM_400000_NS6detail17trampoline_kernelINS0_14default_configENS1_27lower_bound_config_selectorIjlEEZNS1_14transform_implILb0ES3_S5_N6thrust23THRUST_200600_302600_NS6detail15normal_iteratorINS8_7pointerIjNS8_11hip_rocprim5par_tENS8_11use_defaultESE_EEEENSA_INSB_IlSD_SE_SE_EEEEZNS1_13binary_searchIS3_S5_NSA_INS8_10device_ptrIjEEEESG_SI_NS1_21lower_bound_search_opENS9_16wrapped_functionINS8_6system6detail7generic6detail18binary_search_lessEbEEEE10hipError_tPvRmT1_T2_T3_mmT4_T5_P12ihipStream_tbEUlRKjE_EESV_SZ_S10_mS11_S14_bEUlT_E_NS1_11comp_targetILNS1_3genE4ELNS1_11target_archE910ELNS1_3gpuE8ELNS1_3repE0EEENS1_30default_config_static_selectorELNS0_4arch9wavefront6targetE1EEEvSY_.private_seg_size, 0
	.set _ZN7rocprim17ROCPRIM_400000_NS6detail17trampoline_kernelINS0_14default_configENS1_27lower_bound_config_selectorIjlEEZNS1_14transform_implILb0ES3_S5_N6thrust23THRUST_200600_302600_NS6detail15normal_iteratorINS8_7pointerIjNS8_11hip_rocprim5par_tENS8_11use_defaultESE_EEEENSA_INSB_IlSD_SE_SE_EEEEZNS1_13binary_searchIS3_S5_NSA_INS8_10device_ptrIjEEEESG_SI_NS1_21lower_bound_search_opENS9_16wrapped_functionINS8_6system6detail7generic6detail18binary_search_lessEbEEEE10hipError_tPvRmT1_T2_T3_mmT4_T5_P12ihipStream_tbEUlRKjE_EESV_SZ_S10_mS11_S14_bEUlT_E_NS1_11comp_targetILNS1_3genE4ELNS1_11target_archE910ELNS1_3gpuE8ELNS1_3repE0EEENS1_30default_config_static_selectorELNS0_4arch9wavefront6targetE1EEEvSY_.uses_vcc, 0
	.set _ZN7rocprim17ROCPRIM_400000_NS6detail17trampoline_kernelINS0_14default_configENS1_27lower_bound_config_selectorIjlEEZNS1_14transform_implILb0ES3_S5_N6thrust23THRUST_200600_302600_NS6detail15normal_iteratorINS8_7pointerIjNS8_11hip_rocprim5par_tENS8_11use_defaultESE_EEEENSA_INSB_IlSD_SE_SE_EEEEZNS1_13binary_searchIS3_S5_NSA_INS8_10device_ptrIjEEEESG_SI_NS1_21lower_bound_search_opENS9_16wrapped_functionINS8_6system6detail7generic6detail18binary_search_lessEbEEEE10hipError_tPvRmT1_T2_T3_mmT4_T5_P12ihipStream_tbEUlRKjE_EESV_SZ_S10_mS11_S14_bEUlT_E_NS1_11comp_targetILNS1_3genE4ELNS1_11target_archE910ELNS1_3gpuE8ELNS1_3repE0EEENS1_30default_config_static_selectorELNS0_4arch9wavefront6targetE1EEEvSY_.uses_flat_scratch, 0
	.set _ZN7rocprim17ROCPRIM_400000_NS6detail17trampoline_kernelINS0_14default_configENS1_27lower_bound_config_selectorIjlEEZNS1_14transform_implILb0ES3_S5_N6thrust23THRUST_200600_302600_NS6detail15normal_iteratorINS8_7pointerIjNS8_11hip_rocprim5par_tENS8_11use_defaultESE_EEEENSA_INSB_IlSD_SE_SE_EEEEZNS1_13binary_searchIS3_S5_NSA_INS8_10device_ptrIjEEEESG_SI_NS1_21lower_bound_search_opENS9_16wrapped_functionINS8_6system6detail7generic6detail18binary_search_lessEbEEEE10hipError_tPvRmT1_T2_T3_mmT4_T5_P12ihipStream_tbEUlRKjE_EESV_SZ_S10_mS11_S14_bEUlT_E_NS1_11comp_targetILNS1_3genE4ELNS1_11target_archE910ELNS1_3gpuE8ELNS1_3repE0EEENS1_30default_config_static_selectorELNS0_4arch9wavefront6targetE1EEEvSY_.has_dyn_sized_stack, 0
	.set _ZN7rocprim17ROCPRIM_400000_NS6detail17trampoline_kernelINS0_14default_configENS1_27lower_bound_config_selectorIjlEEZNS1_14transform_implILb0ES3_S5_N6thrust23THRUST_200600_302600_NS6detail15normal_iteratorINS8_7pointerIjNS8_11hip_rocprim5par_tENS8_11use_defaultESE_EEEENSA_INSB_IlSD_SE_SE_EEEEZNS1_13binary_searchIS3_S5_NSA_INS8_10device_ptrIjEEEESG_SI_NS1_21lower_bound_search_opENS9_16wrapped_functionINS8_6system6detail7generic6detail18binary_search_lessEbEEEE10hipError_tPvRmT1_T2_T3_mmT4_T5_P12ihipStream_tbEUlRKjE_EESV_SZ_S10_mS11_S14_bEUlT_E_NS1_11comp_targetILNS1_3genE4ELNS1_11target_archE910ELNS1_3gpuE8ELNS1_3repE0EEENS1_30default_config_static_selectorELNS0_4arch9wavefront6targetE1EEEvSY_.has_recursion, 0
	.set _ZN7rocprim17ROCPRIM_400000_NS6detail17trampoline_kernelINS0_14default_configENS1_27lower_bound_config_selectorIjlEEZNS1_14transform_implILb0ES3_S5_N6thrust23THRUST_200600_302600_NS6detail15normal_iteratorINS8_7pointerIjNS8_11hip_rocprim5par_tENS8_11use_defaultESE_EEEENSA_INSB_IlSD_SE_SE_EEEEZNS1_13binary_searchIS3_S5_NSA_INS8_10device_ptrIjEEEESG_SI_NS1_21lower_bound_search_opENS9_16wrapped_functionINS8_6system6detail7generic6detail18binary_search_lessEbEEEE10hipError_tPvRmT1_T2_T3_mmT4_T5_P12ihipStream_tbEUlRKjE_EESV_SZ_S10_mS11_S14_bEUlT_E_NS1_11comp_targetILNS1_3genE4ELNS1_11target_archE910ELNS1_3gpuE8ELNS1_3repE0EEENS1_30default_config_static_selectorELNS0_4arch9wavefront6targetE1EEEvSY_.has_indirect_call, 0
	.section	.AMDGPU.csdata,"",@progbits
; Kernel info:
; codeLenInByte = 0
; TotalNumSgprs: 4
; NumVgprs: 0
; ScratchSize: 0
; MemoryBound: 0
; FloatMode: 240
; IeeeMode: 1
; LDSByteSize: 0 bytes/workgroup (compile time only)
; SGPRBlocks: 0
; VGPRBlocks: 0
; NumSGPRsForWavesPerEU: 4
; NumVGPRsForWavesPerEU: 1
; Occupancy: 10
; WaveLimiterHint : 0
; COMPUTE_PGM_RSRC2:SCRATCH_EN: 0
; COMPUTE_PGM_RSRC2:USER_SGPR: 6
; COMPUTE_PGM_RSRC2:TRAP_HANDLER: 0
; COMPUTE_PGM_RSRC2:TGID_X_EN: 1
; COMPUTE_PGM_RSRC2:TGID_Y_EN: 0
; COMPUTE_PGM_RSRC2:TGID_Z_EN: 0
; COMPUTE_PGM_RSRC2:TIDIG_COMP_CNT: 0
	.section	.text._ZN7rocprim17ROCPRIM_400000_NS6detail17trampoline_kernelINS0_14default_configENS1_27lower_bound_config_selectorIjlEEZNS1_14transform_implILb0ES3_S5_N6thrust23THRUST_200600_302600_NS6detail15normal_iteratorINS8_7pointerIjNS8_11hip_rocprim5par_tENS8_11use_defaultESE_EEEENSA_INSB_IlSD_SE_SE_EEEEZNS1_13binary_searchIS3_S5_NSA_INS8_10device_ptrIjEEEESG_SI_NS1_21lower_bound_search_opENS9_16wrapped_functionINS8_6system6detail7generic6detail18binary_search_lessEbEEEE10hipError_tPvRmT1_T2_T3_mmT4_T5_P12ihipStream_tbEUlRKjE_EESV_SZ_S10_mS11_S14_bEUlT_E_NS1_11comp_targetILNS1_3genE3ELNS1_11target_archE908ELNS1_3gpuE7ELNS1_3repE0EEENS1_30default_config_static_selectorELNS0_4arch9wavefront6targetE1EEEvSY_,"axG",@progbits,_ZN7rocprim17ROCPRIM_400000_NS6detail17trampoline_kernelINS0_14default_configENS1_27lower_bound_config_selectorIjlEEZNS1_14transform_implILb0ES3_S5_N6thrust23THRUST_200600_302600_NS6detail15normal_iteratorINS8_7pointerIjNS8_11hip_rocprim5par_tENS8_11use_defaultESE_EEEENSA_INSB_IlSD_SE_SE_EEEEZNS1_13binary_searchIS3_S5_NSA_INS8_10device_ptrIjEEEESG_SI_NS1_21lower_bound_search_opENS9_16wrapped_functionINS8_6system6detail7generic6detail18binary_search_lessEbEEEE10hipError_tPvRmT1_T2_T3_mmT4_T5_P12ihipStream_tbEUlRKjE_EESV_SZ_S10_mS11_S14_bEUlT_E_NS1_11comp_targetILNS1_3genE3ELNS1_11target_archE908ELNS1_3gpuE7ELNS1_3repE0EEENS1_30default_config_static_selectorELNS0_4arch9wavefront6targetE1EEEvSY_,comdat
	.protected	_ZN7rocprim17ROCPRIM_400000_NS6detail17trampoline_kernelINS0_14default_configENS1_27lower_bound_config_selectorIjlEEZNS1_14transform_implILb0ES3_S5_N6thrust23THRUST_200600_302600_NS6detail15normal_iteratorINS8_7pointerIjNS8_11hip_rocprim5par_tENS8_11use_defaultESE_EEEENSA_INSB_IlSD_SE_SE_EEEEZNS1_13binary_searchIS3_S5_NSA_INS8_10device_ptrIjEEEESG_SI_NS1_21lower_bound_search_opENS9_16wrapped_functionINS8_6system6detail7generic6detail18binary_search_lessEbEEEE10hipError_tPvRmT1_T2_T3_mmT4_T5_P12ihipStream_tbEUlRKjE_EESV_SZ_S10_mS11_S14_bEUlT_E_NS1_11comp_targetILNS1_3genE3ELNS1_11target_archE908ELNS1_3gpuE7ELNS1_3repE0EEENS1_30default_config_static_selectorELNS0_4arch9wavefront6targetE1EEEvSY_ ; -- Begin function _ZN7rocprim17ROCPRIM_400000_NS6detail17trampoline_kernelINS0_14default_configENS1_27lower_bound_config_selectorIjlEEZNS1_14transform_implILb0ES3_S5_N6thrust23THRUST_200600_302600_NS6detail15normal_iteratorINS8_7pointerIjNS8_11hip_rocprim5par_tENS8_11use_defaultESE_EEEENSA_INSB_IlSD_SE_SE_EEEEZNS1_13binary_searchIS3_S5_NSA_INS8_10device_ptrIjEEEESG_SI_NS1_21lower_bound_search_opENS9_16wrapped_functionINS8_6system6detail7generic6detail18binary_search_lessEbEEEE10hipError_tPvRmT1_T2_T3_mmT4_T5_P12ihipStream_tbEUlRKjE_EESV_SZ_S10_mS11_S14_bEUlT_E_NS1_11comp_targetILNS1_3genE3ELNS1_11target_archE908ELNS1_3gpuE7ELNS1_3repE0EEENS1_30default_config_static_selectorELNS0_4arch9wavefront6targetE1EEEvSY_
	.globl	_ZN7rocprim17ROCPRIM_400000_NS6detail17trampoline_kernelINS0_14default_configENS1_27lower_bound_config_selectorIjlEEZNS1_14transform_implILb0ES3_S5_N6thrust23THRUST_200600_302600_NS6detail15normal_iteratorINS8_7pointerIjNS8_11hip_rocprim5par_tENS8_11use_defaultESE_EEEENSA_INSB_IlSD_SE_SE_EEEEZNS1_13binary_searchIS3_S5_NSA_INS8_10device_ptrIjEEEESG_SI_NS1_21lower_bound_search_opENS9_16wrapped_functionINS8_6system6detail7generic6detail18binary_search_lessEbEEEE10hipError_tPvRmT1_T2_T3_mmT4_T5_P12ihipStream_tbEUlRKjE_EESV_SZ_S10_mS11_S14_bEUlT_E_NS1_11comp_targetILNS1_3genE3ELNS1_11target_archE908ELNS1_3gpuE7ELNS1_3repE0EEENS1_30default_config_static_selectorELNS0_4arch9wavefront6targetE1EEEvSY_
	.p2align	8
	.type	_ZN7rocprim17ROCPRIM_400000_NS6detail17trampoline_kernelINS0_14default_configENS1_27lower_bound_config_selectorIjlEEZNS1_14transform_implILb0ES3_S5_N6thrust23THRUST_200600_302600_NS6detail15normal_iteratorINS8_7pointerIjNS8_11hip_rocprim5par_tENS8_11use_defaultESE_EEEENSA_INSB_IlSD_SE_SE_EEEEZNS1_13binary_searchIS3_S5_NSA_INS8_10device_ptrIjEEEESG_SI_NS1_21lower_bound_search_opENS9_16wrapped_functionINS8_6system6detail7generic6detail18binary_search_lessEbEEEE10hipError_tPvRmT1_T2_T3_mmT4_T5_P12ihipStream_tbEUlRKjE_EESV_SZ_S10_mS11_S14_bEUlT_E_NS1_11comp_targetILNS1_3genE3ELNS1_11target_archE908ELNS1_3gpuE7ELNS1_3repE0EEENS1_30default_config_static_selectorELNS0_4arch9wavefront6targetE1EEEvSY_,@function
_ZN7rocprim17ROCPRIM_400000_NS6detail17trampoline_kernelINS0_14default_configENS1_27lower_bound_config_selectorIjlEEZNS1_14transform_implILb0ES3_S5_N6thrust23THRUST_200600_302600_NS6detail15normal_iteratorINS8_7pointerIjNS8_11hip_rocprim5par_tENS8_11use_defaultESE_EEEENSA_INSB_IlSD_SE_SE_EEEEZNS1_13binary_searchIS3_S5_NSA_INS8_10device_ptrIjEEEESG_SI_NS1_21lower_bound_search_opENS9_16wrapped_functionINS8_6system6detail7generic6detail18binary_search_lessEbEEEE10hipError_tPvRmT1_T2_T3_mmT4_T5_P12ihipStream_tbEUlRKjE_EESV_SZ_S10_mS11_S14_bEUlT_E_NS1_11comp_targetILNS1_3genE3ELNS1_11target_archE908ELNS1_3gpuE7ELNS1_3repE0EEENS1_30default_config_static_selectorELNS0_4arch9wavefront6targetE1EEEvSY_: ; @_ZN7rocprim17ROCPRIM_400000_NS6detail17trampoline_kernelINS0_14default_configENS1_27lower_bound_config_selectorIjlEEZNS1_14transform_implILb0ES3_S5_N6thrust23THRUST_200600_302600_NS6detail15normal_iteratorINS8_7pointerIjNS8_11hip_rocprim5par_tENS8_11use_defaultESE_EEEENSA_INSB_IlSD_SE_SE_EEEEZNS1_13binary_searchIS3_S5_NSA_INS8_10device_ptrIjEEEESG_SI_NS1_21lower_bound_search_opENS9_16wrapped_functionINS8_6system6detail7generic6detail18binary_search_lessEbEEEE10hipError_tPvRmT1_T2_T3_mmT4_T5_P12ihipStream_tbEUlRKjE_EESV_SZ_S10_mS11_S14_bEUlT_E_NS1_11comp_targetILNS1_3genE3ELNS1_11target_archE908ELNS1_3gpuE7ELNS1_3repE0EEENS1_30default_config_static_selectorELNS0_4arch9wavefront6targetE1EEEvSY_
; %bb.0:
	.section	.rodata,"a",@progbits
	.p2align	6, 0x0
	.amdhsa_kernel _ZN7rocprim17ROCPRIM_400000_NS6detail17trampoline_kernelINS0_14default_configENS1_27lower_bound_config_selectorIjlEEZNS1_14transform_implILb0ES3_S5_N6thrust23THRUST_200600_302600_NS6detail15normal_iteratorINS8_7pointerIjNS8_11hip_rocprim5par_tENS8_11use_defaultESE_EEEENSA_INSB_IlSD_SE_SE_EEEEZNS1_13binary_searchIS3_S5_NSA_INS8_10device_ptrIjEEEESG_SI_NS1_21lower_bound_search_opENS9_16wrapped_functionINS8_6system6detail7generic6detail18binary_search_lessEbEEEE10hipError_tPvRmT1_T2_T3_mmT4_T5_P12ihipStream_tbEUlRKjE_EESV_SZ_S10_mS11_S14_bEUlT_E_NS1_11comp_targetILNS1_3genE3ELNS1_11target_archE908ELNS1_3gpuE7ELNS1_3repE0EEENS1_30default_config_static_selectorELNS0_4arch9wavefront6targetE1EEEvSY_
		.amdhsa_group_segment_fixed_size 0
		.amdhsa_private_segment_fixed_size 0
		.amdhsa_kernarg_size 56
		.amdhsa_user_sgpr_count 6
		.amdhsa_user_sgpr_private_segment_buffer 1
		.amdhsa_user_sgpr_dispatch_ptr 0
		.amdhsa_user_sgpr_queue_ptr 0
		.amdhsa_user_sgpr_kernarg_segment_ptr 1
		.amdhsa_user_sgpr_dispatch_id 0
		.amdhsa_user_sgpr_flat_scratch_init 0
		.amdhsa_user_sgpr_private_segment_size 0
		.amdhsa_uses_dynamic_stack 0
		.amdhsa_system_sgpr_private_segment_wavefront_offset 0
		.amdhsa_system_sgpr_workgroup_id_x 1
		.amdhsa_system_sgpr_workgroup_id_y 0
		.amdhsa_system_sgpr_workgroup_id_z 0
		.amdhsa_system_sgpr_workgroup_info 0
		.amdhsa_system_vgpr_workitem_id 0
		.amdhsa_next_free_vgpr 1
		.amdhsa_next_free_sgpr 0
		.amdhsa_reserve_vcc 0
		.amdhsa_reserve_flat_scratch 0
		.amdhsa_float_round_mode_32 0
		.amdhsa_float_round_mode_16_64 0
		.amdhsa_float_denorm_mode_32 3
		.amdhsa_float_denorm_mode_16_64 3
		.amdhsa_dx10_clamp 1
		.amdhsa_ieee_mode 1
		.amdhsa_fp16_overflow 0
		.amdhsa_exception_fp_ieee_invalid_op 0
		.amdhsa_exception_fp_denorm_src 0
		.amdhsa_exception_fp_ieee_div_zero 0
		.amdhsa_exception_fp_ieee_overflow 0
		.amdhsa_exception_fp_ieee_underflow 0
		.amdhsa_exception_fp_ieee_inexact 0
		.amdhsa_exception_int_div_zero 0
	.end_amdhsa_kernel
	.section	.text._ZN7rocprim17ROCPRIM_400000_NS6detail17trampoline_kernelINS0_14default_configENS1_27lower_bound_config_selectorIjlEEZNS1_14transform_implILb0ES3_S5_N6thrust23THRUST_200600_302600_NS6detail15normal_iteratorINS8_7pointerIjNS8_11hip_rocprim5par_tENS8_11use_defaultESE_EEEENSA_INSB_IlSD_SE_SE_EEEEZNS1_13binary_searchIS3_S5_NSA_INS8_10device_ptrIjEEEESG_SI_NS1_21lower_bound_search_opENS9_16wrapped_functionINS8_6system6detail7generic6detail18binary_search_lessEbEEEE10hipError_tPvRmT1_T2_T3_mmT4_T5_P12ihipStream_tbEUlRKjE_EESV_SZ_S10_mS11_S14_bEUlT_E_NS1_11comp_targetILNS1_3genE3ELNS1_11target_archE908ELNS1_3gpuE7ELNS1_3repE0EEENS1_30default_config_static_selectorELNS0_4arch9wavefront6targetE1EEEvSY_,"axG",@progbits,_ZN7rocprim17ROCPRIM_400000_NS6detail17trampoline_kernelINS0_14default_configENS1_27lower_bound_config_selectorIjlEEZNS1_14transform_implILb0ES3_S5_N6thrust23THRUST_200600_302600_NS6detail15normal_iteratorINS8_7pointerIjNS8_11hip_rocprim5par_tENS8_11use_defaultESE_EEEENSA_INSB_IlSD_SE_SE_EEEEZNS1_13binary_searchIS3_S5_NSA_INS8_10device_ptrIjEEEESG_SI_NS1_21lower_bound_search_opENS9_16wrapped_functionINS8_6system6detail7generic6detail18binary_search_lessEbEEEE10hipError_tPvRmT1_T2_T3_mmT4_T5_P12ihipStream_tbEUlRKjE_EESV_SZ_S10_mS11_S14_bEUlT_E_NS1_11comp_targetILNS1_3genE3ELNS1_11target_archE908ELNS1_3gpuE7ELNS1_3repE0EEENS1_30default_config_static_selectorELNS0_4arch9wavefront6targetE1EEEvSY_,comdat
.Lfunc_end370:
	.size	_ZN7rocprim17ROCPRIM_400000_NS6detail17trampoline_kernelINS0_14default_configENS1_27lower_bound_config_selectorIjlEEZNS1_14transform_implILb0ES3_S5_N6thrust23THRUST_200600_302600_NS6detail15normal_iteratorINS8_7pointerIjNS8_11hip_rocprim5par_tENS8_11use_defaultESE_EEEENSA_INSB_IlSD_SE_SE_EEEEZNS1_13binary_searchIS3_S5_NSA_INS8_10device_ptrIjEEEESG_SI_NS1_21lower_bound_search_opENS9_16wrapped_functionINS8_6system6detail7generic6detail18binary_search_lessEbEEEE10hipError_tPvRmT1_T2_T3_mmT4_T5_P12ihipStream_tbEUlRKjE_EESV_SZ_S10_mS11_S14_bEUlT_E_NS1_11comp_targetILNS1_3genE3ELNS1_11target_archE908ELNS1_3gpuE7ELNS1_3repE0EEENS1_30default_config_static_selectorELNS0_4arch9wavefront6targetE1EEEvSY_, .Lfunc_end370-_ZN7rocprim17ROCPRIM_400000_NS6detail17trampoline_kernelINS0_14default_configENS1_27lower_bound_config_selectorIjlEEZNS1_14transform_implILb0ES3_S5_N6thrust23THRUST_200600_302600_NS6detail15normal_iteratorINS8_7pointerIjNS8_11hip_rocprim5par_tENS8_11use_defaultESE_EEEENSA_INSB_IlSD_SE_SE_EEEEZNS1_13binary_searchIS3_S5_NSA_INS8_10device_ptrIjEEEESG_SI_NS1_21lower_bound_search_opENS9_16wrapped_functionINS8_6system6detail7generic6detail18binary_search_lessEbEEEE10hipError_tPvRmT1_T2_T3_mmT4_T5_P12ihipStream_tbEUlRKjE_EESV_SZ_S10_mS11_S14_bEUlT_E_NS1_11comp_targetILNS1_3genE3ELNS1_11target_archE908ELNS1_3gpuE7ELNS1_3repE0EEENS1_30default_config_static_selectorELNS0_4arch9wavefront6targetE1EEEvSY_
                                        ; -- End function
	.set _ZN7rocprim17ROCPRIM_400000_NS6detail17trampoline_kernelINS0_14default_configENS1_27lower_bound_config_selectorIjlEEZNS1_14transform_implILb0ES3_S5_N6thrust23THRUST_200600_302600_NS6detail15normal_iteratorINS8_7pointerIjNS8_11hip_rocprim5par_tENS8_11use_defaultESE_EEEENSA_INSB_IlSD_SE_SE_EEEEZNS1_13binary_searchIS3_S5_NSA_INS8_10device_ptrIjEEEESG_SI_NS1_21lower_bound_search_opENS9_16wrapped_functionINS8_6system6detail7generic6detail18binary_search_lessEbEEEE10hipError_tPvRmT1_T2_T3_mmT4_T5_P12ihipStream_tbEUlRKjE_EESV_SZ_S10_mS11_S14_bEUlT_E_NS1_11comp_targetILNS1_3genE3ELNS1_11target_archE908ELNS1_3gpuE7ELNS1_3repE0EEENS1_30default_config_static_selectorELNS0_4arch9wavefront6targetE1EEEvSY_.num_vgpr, 0
	.set _ZN7rocprim17ROCPRIM_400000_NS6detail17trampoline_kernelINS0_14default_configENS1_27lower_bound_config_selectorIjlEEZNS1_14transform_implILb0ES3_S5_N6thrust23THRUST_200600_302600_NS6detail15normal_iteratorINS8_7pointerIjNS8_11hip_rocprim5par_tENS8_11use_defaultESE_EEEENSA_INSB_IlSD_SE_SE_EEEEZNS1_13binary_searchIS3_S5_NSA_INS8_10device_ptrIjEEEESG_SI_NS1_21lower_bound_search_opENS9_16wrapped_functionINS8_6system6detail7generic6detail18binary_search_lessEbEEEE10hipError_tPvRmT1_T2_T3_mmT4_T5_P12ihipStream_tbEUlRKjE_EESV_SZ_S10_mS11_S14_bEUlT_E_NS1_11comp_targetILNS1_3genE3ELNS1_11target_archE908ELNS1_3gpuE7ELNS1_3repE0EEENS1_30default_config_static_selectorELNS0_4arch9wavefront6targetE1EEEvSY_.num_agpr, 0
	.set _ZN7rocprim17ROCPRIM_400000_NS6detail17trampoline_kernelINS0_14default_configENS1_27lower_bound_config_selectorIjlEEZNS1_14transform_implILb0ES3_S5_N6thrust23THRUST_200600_302600_NS6detail15normal_iteratorINS8_7pointerIjNS8_11hip_rocprim5par_tENS8_11use_defaultESE_EEEENSA_INSB_IlSD_SE_SE_EEEEZNS1_13binary_searchIS3_S5_NSA_INS8_10device_ptrIjEEEESG_SI_NS1_21lower_bound_search_opENS9_16wrapped_functionINS8_6system6detail7generic6detail18binary_search_lessEbEEEE10hipError_tPvRmT1_T2_T3_mmT4_T5_P12ihipStream_tbEUlRKjE_EESV_SZ_S10_mS11_S14_bEUlT_E_NS1_11comp_targetILNS1_3genE3ELNS1_11target_archE908ELNS1_3gpuE7ELNS1_3repE0EEENS1_30default_config_static_selectorELNS0_4arch9wavefront6targetE1EEEvSY_.numbered_sgpr, 0
	.set _ZN7rocprim17ROCPRIM_400000_NS6detail17trampoline_kernelINS0_14default_configENS1_27lower_bound_config_selectorIjlEEZNS1_14transform_implILb0ES3_S5_N6thrust23THRUST_200600_302600_NS6detail15normal_iteratorINS8_7pointerIjNS8_11hip_rocprim5par_tENS8_11use_defaultESE_EEEENSA_INSB_IlSD_SE_SE_EEEEZNS1_13binary_searchIS3_S5_NSA_INS8_10device_ptrIjEEEESG_SI_NS1_21lower_bound_search_opENS9_16wrapped_functionINS8_6system6detail7generic6detail18binary_search_lessEbEEEE10hipError_tPvRmT1_T2_T3_mmT4_T5_P12ihipStream_tbEUlRKjE_EESV_SZ_S10_mS11_S14_bEUlT_E_NS1_11comp_targetILNS1_3genE3ELNS1_11target_archE908ELNS1_3gpuE7ELNS1_3repE0EEENS1_30default_config_static_selectorELNS0_4arch9wavefront6targetE1EEEvSY_.num_named_barrier, 0
	.set _ZN7rocprim17ROCPRIM_400000_NS6detail17trampoline_kernelINS0_14default_configENS1_27lower_bound_config_selectorIjlEEZNS1_14transform_implILb0ES3_S5_N6thrust23THRUST_200600_302600_NS6detail15normal_iteratorINS8_7pointerIjNS8_11hip_rocprim5par_tENS8_11use_defaultESE_EEEENSA_INSB_IlSD_SE_SE_EEEEZNS1_13binary_searchIS3_S5_NSA_INS8_10device_ptrIjEEEESG_SI_NS1_21lower_bound_search_opENS9_16wrapped_functionINS8_6system6detail7generic6detail18binary_search_lessEbEEEE10hipError_tPvRmT1_T2_T3_mmT4_T5_P12ihipStream_tbEUlRKjE_EESV_SZ_S10_mS11_S14_bEUlT_E_NS1_11comp_targetILNS1_3genE3ELNS1_11target_archE908ELNS1_3gpuE7ELNS1_3repE0EEENS1_30default_config_static_selectorELNS0_4arch9wavefront6targetE1EEEvSY_.private_seg_size, 0
	.set _ZN7rocprim17ROCPRIM_400000_NS6detail17trampoline_kernelINS0_14default_configENS1_27lower_bound_config_selectorIjlEEZNS1_14transform_implILb0ES3_S5_N6thrust23THRUST_200600_302600_NS6detail15normal_iteratorINS8_7pointerIjNS8_11hip_rocprim5par_tENS8_11use_defaultESE_EEEENSA_INSB_IlSD_SE_SE_EEEEZNS1_13binary_searchIS3_S5_NSA_INS8_10device_ptrIjEEEESG_SI_NS1_21lower_bound_search_opENS9_16wrapped_functionINS8_6system6detail7generic6detail18binary_search_lessEbEEEE10hipError_tPvRmT1_T2_T3_mmT4_T5_P12ihipStream_tbEUlRKjE_EESV_SZ_S10_mS11_S14_bEUlT_E_NS1_11comp_targetILNS1_3genE3ELNS1_11target_archE908ELNS1_3gpuE7ELNS1_3repE0EEENS1_30default_config_static_selectorELNS0_4arch9wavefront6targetE1EEEvSY_.uses_vcc, 0
	.set _ZN7rocprim17ROCPRIM_400000_NS6detail17trampoline_kernelINS0_14default_configENS1_27lower_bound_config_selectorIjlEEZNS1_14transform_implILb0ES3_S5_N6thrust23THRUST_200600_302600_NS6detail15normal_iteratorINS8_7pointerIjNS8_11hip_rocprim5par_tENS8_11use_defaultESE_EEEENSA_INSB_IlSD_SE_SE_EEEEZNS1_13binary_searchIS3_S5_NSA_INS8_10device_ptrIjEEEESG_SI_NS1_21lower_bound_search_opENS9_16wrapped_functionINS8_6system6detail7generic6detail18binary_search_lessEbEEEE10hipError_tPvRmT1_T2_T3_mmT4_T5_P12ihipStream_tbEUlRKjE_EESV_SZ_S10_mS11_S14_bEUlT_E_NS1_11comp_targetILNS1_3genE3ELNS1_11target_archE908ELNS1_3gpuE7ELNS1_3repE0EEENS1_30default_config_static_selectorELNS0_4arch9wavefront6targetE1EEEvSY_.uses_flat_scratch, 0
	.set _ZN7rocprim17ROCPRIM_400000_NS6detail17trampoline_kernelINS0_14default_configENS1_27lower_bound_config_selectorIjlEEZNS1_14transform_implILb0ES3_S5_N6thrust23THRUST_200600_302600_NS6detail15normal_iteratorINS8_7pointerIjNS8_11hip_rocprim5par_tENS8_11use_defaultESE_EEEENSA_INSB_IlSD_SE_SE_EEEEZNS1_13binary_searchIS3_S5_NSA_INS8_10device_ptrIjEEEESG_SI_NS1_21lower_bound_search_opENS9_16wrapped_functionINS8_6system6detail7generic6detail18binary_search_lessEbEEEE10hipError_tPvRmT1_T2_T3_mmT4_T5_P12ihipStream_tbEUlRKjE_EESV_SZ_S10_mS11_S14_bEUlT_E_NS1_11comp_targetILNS1_3genE3ELNS1_11target_archE908ELNS1_3gpuE7ELNS1_3repE0EEENS1_30default_config_static_selectorELNS0_4arch9wavefront6targetE1EEEvSY_.has_dyn_sized_stack, 0
	.set _ZN7rocprim17ROCPRIM_400000_NS6detail17trampoline_kernelINS0_14default_configENS1_27lower_bound_config_selectorIjlEEZNS1_14transform_implILb0ES3_S5_N6thrust23THRUST_200600_302600_NS6detail15normal_iteratorINS8_7pointerIjNS8_11hip_rocprim5par_tENS8_11use_defaultESE_EEEENSA_INSB_IlSD_SE_SE_EEEEZNS1_13binary_searchIS3_S5_NSA_INS8_10device_ptrIjEEEESG_SI_NS1_21lower_bound_search_opENS9_16wrapped_functionINS8_6system6detail7generic6detail18binary_search_lessEbEEEE10hipError_tPvRmT1_T2_T3_mmT4_T5_P12ihipStream_tbEUlRKjE_EESV_SZ_S10_mS11_S14_bEUlT_E_NS1_11comp_targetILNS1_3genE3ELNS1_11target_archE908ELNS1_3gpuE7ELNS1_3repE0EEENS1_30default_config_static_selectorELNS0_4arch9wavefront6targetE1EEEvSY_.has_recursion, 0
	.set _ZN7rocprim17ROCPRIM_400000_NS6detail17trampoline_kernelINS0_14default_configENS1_27lower_bound_config_selectorIjlEEZNS1_14transform_implILb0ES3_S5_N6thrust23THRUST_200600_302600_NS6detail15normal_iteratorINS8_7pointerIjNS8_11hip_rocprim5par_tENS8_11use_defaultESE_EEEENSA_INSB_IlSD_SE_SE_EEEEZNS1_13binary_searchIS3_S5_NSA_INS8_10device_ptrIjEEEESG_SI_NS1_21lower_bound_search_opENS9_16wrapped_functionINS8_6system6detail7generic6detail18binary_search_lessEbEEEE10hipError_tPvRmT1_T2_T3_mmT4_T5_P12ihipStream_tbEUlRKjE_EESV_SZ_S10_mS11_S14_bEUlT_E_NS1_11comp_targetILNS1_3genE3ELNS1_11target_archE908ELNS1_3gpuE7ELNS1_3repE0EEENS1_30default_config_static_selectorELNS0_4arch9wavefront6targetE1EEEvSY_.has_indirect_call, 0
	.section	.AMDGPU.csdata,"",@progbits
; Kernel info:
; codeLenInByte = 0
; TotalNumSgprs: 4
; NumVgprs: 0
; ScratchSize: 0
; MemoryBound: 0
; FloatMode: 240
; IeeeMode: 1
; LDSByteSize: 0 bytes/workgroup (compile time only)
; SGPRBlocks: 0
; VGPRBlocks: 0
; NumSGPRsForWavesPerEU: 4
; NumVGPRsForWavesPerEU: 1
; Occupancy: 10
; WaveLimiterHint : 0
; COMPUTE_PGM_RSRC2:SCRATCH_EN: 0
; COMPUTE_PGM_RSRC2:USER_SGPR: 6
; COMPUTE_PGM_RSRC2:TRAP_HANDLER: 0
; COMPUTE_PGM_RSRC2:TGID_X_EN: 1
; COMPUTE_PGM_RSRC2:TGID_Y_EN: 0
; COMPUTE_PGM_RSRC2:TGID_Z_EN: 0
; COMPUTE_PGM_RSRC2:TIDIG_COMP_CNT: 0
	.section	.text._ZN7rocprim17ROCPRIM_400000_NS6detail17trampoline_kernelINS0_14default_configENS1_27lower_bound_config_selectorIjlEEZNS1_14transform_implILb0ES3_S5_N6thrust23THRUST_200600_302600_NS6detail15normal_iteratorINS8_7pointerIjNS8_11hip_rocprim5par_tENS8_11use_defaultESE_EEEENSA_INSB_IlSD_SE_SE_EEEEZNS1_13binary_searchIS3_S5_NSA_INS8_10device_ptrIjEEEESG_SI_NS1_21lower_bound_search_opENS9_16wrapped_functionINS8_6system6detail7generic6detail18binary_search_lessEbEEEE10hipError_tPvRmT1_T2_T3_mmT4_T5_P12ihipStream_tbEUlRKjE_EESV_SZ_S10_mS11_S14_bEUlT_E_NS1_11comp_targetILNS1_3genE2ELNS1_11target_archE906ELNS1_3gpuE6ELNS1_3repE0EEENS1_30default_config_static_selectorELNS0_4arch9wavefront6targetE1EEEvSY_,"axG",@progbits,_ZN7rocprim17ROCPRIM_400000_NS6detail17trampoline_kernelINS0_14default_configENS1_27lower_bound_config_selectorIjlEEZNS1_14transform_implILb0ES3_S5_N6thrust23THRUST_200600_302600_NS6detail15normal_iteratorINS8_7pointerIjNS8_11hip_rocprim5par_tENS8_11use_defaultESE_EEEENSA_INSB_IlSD_SE_SE_EEEEZNS1_13binary_searchIS3_S5_NSA_INS8_10device_ptrIjEEEESG_SI_NS1_21lower_bound_search_opENS9_16wrapped_functionINS8_6system6detail7generic6detail18binary_search_lessEbEEEE10hipError_tPvRmT1_T2_T3_mmT4_T5_P12ihipStream_tbEUlRKjE_EESV_SZ_S10_mS11_S14_bEUlT_E_NS1_11comp_targetILNS1_3genE2ELNS1_11target_archE906ELNS1_3gpuE6ELNS1_3repE0EEENS1_30default_config_static_selectorELNS0_4arch9wavefront6targetE1EEEvSY_,comdat
	.protected	_ZN7rocprim17ROCPRIM_400000_NS6detail17trampoline_kernelINS0_14default_configENS1_27lower_bound_config_selectorIjlEEZNS1_14transform_implILb0ES3_S5_N6thrust23THRUST_200600_302600_NS6detail15normal_iteratorINS8_7pointerIjNS8_11hip_rocprim5par_tENS8_11use_defaultESE_EEEENSA_INSB_IlSD_SE_SE_EEEEZNS1_13binary_searchIS3_S5_NSA_INS8_10device_ptrIjEEEESG_SI_NS1_21lower_bound_search_opENS9_16wrapped_functionINS8_6system6detail7generic6detail18binary_search_lessEbEEEE10hipError_tPvRmT1_T2_T3_mmT4_T5_P12ihipStream_tbEUlRKjE_EESV_SZ_S10_mS11_S14_bEUlT_E_NS1_11comp_targetILNS1_3genE2ELNS1_11target_archE906ELNS1_3gpuE6ELNS1_3repE0EEENS1_30default_config_static_selectorELNS0_4arch9wavefront6targetE1EEEvSY_ ; -- Begin function _ZN7rocprim17ROCPRIM_400000_NS6detail17trampoline_kernelINS0_14default_configENS1_27lower_bound_config_selectorIjlEEZNS1_14transform_implILb0ES3_S5_N6thrust23THRUST_200600_302600_NS6detail15normal_iteratorINS8_7pointerIjNS8_11hip_rocprim5par_tENS8_11use_defaultESE_EEEENSA_INSB_IlSD_SE_SE_EEEEZNS1_13binary_searchIS3_S5_NSA_INS8_10device_ptrIjEEEESG_SI_NS1_21lower_bound_search_opENS9_16wrapped_functionINS8_6system6detail7generic6detail18binary_search_lessEbEEEE10hipError_tPvRmT1_T2_T3_mmT4_T5_P12ihipStream_tbEUlRKjE_EESV_SZ_S10_mS11_S14_bEUlT_E_NS1_11comp_targetILNS1_3genE2ELNS1_11target_archE906ELNS1_3gpuE6ELNS1_3repE0EEENS1_30default_config_static_selectorELNS0_4arch9wavefront6targetE1EEEvSY_
	.globl	_ZN7rocprim17ROCPRIM_400000_NS6detail17trampoline_kernelINS0_14default_configENS1_27lower_bound_config_selectorIjlEEZNS1_14transform_implILb0ES3_S5_N6thrust23THRUST_200600_302600_NS6detail15normal_iteratorINS8_7pointerIjNS8_11hip_rocprim5par_tENS8_11use_defaultESE_EEEENSA_INSB_IlSD_SE_SE_EEEEZNS1_13binary_searchIS3_S5_NSA_INS8_10device_ptrIjEEEESG_SI_NS1_21lower_bound_search_opENS9_16wrapped_functionINS8_6system6detail7generic6detail18binary_search_lessEbEEEE10hipError_tPvRmT1_T2_T3_mmT4_T5_P12ihipStream_tbEUlRKjE_EESV_SZ_S10_mS11_S14_bEUlT_E_NS1_11comp_targetILNS1_3genE2ELNS1_11target_archE906ELNS1_3gpuE6ELNS1_3repE0EEENS1_30default_config_static_selectorELNS0_4arch9wavefront6targetE1EEEvSY_
	.p2align	8
	.type	_ZN7rocprim17ROCPRIM_400000_NS6detail17trampoline_kernelINS0_14default_configENS1_27lower_bound_config_selectorIjlEEZNS1_14transform_implILb0ES3_S5_N6thrust23THRUST_200600_302600_NS6detail15normal_iteratorINS8_7pointerIjNS8_11hip_rocprim5par_tENS8_11use_defaultESE_EEEENSA_INSB_IlSD_SE_SE_EEEEZNS1_13binary_searchIS3_S5_NSA_INS8_10device_ptrIjEEEESG_SI_NS1_21lower_bound_search_opENS9_16wrapped_functionINS8_6system6detail7generic6detail18binary_search_lessEbEEEE10hipError_tPvRmT1_T2_T3_mmT4_T5_P12ihipStream_tbEUlRKjE_EESV_SZ_S10_mS11_S14_bEUlT_E_NS1_11comp_targetILNS1_3genE2ELNS1_11target_archE906ELNS1_3gpuE6ELNS1_3repE0EEENS1_30default_config_static_selectorELNS0_4arch9wavefront6targetE1EEEvSY_,@function
_ZN7rocprim17ROCPRIM_400000_NS6detail17trampoline_kernelINS0_14default_configENS1_27lower_bound_config_selectorIjlEEZNS1_14transform_implILb0ES3_S5_N6thrust23THRUST_200600_302600_NS6detail15normal_iteratorINS8_7pointerIjNS8_11hip_rocprim5par_tENS8_11use_defaultESE_EEEENSA_INSB_IlSD_SE_SE_EEEEZNS1_13binary_searchIS3_S5_NSA_INS8_10device_ptrIjEEEESG_SI_NS1_21lower_bound_search_opENS9_16wrapped_functionINS8_6system6detail7generic6detail18binary_search_lessEbEEEE10hipError_tPvRmT1_T2_T3_mmT4_T5_P12ihipStream_tbEUlRKjE_EESV_SZ_S10_mS11_S14_bEUlT_E_NS1_11comp_targetILNS1_3genE2ELNS1_11target_archE906ELNS1_3gpuE6ELNS1_3repE0EEENS1_30default_config_static_selectorELNS0_4arch9wavefront6targetE1EEEvSY_: ; @_ZN7rocprim17ROCPRIM_400000_NS6detail17trampoline_kernelINS0_14default_configENS1_27lower_bound_config_selectorIjlEEZNS1_14transform_implILb0ES3_S5_N6thrust23THRUST_200600_302600_NS6detail15normal_iteratorINS8_7pointerIjNS8_11hip_rocprim5par_tENS8_11use_defaultESE_EEEENSA_INSB_IlSD_SE_SE_EEEEZNS1_13binary_searchIS3_S5_NSA_INS8_10device_ptrIjEEEESG_SI_NS1_21lower_bound_search_opENS9_16wrapped_functionINS8_6system6detail7generic6detail18binary_search_lessEbEEEE10hipError_tPvRmT1_T2_T3_mmT4_T5_P12ihipStream_tbEUlRKjE_EESV_SZ_S10_mS11_S14_bEUlT_E_NS1_11comp_targetILNS1_3genE2ELNS1_11target_archE906ELNS1_3gpuE6ELNS1_3repE0EEENS1_30default_config_static_selectorELNS0_4arch9wavefront6targetE1EEEvSY_
; %bb.0:
	s_load_dwordx4 s[16:19], s[4:5], 0x0
	s_load_dwordx4 s[8:11], s[4:5], 0x18
	s_load_dwordx2 s[12:13], s[4:5], 0x28
	s_load_dword s15, s[4:5], 0x38
	s_waitcnt lgkmcnt(0)
	s_lshl_b64 s[0:1], s[18:19], 2
	s_add_u32 s2, s16, s0
	s_addc_u32 s3, s17, s1
	s_lshl_b64 s[0:1], s[18:19], 3
	s_add_u32 s7, s8, s0
	s_addc_u32 s14, s9, s1
	s_lshl_b32 s8, s6, 8
	s_add_i32 s15, s15, -1
	s_mov_b32 s9, 0
	s_cmp_lg_u32 s6, s15
	s_mov_b64 s[0:1], -1
	s_cbranch_scc0 .LBB371_7
; %bb.1:
	s_cmp_eq_u64 s[12:13], 0
	s_mov_b64 s[0:1], 0
	s_cbranch_scc1 .LBB371_5
; %bb.2:
	s_lshl_b64 s[16:17], s[8:9], 2
	s_add_u32 s6, s2, s16
	s_addc_u32 s15, s3, s17
	v_lshlrev_b32_e32 v1, 2, v0
	v_mov_b32_e32 v2, s15
	v_add_co_u32_e32 v1, vcc, s6, v1
	v_addc_co_u32_e32 v2, vcc, 0, v2, vcc
	flat_load_dword v5, v[1:2]
	v_mov_b32_e32 v1, 0
	v_mov_b32_e32 v3, s12
	;; [unrolled: 1-line block ×5, first 2 shown]
.LBB371_3:                              ; =>This Inner Loop Header: Depth=1
	v_sub_co_u32_e32 v7, vcc, v3, v1
	v_subb_co_u32_e32 v8, vcc, v4, v2, vcc
	v_lshrrev_b64 v[9:10], 1, v[7:8]
	v_lshrrev_b64 v[7:8], 6, v[7:8]
	v_add_co_u32_e32 v9, vcc, v9, v1
	v_addc_co_u32_e32 v10, vcc, v10, v2, vcc
	v_add_co_u32_e32 v7, vcc, v9, v7
	v_addc_co_u32_e32 v8, vcc, v10, v8, vcc
	v_lshlrev_b64 v[9:10], 2, v[7:8]
	v_add_co_u32_e32 v9, vcc, s10, v9
	v_addc_co_u32_e32 v10, vcc, v6, v10, vcc
	global_load_dword v9, v[9:10], off
	v_add_co_u32_e32 v10, vcc, 1, v7
	v_addc_co_u32_e32 v11, vcc, 0, v8, vcc
	s_waitcnt vmcnt(0) lgkmcnt(0)
	v_cmp_lt_u32_e32 vcc, v9, v5
	v_cndmask_b32_e32 v4, v8, v4, vcc
	v_cndmask_b32_e32 v3, v7, v3, vcc
	;; [unrolled: 1-line block ×4, first 2 shown]
	v_cmp_ge_u64_e32 vcc, v[1:2], v[3:4]
	s_or_b64 s[0:1], vcc, s[0:1]
	s_andn2_b64 exec, exec, s[0:1]
	s_cbranch_execnz .LBB371_3
; %bb.4:
	s_or_b64 exec, exec, s[0:1]
	s_branch .LBB371_6
.LBB371_5:
	v_mov_b32_e32 v1, 0
	v_mov_b32_e32 v2, 0
.LBB371_6:
	s_lshl_b64 s[0:1], s[8:9], 3
	s_add_u32 s0, s7, s0
	s_addc_u32 s1, s14, s1
	v_lshlrev_b32_e32 v3, 3, v0
	v_mov_b32_e32 v4, s1
	v_add_co_u32_e32 v3, vcc, s0, v3
	v_addc_co_u32_e32 v4, vcc, 0, v4, vcc
	s_mov_b64 s[0:1], 0
	flat_store_dwordx2 v[3:4], v[1:2]
.LBB371_7:
	s_and_b64 vcc, exec, s[0:1]
	s_cbranch_vccz .LBB371_16
; %bb.8:
	s_load_dword s0, s[4:5], 0x10
                                        ; implicit-def: $vgpr5
	s_waitcnt lgkmcnt(0)
	s_sub_i32 s4, s0, s8
	v_cmp_le_u32_e64 s[0:1], s4, v0
	v_cmp_gt_u32_e32 vcc, s4, v0
	s_and_saveexec_b64 s[4:5], vcc
	s_cbranch_execz .LBB371_10
; %bb.9:
	s_lshl_b64 s[16:17], s[8:9], 2
	s_add_u32 s2, s2, s16
	s_addc_u32 s3, s3, s17
	v_lshlrev_b32_e32 v1, 2, v0
	v_mov_b32_e32 v2, s3
	v_add_co_u32_e64 v1, s[2:3], s2, v1
	v_addc_co_u32_e64 v2, s[2:3], 0, v2, s[2:3]
	flat_load_dword v5, v[1:2]
.LBB371_10:
	s_or_b64 exec, exec, s[4:5]
	s_cmp_lg_u64 s[12:13], 0
	s_cselect_b64 s[4:5], -1, 0
	s_xor_b64 s[0:1], s[0:1], -1
	v_mov_b32_e32 v1, 0
	s_mov_b64 s[2:3], 0
	v_mov_b32_e32 v2, 0
	s_and_b64 s[0:1], s[0:1], s[4:5]
	s_and_saveexec_b64 s[4:5], s[0:1]
	s_cbranch_execz .LBB371_14
; %bb.11:
	v_mov_b32_e32 v1, 0
	v_mov_b32_e32 v3, s12
	;; [unrolled: 1-line block ×5, first 2 shown]
.LBB371_12:                             ; =>This Inner Loop Header: Depth=1
	v_sub_co_u32_e64 v7, s[0:1], v3, v1
	v_subb_co_u32_e64 v8, s[0:1], v4, v2, s[0:1]
	v_lshrrev_b64 v[9:10], 1, v[7:8]
	v_lshrrev_b64 v[7:8], 6, v[7:8]
	v_add_co_u32_e64 v9, s[0:1], v9, v1
	v_addc_co_u32_e64 v10, s[0:1], v10, v2, s[0:1]
	v_add_co_u32_e64 v7, s[0:1], v9, v7
	v_addc_co_u32_e64 v8, s[0:1], v10, v8, s[0:1]
	v_lshlrev_b64 v[9:10], 2, v[7:8]
	v_add_co_u32_e64 v9, s[0:1], s10, v9
	v_addc_co_u32_e64 v10, s[0:1], v6, v10, s[0:1]
	global_load_dword v9, v[9:10], off
	v_add_co_u32_e64 v10, s[0:1], 1, v7
	v_addc_co_u32_e64 v11, s[0:1], 0, v8, s[0:1]
	s_waitcnt vmcnt(0) lgkmcnt(0)
	v_cmp_lt_u32_e64 s[0:1], v9, v5
	v_cndmask_b32_e64 v4, v8, v4, s[0:1]
	v_cndmask_b32_e64 v3, v7, v3, s[0:1]
	;; [unrolled: 1-line block ×4, first 2 shown]
	v_cmp_ge_u64_e64 s[0:1], v[1:2], v[3:4]
	s_or_b64 s[2:3], s[0:1], s[2:3]
	s_andn2_b64 exec, exec, s[2:3]
	s_cbranch_execnz .LBB371_12
; %bb.13:
	s_or_b64 exec, exec, s[2:3]
.LBB371_14:
	s_or_b64 exec, exec, s[4:5]
	s_and_saveexec_b64 s[0:1], vcc
	s_cbranch_execz .LBB371_16
; %bb.15:
	s_lshl_b64 s[0:1], s[8:9], 3
	s_add_u32 s0, s7, s0
	s_addc_u32 s1, s14, s1
	v_lshlrev_b32_e32 v0, 3, v0
	v_mov_b32_e32 v4, s1
	v_add_co_u32_e32 v3, vcc, s0, v0
	v_addc_co_u32_e32 v4, vcc, 0, v4, vcc
	flat_store_dwordx2 v[3:4], v[1:2]
.LBB371_16:
	s_endpgm
	.section	.rodata,"a",@progbits
	.p2align	6, 0x0
	.amdhsa_kernel _ZN7rocprim17ROCPRIM_400000_NS6detail17trampoline_kernelINS0_14default_configENS1_27lower_bound_config_selectorIjlEEZNS1_14transform_implILb0ES3_S5_N6thrust23THRUST_200600_302600_NS6detail15normal_iteratorINS8_7pointerIjNS8_11hip_rocprim5par_tENS8_11use_defaultESE_EEEENSA_INSB_IlSD_SE_SE_EEEEZNS1_13binary_searchIS3_S5_NSA_INS8_10device_ptrIjEEEESG_SI_NS1_21lower_bound_search_opENS9_16wrapped_functionINS8_6system6detail7generic6detail18binary_search_lessEbEEEE10hipError_tPvRmT1_T2_T3_mmT4_T5_P12ihipStream_tbEUlRKjE_EESV_SZ_S10_mS11_S14_bEUlT_E_NS1_11comp_targetILNS1_3genE2ELNS1_11target_archE906ELNS1_3gpuE6ELNS1_3repE0EEENS1_30default_config_static_selectorELNS0_4arch9wavefront6targetE1EEEvSY_
		.amdhsa_group_segment_fixed_size 0
		.amdhsa_private_segment_fixed_size 0
		.amdhsa_kernarg_size 312
		.amdhsa_user_sgpr_count 6
		.amdhsa_user_sgpr_private_segment_buffer 1
		.amdhsa_user_sgpr_dispatch_ptr 0
		.amdhsa_user_sgpr_queue_ptr 0
		.amdhsa_user_sgpr_kernarg_segment_ptr 1
		.amdhsa_user_sgpr_dispatch_id 0
		.amdhsa_user_sgpr_flat_scratch_init 0
		.amdhsa_user_sgpr_private_segment_size 0
		.amdhsa_uses_dynamic_stack 0
		.amdhsa_system_sgpr_private_segment_wavefront_offset 0
		.amdhsa_system_sgpr_workgroup_id_x 1
		.amdhsa_system_sgpr_workgroup_id_y 0
		.amdhsa_system_sgpr_workgroup_id_z 0
		.amdhsa_system_sgpr_workgroup_info 0
		.amdhsa_system_vgpr_workitem_id 0
		.amdhsa_next_free_vgpr 12
		.amdhsa_next_free_sgpr 20
		.amdhsa_reserve_vcc 1
		.amdhsa_reserve_flat_scratch 0
		.amdhsa_float_round_mode_32 0
		.amdhsa_float_round_mode_16_64 0
		.amdhsa_float_denorm_mode_32 3
		.amdhsa_float_denorm_mode_16_64 3
		.amdhsa_dx10_clamp 1
		.amdhsa_ieee_mode 1
		.amdhsa_fp16_overflow 0
		.amdhsa_exception_fp_ieee_invalid_op 0
		.amdhsa_exception_fp_denorm_src 0
		.amdhsa_exception_fp_ieee_div_zero 0
		.amdhsa_exception_fp_ieee_overflow 0
		.amdhsa_exception_fp_ieee_underflow 0
		.amdhsa_exception_fp_ieee_inexact 0
		.amdhsa_exception_int_div_zero 0
	.end_amdhsa_kernel
	.section	.text._ZN7rocprim17ROCPRIM_400000_NS6detail17trampoline_kernelINS0_14default_configENS1_27lower_bound_config_selectorIjlEEZNS1_14transform_implILb0ES3_S5_N6thrust23THRUST_200600_302600_NS6detail15normal_iteratorINS8_7pointerIjNS8_11hip_rocprim5par_tENS8_11use_defaultESE_EEEENSA_INSB_IlSD_SE_SE_EEEEZNS1_13binary_searchIS3_S5_NSA_INS8_10device_ptrIjEEEESG_SI_NS1_21lower_bound_search_opENS9_16wrapped_functionINS8_6system6detail7generic6detail18binary_search_lessEbEEEE10hipError_tPvRmT1_T2_T3_mmT4_T5_P12ihipStream_tbEUlRKjE_EESV_SZ_S10_mS11_S14_bEUlT_E_NS1_11comp_targetILNS1_3genE2ELNS1_11target_archE906ELNS1_3gpuE6ELNS1_3repE0EEENS1_30default_config_static_selectorELNS0_4arch9wavefront6targetE1EEEvSY_,"axG",@progbits,_ZN7rocprim17ROCPRIM_400000_NS6detail17trampoline_kernelINS0_14default_configENS1_27lower_bound_config_selectorIjlEEZNS1_14transform_implILb0ES3_S5_N6thrust23THRUST_200600_302600_NS6detail15normal_iteratorINS8_7pointerIjNS8_11hip_rocprim5par_tENS8_11use_defaultESE_EEEENSA_INSB_IlSD_SE_SE_EEEEZNS1_13binary_searchIS3_S5_NSA_INS8_10device_ptrIjEEEESG_SI_NS1_21lower_bound_search_opENS9_16wrapped_functionINS8_6system6detail7generic6detail18binary_search_lessEbEEEE10hipError_tPvRmT1_T2_T3_mmT4_T5_P12ihipStream_tbEUlRKjE_EESV_SZ_S10_mS11_S14_bEUlT_E_NS1_11comp_targetILNS1_3genE2ELNS1_11target_archE906ELNS1_3gpuE6ELNS1_3repE0EEENS1_30default_config_static_selectorELNS0_4arch9wavefront6targetE1EEEvSY_,comdat
.Lfunc_end371:
	.size	_ZN7rocprim17ROCPRIM_400000_NS6detail17trampoline_kernelINS0_14default_configENS1_27lower_bound_config_selectorIjlEEZNS1_14transform_implILb0ES3_S5_N6thrust23THRUST_200600_302600_NS6detail15normal_iteratorINS8_7pointerIjNS8_11hip_rocprim5par_tENS8_11use_defaultESE_EEEENSA_INSB_IlSD_SE_SE_EEEEZNS1_13binary_searchIS3_S5_NSA_INS8_10device_ptrIjEEEESG_SI_NS1_21lower_bound_search_opENS9_16wrapped_functionINS8_6system6detail7generic6detail18binary_search_lessEbEEEE10hipError_tPvRmT1_T2_T3_mmT4_T5_P12ihipStream_tbEUlRKjE_EESV_SZ_S10_mS11_S14_bEUlT_E_NS1_11comp_targetILNS1_3genE2ELNS1_11target_archE906ELNS1_3gpuE6ELNS1_3repE0EEENS1_30default_config_static_selectorELNS0_4arch9wavefront6targetE1EEEvSY_, .Lfunc_end371-_ZN7rocprim17ROCPRIM_400000_NS6detail17trampoline_kernelINS0_14default_configENS1_27lower_bound_config_selectorIjlEEZNS1_14transform_implILb0ES3_S5_N6thrust23THRUST_200600_302600_NS6detail15normal_iteratorINS8_7pointerIjNS8_11hip_rocprim5par_tENS8_11use_defaultESE_EEEENSA_INSB_IlSD_SE_SE_EEEEZNS1_13binary_searchIS3_S5_NSA_INS8_10device_ptrIjEEEESG_SI_NS1_21lower_bound_search_opENS9_16wrapped_functionINS8_6system6detail7generic6detail18binary_search_lessEbEEEE10hipError_tPvRmT1_T2_T3_mmT4_T5_P12ihipStream_tbEUlRKjE_EESV_SZ_S10_mS11_S14_bEUlT_E_NS1_11comp_targetILNS1_3genE2ELNS1_11target_archE906ELNS1_3gpuE6ELNS1_3repE0EEENS1_30default_config_static_selectorELNS0_4arch9wavefront6targetE1EEEvSY_
                                        ; -- End function
	.set _ZN7rocprim17ROCPRIM_400000_NS6detail17trampoline_kernelINS0_14default_configENS1_27lower_bound_config_selectorIjlEEZNS1_14transform_implILb0ES3_S5_N6thrust23THRUST_200600_302600_NS6detail15normal_iteratorINS8_7pointerIjNS8_11hip_rocprim5par_tENS8_11use_defaultESE_EEEENSA_INSB_IlSD_SE_SE_EEEEZNS1_13binary_searchIS3_S5_NSA_INS8_10device_ptrIjEEEESG_SI_NS1_21lower_bound_search_opENS9_16wrapped_functionINS8_6system6detail7generic6detail18binary_search_lessEbEEEE10hipError_tPvRmT1_T2_T3_mmT4_T5_P12ihipStream_tbEUlRKjE_EESV_SZ_S10_mS11_S14_bEUlT_E_NS1_11comp_targetILNS1_3genE2ELNS1_11target_archE906ELNS1_3gpuE6ELNS1_3repE0EEENS1_30default_config_static_selectorELNS0_4arch9wavefront6targetE1EEEvSY_.num_vgpr, 12
	.set _ZN7rocprim17ROCPRIM_400000_NS6detail17trampoline_kernelINS0_14default_configENS1_27lower_bound_config_selectorIjlEEZNS1_14transform_implILb0ES3_S5_N6thrust23THRUST_200600_302600_NS6detail15normal_iteratorINS8_7pointerIjNS8_11hip_rocprim5par_tENS8_11use_defaultESE_EEEENSA_INSB_IlSD_SE_SE_EEEEZNS1_13binary_searchIS3_S5_NSA_INS8_10device_ptrIjEEEESG_SI_NS1_21lower_bound_search_opENS9_16wrapped_functionINS8_6system6detail7generic6detail18binary_search_lessEbEEEE10hipError_tPvRmT1_T2_T3_mmT4_T5_P12ihipStream_tbEUlRKjE_EESV_SZ_S10_mS11_S14_bEUlT_E_NS1_11comp_targetILNS1_3genE2ELNS1_11target_archE906ELNS1_3gpuE6ELNS1_3repE0EEENS1_30default_config_static_selectorELNS0_4arch9wavefront6targetE1EEEvSY_.num_agpr, 0
	.set _ZN7rocprim17ROCPRIM_400000_NS6detail17trampoline_kernelINS0_14default_configENS1_27lower_bound_config_selectorIjlEEZNS1_14transform_implILb0ES3_S5_N6thrust23THRUST_200600_302600_NS6detail15normal_iteratorINS8_7pointerIjNS8_11hip_rocprim5par_tENS8_11use_defaultESE_EEEENSA_INSB_IlSD_SE_SE_EEEEZNS1_13binary_searchIS3_S5_NSA_INS8_10device_ptrIjEEEESG_SI_NS1_21lower_bound_search_opENS9_16wrapped_functionINS8_6system6detail7generic6detail18binary_search_lessEbEEEE10hipError_tPvRmT1_T2_T3_mmT4_T5_P12ihipStream_tbEUlRKjE_EESV_SZ_S10_mS11_S14_bEUlT_E_NS1_11comp_targetILNS1_3genE2ELNS1_11target_archE906ELNS1_3gpuE6ELNS1_3repE0EEENS1_30default_config_static_selectorELNS0_4arch9wavefront6targetE1EEEvSY_.numbered_sgpr, 20
	.set _ZN7rocprim17ROCPRIM_400000_NS6detail17trampoline_kernelINS0_14default_configENS1_27lower_bound_config_selectorIjlEEZNS1_14transform_implILb0ES3_S5_N6thrust23THRUST_200600_302600_NS6detail15normal_iteratorINS8_7pointerIjNS8_11hip_rocprim5par_tENS8_11use_defaultESE_EEEENSA_INSB_IlSD_SE_SE_EEEEZNS1_13binary_searchIS3_S5_NSA_INS8_10device_ptrIjEEEESG_SI_NS1_21lower_bound_search_opENS9_16wrapped_functionINS8_6system6detail7generic6detail18binary_search_lessEbEEEE10hipError_tPvRmT1_T2_T3_mmT4_T5_P12ihipStream_tbEUlRKjE_EESV_SZ_S10_mS11_S14_bEUlT_E_NS1_11comp_targetILNS1_3genE2ELNS1_11target_archE906ELNS1_3gpuE6ELNS1_3repE0EEENS1_30default_config_static_selectorELNS0_4arch9wavefront6targetE1EEEvSY_.num_named_barrier, 0
	.set _ZN7rocprim17ROCPRIM_400000_NS6detail17trampoline_kernelINS0_14default_configENS1_27lower_bound_config_selectorIjlEEZNS1_14transform_implILb0ES3_S5_N6thrust23THRUST_200600_302600_NS6detail15normal_iteratorINS8_7pointerIjNS8_11hip_rocprim5par_tENS8_11use_defaultESE_EEEENSA_INSB_IlSD_SE_SE_EEEEZNS1_13binary_searchIS3_S5_NSA_INS8_10device_ptrIjEEEESG_SI_NS1_21lower_bound_search_opENS9_16wrapped_functionINS8_6system6detail7generic6detail18binary_search_lessEbEEEE10hipError_tPvRmT1_T2_T3_mmT4_T5_P12ihipStream_tbEUlRKjE_EESV_SZ_S10_mS11_S14_bEUlT_E_NS1_11comp_targetILNS1_3genE2ELNS1_11target_archE906ELNS1_3gpuE6ELNS1_3repE0EEENS1_30default_config_static_selectorELNS0_4arch9wavefront6targetE1EEEvSY_.private_seg_size, 0
	.set _ZN7rocprim17ROCPRIM_400000_NS6detail17trampoline_kernelINS0_14default_configENS1_27lower_bound_config_selectorIjlEEZNS1_14transform_implILb0ES3_S5_N6thrust23THRUST_200600_302600_NS6detail15normal_iteratorINS8_7pointerIjNS8_11hip_rocprim5par_tENS8_11use_defaultESE_EEEENSA_INSB_IlSD_SE_SE_EEEEZNS1_13binary_searchIS3_S5_NSA_INS8_10device_ptrIjEEEESG_SI_NS1_21lower_bound_search_opENS9_16wrapped_functionINS8_6system6detail7generic6detail18binary_search_lessEbEEEE10hipError_tPvRmT1_T2_T3_mmT4_T5_P12ihipStream_tbEUlRKjE_EESV_SZ_S10_mS11_S14_bEUlT_E_NS1_11comp_targetILNS1_3genE2ELNS1_11target_archE906ELNS1_3gpuE6ELNS1_3repE0EEENS1_30default_config_static_selectorELNS0_4arch9wavefront6targetE1EEEvSY_.uses_vcc, 1
	.set _ZN7rocprim17ROCPRIM_400000_NS6detail17trampoline_kernelINS0_14default_configENS1_27lower_bound_config_selectorIjlEEZNS1_14transform_implILb0ES3_S5_N6thrust23THRUST_200600_302600_NS6detail15normal_iteratorINS8_7pointerIjNS8_11hip_rocprim5par_tENS8_11use_defaultESE_EEEENSA_INSB_IlSD_SE_SE_EEEEZNS1_13binary_searchIS3_S5_NSA_INS8_10device_ptrIjEEEESG_SI_NS1_21lower_bound_search_opENS9_16wrapped_functionINS8_6system6detail7generic6detail18binary_search_lessEbEEEE10hipError_tPvRmT1_T2_T3_mmT4_T5_P12ihipStream_tbEUlRKjE_EESV_SZ_S10_mS11_S14_bEUlT_E_NS1_11comp_targetILNS1_3genE2ELNS1_11target_archE906ELNS1_3gpuE6ELNS1_3repE0EEENS1_30default_config_static_selectorELNS0_4arch9wavefront6targetE1EEEvSY_.uses_flat_scratch, 0
	.set _ZN7rocprim17ROCPRIM_400000_NS6detail17trampoline_kernelINS0_14default_configENS1_27lower_bound_config_selectorIjlEEZNS1_14transform_implILb0ES3_S5_N6thrust23THRUST_200600_302600_NS6detail15normal_iteratorINS8_7pointerIjNS8_11hip_rocprim5par_tENS8_11use_defaultESE_EEEENSA_INSB_IlSD_SE_SE_EEEEZNS1_13binary_searchIS3_S5_NSA_INS8_10device_ptrIjEEEESG_SI_NS1_21lower_bound_search_opENS9_16wrapped_functionINS8_6system6detail7generic6detail18binary_search_lessEbEEEE10hipError_tPvRmT1_T2_T3_mmT4_T5_P12ihipStream_tbEUlRKjE_EESV_SZ_S10_mS11_S14_bEUlT_E_NS1_11comp_targetILNS1_3genE2ELNS1_11target_archE906ELNS1_3gpuE6ELNS1_3repE0EEENS1_30default_config_static_selectorELNS0_4arch9wavefront6targetE1EEEvSY_.has_dyn_sized_stack, 0
	.set _ZN7rocprim17ROCPRIM_400000_NS6detail17trampoline_kernelINS0_14default_configENS1_27lower_bound_config_selectorIjlEEZNS1_14transform_implILb0ES3_S5_N6thrust23THRUST_200600_302600_NS6detail15normal_iteratorINS8_7pointerIjNS8_11hip_rocprim5par_tENS8_11use_defaultESE_EEEENSA_INSB_IlSD_SE_SE_EEEEZNS1_13binary_searchIS3_S5_NSA_INS8_10device_ptrIjEEEESG_SI_NS1_21lower_bound_search_opENS9_16wrapped_functionINS8_6system6detail7generic6detail18binary_search_lessEbEEEE10hipError_tPvRmT1_T2_T3_mmT4_T5_P12ihipStream_tbEUlRKjE_EESV_SZ_S10_mS11_S14_bEUlT_E_NS1_11comp_targetILNS1_3genE2ELNS1_11target_archE906ELNS1_3gpuE6ELNS1_3repE0EEENS1_30default_config_static_selectorELNS0_4arch9wavefront6targetE1EEEvSY_.has_recursion, 0
	.set _ZN7rocprim17ROCPRIM_400000_NS6detail17trampoline_kernelINS0_14default_configENS1_27lower_bound_config_selectorIjlEEZNS1_14transform_implILb0ES3_S5_N6thrust23THRUST_200600_302600_NS6detail15normal_iteratorINS8_7pointerIjNS8_11hip_rocprim5par_tENS8_11use_defaultESE_EEEENSA_INSB_IlSD_SE_SE_EEEEZNS1_13binary_searchIS3_S5_NSA_INS8_10device_ptrIjEEEESG_SI_NS1_21lower_bound_search_opENS9_16wrapped_functionINS8_6system6detail7generic6detail18binary_search_lessEbEEEE10hipError_tPvRmT1_T2_T3_mmT4_T5_P12ihipStream_tbEUlRKjE_EESV_SZ_S10_mS11_S14_bEUlT_E_NS1_11comp_targetILNS1_3genE2ELNS1_11target_archE906ELNS1_3gpuE6ELNS1_3repE0EEENS1_30default_config_static_selectorELNS0_4arch9wavefront6targetE1EEEvSY_.has_indirect_call, 0
	.section	.AMDGPU.csdata,"",@progbits
; Kernel info:
; codeLenInByte = 700
; TotalNumSgprs: 24
; NumVgprs: 12
; ScratchSize: 0
; MemoryBound: 0
; FloatMode: 240
; IeeeMode: 1
; LDSByteSize: 0 bytes/workgroup (compile time only)
; SGPRBlocks: 2
; VGPRBlocks: 2
; NumSGPRsForWavesPerEU: 24
; NumVGPRsForWavesPerEU: 12
; Occupancy: 10
; WaveLimiterHint : 0
; COMPUTE_PGM_RSRC2:SCRATCH_EN: 0
; COMPUTE_PGM_RSRC2:USER_SGPR: 6
; COMPUTE_PGM_RSRC2:TRAP_HANDLER: 0
; COMPUTE_PGM_RSRC2:TGID_X_EN: 1
; COMPUTE_PGM_RSRC2:TGID_Y_EN: 0
; COMPUTE_PGM_RSRC2:TGID_Z_EN: 0
; COMPUTE_PGM_RSRC2:TIDIG_COMP_CNT: 0
	.section	.text._ZN7rocprim17ROCPRIM_400000_NS6detail17trampoline_kernelINS0_14default_configENS1_27lower_bound_config_selectorIjlEEZNS1_14transform_implILb0ES3_S5_N6thrust23THRUST_200600_302600_NS6detail15normal_iteratorINS8_7pointerIjNS8_11hip_rocprim5par_tENS8_11use_defaultESE_EEEENSA_INSB_IlSD_SE_SE_EEEEZNS1_13binary_searchIS3_S5_NSA_INS8_10device_ptrIjEEEESG_SI_NS1_21lower_bound_search_opENS9_16wrapped_functionINS8_6system6detail7generic6detail18binary_search_lessEbEEEE10hipError_tPvRmT1_T2_T3_mmT4_T5_P12ihipStream_tbEUlRKjE_EESV_SZ_S10_mS11_S14_bEUlT_E_NS1_11comp_targetILNS1_3genE10ELNS1_11target_archE1201ELNS1_3gpuE5ELNS1_3repE0EEENS1_30default_config_static_selectorELNS0_4arch9wavefront6targetE1EEEvSY_,"axG",@progbits,_ZN7rocprim17ROCPRIM_400000_NS6detail17trampoline_kernelINS0_14default_configENS1_27lower_bound_config_selectorIjlEEZNS1_14transform_implILb0ES3_S5_N6thrust23THRUST_200600_302600_NS6detail15normal_iteratorINS8_7pointerIjNS8_11hip_rocprim5par_tENS8_11use_defaultESE_EEEENSA_INSB_IlSD_SE_SE_EEEEZNS1_13binary_searchIS3_S5_NSA_INS8_10device_ptrIjEEEESG_SI_NS1_21lower_bound_search_opENS9_16wrapped_functionINS8_6system6detail7generic6detail18binary_search_lessEbEEEE10hipError_tPvRmT1_T2_T3_mmT4_T5_P12ihipStream_tbEUlRKjE_EESV_SZ_S10_mS11_S14_bEUlT_E_NS1_11comp_targetILNS1_3genE10ELNS1_11target_archE1201ELNS1_3gpuE5ELNS1_3repE0EEENS1_30default_config_static_selectorELNS0_4arch9wavefront6targetE1EEEvSY_,comdat
	.protected	_ZN7rocprim17ROCPRIM_400000_NS6detail17trampoline_kernelINS0_14default_configENS1_27lower_bound_config_selectorIjlEEZNS1_14transform_implILb0ES3_S5_N6thrust23THRUST_200600_302600_NS6detail15normal_iteratorINS8_7pointerIjNS8_11hip_rocprim5par_tENS8_11use_defaultESE_EEEENSA_INSB_IlSD_SE_SE_EEEEZNS1_13binary_searchIS3_S5_NSA_INS8_10device_ptrIjEEEESG_SI_NS1_21lower_bound_search_opENS9_16wrapped_functionINS8_6system6detail7generic6detail18binary_search_lessEbEEEE10hipError_tPvRmT1_T2_T3_mmT4_T5_P12ihipStream_tbEUlRKjE_EESV_SZ_S10_mS11_S14_bEUlT_E_NS1_11comp_targetILNS1_3genE10ELNS1_11target_archE1201ELNS1_3gpuE5ELNS1_3repE0EEENS1_30default_config_static_selectorELNS0_4arch9wavefront6targetE1EEEvSY_ ; -- Begin function _ZN7rocprim17ROCPRIM_400000_NS6detail17trampoline_kernelINS0_14default_configENS1_27lower_bound_config_selectorIjlEEZNS1_14transform_implILb0ES3_S5_N6thrust23THRUST_200600_302600_NS6detail15normal_iteratorINS8_7pointerIjNS8_11hip_rocprim5par_tENS8_11use_defaultESE_EEEENSA_INSB_IlSD_SE_SE_EEEEZNS1_13binary_searchIS3_S5_NSA_INS8_10device_ptrIjEEEESG_SI_NS1_21lower_bound_search_opENS9_16wrapped_functionINS8_6system6detail7generic6detail18binary_search_lessEbEEEE10hipError_tPvRmT1_T2_T3_mmT4_T5_P12ihipStream_tbEUlRKjE_EESV_SZ_S10_mS11_S14_bEUlT_E_NS1_11comp_targetILNS1_3genE10ELNS1_11target_archE1201ELNS1_3gpuE5ELNS1_3repE0EEENS1_30default_config_static_selectorELNS0_4arch9wavefront6targetE1EEEvSY_
	.globl	_ZN7rocprim17ROCPRIM_400000_NS6detail17trampoline_kernelINS0_14default_configENS1_27lower_bound_config_selectorIjlEEZNS1_14transform_implILb0ES3_S5_N6thrust23THRUST_200600_302600_NS6detail15normal_iteratorINS8_7pointerIjNS8_11hip_rocprim5par_tENS8_11use_defaultESE_EEEENSA_INSB_IlSD_SE_SE_EEEEZNS1_13binary_searchIS3_S5_NSA_INS8_10device_ptrIjEEEESG_SI_NS1_21lower_bound_search_opENS9_16wrapped_functionINS8_6system6detail7generic6detail18binary_search_lessEbEEEE10hipError_tPvRmT1_T2_T3_mmT4_T5_P12ihipStream_tbEUlRKjE_EESV_SZ_S10_mS11_S14_bEUlT_E_NS1_11comp_targetILNS1_3genE10ELNS1_11target_archE1201ELNS1_3gpuE5ELNS1_3repE0EEENS1_30default_config_static_selectorELNS0_4arch9wavefront6targetE1EEEvSY_
	.p2align	8
	.type	_ZN7rocprim17ROCPRIM_400000_NS6detail17trampoline_kernelINS0_14default_configENS1_27lower_bound_config_selectorIjlEEZNS1_14transform_implILb0ES3_S5_N6thrust23THRUST_200600_302600_NS6detail15normal_iteratorINS8_7pointerIjNS8_11hip_rocprim5par_tENS8_11use_defaultESE_EEEENSA_INSB_IlSD_SE_SE_EEEEZNS1_13binary_searchIS3_S5_NSA_INS8_10device_ptrIjEEEESG_SI_NS1_21lower_bound_search_opENS9_16wrapped_functionINS8_6system6detail7generic6detail18binary_search_lessEbEEEE10hipError_tPvRmT1_T2_T3_mmT4_T5_P12ihipStream_tbEUlRKjE_EESV_SZ_S10_mS11_S14_bEUlT_E_NS1_11comp_targetILNS1_3genE10ELNS1_11target_archE1201ELNS1_3gpuE5ELNS1_3repE0EEENS1_30default_config_static_selectorELNS0_4arch9wavefront6targetE1EEEvSY_,@function
_ZN7rocprim17ROCPRIM_400000_NS6detail17trampoline_kernelINS0_14default_configENS1_27lower_bound_config_selectorIjlEEZNS1_14transform_implILb0ES3_S5_N6thrust23THRUST_200600_302600_NS6detail15normal_iteratorINS8_7pointerIjNS8_11hip_rocprim5par_tENS8_11use_defaultESE_EEEENSA_INSB_IlSD_SE_SE_EEEEZNS1_13binary_searchIS3_S5_NSA_INS8_10device_ptrIjEEEESG_SI_NS1_21lower_bound_search_opENS9_16wrapped_functionINS8_6system6detail7generic6detail18binary_search_lessEbEEEE10hipError_tPvRmT1_T2_T3_mmT4_T5_P12ihipStream_tbEUlRKjE_EESV_SZ_S10_mS11_S14_bEUlT_E_NS1_11comp_targetILNS1_3genE10ELNS1_11target_archE1201ELNS1_3gpuE5ELNS1_3repE0EEENS1_30default_config_static_selectorELNS0_4arch9wavefront6targetE1EEEvSY_: ; @_ZN7rocprim17ROCPRIM_400000_NS6detail17trampoline_kernelINS0_14default_configENS1_27lower_bound_config_selectorIjlEEZNS1_14transform_implILb0ES3_S5_N6thrust23THRUST_200600_302600_NS6detail15normal_iteratorINS8_7pointerIjNS8_11hip_rocprim5par_tENS8_11use_defaultESE_EEEENSA_INSB_IlSD_SE_SE_EEEEZNS1_13binary_searchIS3_S5_NSA_INS8_10device_ptrIjEEEESG_SI_NS1_21lower_bound_search_opENS9_16wrapped_functionINS8_6system6detail7generic6detail18binary_search_lessEbEEEE10hipError_tPvRmT1_T2_T3_mmT4_T5_P12ihipStream_tbEUlRKjE_EESV_SZ_S10_mS11_S14_bEUlT_E_NS1_11comp_targetILNS1_3genE10ELNS1_11target_archE1201ELNS1_3gpuE5ELNS1_3repE0EEENS1_30default_config_static_selectorELNS0_4arch9wavefront6targetE1EEEvSY_
; %bb.0:
	.section	.rodata,"a",@progbits
	.p2align	6, 0x0
	.amdhsa_kernel _ZN7rocprim17ROCPRIM_400000_NS6detail17trampoline_kernelINS0_14default_configENS1_27lower_bound_config_selectorIjlEEZNS1_14transform_implILb0ES3_S5_N6thrust23THRUST_200600_302600_NS6detail15normal_iteratorINS8_7pointerIjNS8_11hip_rocprim5par_tENS8_11use_defaultESE_EEEENSA_INSB_IlSD_SE_SE_EEEEZNS1_13binary_searchIS3_S5_NSA_INS8_10device_ptrIjEEEESG_SI_NS1_21lower_bound_search_opENS9_16wrapped_functionINS8_6system6detail7generic6detail18binary_search_lessEbEEEE10hipError_tPvRmT1_T2_T3_mmT4_T5_P12ihipStream_tbEUlRKjE_EESV_SZ_S10_mS11_S14_bEUlT_E_NS1_11comp_targetILNS1_3genE10ELNS1_11target_archE1201ELNS1_3gpuE5ELNS1_3repE0EEENS1_30default_config_static_selectorELNS0_4arch9wavefront6targetE1EEEvSY_
		.amdhsa_group_segment_fixed_size 0
		.amdhsa_private_segment_fixed_size 0
		.amdhsa_kernarg_size 56
		.amdhsa_user_sgpr_count 6
		.amdhsa_user_sgpr_private_segment_buffer 1
		.amdhsa_user_sgpr_dispatch_ptr 0
		.amdhsa_user_sgpr_queue_ptr 0
		.amdhsa_user_sgpr_kernarg_segment_ptr 1
		.amdhsa_user_sgpr_dispatch_id 0
		.amdhsa_user_sgpr_flat_scratch_init 0
		.amdhsa_user_sgpr_private_segment_size 0
		.amdhsa_uses_dynamic_stack 0
		.amdhsa_system_sgpr_private_segment_wavefront_offset 0
		.amdhsa_system_sgpr_workgroup_id_x 1
		.amdhsa_system_sgpr_workgroup_id_y 0
		.amdhsa_system_sgpr_workgroup_id_z 0
		.amdhsa_system_sgpr_workgroup_info 0
		.amdhsa_system_vgpr_workitem_id 0
		.amdhsa_next_free_vgpr 1
		.amdhsa_next_free_sgpr 0
		.amdhsa_reserve_vcc 0
		.amdhsa_reserve_flat_scratch 0
		.amdhsa_float_round_mode_32 0
		.amdhsa_float_round_mode_16_64 0
		.amdhsa_float_denorm_mode_32 3
		.amdhsa_float_denorm_mode_16_64 3
		.amdhsa_dx10_clamp 1
		.amdhsa_ieee_mode 1
		.amdhsa_fp16_overflow 0
		.amdhsa_exception_fp_ieee_invalid_op 0
		.amdhsa_exception_fp_denorm_src 0
		.amdhsa_exception_fp_ieee_div_zero 0
		.amdhsa_exception_fp_ieee_overflow 0
		.amdhsa_exception_fp_ieee_underflow 0
		.amdhsa_exception_fp_ieee_inexact 0
		.amdhsa_exception_int_div_zero 0
	.end_amdhsa_kernel
	.section	.text._ZN7rocprim17ROCPRIM_400000_NS6detail17trampoline_kernelINS0_14default_configENS1_27lower_bound_config_selectorIjlEEZNS1_14transform_implILb0ES3_S5_N6thrust23THRUST_200600_302600_NS6detail15normal_iteratorINS8_7pointerIjNS8_11hip_rocprim5par_tENS8_11use_defaultESE_EEEENSA_INSB_IlSD_SE_SE_EEEEZNS1_13binary_searchIS3_S5_NSA_INS8_10device_ptrIjEEEESG_SI_NS1_21lower_bound_search_opENS9_16wrapped_functionINS8_6system6detail7generic6detail18binary_search_lessEbEEEE10hipError_tPvRmT1_T2_T3_mmT4_T5_P12ihipStream_tbEUlRKjE_EESV_SZ_S10_mS11_S14_bEUlT_E_NS1_11comp_targetILNS1_3genE10ELNS1_11target_archE1201ELNS1_3gpuE5ELNS1_3repE0EEENS1_30default_config_static_selectorELNS0_4arch9wavefront6targetE1EEEvSY_,"axG",@progbits,_ZN7rocprim17ROCPRIM_400000_NS6detail17trampoline_kernelINS0_14default_configENS1_27lower_bound_config_selectorIjlEEZNS1_14transform_implILb0ES3_S5_N6thrust23THRUST_200600_302600_NS6detail15normal_iteratorINS8_7pointerIjNS8_11hip_rocprim5par_tENS8_11use_defaultESE_EEEENSA_INSB_IlSD_SE_SE_EEEEZNS1_13binary_searchIS3_S5_NSA_INS8_10device_ptrIjEEEESG_SI_NS1_21lower_bound_search_opENS9_16wrapped_functionINS8_6system6detail7generic6detail18binary_search_lessEbEEEE10hipError_tPvRmT1_T2_T3_mmT4_T5_P12ihipStream_tbEUlRKjE_EESV_SZ_S10_mS11_S14_bEUlT_E_NS1_11comp_targetILNS1_3genE10ELNS1_11target_archE1201ELNS1_3gpuE5ELNS1_3repE0EEENS1_30default_config_static_selectorELNS0_4arch9wavefront6targetE1EEEvSY_,comdat
.Lfunc_end372:
	.size	_ZN7rocprim17ROCPRIM_400000_NS6detail17trampoline_kernelINS0_14default_configENS1_27lower_bound_config_selectorIjlEEZNS1_14transform_implILb0ES3_S5_N6thrust23THRUST_200600_302600_NS6detail15normal_iteratorINS8_7pointerIjNS8_11hip_rocprim5par_tENS8_11use_defaultESE_EEEENSA_INSB_IlSD_SE_SE_EEEEZNS1_13binary_searchIS3_S5_NSA_INS8_10device_ptrIjEEEESG_SI_NS1_21lower_bound_search_opENS9_16wrapped_functionINS8_6system6detail7generic6detail18binary_search_lessEbEEEE10hipError_tPvRmT1_T2_T3_mmT4_T5_P12ihipStream_tbEUlRKjE_EESV_SZ_S10_mS11_S14_bEUlT_E_NS1_11comp_targetILNS1_3genE10ELNS1_11target_archE1201ELNS1_3gpuE5ELNS1_3repE0EEENS1_30default_config_static_selectorELNS0_4arch9wavefront6targetE1EEEvSY_, .Lfunc_end372-_ZN7rocprim17ROCPRIM_400000_NS6detail17trampoline_kernelINS0_14default_configENS1_27lower_bound_config_selectorIjlEEZNS1_14transform_implILb0ES3_S5_N6thrust23THRUST_200600_302600_NS6detail15normal_iteratorINS8_7pointerIjNS8_11hip_rocprim5par_tENS8_11use_defaultESE_EEEENSA_INSB_IlSD_SE_SE_EEEEZNS1_13binary_searchIS3_S5_NSA_INS8_10device_ptrIjEEEESG_SI_NS1_21lower_bound_search_opENS9_16wrapped_functionINS8_6system6detail7generic6detail18binary_search_lessEbEEEE10hipError_tPvRmT1_T2_T3_mmT4_T5_P12ihipStream_tbEUlRKjE_EESV_SZ_S10_mS11_S14_bEUlT_E_NS1_11comp_targetILNS1_3genE10ELNS1_11target_archE1201ELNS1_3gpuE5ELNS1_3repE0EEENS1_30default_config_static_selectorELNS0_4arch9wavefront6targetE1EEEvSY_
                                        ; -- End function
	.set _ZN7rocprim17ROCPRIM_400000_NS6detail17trampoline_kernelINS0_14default_configENS1_27lower_bound_config_selectorIjlEEZNS1_14transform_implILb0ES3_S5_N6thrust23THRUST_200600_302600_NS6detail15normal_iteratorINS8_7pointerIjNS8_11hip_rocprim5par_tENS8_11use_defaultESE_EEEENSA_INSB_IlSD_SE_SE_EEEEZNS1_13binary_searchIS3_S5_NSA_INS8_10device_ptrIjEEEESG_SI_NS1_21lower_bound_search_opENS9_16wrapped_functionINS8_6system6detail7generic6detail18binary_search_lessEbEEEE10hipError_tPvRmT1_T2_T3_mmT4_T5_P12ihipStream_tbEUlRKjE_EESV_SZ_S10_mS11_S14_bEUlT_E_NS1_11comp_targetILNS1_3genE10ELNS1_11target_archE1201ELNS1_3gpuE5ELNS1_3repE0EEENS1_30default_config_static_selectorELNS0_4arch9wavefront6targetE1EEEvSY_.num_vgpr, 0
	.set _ZN7rocprim17ROCPRIM_400000_NS6detail17trampoline_kernelINS0_14default_configENS1_27lower_bound_config_selectorIjlEEZNS1_14transform_implILb0ES3_S5_N6thrust23THRUST_200600_302600_NS6detail15normal_iteratorINS8_7pointerIjNS8_11hip_rocprim5par_tENS8_11use_defaultESE_EEEENSA_INSB_IlSD_SE_SE_EEEEZNS1_13binary_searchIS3_S5_NSA_INS8_10device_ptrIjEEEESG_SI_NS1_21lower_bound_search_opENS9_16wrapped_functionINS8_6system6detail7generic6detail18binary_search_lessEbEEEE10hipError_tPvRmT1_T2_T3_mmT4_T5_P12ihipStream_tbEUlRKjE_EESV_SZ_S10_mS11_S14_bEUlT_E_NS1_11comp_targetILNS1_3genE10ELNS1_11target_archE1201ELNS1_3gpuE5ELNS1_3repE0EEENS1_30default_config_static_selectorELNS0_4arch9wavefront6targetE1EEEvSY_.num_agpr, 0
	.set _ZN7rocprim17ROCPRIM_400000_NS6detail17trampoline_kernelINS0_14default_configENS1_27lower_bound_config_selectorIjlEEZNS1_14transform_implILb0ES3_S5_N6thrust23THRUST_200600_302600_NS6detail15normal_iteratorINS8_7pointerIjNS8_11hip_rocprim5par_tENS8_11use_defaultESE_EEEENSA_INSB_IlSD_SE_SE_EEEEZNS1_13binary_searchIS3_S5_NSA_INS8_10device_ptrIjEEEESG_SI_NS1_21lower_bound_search_opENS9_16wrapped_functionINS8_6system6detail7generic6detail18binary_search_lessEbEEEE10hipError_tPvRmT1_T2_T3_mmT4_T5_P12ihipStream_tbEUlRKjE_EESV_SZ_S10_mS11_S14_bEUlT_E_NS1_11comp_targetILNS1_3genE10ELNS1_11target_archE1201ELNS1_3gpuE5ELNS1_3repE0EEENS1_30default_config_static_selectorELNS0_4arch9wavefront6targetE1EEEvSY_.numbered_sgpr, 0
	.set _ZN7rocprim17ROCPRIM_400000_NS6detail17trampoline_kernelINS0_14default_configENS1_27lower_bound_config_selectorIjlEEZNS1_14transform_implILb0ES3_S5_N6thrust23THRUST_200600_302600_NS6detail15normal_iteratorINS8_7pointerIjNS8_11hip_rocprim5par_tENS8_11use_defaultESE_EEEENSA_INSB_IlSD_SE_SE_EEEEZNS1_13binary_searchIS3_S5_NSA_INS8_10device_ptrIjEEEESG_SI_NS1_21lower_bound_search_opENS9_16wrapped_functionINS8_6system6detail7generic6detail18binary_search_lessEbEEEE10hipError_tPvRmT1_T2_T3_mmT4_T5_P12ihipStream_tbEUlRKjE_EESV_SZ_S10_mS11_S14_bEUlT_E_NS1_11comp_targetILNS1_3genE10ELNS1_11target_archE1201ELNS1_3gpuE5ELNS1_3repE0EEENS1_30default_config_static_selectorELNS0_4arch9wavefront6targetE1EEEvSY_.num_named_barrier, 0
	.set _ZN7rocprim17ROCPRIM_400000_NS6detail17trampoline_kernelINS0_14default_configENS1_27lower_bound_config_selectorIjlEEZNS1_14transform_implILb0ES3_S5_N6thrust23THRUST_200600_302600_NS6detail15normal_iteratorINS8_7pointerIjNS8_11hip_rocprim5par_tENS8_11use_defaultESE_EEEENSA_INSB_IlSD_SE_SE_EEEEZNS1_13binary_searchIS3_S5_NSA_INS8_10device_ptrIjEEEESG_SI_NS1_21lower_bound_search_opENS9_16wrapped_functionINS8_6system6detail7generic6detail18binary_search_lessEbEEEE10hipError_tPvRmT1_T2_T3_mmT4_T5_P12ihipStream_tbEUlRKjE_EESV_SZ_S10_mS11_S14_bEUlT_E_NS1_11comp_targetILNS1_3genE10ELNS1_11target_archE1201ELNS1_3gpuE5ELNS1_3repE0EEENS1_30default_config_static_selectorELNS0_4arch9wavefront6targetE1EEEvSY_.private_seg_size, 0
	.set _ZN7rocprim17ROCPRIM_400000_NS6detail17trampoline_kernelINS0_14default_configENS1_27lower_bound_config_selectorIjlEEZNS1_14transform_implILb0ES3_S5_N6thrust23THRUST_200600_302600_NS6detail15normal_iteratorINS8_7pointerIjNS8_11hip_rocprim5par_tENS8_11use_defaultESE_EEEENSA_INSB_IlSD_SE_SE_EEEEZNS1_13binary_searchIS3_S5_NSA_INS8_10device_ptrIjEEEESG_SI_NS1_21lower_bound_search_opENS9_16wrapped_functionINS8_6system6detail7generic6detail18binary_search_lessEbEEEE10hipError_tPvRmT1_T2_T3_mmT4_T5_P12ihipStream_tbEUlRKjE_EESV_SZ_S10_mS11_S14_bEUlT_E_NS1_11comp_targetILNS1_3genE10ELNS1_11target_archE1201ELNS1_3gpuE5ELNS1_3repE0EEENS1_30default_config_static_selectorELNS0_4arch9wavefront6targetE1EEEvSY_.uses_vcc, 0
	.set _ZN7rocprim17ROCPRIM_400000_NS6detail17trampoline_kernelINS0_14default_configENS1_27lower_bound_config_selectorIjlEEZNS1_14transform_implILb0ES3_S5_N6thrust23THRUST_200600_302600_NS6detail15normal_iteratorINS8_7pointerIjNS8_11hip_rocprim5par_tENS8_11use_defaultESE_EEEENSA_INSB_IlSD_SE_SE_EEEEZNS1_13binary_searchIS3_S5_NSA_INS8_10device_ptrIjEEEESG_SI_NS1_21lower_bound_search_opENS9_16wrapped_functionINS8_6system6detail7generic6detail18binary_search_lessEbEEEE10hipError_tPvRmT1_T2_T3_mmT4_T5_P12ihipStream_tbEUlRKjE_EESV_SZ_S10_mS11_S14_bEUlT_E_NS1_11comp_targetILNS1_3genE10ELNS1_11target_archE1201ELNS1_3gpuE5ELNS1_3repE0EEENS1_30default_config_static_selectorELNS0_4arch9wavefront6targetE1EEEvSY_.uses_flat_scratch, 0
	.set _ZN7rocprim17ROCPRIM_400000_NS6detail17trampoline_kernelINS0_14default_configENS1_27lower_bound_config_selectorIjlEEZNS1_14transform_implILb0ES3_S5_N6thrust23THRUST_200600_302600_NS6detail15normal_iteratorINS8_7pointerIjNS8_11hip_rocprim5par_tENS8_11use_defaultESE_EEEENSA_INSB_IlSD_SE_SE_EEEEZNS1_13binary_searchIS3_S5_NSA_INS8_10device_ptrIjEEEESG_SI_NS1_21lower_bound_search_opENS9_16wrapped_functionINS8_6system6detail7generic6detail18binary_search_lessEbEEEE10hipError_tPvRmT1_T2_T3_mmT4_T5_P12ihipStream_tbEUlRKjE_EESV_SZ_S10_mS11_S14_bEUlT_E_NS1_11comp_targetILNS1_3genE10ELNS1_11target_archE1201ELNS1_3gpuE5ELNS1_3repE0EEENS1_30default_config_static_selectorELNS0_4arch9wavefront6targetE1EEEvSY_.has_dyn_sized_stack, 0
	.set _ZN7rocprim17ROCPRIM_400000_NS6detail17trampoline_kernelINS0_14default_configENS1_27lower_bound_config_selectorIjlEEZNS1_14transform_implILb0ES3_S5_N6thrust23THRUST_200600_302600_NS6detail15normal_iteratorINS8_7pointerIjNS8_11hip_rocprim5par_tENS8_11use_defaultESE_EEEENSA_INSB_IlSD_SE_SE_EEEEZNS1_13binary_searchIS3_S5_NSA_INS8_10device_ptrIjEEEESG_SI_NS1_21lower_bound_search_opENS9_16wrapped_functionINS8_6system6detail7generic6detail18binary_search_lessEbEEEE10hipError_tPvRmT1_T2_T3_mmT4_T5_P12ihipStream_tbEUlRKjE_EESV_SZ_S10_mS11_S14_bEUlT_E_NS1_11comp_targetILNS1_3genE10ELNS1_11target_archE1201ELNS1_3gpuE5ELNS1_3repE0EEENS1_30default_config_static_selectorELNS0_4arch9wavefront6targetE1EEEvSY_.has_recursion, 0
	.set _ZN7rocprim17ROCPRIM_400000_NS6detail17trampoline_kernelINS0_14default_configENS1_27lower_bound_config_selectorIjlEEZNS1_14transform_implILb0ES3_S5_N6thrust23THRUST_200600_302600_NS6detail15normal_iteratorINS8_7pointerIjNS8_11hip_rocprim5par_tENS8_11use_defaultESE_EEEENSA_INSB_IlSD_SE_SE_EEEEZNS1_13binary_searchIS3_S5_NSA_INS8_10device_ptrIjEEEESG_SI_NS1_21lower_bound_search_opENS9_16wrapped_functionINS8_6system6detail7generic6detail18binary_search_lessEbEEEE10hipError_tPvRmT1_T2_T3_mmT4_T5_P12ihipStream_tbEUlRKjE_EESV_SZ_S10_mS11_S14_bEUlT_E_NS1_11comp_targetILNS1_3genE10ELNS1_11target_archE1201ELNS1_3gpuE5ELNS1_3repE0EEENS1_30default_config_static_selectorELNS0_4arch9wavefront6targetE1EEEvSY_.has_indirect_call, 0
	.section	.AMDGPU.csdata,"",@progbits
; Kernel info:
; codeLenInByte = 0
; TotalNumSgprs: 4
; NumVgprs: 0
; ScratchSize: 0
; MemoryBound: 0
; FloatMode: 240
; IeeeMode: 1
; LDSByteSize: 0 bytes/workgroup (compile time only)
; SGPRBlocks: 0
; VGPRBlocks: 0
; NumSGPRsForWavesPerEU: 4
; NumVGPRsForWavesPerEU: 1
; Occupancy: 10
; WaveLimiterHint : 0
; COMPUTE_PGM_RSRC2:SCRATCH_EN: 0
; COMPUTE_PGM_RSRC2:USER_SGPR: 6
; COMPUTE_PGM_RSRC2:TRAP_HANDLER: 0
; COMPUTE_PGM_RSRC2:TGID_X_EN: 1
; COMPUTE_PGM_RSRC2:TGID_Y_EN: 0
; COMPUTE_PGM_RSRC2:TGID_Z_EN: 0
; COMPUTE_PGM_RSRC2:TIDIG_COMP_CNT: 0
	.section	.text._ZN7rocprim17ROCPRIM_400000_NS6detail17trampoline_kernelINS0_14default_configENS1_27lower_bound_config_selectorIjlEEZNS1_14transform_implILb0ES3_S5_N6thrust23THRUST_200600_302600_NS6detail15normal_iteratorINS8_7pointerIjNS8_11hip_rocprim5par_tENS8_11use_defaultESE_EEEENSA_INSB_IlSD_SE_SE_EEEEZNS1_13binary_searchIS3_S5_NSA_INS8_10device_ptrIjEEEESG_SI_NS1_21lower_bound_search_opENS9_16wrapped_functionINS8_6system6detail7generic6detail18binary_search_lessEbEEEE10hipError_tPvRmT1_T2_T3_mmT4_T5_P12ihipStream_tbEUlRKjE_EESV_SZ_S10_mS11_S14_bEUlT_E_NS1_11comp_targetILNS1_3genE10ELNS1_11target_archE1200ELNS1_3gpuE4ELNS1_3repE0EEENS1_30default_config_static_selectorELNS0_4arch9wavefront6targetE1EEEvSY_,"axG",@progbits,_ZN7rocprim17ROCPRIM_400000_NS6detail17trampoline_kernelINS0_14default_configENS1_27lower_bound_config_selectorIjlEEZNS1_14transform_implILb0ES3_S5_N6thrust23THRUST_200600_302600_NS6detail15normal_iteratorINS8_7pointerIjNS8_11hip_rocprim5par_tENS8_11use_defaultESE_EEEENSA_INSB_IlSD_SE_SE_EEEEZNS1_13binary_searchIS3_S5_NSA_INS8_10device_ptrIjEEEESG_SI_NS1_21lower_bound_search_opENS9_16wrapped_functionINS8_6system6detail7generic6detail18binary_search_lessEbEEEE10hipError_tPvRmT1_T2_T3_mmT4_T5_P12ihipStream_tbEUlRKjE_EESV_SZ_S10_mS11_S14_bEUlT_E_NS1_11comp_targetILNS1_3genE10ELNS1_11target_archE1200ELNS1_3gpuE4ELNS1_3repE0EEENS1_30default_config_static_selectorELNS0_4arch9wavefront6targetE1EEEvSY_,comdat
	.protected	_ZN7rocprim17ROCPRIM_400000_NS6detail17trampoline_kernelINS0_14default_configENS1_27lower_bound_config_selectorIjlEEZNS1_14transform_implILb0ES3_S5_N6thrust23THRUST_200600_302600_NS6detail15normal_iteratorINS8_7pointerIjNS8_11hip_rocprim5par_tENS8_11use_defaultESE_EEEENSA_INSB_IlSD_SE_SE_EEEEZNS1_13binary_searchIS3_S5_NSA_INS8_10device_ptrIjEEEESG_SI_NS1_21lower_bound_search_opENS9_16wrapped_functionINS8_6system6detail7generic6detail18binary_search_lessEbEEEE10hipError_tPvRmT1_T2_T3_mmT4_T5_P12ihipStream_tbEUlRKjE_EESV_SZ_S10_mS11_S14_bEUlT_E_NS1_11comp_targetILNS1_3genE10ELNS1_11target_archE1200ELNS1_3gpuE4ELNS1_3repE0EEENS1_30default_config_static_selectorELNS0_4arch9wavefront6targetE1EEEvSY_ ; -- Begin function _ZN7rocprim17ROCPRIM_400000_NS6detail17trampoline_kernelINS0_14default_configENS1_27lower_bound_config_selectorIjlEEZNS1_14transform_implILb0ES3_S5_N6thrust23THRUST_200600_302600_NS6detail15normal_iteratorINS8_7pointerIjNS8_11hip_rocprim5par_tENS8_11use_defaultESE_EEEENSA_INSB_IlSD_SE_SE_EEEEZNS1_13binary_searchIS3_S5_NSA_INS8_10device_ptrIjEEEESG_SI_NS1_21lower_bound_search_opENS9_16wrapped_functionINS8_6system6detail7generic6detail18binary_search_lessEbEEEE10hipError_tPvRmT1_T2_T3_mmT4_T5_P12ihipStream_tbEUlRKjE_EESV_SZ_S10_mS11_S14_bEUlT_E_NS1_11comp_targetILNS1_3genE10ELNS1_11target_archE1200ELNS1_3gpuE4ELNS1_3repE0EEENS1_30default_config_static_selectorELNS0_4arch9wavefront6targetE1EEEvSY_
	.globl	_ZN7rocprim17ROCPRIM_400000_NS6detail17trampoline_kernelINS0_14default_configENS1_27lower_bound_config_selectorIjlEEZNS1_14transform_implILb0ES3_S5_N6thrust23THRUST_200600_302600_NS6detail15normal_iteratorINS8_7pointerIjNS8_11hip_rocprim5par_tENS8_11use_defaultESE_EEEENSA_INSB_IlSD_SE_SE_EEEEZNS1_13binary_searchIS3_S5_NSA_INS8_10device_ptrIjEEEESG_SI_NS1_21lower_bound_search_opENS9_16wrapped_functionINS8_6system6detail7generic6detail18binary_search_lessEbEEEE10hipError_tPvRmT1_T2_T3_mmT4_T5_P12ihipStream_tbEUlRKjE_EESV_SZ_S10_mS11_S14_bEUlT_E_NS1_11comp_targetILNS1_3genE10ELNS1_11target_archE1200ELNS1_3gpuE4ELNS1_3repE0EEENS1_30default_config_static_selectorELNS0_4arch9wavefront6targetE1EEEvSY_
	.p2align	8
	.type	_ZN7rocprim17ROCPRIM_400000_NS6detail17trampoline_kernelINS0_14default_configENS1_27lower_bound_config_selectorIjlEEZNS1_14transform_implILb0ES3_S5_N6thrust23THRUST_200600_302600_NS6detail15normal_iteratorINS8_7pointerIjNS8_11hip_rocprim5par_tENS8_11use_defaultESE_EEEENSA_INSB_IlSD_SE_SE_EEEEZNS1_13binary_searchIS3_S5_NSA_INS8_10device_ptrIjEEEESG_SI_NS1_21lower_bound_search_opENS9_16wrapped_functionINS8_6system6detail7generic6detail18binary_search_lessEbEEEE10hipError_tPvRmT1_T2_T3_mmT4_T5_P12ihipStream_tbEUlRKjE_EESV_SZ_S10_mS11_S14_bEUlT_E_NS1_11comp_targetILNS1_3genE10ELNS1_11target_archE1200ELNS1_3gpuE4ELNS1_3repE0EEENS1_30default_config_static_selectorELNS0_4arch9wavefront6targetE1EEEvSY_,@function
_ZN7rocprim17ROCPRIM_400000_NS6detail17trampoline_kernelINS0_14default_configENS1_27lower_bound_config_selectorIjlEEZNS1_14transform_implILb0ES3_S5_N6thrust23THRUST_200600_302600_NS6detail15normal_iteratorINS8_7pointerIjNS8_11hip_rocprim5par_tENS8_11use_defaultESE_EEEENSA_INSB_IlSD_SE_SE_EEEEZNS1_13binary_searchIS3_S5_NSA_INS8_10device_ptrIjEEEESG_SI_NS1_21lower_bound_search_opENS9_16wrapped_functionINS8_6system6detail7generic6detail18binary_search_lessEbEEEE10hipError_tPvRmT1_T2_T3_mmT4_T5_P12ihipStream_tbEUlRKjE_EESV_SZ_S10_mS11_S14_bEUlT_E_NS1_11comp_targetILNS1_3genE10ELNS1_11target_archE1200ELNS1_3gpuE4ELNS1_3repE0EEENS1_30default_config_static_selectorELNS0_4arch9wavefront6targetE1EEEvSY_: ; @_ZN7rocprim17ROCPRIM_400000_NS6detail17trampoline_kernelINS0_14default_configENS1_27lower_bound_config_selectorIjlEEZNS1_14transform_implILb0ES3_S5_N6thrust23THRUST_200600_302600_NS6detail15normal_iteratorINS8_7pointerIjNS8_11hip_rocprim5par_tENS8_11use_defaultESE_EEEENSA_INSB_IlSD_SE_SE_EEEEZNS1_13binary_searchIS3_S5_NSA_INS8_10device_ptrIjEEEESG_SI_NS1_21lower_bound_search_opENS9_16wrapped_functionINS8_6system6detail7generic6detail18binary_search_lessEbEEEE10hipError_tPvRmT1_T2_T3_mmT4_T5_P12ihipStream_tbEUlRKjE_EESV_SZ_S10_mS11_S14_bEUlT_E_NS1_11comp_targetILNS1_3genE10ELNS1_11target_archE1200ELNS1_3gpuE4ELNS1_3repE0EEENS1_30default_config_static_selectorELNS0_4arch9wavefront6targetE1EEEvSY_
; %bb.0:
	.section	.rodata,"a",@progbits
	.p2align	6, 0x0
	.amdhsa_kernel _ZN7rocprim17ROCPRIM_400000_NS6detail17trampoline_kernelINS0_14default_configENS1_27lower_bound_config_selectorIjlEEZNS1_14transform_implILb0ES3_S5_N6thrust23THRUST_200600_302600_NS6detail15normal_iteratorINS8_7pointerIjNS8_11hip_rocprim5par_tENS8_11use_defaultESE_EEEENSA_INSB_IlSD_SE_SE_EEEEZNS1_13binary_searchIS3_S5_NSA_INS8_10device_ptrIjEEEESG_SI_NS1_21lower_bound_search_opENS9_16wrapped_functionINS8_6system6detail7generic6detail18binary_search_lessEbEEEE10hipError_tPvRmT1_T2_T3_mmT4_T5_P12ihipStream_tbEUlRKjE_EESV_SZ_S10_mS11_S14_bEUlT_E_NS1_11comp_targetILNS1_3genE10ELNS1_11target_archE1200ELNS1_3gpuE4ELNS1_3repE0EEENS1_30default_config_static_selectorELNS0_4arch9wavefront6targetE1EEEvSY_
		.amdhsa_group_segment_fixed_size 0
		.amdhsa_private_segment_fixed_size 0
		.amdhsa_kernarg_size 56
		.amdhsa_user_sgpr_count 6
		.amdhsa_user_sgpr_private_segment_buffer 1
		.amdhsa_user_sgpr_dispatch_ptr 0
		.amdhsa_user_sgpr_queue_ptr 0
		.amdhsa_user_sgpr_kernarg_segment_ptr 1
		.amdhsa_user_sgpr_dispatch_id 0
		.amdhsa_user_sgpr_flat_scratch_init 0
		.amdhsa_user_sgpr_private_segment_size 0
		.amdhsa_uses_dynamic_stack 0
		.amdhsa_system_sgpr_private_segment_wavefront_offset 0
		.amdhsa_system_sgpr_workgroup_id_x 1
		.amdhsa_system_sgpr_workgroup_id_y 0
		.amdhsa_system_sgpr_workgroup_id_z 0
		.amdhsa_system_sgpr_workgroup_info 0
		.amdhsa_system_vgpr_workitem_id 0
		.amdhsa_next_free_vgpr 1
		.amdhsa_next_free_sgpr 0
		.amdhsa_reserve_vcc 0
		.amdhsa_reserve_flat_scratch 0
		.amdhsa_float_round_mode_32 0
		.amdhsa_float_round_mode_16_64 0
		.amdhsa_float_denorm_mode_32 3
		.amdhsa_float_denorm_mode_16_64 3
		.amdhsa_dx10_clamp 1
		.amdhsa_ieee_mode 1
		.amdhsa_fp16_overflow 0
		.amdhsa_exception_fp_ieee_invalid_op 0
		.amdhsa_exception_fp_denorm_src 0
		.amdhsa_exception_fp_ieee_div_zero 0
		.amdhsa_exception_fp_ieee_overflow 0
		.amdhsa_exception_fp_ieee_underflow 0
		.amdhsa_exception_fp_ieee_inexact 0
		.amdhsa_exception_int_div_zero 0
	.end_amdhsa_kernel
	.section	.text._ZN7rocprim17ROCPRIM_400000_NS6detail17trampoline_kernelINS0_14default_configENS1_27lower_bound_config_selectorIjlEEZNS1_14transform_implILb0ES3_S5_N6thrust23THRUST_200600_302600_NS6detail15normal_iteratorINS8_7pointerIjNS8_11hip_rocprim5par_tENS8_11use_defaultESE_EEEENSA_INSB_IlSD_SE_SE_EEEEZNS1_13binary_searchIS3_S5_NSA_INS8_10device_ptrIjEEEESG_SI_NS1_21lower_bound_search_opENS9_16wrapped_functionINS8_6system6detail7generic6detail18binary_search_lessEbEEEE10hipError_tPvRmT1_T2_T3_mmT4_T5_P12ihipStream_tbEUlRKjE_EESV_SZ_S10_mS11_S14_bEUlT_E_NS1_11comp_targetILNS1_3genE10ELNS1_11target_archE1200ELNS1_3gpuE4ELNS1_3repE0EEENS1_30default_config_static_selectorELNS0_4arch9wavefront6targetE1EEEvSY_,"axG",@progbits,_ZN7rocprim17ROCPRIM_400000_NS6detail17trampoline_kernelINS0_14default_configENS1_27lower_bound_config_selectorIjlEEZNS1_14transform_implILb0ES3_S5_N6thrust23THRUST_200600_302600_NS6detail15normal_iteratorINS8_7pointerIjNS8_11hip_rocprim5par_tENS8_11use_defaultESE_EEEENSA_INSB_IlSD_SE_SE_EEEEZNS1_13binary_searchIS3_S5_NSA_INS8_10device_ptrIjEEEESG_SI_NS1_21lower_bound_search_opENS9_16wrapped_functionINS8_6system6detail7generic6detail18binary_search_lessEbEEEE10hipError_tPvRmT1_T2_T3_mmT4_T5_P12ihipStream_tbEUlRKjE_EESV_SZ_S10_mS11_S14_bEUlT_E_NS1_11comp_targetILNS1_3genE10ELNS1_11target_archE1200ELNS1_3gpuE4ELNS1_3repE0EEENS1_30default_config_static_selectorELNS0_4arch9wavefront6targetE1EEEvSY_,comdat
.Lfunc_end373:
	.size	_ZN7rocprim17ROCPRIM_400000_NS6detail17trampoline_kernelINS0_14default_configENS1_27lower_bound_config_selectorIjlEEZNS1_14transform_implILb0ES3_S5_N6thrust23THRUST_200600_302600_NS6detail15normal_iteratorINS8_7pointerIjNS8_11hip_rocprim5par_tENS8_11use_defaultESE_EEEENSA_INSB_IlSD_SE_SE_EEEEZNS1_13binary_searchIS3_S5_NSA_INS8_10device_ptrIjEEEESG_SI_NS1_21lower_bound_search_opENS9_16wrapped_functionINS8_6system6detail7generic6detail18binary_search_lessEbEEEE10hipError_tPvRmT1_T2_T3_mmT4_T5_P12ihipStream_tbEUlRKjE_EESV_SZ_S10_mS11_S14_bEUlT_E_NS1_11comp_targetILNS1_3genE10ELNS1_11target_archE1200ELNS1_3gpuE4ELNS1_3repE0EEENS1_30default_config_static_selectorELNS0_4arch9wavefront6targetE1EEEvSY_, .Lfunc_end373-_ZN7rocprim17ROCPRIM_400000_NS6detail17trampoline_kernelINS0_14default_configENS1_27lower_bound_config_selectorIjlEEZNS1_14transform_implILb0ES3_S5_N6thrust23THRUST_200600_302600_NS6detail15normal_iteratorINS8_7pointerIjNS8_11hip_rocprim5par_tENS8_11use_defaultESE_EEEENSA_INSB_IlSD_SE_SE_EEEEZNS1_13binary_searchIS3_S5_NSA_INS8_10device_ptrIjEEEESG_SI_NS1_21lower_bound_search_opENS9_16wrapped_functionINS8_6system6detail7generic6detail18binary_search_lessEbEEEE10hipError_tPvRmT1_T2_T3_mmT4_T5_P12ihipStream_tbEUlRKjE_EESV_SZ_S10_mS11_S14_bEUlT_E_NS1_11comp_targetILNS1_3genE10ELNS1_11target_archE1200ELNS1_3gpuE4ELNS1_3repE0EEENS1_30default_config_static_selectorELNS0_4arch9wavefront6targetE1EEEvSY_
                                        ; -- End function
	.set _ZN7rocprim17ROCPRIM_400000_NS6detail17trampoline_kernelINS0_14default_configENS1_27lower_bound_config_selectorIjlEEZNS1_14transform_implILb0ES3_S5_N6thrust23THRUST_200600_302600_NS6detail15normal_iteratorINS8_7pointerIjNS8_11hip_rocprim5par_tENS8_11use_defaultESE_EEEENSA_INSB_IlSD_SE_SE_EEEEZNS1_13binary_searchIS3_S5_NSA_INS8_10device_ptrIjEEEESG_SI_NS1_21lower_bound_search_opENS9_16wrapped_functionINS8_6system6detail7generic6detail18binary_search_lessEbEEEE10hipError_tPvRmT1_T2_T3_mmT4_T5_P12ihipStream_tbEUlRKjE_EESV_SZ_S10_mS11_S14_bEUlT_E_NS1_11comp_targetILNS1_3genE10ELNS1_11target_archE1200ELNS1_3gpuE4ELNS1_3repE0EEENS1_30default_config_static_selectorELNS0_4arch9wavefront6targetE1EEEvSY_.num_vgpr, 0
	.set _ZN7rocprim17ROCPRIM_400000_NS6detail17trampoline_kernelINS0_14default_configENS1_27lower_bound_config_selectorIjlEEZNS1_14transform_implILb0ES3_S5_N6thrust23THRUST_200600_302600_NS6detail15normal_iteratorINS8_7pointerIjNS8_11hip_rocprim5par_tENS8_11use_defaultESE_EEEENSA_INSB_IlSD_SE_SE_EEEEZNS1_13binary_searchIS3_S5_NSA_INS8_10device_ptrIjEEEESG_SI_NS1_21lower_bound_search_opENS9_16wrapped_functionINS8_6system6detail7generic6detail18binary_search_lessEbEEEE10hipError_tPvRmT1_T2_T3_mmT4_T5_P12ihipStream_tbEUlRKjE_EESV_SZ_S10_mS11_S14_bEUlT_E_NS1_11comp_targetILNS1_3genE10ELNS1_11target_archE1200ELNS1_3gpuE4ELNS1_3repE0EEENS1_30default_config_static_selectorELNS0_4arch9wavefront6targetE1EEEvSY_.num_agpr, 0
	.set _ZN7rocprim17ROCPRIM_400000_NS6detail17trampoline_kernelINS0_14default_configENS1_27lower_bound_config_selectorIjlEEZNS1_14transform_implILb0ES3_S5_N6thrust23THRUST_200600_302600_NS6detail15normal_iteratorINS8_7pointerIjNS8_11hip_rocprim5par_tENS8_11use_defaultESE_EEEENSA_INSB_IlSD_SE_SE_EEEEZNS1_13binary_searchIS3_S5_NSA_INS8_10device_ptrIjEEEESG_SI_NS1_21lower_bound_search_opENS9_16wrapped_functionINS8_6system6detail7generic6detail18binary_search_lessEbEEEE10hipError_tPvRmT1_T2_T3_mmT4_T5_P12ihipStream_tbEUlRKjE_EESV_SZ_S10_mS11_S14_bEUlT_E_NS1_11comp_targetILNS1_3genE10ELNS1_11target_archE1200ELNS1_3gpuE4ELNS1_3repE0EEENS1_30default_config_static_selectorELNS0_4arch9wavefront6targetE1EEEvSY_.numbered_sgpr, 0
	.set _ZN7rocprim17ROCPRIM_400000_NS6detail17trampoline_kernelINS0_14default_configENS1_27lower_bound_config_selectorIjlEEZNS1_14transform_implILb0ES3_S5_N6thrust23THRUST_200600_302600_NS6detail15normal_iteratorINS8_7pointerIjNS8_11hip_rocprim5par_tENS8_11use_defaultESE_EEEENSA_INSB_IlSD_SE_SE_EEEEZNS1_13binary_searchIS3_S5_NSA_INS8_10device_ptrIjEEEESG_SI_NS1_21lower_bound_search_opENS9_16wrapped_functionINS8_6system6detail7generic6detail18binary_search_lessEbEEEE10hipError_tPvRmT1_T2_T3_mmT4_T5_P12ihipStream_tbEUlRKjE_EESV_SZ_S10_mS11_S14_bEUlT_E_NS1_11comp_targetILNS1_3genE10ELNS1_11target_archE1200ELNS1_3gpuE4ELNS1_3repE0EEENS1_30default_config_static_selectorELNS0_4arch9wavefront6targetE1EEEvSY_.num_named_barrier, 0
	.set _ZN7rocprim17ROCPRIM_400000_NS6detail17trampoline_kernelINS0_14default_configENS1_27lower_bound_config_selectorIjlEEZNS1_14transform_implILb0ES3_S5_N6thrust23THRUST_200600_302600_NS6detail15normal_iteratorINS8_7pointerIjNS8_11hip_rocprim5par_tENS8_11use_defaultESE_EEEENSA_INSB_IlSD_SE_SE_EEEEZNS1_13binary_searchIS3_S5_NSA_INS8_10device_ptrIjEEEESG_SI_NS1_21lower_bound_search_opENS9_16wrapped_functionINS8_6system6detail7generic6detail18binary_search_lessEbEEEE10hipError_tPvRmT1_T2_T3_mmT4_T5_P12ihipStream_tbEUlRKjE_EESV_SZ_S10_mS11_S14_bEUlT_E_NS1_11comp_targetILNS1_3genE10ELNS1_11target_archE1200ELNS1_3gpuE4ELNS1_3repE0EEENS1_30default_config_static_selectorELNS0_4arch9wavefront6targetE1EEEvSY_.private_seg_size, 0
	.set _ZN7rocprim17ROCPRIM_400000_NS6detail17trampoline_kernelINS0_14default_configENS1_27lower_bound_config_selectorIjlEEZNS1_14transform_implILb0ES3_S5_N6thrust23THRUST_200600_302600_NS6detail15normal_iteratorINS8_7pointerIjNS8_11hip_rocprim5par_tENS8_11use_defaultESE_EEEENSA_INSB_IlSD_SE_SE_EEEEZNS1_13binary_searchIS3_S5_NSA_INS8_10device_ptrIjEEEESG_SI_NS1_21lower_bound_search_opENS9_16wrapped_functionINS8_6system6detail7generic6detail18binary_search_lessEbEEEE10hipError_tPvRmT1_T2_T3_mmT4_T5_P12ihipStream_tbEUlRKjE_EESV_SZ_S10_mS11_S14_bEUlT_E_NS1_11comp_targetILNS1_3genE10ELNS1_11target_archE1200ELNS1_3gpuE4ELNS1_3repE0EEENS1_30default_config_static_selectorELNS0_4arch9wavefront6targetE1EEEvSY_.uses_vcc, 0
	.set _ZN7rocprim17ROCPRIM_400000_NS6detail17trampoline_kernelINS0_14default_configENS1_27lower_bound_config_selectorIjlEEZNS1_14transform_implILb0ES3_S5_N6thrust23THRUST_200600_302600_NS6detail15normal_iteratorINS8_7pointerIjNS8_11hip_rocprim5par_tENS8_11use_defaultESE_EEEENSA_INSB_IlSD_SE_SE_EEEEZNS1_13binary_searchIS3_S5_NSA_INS8_10device_ptrIjEEEESG_SI_NS1_21lower_bound_search_opENS9_16wrapped_functionINS8_6system6detail7generic6detail18binary_search_lessEbEEEE10hipError_tPvRmT1_T2_T3_mmT4_T5_P12ihipStream_tbEUlRKjE_EESV_SZ_S10_mS11_S14_bEUlT_E_NS1_11comp_targetILNS1_3genE10ELNS1_11target_archE1200ELNS1_3gpuE4ELNS1_3repE0EEENS1_30default_config_static_selectorELNS0_4arch9wavefront6targetE1EEEvSY_.uses_flat_scratch, 0
	.set _ZN7rocprim17ROCPRIM_400000_NS6detail17trampoline_kernelINS0_14default_configENS1_27lower_bound_config_selectorIjlEEZNS1_14transform_implILb0ES3_S5_N6thrust23THRUST_200600_302600_NS6detail15normal_iteratorINS8_7pointerIjNS8_11hip_rocprim5par_tENS8_11use_defaultESE_EEEENSA_INSB_IlSD_SE_SE_EEEEZNS1_13binary_searchIS3_S5_NSA_INS8_10device_ptrIjEEEESG_SI_NS1_21lower_bound_search_opENS9_16wrapped_functionINS8_6system6detail7generic6detail18binary_search_lessEbEEEE10hipError_tPvRmT1_T2_T3_mmT4_T5_P12ihipStream_tbEUlRKjE_EESV_SZ_S10_mS11_S14_bEUlT_E_NS1_11comp_targetILNS1_3genE10ELNS1_11target_archE1200ELNS1_3gpuE4ELNS1_3repE0EEENS1_30default_config_static_selectorELNS0_4arch9wavefront6targetE1EEEvSY_.has_dyn_sized_stack, 0
	.set _ZN7rocprim17ROCPRIM_400000_NS6detail17trampoline_kernelINS0_14default_configENS1_27lower_bound_config_selectorIjlEEZNS1_14transform_implILb0ES3_S5_N6thrust23THRUST_200600_302600_NS6detail15normal_iteratorINS8_7pointerIjNS8_11hip_rocprim5par_tENS8_11use_defaultESE_EEEENSA_INSB_IlSD_SE_SE_EEEEZNS1_13binary_searchIS3_S5_NSA_INS8_10device_ptrIjEEEESG_SI_NS1_21lower_bound_search_opENS9_16wrapped_functionINS8_6system6detail7generic6detail18binary_search_lessEbEEEE10hipError_tPvRmT1_T2_T3_mmT4_T5_P12ihipStream_tbEUlRKjE_EESV_SZ_S10_mS11_S14_bEUlT_E_NS1_11comp_targetILNS1_3genE10ELNS1_11target_archE1200ELNS1_3gpuE4ELNS1_3repE0EEENS1_30default_config_static_selectorELNS0_4arch9wavefront6targetE1EEEvSY_.has_recursion, 0
	.set _ZN7rocprim17ROCPRIM_400000_NS6detail17trampoline_kernelINS0_14default_configENS1_27lower_bound_config_selectorIjlEEZNS1_14transform_implILb0ES3_S5_N6thrust23THRUST_200600_302600_NS6detail15normal_iteratorINS8_7pointerIjNS8_11hip_rocprim5par_tENS8_11use_defaultESE_EEEENSA_INSB_IlSD_SE_SE_EEEEZNS1_13binary_searchIS3_S5_NSA_INS8_10device_ptrIjEEEESG_SI_NS1_21lower_bound_search_opENS9_16wrapped_functionINS8_6system6detail7generic6detail18binary_search_lessEbEEEE10hipError_tPvRmT1_T2_T3_mmT4_T5_P12ihipStream_tbEUlRKjE_EESV_SZ_S10_mS11_S14_bEUlT_E_NS1_11comp_targetILNS1_3genE10ELNS1_11target_archE1200ELNS1_3gpuE4ELNS1_3repE0EEENS1_30default_config_static_selectorELNS0_4arch9wavefront6targetE1EEEvSY_.has_indirect_call, 0
	.section	.AMDGPU.csdata,"",@progbits
; Kernel info:
; codeLenInByte = 0
; TotalNumSgprs: 4
; NumVgprs: 0
; ScratchSize: 0
; MemoryBound: 0
; FloatMode: 240
; IeeeMode: 1
; LDSByteSize: 0 bytes/workgroup (compile time only)
; SGPRBlocks: 0
; VGPRBlocks: 0
; NumSGPRsForWavesPerEU: 4
; NumVGPRsForWavesPerEU: 1
; Occupancy: 10
; WaveLimiterHint : 0
; COMPUTE_PGM_RSRC2:SCRATCH_EN: 0
; COMPUTE_PGM_RSRC2:USER_SGPR: 6
; COMPUTE_PGM_RSRC2:TRAP_HANDLER: 0
; COMPUTE_PGM_RSRC2:TGID_X_EN: 1
; COMPUTE_PGM_RSRC2:TGID_Y_EN: 0
; COMPUTE_PGM_RSRC2:TGID_Z_EN: 0
; COMPUTE_PGM_RSRC2:TIDIG_COMP_CNT: 0
	.section	.text._ZN7rocprim17ROCPRIM_400000_NS6detail17trampoline_kernelINS0_14default_configENS1_27lower_bound_config_selectorIjlEEZNS1_14transform_implILb0ES3_S5_N6thrust23THRUST_200600_302600_NS6detail15normal_iteratorINS8_7pointerIjNS8_11hip_rocprim5par_tENS8_11use_defaultESE_EEEENSA_INSB_IlSD_SE_SE_EEEEZNS1_13binary_searchIS3_S5_NSA_INS8_10device_ptrIjEEEESG_SI_NS1_21lower_bound_search_opENS9_16wrapped_functionINS8_6system6detail7generic6detail18binary_search_lessEbEEEE10hipError_tPvRmT1_T2_T3_mmT4_T5_P12ihipStream_tbEUlRKjE_EESV_SZ_S10_mS11_S14_bEUlT_E_NS1_11comp_targetILNS1_3genE9ELNS1_11target_archE1100ELNS1_3gpuE3ELNS1_3repE0EEENS1_30default_config_static_selectorELNS0_4arch9wavefront6targetE1EEEvSY_,"axG",@progbits,_ZN7rocprim17ROCPRIM_400000_NS6detail17trampoline_kernelINS0_14default_configENS1_27lower_bound_config_selectorIjlEEZNS1_14transform_implILb0ES3_S5_N6thrust23THRUST_200600_302600_NS6detail15normal_iteratorINS8_7pointerIjNS8_11hip_rocprim5par_tENS8_11use_defaultESE_EEEENSA_INSB_IlSD_SE_SE_EEEEZNS1_13binary_searchIS3_S5_NSA_INS8_10device_ptrIjEEEESG_SI_NS1_21lower_bound_search_opENS9_16wrapped_functionINS8_6system6detail7generic6detail18binary_search_lessEbEEEE10hipError_tPvRmT1_T2_T3_mmT4_T5_P12ihipStream_tbEUlRKjE_EESV_SZ_S10_mS11_S14_bEUlT_E_NS1_11comp_targetILNS1_3genE9ELNS1_11target_archE1100ELNS1_3gpuE3ELNS1_3repE0EEENS1_30default_config_static_selectorELNS0_4arch9wavefront6targetE1EEEvSY_,comdat
	.protected	_ZN7rocprim17ROCPRIM_400000_NS6detail17trampoline_kernelINS0_14default_configENS1_27lower_bound_config_selectorIjlEEZNS1_14transform_implILb0ES3_S5_N6thrust23THRUST_200600_302600_NS6detail15normal_iteratorINS8_7pointerIjNS8_11hip_rocprim5par_tENS8_11use_defaultESE_EEEENSA_INSB_IlSD_SE_SE_EEEEZNS1_13binary_searchIS3_S5_NSA_INS8_10device_ptrIjEEEESG_SI_NS1_21lower_bound_search_opENS9_16wrapped_functionINS8_6system6detail7generic6detail18binary_search_lessEbEEEE10hipError_tPvRmT1_T2_T3_mmT4_T5_P12ihipStream_tbEUlRKjE_EESV_SZ_S10_mS11_S14_bEUlT_E_NS1_11comp_targetILNS1_3genE9ELNS1_11target_archE1100ELNS1_3gpuE3ELNS1_3repE0EEENS1_30default_config_static_selectorELNS0_4arch9wavefront6targetE1EEEvSY_ ; -- Begin function _ZN7rocprim17ROCPRIM_400000_NS6detail17trampoline_kernelINS0_14default_configENS1_27lower_bound_config_selectorIjlEEZNS1_14transform_implILb0ES3_S5_N6thrust23THRUST_200600_302600_NS6detail15normal_iteratorINS8_7pointerIjNS8_11hip_rocprim5par_tENS8_11use_defaultESE_EEEENSA_INSB_IlSD_SE_SE_EEEEZNS1_13binary_searchIS3_S5_NSA_INS8_10device_ptrIjEEEESG_SI_NS1_21lower_bound_search_opENS9_16wrapped_functionINS8_6system6detail7generic6detail18binary_search_lessEbEEEE10hipError_tPvRmT1_T2_T3_mmT4_T5_P12ihipStream_tbEUlRKjE_EESV_SZ_S10_mS11_S14_bEUlT_E_NS1_11comp_targetILNS1_3genE9ELNS1_11target_archE1100ELNS1_3gpuE3ELNS1_3repE0EEENS1_30default_config_static_selectorELNS0_4arch9wavefront6targetE1EEEvSY_
	.globl	_ZN7rocprim17ROCPRIM_400000_NS6detail17trampoline_kernelINS0_14default_configENS1_27lower_bound_config_selectorIjlEEZNS1_14transform_implILb0ES3_S5_N6thrust23THRUST_200600_302600_NS6detail15normal_iteratorINS8_7pointerIjNS8_11hip_rocprim5par_tENS8_11use_defaultESE_EEEENSA_INSB_IlSD_SE_SE_EEEEZNS1_13binary_searchIS3_S5_NSA_INS8_10device_ptrIjEEEESG_SI_NS1_21lower_bound_search_opENS9_16wrapped_functionINS8_6system6detail7generic6detail18binary_search_lessEbEEEE10hipError_tPvRmT1_T2_T3_mmT4_T5_P12ihipStream_tbEUlRKjE_EESV_SZ_S10_mS11_S14_bEUlT_E_NS1_11comp_targetILNS1_3genE9ELNS1_11target_archE1100ELNS1_3gpuE3ELNS1_3repE0EEENS1_30default_config_static_selectorELNS0_4arch9wavefront6targetE1EEEvSY_
	.p2align	8
	.type	_ZN7rocprim17ROCPRIM_400000_NS6detail17trampoline_kernelINS0_14default_configENS1_27lower_bound_config_selectorIjlEEZNS1_14transform_implILb0ES3_S5_N6thrust23THRUST_200600_302600_NS6detail15normal_iteratorINS8_7pointerIjNS8_11hip_rocprim5par_tENS8_11use_defaultESE_EEEENSA_INSB_IlSD_SE_SE_EEEEZNS1_13binary_searchIS3_S5_NSA_INS8_10device_ptrIjEEEESG_SI_NS1_21lower_bound_search_opENS9_16wrapped_functionINS8_6system6detail7generic6detail18binary_search_lessEbEEEE10hipError_tPvRmT1_T2_T3_mmT4_T5_P12ihipStream_tbEUlRKjE_EESV_SZ_S10_mS11_S14_bEUlT_E_NS1_11comp_targetILNS1_3genE9ELNS1_11target_archE1100ELNS1_3gpuE3ELNS1_3repE0EEENS1_30default_config_static_selectorELNS0_4arch9wavefront6targetE1EEEvSY_,@function
_ZN7rocprim17ROCPRIM_400000_NS6detail17trampoline_kernelINS0_14default_configENS1_27lower_bound_config_selectorIjlEEZNS1_14transform_implILb0ES3_S5_N6thrust23THRUST_200600_302600_NS6detail15normal_iteratorINS8_7pointerIjNS8_11hip_rocprim5par_tENS8_11use_defaultESE_EEEENSA_INSB_IlSD_SE_SE_EEEEZNS1_13binary_searchIS3_S5_NSA_INS8_10device_ptrIjEEEESG_SI_NS1_21lower_bound_search_opENS9_16wrapped_functionINS8_6system6detail7generic6detail18binary_search_lessEbEEEE10hipError_tPvRmT1_T2_T3_mmT4_T5_P12ihipStream_tbEUlRKjE_EESV_SZ_S10_mS11_S14_bEUlT_E_NS1_11comp_targetILNS1_3genE9ELNS1_11target_archE1100ELNS1_3gpuE3ELNS1_3repE0EEENS1_30default_config_static_selectorELNS0_4arch9wavefront6targetE1EEEvSY_: ; @_ZN7rocprim17ROCPRIM_400000_NS6detail17trampoline_kernelINS0_14default_configENS1_27lower_bound_config_selectorIjlEEZNS1_14transform_implILb0ES3_S5_N6thrust23THRUST_200600_302600_NS6detail15normal_iteratorINS8_7pointerIjNS8_11hip_rocprim5par_tENS8_11use_defaultESE_EEEENSA_INSB_IlSD_SE_SE_EEEEZNS1_13binary_searchIS3_S5_NSA_INS8_10device_ptrIjEEEESG_SI_NS1_21lower_bound_search_opENS9_16wrapped_functionINS8_6system6detail7generic6detail18binary_search_lessEbEEEE10hipError_tPvRmT1_T2_T3_mmT4_T5_P12ihipStream_tbEUlRKjE_EESV_SZ_S10_mS11_S14_bEUlT_E_NS1_11comp_targetILNS1_3genE9ELNS1_11target_archE1100ELNS1_3gpuE3ELNS1_3repE0EEENS1_30default_config_static_selectorELNS0_4arch9wavefront6targetE1EEEvSY_
; %bb.0:
	.section	.rodata,"a",@progbits
	.p2align	6, 0x0
	.amdhsa_kernel _ZN7rocprim17ROCPRIM_400000_NS6detail17trampoline_kernelINS0_14default_configENS1_27lower_bound_config_selectorIjlEEZNS1_14transform_implILb0ES3_S5_N6thrust23THRUST_200600_302600_NS6detail15normal_iteratorINS8_7pointerIjNS8_11hip_rocprim5par_tENS8_11use_defaultESE_EEEENSA_INSB_IlSD_SE_SE_EEEEZNS1_13binary_searchIS3_S5_NSA_INS8_10device_ptrIjEEEESG_SI_NS1_21lower_bound_search_opENS9_16wrapped_functionINS8_6system6detail7generic6detail18binary_search_lessEbEEEE10hipError_tPvRmT1_T2_T3_mmT4_T5_P12ihipStream_tbEUlRKjE_EESV_SZ_S10_mS11_S14_bEUlT_E_NS1_11comp_targetILNS1_3genE9ELNS1_11target_archE1100ELNS1_3gpuE3ELNS1_3repE0EEENS1_30default_config_static_selectorELNS0_4arch9wavefront6targetE1EEEvSY_
		.amdhsa_group_segment_fixed_size 0
		.amdhsa_private_segment_fixed_size 0
		.amdhsa_kernarg_size 56
		.amdhsa_user_sgpr_count 6
		.amdhsa_user_sgpr_private_segment_buffer 1
		.amdhsa_user_sgpr_dispatch_ptr 0
		.amdhsa_user_sgpr_queue_ptr 0
		.amdhsa_user_sgpr_kernarg_segment_ptr 1
		.amdhsa_user_sgpr_dispatch_id 0
		.amdhsa_user_sgpr_flat_scratch_init 0
		.amdhsa_user_sgpr_private_segment_size 0
		.amdhsa_uses_dynamic_stack 0
		.amdhsa_system_sgpr_private_segment_wavefront_offset 0
		.amdhsa_system_sgpr_workgroup_id_x 1
		.amdhsa_system_sgpr_workgroup_id_y 0
		.amdhsa_system_sgpr_workgroup_id_z 0
		.amdhsa_system_sgpr_workgroup_info 0
		.amdhsa_system_vgpr_workitem_id 0
		.amdhsa_next_free_vgpr 1
		.amdhsa_next_free_sgpr 0
		.amdhsa_reserve_vcc 0
		.amdhsa_reserve_flat_scratch 0
		.amdhsa_float_round_mode_32 0
		.amdhsa_float_round_mode_16_64 0
		.amdhsa_float_denorm_mode_32 3
		.amdhsa_float_denorm_mode_16_64 3
		.amdhsa_dx10_clamp 1
		.amdhsa_ieee_mode 1
		.amdhsa_fp16_overflow 0
		.amdhsa_exception_fp_ieee_invalid_op 0
		.amdhsa_exception_fp_denorm_src 0
		.amdhsa_exception_fp_ieee_div_zero 0
		.amdhsa_exception_fp_ieee_overflow 0
		.amdhsa_exception_fp_ieee_underflow 0
		.amdhsa_exception_fp_ieee_inexact 0
		.amdhsa_exception_int_div_zero 0
	.end_amdhsa_kernel
	.section	.text._ZN7rocprim17ROCPRIM_400000_NS6detail17trampoline_kernelINS0_14default_configENS1_27lower_bound_config_selectorIjlEEZNS1_14transform_implILb0ES3_S5_N6thrust23THRUST_200600_302600_NS6detail15normal_iteratorINS8_7pointerIjNS8_11hip_rocprim5par_tENS8_11use_defaultESE_EEEENSA_INSB_IlSD_SE_SE_EEEEZNS1_13binary_searchIS3_S5_NSA_INS8_10device_ptrIjEEEESG_SI_NS1_21lower_bound_search_opENS9_16wrapped_functionINS8_6system6detail7generic6detail18binary_search_lessEbEEEE10hipError_tPvRmT1_T2_T3_mmT4_T5_P12ihipStream_tbEUlRKjE_EESV_SZ_S10_mS11_S14_bEUlT_E_NS1_11comp_targetILNS1_3genE9ELNS1_11target_archE1100ELNS1_3gpuE3ELNS1_3repE0EEENS1_30default_config_static_selectorELNS0_4arch9wavefront6targetE1EEEvSY_,"axG",@progbits,_ZN7rocprim17ROCPRIM_400000_NS6detail17trampoline_kernelINS0_14default_configENS1_27lower_bound_config_selectorIjlEEZNS1_14transform_implILb0ES3_S5_N6thrust23THRUST_200600_302600_NS6detail15normal_iteratorINS8_7pointerIjNS8_11hip_rocprim5par_tENS8_11use_defaultESE_EEEENSA_INSB_IlSD_SE_SE_EEEEZNS1_13binary_searchIS3_S5_NSA_INS8_10device_ptrIjEEEESG_SI_NS1_21lower_bound_search_opENS9_16wrapped_functionINS8_6system6detail7generic6detail18binary_search_lessEbEEEE10hipError_tPvRmT1_T2_T3_mmT4_T5_P12ihipStream_tbEUlRKjE_EESV_SZ_S10_mS11_S14_bEUlT_E_NS1_11comp_targetILNS1_3genE9ELNS1_11target_archE1100ELNS1_3gpuE3ELNS1_3repE0EEENS1_30default_config_static_selectorELNS0_4arch9wavefront6targetE1EEEvSY_,comdat
.Lfunc_end374:
	.size	_ZN7rocprim17ROCPRIM_400000_NS6detail17trampoline_kernelINS0_14default_configENS1_27lower_bound_config_selectorIjlEEZNS1_14transform_implILb0ES3_S5_N6thrust23THRUST_200600_302600_NS6detail15normal_iteratorINS8_7pointerIjNS8_11hip_rocprim5par_tENS8_11use_defaultESE_EEEENSA_INSB_IlSD_SE_SE_EEEEZNS1_13binary_searchIS3_S5_NSA_INS8_10device_ptrIjEEEESG_SI_NS1_21lower_bound_search_opENS9_16wrapped_functionINS8_6system6detail7generic6detail18binary_search_lessEbEEEE10hipError_tPvRmT1_T2_T3_mmT4_T5_P12ihipStream_tbEUlRKjE_EESV_SZ_S10_mS11_S14_bEUlT_E_NS1_11comp_targetILNS1_3genE9ELNS1_11target_archE1100ELNS1_3gpuE3ELNS1_3repE0EEENS1_30default_config_static_selectorELNS0_4arch9wavefront6targetE1EEEvSY_, .Lfunc_end374-_ZN7rocprim17ROCPRIM_400000_NS6detail17trampoline_kernelINS0_14default_configENS1_27lower_bound_config_selectorIjlEEZNS1_14transform_implILb0ES3_S5_N6thrust23THRUST_200600_302600_NS6detail15normal_iteratorINS8_7pointerIjNS8_11hip_rocprim5par_tENS8_11use_defaultESE_EEEENSA_INSB_IlSD_SE_SE_EEEEZNS1_13binary_searchIS3_S5_NSA_INS8_10device_ptrIjEEEESG_SI_NS1_21lower_bound_search_opENS9_16wrapped_functionINS8_6system6detail7generic6detail18binary_search_lessEbEEEE10hipError_tPvRmT1_T2_T3_mmT4_T5_P12ihipStream_tbEUlRKjE_EESV_SZ_S10_mS11_S14_bEUlT_E_NS1_11comp_targetILNS1_3genE9ELNS1_11target_archE1100ELNS1_3gpuE3ELNS1_3repE0EEENS1_30default_config_static_selectorELNS0_4arch9wavefront6targetE1EEEvSY_
                                        ; -- End function
	.set _ZN7rocprim17ROCPRIM_400000_NS6detail17trampoline_kernelINS0_14default_configENS1_27lower_bound_config_selectorIjlEEZNS1_14transform_implILb0ES3_S5_N6thrust23THRUST_200600_302600_NS6detail15normal_iteratorINS8_7pointerIjNS8_11hip_rocprim5par_tENS8_11use_defaultESE_EEEENSA_INSB_IlSD_SE_SE_EEEEZNS1_13binary_searchIS3_S5_NSA_INS8_10device_ptrIjEEEESG_SI_NS1_21lower_bound_search_opENS9_16wrapped_functionINS8_6system6detail7generic6detail18binary_search_lessEbEEEE10hipError_tPvRmT1_T2_T3_mmT4_T5_P12ihipStream_tbEUlRKjE_EESV_SZ_S10_mS11_S14_bEUlT_E_NS1_11comp_targetILNS1_3genE9ELNS1_11target_archE1100ELNS1_3gpuE3ELNS1_3repE0EEENS1_30default_config_static_selectorELNS0_4arch9wavefront6targetE1EEEvSY_.num_vgpr, 0
	.set _ZN7rocprim17ROCPRIM_400000_NS6detail17trampoline_kernelINS0_14default_configENS1_27lower_bound_config_selectorIjlEEZNS1_14transform_implILb0ES3_S5_N6thrust23THRUST_200600_302600_NS6detail15normal_iteratorINS8_7pointerIjNS8_11hip_rocprim5par_tENS8_11use_defaultESE_EEEENSA_INSB_IlSD_SE_SE_EEEEZNS1_13binary_searchIS3_S5_NSA_INS8_10device_ptrIjEEEESG_SI_NS1_21lower_bound_search_opENS9_16wrapped_functionINS8_6system6detail7generic6detail18binary_search_lessEbEEEE10hipError_tPvRmT1_T2_T3_mmT4_T5_P12ihipStream_tbEUlRKjE_EESV_SZ_S10_mS11_S14_bEUlT_E_NS1_11comp_targetILNS1_3genE9ELNS1_11target_archE1100ELNS1_3gpuE3ELNS1_3repE0EEENS1_30default_config_static_selectorELNS0_4arch9wavefront6targetE1EEEvSY_.num_agpr, 0
	.set _ZN7rocprim17ROCPRIM_400000_NS6detail17trampoline_kernelINS0_14default_configENS1_27lower_bound_config_selectorIjlEEZNS1_14transform_implILb0ES3_S5_N6thrust23THRUST_200600_302600_NS6detail15normal_iteratorINS8_7pointerIjNS8_11hip_rocprim5par_tENS8_11use_defaultESE_EEEENSA_INSB_IlSD_SE_SE_EEEEZNS1_13binary_searchIS3_S5_NSA_INS8_10device_ptrIjEEEESG_SI_NS1_21lower_bound_search_opENS9_16wrapped_functionINS8_6system6detail7generic6detail18binary_search_lessEbEEEE10hipError_tPvRmT1_T2_T3_mmT4_T5_P12ihipStream_tbEUlRKjE_EESV_SZ_S10_mS11_S14_bEUlT_E_NS1_11comp_targetILNS1_3genE9ELNS1_11target_archE1100ELNS1_3gpuE3ELNS1_3repE0EEENS1_30default_config_static_selectorELNS0_4arch9wavefront6targetE1EEEvSY_.numbered_sgpr, 0
	.set _ZN7rocprim17ROCPRIM_400000_NS6detail17trampoline_kernelINS0_14default_configENS1_27lower_bound_config_selectorIjlEEZNS1_14transform_implILb0ES3_S5_N6thrust23THRUST_200600_302600_NS6detail15normal_iteratorINS8_7pointerIjNS8_11hip_rocprim5par_tENS8_11use_defaultESE_EEEENSA_INSB_IlSD_SE_SE_EEEEZNS1_13binary_searchIS3_S5_NSA_INS8_10device_ptrIjEEEESG_SI_NS1_21lower_bound_search_opENS9_16wrapped_functionINS8_6system6detail7generic6detail18binary_search_lessEbEEEE10hipError_tPvRmT1_T2_T3_mmT4_T5_P12ihipStream_tbEUlRKjE_EESV_SZ_S10_mS11_S14_bEUlT_E_NS1_11comp_targetILNS1_3genE9ELNS1_11target_archE1100ELNS1_3gpuE3ELNS1_3repE0EEENS1_30default_config_static_selectorELNS0_4arch9wavefront6targetE1EEEvSY_.num_named_barrier, 0
	.set _ZN7rocprim17ROCPRIM_400000_NS6detail17trampoline_kernelINS0_14default_configENS1_27lower_bound_config_selectorIjlEEZNS1_14transform_implILb0ES3_S5_N6thrust23THRUST_200600_302600_NS6detail15normal_iteratorINS8_7pointerIjNS8_11hip_rocprim5par_tENS8_11use_defaultESE_EEEENSA_INSB_IlSD_SE_SE_EEEEZNS1_13binary_searchIS3_S5_NSA_INS8_10device_ptrIjEEEESG_SI_NS1_21lower_bound_search_opENS9_16wrapped_functionINS8_6system6detail7generic6detail18binary_search_lessEbEEEE10hipError_tPvRmT1_T2_T3_mmT4_T5_P12ihipStream_tbEUlRKjE_EESV_SZ_S10_mS11_S14_bEUlT_E_NS1_11comp_targetILNS1_3genE9ELNS1_11target_archE1100ELNS1_3gpuE3ELNS1_3repE0EEENS1_30default_config_static_selectorELNS0_4arch9wavefront6targetE1EEEvSY_.private_seg_size, 0
	.set _ZN7rocprim17ROCPRIM_400000_NS6detail17trampoline_kernelINS0_14default_configENS1_27lower_bound_config_selectorIjlEEZNS1_14transform_implILb0ES3_S5_N6thrust23THRUST_200600_302600_NS6detail15normal_iteratorINS8_7pointerIjNS8_11hip_rocprim5par_tENS8_11use_defaultESE_EEEENSA_INSB_IlSD_SE_SE_EEEEZNS1_13binary_searchIS3_S5_NSA_INS8_10device_ptrIjEEEESG_SI_NS1_21lower_bound_search_opENS9_16wrapped_functionINS8_6system6detail7generic6detail18binary_search_lessEbEEEE10hipError_tPvRmT1_T2_T3_mmT4_T5_P12ihipStream_tbEUlRKjE_EESV_SZ_S10_mS11_S14_bEUlT_E_NS1_11comp_targetILNS1_3genE9ELNS1_11target_archE1100ELNS1_3gpuE3ELNS1_3repE0EEENS1_30default_config_static_selectorELNS0_4arch9wavefront6targetE1EEEvSY_.uses_vcc, 0
	.set _ZN7rocprim17ROCPRIM_400000_NS6detail17trampoline_kernelINS0_14default_configENS1_27lower_bound_config_selectorIjlEEZNS1_14transform_implILb0ES3_S5_N6thrust23THRUST_200600_302600_NS6detail15normal_iteratorINS8_7pointerIjNS8_11hip_rocprim5par_tENS8_11use_defaultESE_EEEENSA_INSB_IlSD_SE_SE_EEEEZNS1_13binary_searchIS3_S5_NSA_INS8_10device_ptrIjEEEESG_SI_NS1_21lower_bound_search_opENS9_16wrapped_functionINS8_6system6detail7generic6detail18binary_search_lessEbEEEE10hipError_tPvRmT1_T2_T3_mmT4_T5_P12ihipStream_tbEUlRKjE_EESV_SZ_S10_mS11_S14_bEUlT_E_NS1_11comp_targetILNS1_3genE9ELNS1_11target_archE1100ELNS1_3gpuE3ELNS1_3repE0EEENS1_30default_config_static_selectorELNS0_4arch9wavefront6targetE1EEEvSY_.uses_flat_scratch, 0
	.set _ZN7rocprim17ROCPRIM_400000_NS6detail17trampoline_kernelINS0_14default_configENS1_27lower_bound_config_selectorIjlEEZNS1_14transform_implILb0ES3_S5_N6thrust23THRUST_200600_302600_NS6detail15normal_iteratorINS8_7pointerIjNS8_11hip_rocprim5par_tENS8_11use_defaultESE_EEEENSA_INSB_IlSD_SE_SE_EEEEZNS1_13binary_searchIS3_S5_NSA_INS8_10device_ptrIjEEEESG_SI_NS1_21lower_bound_search_opENS9_16wrapped_functionINS8_6system6detail7generic6detail18binary_search_lessEbEEEE10hipError_tPvRmT1_T2_T3_mmT4_T5_P12ihipStream_tbEUlRKjE_EESV_SZ_S10_mS11_S14_bEUlT_E_NS1_11comp_targetILNS1_3genE9ELNS1_11target_archE1100ELNS1_3gpuE3ELNS1_3repE0EEENS1_30default_config_static_selectorELNS0_4arch9wavefront6targetE1EEEvSY_.has_dyn_sized_stack, 0
	.set _ZN7rocprim17ROCPRIM_400000_NS6detail17trampoline_kernelINS0_14default_configENS1_27lower_bound_config_selectorIjlEEZNS1_14transform_implILb0ES3_S5_N6thrust23THRUST_200600_302600_NS6detail15normal_iteratorINS8_7pointerIjNS8_11hip_rocprim5par_tENS8_11use_defaultESE_EEEENSA_INSB_IlSD_SE_SE_EEEEZNS1_13binary_searchIS3_S5_NSA_INS8_10device_ptrIjEEEESG_SI_NS1_21lower_bound_search_opENS9_16wrapped_functionINS8_6system6detail7generic6detail18binary_search_lessEbEEEE10hipError_tPvRmT1_T2_T3_mmT4_T5_P12ihipStream_tbEUlRKjE_EESV_SZ_S10_mS11_S14_bEUlT_E_NS1_11comp_targetILNS1_3genE9ELNS1_11target_archE1100ELNS1_3gpuE3ELNS1_3repE0EEENS1_30default_config_static_selectorELNS0_4arch9wavefront6targetE1EEEvSY_.has_recursion, 0
	.set _ZN7rocprim17ROCPRIM_400000_NS6detail17trampoline_kernelINS0_14default_configENS1_27lower_bound_config_selectorIjlEEZNS1_14transform_implILb0ES3_S5_N6thrust23THRUST_200600_302600_NS6detail15normal_iteratorINS8_7pointerIjNS8_11hip_rocprim5par_tENS8_11use_defaultESE_EEEENSA_INSB_IlSD_SE_SE_EEEEZNS1_13binary_searchIS3_S5_NSA_INS8_10device_ptrIjEEEESG_SI_NS1_21lower_bound_search_opENS9_16wrapped_functionINS8_6system6detail7generic6detail18binary_search_lessEbEEEE10hipError_tPvRmT1_T2_T3_mmT4_T5_P12ihipStream_tbEUlRKjE_EESV_SZ_S10_mS11_S14_bEUlT_E_NS1_11comp_targetILNS1_3genE9ELNS1_11target_archE1100ELNS1_3gpuE3ELNS1_3repE0EEENS1_30default_config_static_selectorELNS0_4arch9wavefront6targetE1EEEvSY_.has_indirect_call, 0
	.section	.AMDGPU.csdata,"",@progbits
; Kernel info:
; codeLenInByte = 0
; TotalNumSgprs: 4
; NumVgprs: 0
; ScratchSize: 0
; MemoryBound: 0
; FloatMode: 240
; IeeeMode: 1
; LDSByteSize: 0 bytes/workgroup (compile time only)
; SGPRBlocks: 0
; VGPRBlocks: 0
; NumSGPRsForWavesPerEU: 4
; NumVGPRsForWavesPerEU: 1
; Occupancy: 10
; WaveLimiterHint : 0
; COMPUTE_PGM_RSRC2:SCRATCH_EN: 0
; COMPUTE_PGM_RSRC2:USER_SGPR: 6
; COMPUTE_PGM_RSRC2:TRAP_HANDLER: 0
; COMPUTE_PGM_RSRC2:TGID_X_EN: 1
; COMPUTE_PGM_RSRC2:TGID_Y_EN: 0
; COMPUTE_PGM_RSRC2:TGID_Z_EN: 0
; COMPUTE_PGM_RSRC2:TIDIG_COMP_CNT: 0
	.section	.text._ZN7rocprim17ROCPRIM_400000_NS6detail17trampoline_kernelINS0_14default_configENS1_27lower_bound_config_selectorIjlEEZNS1_14transform_implILb0ES3_S5_N6thrust23THRUST_200600_302600_NS6detail15normal_iteratorINS8_7pointerIjNS8_11hip_rocprim5par_tENS8_11use_defaultESE_EEEENSA_INSB_IlSD_SE_SE_EEEEZNS1_13binary_searchIS3_S5_NSA_INS8_10device_ptrIjEEEESG_SI_NS1_21lower_bound_search_opENS9_16wrapped_functionINS8_6system6detail7generic6detail18binary_search_lessEbEEEE10hipError_tPvRmT1_T2_T3_mmT4_T5_P12ihipStream_tbEUlRKjE_EESV_SZ_S10_mS11_S14_bEUlT_E_NS1_11comp_targetILNS1_3genE8ELNS1_11target_archE1030ELNS1_3gpuE2ELNS1_3repE0EEENS1_30default_config_static_selectorELNS0_4arch9wavefront6targetE1EEEvSY_,"axG",@progbits,_ZN7rocprim17ROCPRIM_400000_NS6detail17trampoline_kernelINS0_14default_configENS1_27lower_bound_config_selectorIjlEEZNS1_14transform_implILb0ES3_S5_N6thrust23THRUST_200600_302600_NS6detail15normal_iteratorINS8_7pointerIjNS8_11hip_rocprim5par_tENS8_11use_defaultESE_EEEENSA_INSB_IlSD_SE_SE_EEEEZNS1_13binary_searchIS3_S5_NSA_INS8_10device_ptrIjEEEESG_SI_NS1_21lower_bound_search_opENS9_16wrapped_functionINS8_6system6detail7generic6detail18binary_search_lessEbEEEE10hipError_tPvRmT1_T2_T3_mmT4_T5_P12ihipStream_tbEUlRKjE_EESV_SZ_S10_mS11_S14_bEUlT_E_NS1_11comp_targetILNS1_3genE8ELNS1_11target_archE1030ELNS1_3gpuE2ELNS1_3repE0EEENS1_30default_config_static_selectorELNS0_4arch9wavefront6targetE1EEEvSY_,comdat
	.protected	_ZN7rocprim17ROCPRIM_400000_NS6detail17trampoline_kernelINS0_14default_configENS1_27lower_bound_config_selectorIjlEEZNS1_14transform_implILb0ES3_S5_N6thrust23THRUST_200600_302600_NS6detail15normal_iteratorINS8_7pointerIjNS8_11hip_rocprim5par_tENS8_11use_defaultESE_EEEENSA_INSB_IlSD_SE_SE_EEEEZNS1_13binary_searchIS3_S5_NSA_INS8_10device_ptrIjEEEESG_SI_NS1_21lower_bound_search_opENS9_16wrapped_functionINS8_6system6detail7generic6detail18binary_search_lessEbEEEE10hipError_tPvRmT1_T2_T3_mmT4_T5_P12ihipStream_tbEUlRKjE_EESV_SZ_S10_mS11_S14_bEUlT_E_NS1_11comp_targetILNS1_3genE8ELNS1_11target_archE1030ELNS1_3gpuE2ELNS1_3repE0EEENS1_30default_config_static_selectorELNS0_4arch9wavefront6targetE1EEEvSY_ ; -- Begin function _ZN7rocprim17ROCPRIM_400000_NS6detail17trampoline_kernelINS0_14default_configENS1_27lower_bound_config_selectorIjlEEZNS1_14transform_implILb0ES3_S5_N6thrust23THRUST_200600_302600_NS6detail15normal_iteratorINS8_7pointerIjNS8_11hip_rocprim5par_tENS8_11use_defaultESE_EEEENSA_INSB_IlSD_SE_SE_EEEEZNS1_13binary_searchIS3_S5_NSA_INS8_10device_ptrIjEEEESG_SI_NS1_21lower_bound_search_opENS9_16wrapped_functionINS8_6system6detail7generic6detail18binary_search_lessEbEEEE10hipError_tPvRmT1_T2_T3_mmT4_T5_P12ihipStream_tbEUlRKjE_EESV_SZ_S10_mS11_S14_bEUlT_E_NS1_11comp_targetILNS1_3genE8ELNS1_11target_archE1030ELNS1_3gpuE2ELNS1_3repE0EEENS1_30default_config_static_selectorELNS0_4arch9wavefront6targetE1EEEvSY_
	.globl	_ZN7rocprim17ROCPRIM_400000_NS6detail17trampoline_kernelINS0_14default_configENS1_27lower_bound_config_selectorIjlEEZNS1_14transform_implILb0ES3_S5_N6thrust23THRUST_200600_302600_NS6detail15normal_iteratorINS8_7pointerIjNS8_11hip_rocprim5par_tENS8_11use_defaultESE_EEEENSA_INSB_IlSD_SE_SE_EEEEZNS1_13binary_searchIS3_S5_NSA_INS8_10device_ptrIjEEEESG_SI_NS1_21lower_bound_search_opENS9_16wrapped_functionINS8_6system6detail7generic6detail18binary_search_lessEbEEEE10hipError_tPvRmT1_T2_T3_mmT4_T5_P12ihipStream_tbEUlRKjE_EESV_SZ_S10_mS11_S14_bEUlT_E_NS1_11comp_targetILNS1_3genE8ELNS1_11target_archE1030ELNS1_3gpuE2ELNS1_3repE0EEENS1_30default_config_static_selectorELNS0_4arch9wavefront6targetE1EEEvSY_
	.p2align	8
	.type	_ZN7rocprim17ROCPRIM_400000_NS6detail17trampoline_kernelINS0_14default_configENS1_27lower_bound_config_selectorIjlEEZNS1_14transform_implILb0ES3_S5_N6thrust23THRUST_200600_302600_NS6detail15normal_iteratorINS8_7pointerIjNS8_11hip_rocprim5par_tENS8_11use_defaultESE_EEEENSA_INSB_IlSD_SE_SE_EEEEZNS1_13binary_searchIS3_S5_NSA_INS8_10device_ptrIjEEEESG_SI_NS1_21lower_bound_search_opENS9_16wrapped_functionINS8_6system6detail7generic6detail18binary_search_lessEbEEEE10hipError_tPvRmT1_T2_T3_mmT4_T5_P12ihipStream_tbEUlRKjE_EESV_SZ_S10_mS11_S14_bEUlT_E_NS1_11comp_targetILNS1_3genE8ELNS1_11target_archE1030ELNS1_3gpuE2ELNS1_3repE0EEENS1_30default_config_static_selectorELNS0_4arch9wavefront6targetE1EEEvSY_,@function
_ZN7rocprim17ROCPRIM_400000_NS6detail17trampoline_kernelINS0_14default_configENS1_27lower_bound_config_selectorIjlEEZNS1_14transform_implILb0ES3_S5_N6thrust23THRUST_200600_302600_NS6detail15normal_iteratorINS8_7pointerIjNS8_11hip_rocprim5par_tENS8_11use_defaultESE_EEEENSA_INSB_IlSD_SE_SE_EEEEZNS1_13binary_searchIS3_S5_NSA_INS8_10device_ptrIjEEEESG_SI_NS1_21lower_bound_search_opENS9_16wrapped_functionINS8_6system6detail7generic6detail18binary_search_lessEbEEEE10hipError_tPvRmT1_T2_T3_mmT4_T5_P12ihipStream_tbEUlRKjE_EESV_SZ_S10_mS11_S14_bEUlT_E_NS1_11comp_targetILNS1_3genE8ELNS1_11target_archE1030ELNS1_3gpuE2ELNS1_3repE0EEENS1_30default_config_static_selectorELNS0_4arch9wavefront6targetE1EEEvSY_: ; @_ZN7rocprim17ROCPRIM_400000_NS6detail17trampoline_kernelINS0_14default_configENS1_27lower_bound_config_selectorIjlEEZNS1_14transform_implILb0ES3_S5_N6thrust23THRUST_200600_302600_NS6detail15normal_iteratorINS8_7pointerIjNS8_11hip_rocprim5par_tENS8_11use_defaultESE_EEEENSA_INSB_IlSD_SE_SE_EEEEZNS1_13binary_searchIS3_S5_NSA_INS8_10device_ptrIjEEEESG_SI_NS1_21lower_bound_search_opENS9_16wrapped_functionINS8_6system6detail7generic6detail18binary_search_lessEbEEEE10hipError_tPvRmT1_T2_T3_mmT4_T5_P12ihipStream_tbEUlRKjE_EESV_SZ_S10_mS11_S14_bEUlT_E_NS1_11comp_targetILNS1_3genE8ELNS1_11target_archE1030ELNS1_3gpuE2ELNS1_3repE0EEENS1_30default_config_static_selectorELNS0_4arch9wavefront6targetE1EEEvSY_
; %bb.0:
	.section	.rodata,"a",@progbits
	.p2align	6, 0x0
	.amdhsa_kernel _ZN7rocprim17ROCPRIM_400000_NS6detail17trampoline_kernelINS0_14default_configENS1_27lower_bound_config_selectorIjlEEZNS1_14transform_implILb0ES3_S5_N6thrust23THRUST_200600_302600_NS6detail15normal_iteratorINS8_7pointerIjNS8_11hip_rocprim5par_tENS8_11use_defaultESE_EEEENSA_INSB_IlSD_SE_SE_EEEEZNS1_13binary_searchIS3_S5_NSA_INS8_10device_ptrIjEEEESG_SI_NS1_21lower_bound_search_opENS9_16wrapped_functionINS8_6system6detail7generic6detail18binary_search_lessEbEEEE10hipError_tPvRmT1_T2_T3_mmT4_T5_P12ihipStream_tbEUlRKjE_EESV_SZ_S10_mS11_S14_bEUlT_E_NS1_11comp_targetILNS1_3genE8ELNS1_11target_archE1030ELNS1_3gpuE2ELNS1_3repE0EEENS1_30default_config_static_selectorELNS0_4arch9wavefront6targetE1EEEvSY_
		.amdhsa_group_segment_fixed_size 0
		.amdhsa_private_segment_fixed_size 0
		.amdhsa_kernarg_size 56
		.amdhsa_user_sgpr_count 6
		.amdhsa_user_sgpr_private_segment_buffer 1
		.amdhsa_user_sgpr_dispatch_ptr 0
		.amdhsa_user_sgpr_queue_ptr 0
		.amdhsa_user_sgpr_kernarg_segment_ptr 1
		.amdhsa_user_sgpr_dispatch_id 0
		.amdhsa_user_sgpr_flat_scratch_init 0
		.amdhsa_user_sgpr_private_segment_size 0
		.amdhsa_uses_dynamic_stack 0
		.amdhsa_system_sgpr_private_segment_wavefront_offset 0
		.amdhsa_system_sgpr_workgroup_id_x 1
		.amdhsa_system_sgpr_workgroup_id_y 0
		.amdhsa_system_sgpr_workgroup_id_z 0
		.amdhsa_system_sgpr_workgroup_info 0
		.amdhsa_system_vgpr_workitem_id 0
		.amdhsa_next_free_vgpr 1
		.amdhsa_next_free_sgpr 0
		.amdhsa_reserve_vcc 0
		.amdhsa_reserve_flat_scratch 0
		.amdhsa_float_round_mode_32 0
		.amdhsa_float_round_mode_16_64 0
		.amdhsa_float_denorm_mode_32 3
		.amdhsa_float_denorm_mode_16_64 3
		.amdhsa_dx10_clamp 1
		.amdhsa_ieee_mode 1
		.amdhsa_fp16_overflow 0
		.amdhsa_exception_fp_ieee_invalid_op 0
		.amdhsa_exception_fp_denorm_src 0
		.amdhsa_exception_fp_ieee_div_zero 0
		.amdhsa_exception_fp_ieee_overflow 0
		.amdhsa_exception_fp_ieee_underflow 0
		.amdhsa_exception_fp_ieee_inexact 0
		.amdhsa_exception_int_div_zero 0
	.end_amdhsa_kernel
	.section	.text._ZN7rocprim17ROCPRIM_400000_NS6detail17trampoline_kernelINS0_14default_configENS1_27lower_bound_config_selectorIjlEEZNS1_14transform_implILb0ES3_S5_N6thrust23THRUST_200600_302600_NS6detail15normal_iteratorINS8_7pointerIjNS8_11hip_rocprim5par_tENS8_11use_defaultESE_EEEENSA_INSB_IlSD_SE_SE_EEEEZNS1_13binary_searchIS3_S5_NSA_INS8_10device_ptrIjEEEESG_SI_NS1_21lower_bound_search_opENS9_16wrapped_functionINS8_6system6detail7generic6detail18binary_search_lessEbEEEE10hipError_tPvRmT1_T2_T3_mmT4_T5_P12ihipStream_tbEUlRKjE_EESV_SZ_S10_mS11_S14_bEUlT_E_NS1_11comp_targetILNS1_3genE8ELNS1_11target_archE1030ELNS1_3gpuE2ELNS1_3repE0EEENS1_30default_config_static_selectorELNS0_4arch9wavefront6targetE1EEEvSY_,"axG",@progbits,_ZN7rocprim17ROCPRIM_400000_NS6detail17trampoline_kernelINS0_14default_configENS1_27lower_bound_config_selectorIjlEEZNS1_14transform_implILb0ES3_S5_N6thrust23THRUST_200600_302600_NS6detail15normal_iteratorINS8_7pointerIjNS8_11hip_rocprim5par_tENS8_11use_defaultESE_EEEENSA_INSB_IlSD_SE_SE_EEEEZNS1_13binary_searchIS3_S5_NSA_INS8_10device_ptrIjEEEESG_SI_NS1_21lower_bound_search_opENS9_16wrapped_functionINS8_6system6detail7generic6detail18binary_search_lessEbEEEE10hipError_tPvRmT1_T2_T3_mmT4_T5_P12ihipStream_tbEUlRKjE_EESV_SZ_S10_mS11_S14_bEUlT_E_NS1_11comp_targetILNS1_3genE8ELNS1_11target_archE1030ELNS1_3gpuE2ELNS1_3repE0EEENS1_30default_config_static_selectorELNS0_4arch9wavefront6targetE1EEEvSY_,comdat
.Lfunc_end375:
	.size	_ZN7rocprim17ROCPRIM_400000_NS6detail17trampoline_kernelINS0_14default_configENS1_27lower_bound_config_selectorIjlEEZNS1_14transform_implILb0ES3_S5_N6thrust23THRUST_200600_302600_NS6detail15normal_iteratorINS8_7pointerIjNS8_11hip_rocprim5par_tENS8_11use_defaultESE_EEEENSA_INSB_IlSD_SE_SE_EEEEZNS1_13binary_searchIS3_S5_NSA_INS8_10device_ptrIjEEEESG_SI_NS1_21lower_bound_search_opENS9_16wrapped_functionINS8_6system6detail7generic6detail18binary_search_lessEbEEEE10hipError_tPvRmT1_T2_T3_mmT4_T5_P12ihipStream_tbEUlRKjE_EESV_SZ_S10_mS11_S14_bEUlT_E_NS1_11comp_targetILNS1_3genE8ELNS1_11target_archE1030ELNS1_3gpuE2ELNS1_3repE0EEENS1_30default_config_static_selectorELNS0_4arch9wavefront6targetE1EEEvSY_, .Lfunc_end375-_ZN7rocprim17ROCPRIM_400000_NS6detail17trampoline_kernelINS0_14default_configENS1_27lower_bound_config_selectorIjlEEZNS1_14transform_implILb0ES3_S5_N6thrust23THRUST_200600_302600_NS6detail15normal_iteratorINS8_7pointerIjNS8_11hip_rocprim5par_tENS8_11use_defaultESE_EEEENSA_INSB_IlSD_SE_SE_EEEEZNS1_13binary_searchIS3_S5_NSA_INS8_10device_ptrIjEEEESG_SI_NS1_21lower_bound_search_opENS9_16wrapped_functionINS8_6system6detail7generic6detail18binary_search_lessEbEEEE10hipError_tPvRmT1_T2_T3_mmT4_T5_P12ihipStream_tbEUlRKjE_EESV_SZ_S10_mS11_S14_bEUlT_E_NS1_11comp_targetILNS1_3genE8ELNS1_11target_archE1030ELNS1_3gpuE2ELNS1_3repE0EEENS1_30default_config_static_selectorELNS0_4arch9wavefront6targetE1EEEvSY_
                                        ; -- End function
	.set _ZN7rocprim17ROCPRIM_400000_NS6detail17trampoline_kernelINS0_14default_configENS1_27lower_bound_config_selectorIjlEEZNS1_14transform_implILb0ES3_S5_N6thrust23THRUST_200600_302600_NS6detail15normal_iteratorINS8_7pointerIjNS8_11hip_rocprim5par_tENS8_11use_defaultESE_EEEENSA_INSB_IlSD_SE_SE_EEEEZNS1_13binary_searchIS3_S5_NSA_INS8_10device_ptrIjEEEESG_SI_NS1_21lower_bound_search_opENS9_16wrapped_functionINS8_6system6detail7generic6detail18binary_search_lessEbEEEE10hipError_tPvRmT1_T2_T3_mmT4_T5_P12ihipStream_tbEUlRKjE_EESV_SZ_S10_mS11_S14_bEUlT_E_NS1_11comp_targetILNS1_3genE8ELNS1_11target_archE1030ELNS1_3gpuE2ELNS1_3repE0EEENS1_30default_config_static_selectorELNS0_4arch9wavefront6targetE1EEEvSY_.num_vgpr, 0
	.set _ZN7rocprim17ROCPRIM_400000_NS6detail17trampoline_kernelINS0_14default_configENS1_27lower_bound_config_selectorIjlEEZNS1_14transform_implILb0ES3_S5_N6thrust23THRUST_200600_302600_NS6detail15normal_iteratorINS8_7pointerIjNS8_11hip_rocprim5par_tENS8_11use_defaultESE_EEEENSA_INSB_IlSD_SE_SE_EEEEZNS1_13binary_searchIS3_S5_NSA_INS8_10device_ptrIjEEEESG_SI_NS1_21lower_bound_search_opENS9_16wrapped_functionINS8_6system6detail7generic6detail18binary_search_lessEbEEEE10hipError_tPvRmT1_T2_T3_mmT4_T5_P12ihipStream_tbEUlRKjE_EESV_SZ_S10_mS11_S14_bEUlT_E_NS1_11comp_targetILNS1_3genE8ELNS1_11target_archE1030ELNS1_3gpuE2ELNS1_3repE0EEENS1_30default_config_static_selectorELNS0_4arch9wavefront6targetE1EEEvSY_.num_agpr, 0
	.set _ZN7rocprim17ROCPRIM_400000_NS6detail17trampoline_kernelINS0_14default_configENS1_27lower_bound_config_selectorIjlEEZNS1_14transform_implILb0ES3_S5_N6thrust23THRUST_200600_302600_NS6detail15normal_iteratorINS8_7pointerIjNS8_11hip_rocprim5par_tENS8_11use_defaultESE_EEEENSA_INSB_IlSD_SE_SE_EEEEZNS1_13binary_searchIS3_S5_NSA_INS8_10device_ptrIjEEEESG_SI_NS1_21lower_bound_search_opENS9_16wrapped_functionINS8_6system6detail7generic6detail18binary_search_lessEbEEEE10hipError_tPvRmT1_T2_T3_mmT4_T5_P12ihipStream_tbEUlRKjE_EESV_SZ_S10_mS11_S14_bEUlT_E_NS1_11comp_targetILNS1_3genE8ELNS1_11target_archE1030ELNS1_3gpuE2ELNS1_3repE0EEENS1_30default_config_static_selectorELNS0_4arch9wavefront6targetE1EEEvSY_.numbered_sgpr, 0
	.set _ZN7rocprim17ROCPRIM_400000_NS6detail17trampoline_kernelINS0_14default_configENS1_27lower_bound_config_selectorIjlEEZNS1_14transform_implILb0ES3_S5_N6thrust23THRUST_200600_302600_NS6detail15normal_iteratorINS8_7pointerIjNS8_11hip_rocprim5par_tENS8_11use_defaultESE_EEEENSA_INSB_IlSD_SE_SE_EEEEZNS1_13binary_searchIS3_S5_NSA_INS8_10device_ptrIjEEEESG_SI_NS1_21lower_bound_search_opENS9_16wrapped_functionINS8_6system6detail7generic6detail18binary_search_lessEbEEEE10hipError_tPvRmT1_T2_T3_mmT4_T5_P12ihipStream_tbEUlRKjE_EESV_SZ_S10_mS11_S14_bEUlT_E_NS1_11comp_targetILNS1_3genE8ELNS1_11target_archE1030ELNS1_3gpuE2ELNS1_3repE0EEENS1_30default_config_static_selectorELNS0_4arch9wavefront6targetE1EEEvSY_.num_named_barrier, 0
	.set _ZN7rocprim17ROCPRIM_400000_NS6detail17trampoline_kernelINS0_14default_configENS1_27lower_bound_config_selectorIjlEEZNS1_14transform_implILb0ES3_S5_N6thrust23THRUST_200600_302600_NS6detail15normal_iteratorINS8_7pointerIjNS8_11hip_rocprim5par_tENS8_11use_defaultESE_EEEENSA_INSB_IlSD_SE_SE_EEEEZNS1_13binary_searchIS3_S5_NSA_INS8_10device_ptrIjEEEESG_SI_NS1_21lower_bound_search_opENS9_16wrapped_functionINS8_6system6detail7generic6detail18binary_search_lessEbEEEE10hipError_tPvRmT1_T2_T3_mmT4_T5_P12ihipStream_tbEUlRKjE_EESV_SZ_S10_mS11_S14_bEUlT_E_NS1_11comp_targetILNS1_3genE8ELNS1_11target_archE1030ELNS1_3gpuE2ELNS1_3repE0EEENS1_30default_config_static_selectorELNS0_4arch9wavefront6targetE1EEEvSY_.private_seg_size, 0
	.set _ZN7rocprim17ROCPRIM_400000_NS6detail17trampoline_kernelINS0_14default_configENS1_27lower_bound_config_selectorIjlEEZNS1_14transform_implILb0ES3_S5_N6thrust23THRUST_200600_302600_NS6detail15normal_iteratorINS8_7pointerIjNS8_11hip_rocprim5par_tENS8_11use_defaultESE_EEEENSA_INSB_IlSD_SE_SE_EEEEZNS1_13binary_searchIS3_S5_NSA_INS8_10device_ptrIjEEEESG_SI_NS1_21lower_bound_search_opENS9_16wrapped_functionINS8_6system6detail7generic6detail18binary_search_lessEbEEEE10hipError_tPvRmT1_T2_T3_mmT4_T5_P12ihipStream_tbEUlRKjE_EESV_SZ_S10_mS11_S14_bEUlT_E_NS1_11comp_targetILNS1_3genE8ELNS1_11target_archE1030ELNS1_3gpuE2ELNS1_3repE0EEENS1_30default_config_static_selectorELNS0_4arch9wavefront6targetE1EEEvSY_.uses_vcc, 0
	.set _ZN7rocprim17ROCPRIM_400000_NS6detail17trampoline_kernelINS0_14default_configENS1_27lower_bound_config_selectorIjlEEZNS1_14transform_implILb0ES3_S5_N6thrust23THRUST_200600_302600_NS6detail15normal_iteratorINS8_7pointerIjNS8_11hip_rocprim5par_tENS8_11use_defaultESE_EEEENSA_INSB_IlSD_SE_SE_EEEEZNS1_13binary_searchIS3_S5_NSA_INS8_10device_ptrIjEEEESG_SI_NS1_21lower_bound_search_opENS9_16wrapped_functionINS8_6system6detail7generic6detail18binary_search_lessEbEEEE10hipError_tPvRmT1_T2_T3_mmT4_T5_P12ihipStream_tbEUlRKjE_EESV_SZ_S10_mS11_S14_bEUlT_E_NS1_11comp_targetILNS1_3genE8ELNS1_11target_archE1030ELNS1_3gpuE2ELNS1_3repE0EEENS1_30default_config_static_selectorELNS0_4arch9wavefront6targetE1EEEvSY_.uses_flat_scratch, 0
	.set _ZN7rocprim17ROCPRIM_400000_NS6detail17trampoline_kernelINS0_14default_configENS1_27lower_bound_config_selectorIjlEEZNS1_14transform_implILb0ES3_S5_N6thrust23THRUST_200600_302600_NS6detail15normal_iteratorINS8_7pointerIjNS8_11hip_rocprim5par_tENS8_11use_defaultESE_EEEENSA_INSB_IlSD_SE_SE_EEEEZNS1_13binary_searchIS3_S5_NSA_INS8_10device_ptrIjEEEESG_SI_NS1_21lower_bound_search_opENS9_16wrapped_functionINS8_6system6detail7generic6detail18binary_search_lessEbEEEE10hipError_tPvRmT1_T2_T3_mmT4_T5_P12ihipStream_tbEUlRKjE_EESV_SZ_S10_mS11_S14_bEUlT_E_NS1_11comp_targetILNS1_3genE8ELNS1_11target_archE1030ELNS1_3gpuE2ELNS1_3repE0EEENS1_30default_config_static_selectorELNS0_4arch9wavefront6targetE1EEEvSY_.has_dyn_sized_stack, 0
	.set _ZN7rocprim17ROCPRIM_400000_NS6detail17trampoline_kernelINS0_14default_configENS1_27lower_bound_config_selectorIjlEEZNS1_14transform_implILb0ES3_S5_N6thrust23THRUST_200600_302600_NS6detail15normal_iteratorINS8_7pointerIjNS8_11hip_rocprim5par_tENS8_11use_defaultESE_EEEENSA_INSB_IlSD_SE_SE_EEEEZNS1_13binary_searchIS3_S5_NSA_INS8_10device_ptrIjEEEESG_SI_NS1_21lower_bound_search_opENS9_16wrapped_functionINS8_6system6detail7generic6detail18binary_search_lessEbEEEE10hipError_tPvRmT1_T2_T3_mmT4_T5_P12ihipStream_tbEUlRKjE_EESV_SZ_S10_mS11_S14_bEUlT_E_NS1_11comp_targetILNS1_3genE8ELNS1_11target_archE1030ELNS1_3gpuE2ELNS1_3repE0EEENS1_30default_config_static_selectorELNS0_4arch9wavefront6targetE1EEEvSY_.has_recursion, 0
	.set _ZN7rocprim17ROCPRIM_400000_NS6detail17trampoline_kernelINS0_14default_configENS1_27lower_bound_config_selectorIjlEEZNS1_14transform_implILb0ES3_S5_N6thrust23THRUST_200600_302600_NS6detail15normal_iteratorINS8_7pointerIjNS8_11hip_rocprim5par_tENS8_11use_defaultESE_EEEENSA_INSB_IlSD_SE_SE_EEEEZNS1_13binary_searchIS3_S5_NSA_INS8_10device_ptrIjEEEESG_SI_NS1_21lower_bound_search_opENS9_16wrapped_functionINS8_6system6detail7generic6detail18binary_search_lessEbEEEE10hipError_tPvRmT1_T2_T3_mmT4_T5_P12ihipStream_tbEUlRKjE_EESV_SZ_S10_mS11_S14_bEUlT_E_NS1_11comp_targetILNS1_3genE8ELNS1_11target_archE1030ELNS1_3gpuE2ELNS1_3repE0EEENS1_30default_config_static_selectorELNS0_4arch9wavefront6targetE1EEEvSY_.has_indirect_call, 0
	.section	.AMDGPU.csdata,"",@progbits
; Kernel info:
; codeLenInByte = 0
; TotalNumSgprs: 4
; NumVgprs: 0
; ScratchSize: 0
; MemoryBound: 0
; FloatMode: 240
; IeeeMode: 1
; LDSByteSize: 0 bytes/workgroup (compile time only)
; SGPRBlocks: 0
; VGPRBlocks: 0
; NumSGPRsForWavesPerEU: 4
; NumVGPRsForWavesPerEU: 1
; Occupancy: 10
; WaveLimiterHint : 0
; COMPUTE_PGM_RSRC2:SCRATCH_EN: 0
; COMPUTE_PGM_RSRC2:USER_SGPR: 6
; COMPUTE_PGM_RSRC2:TRAP_HANDLER: 0
; COMPUTE_PGM_RSRC2:TGID_X_EN: 1
; COMPUTE_PGM_RSRC2:TGID_Y_EN: 0
; COMPUTE_PGM_RSRC2:TGID_Z_EN: 0
; COMPUTE_PGM_RSRC2:TIDIG_COMP_CNT: 0
	.section	.text._ZN7rocprim17ROCPRIM_400000_NS6detail17trampoline_kernelINS0_14default_configENS1_27lower_bound_config_selectorItlEEZNS1_14transform_implILb0ES3_S5_N6thrust23THRUST_200600_302600_NS6detail15normal_iteratorINS8_7pointerItNS8_11hip_rocprim5par_tENS8_11use_defaultESE_EEEENSA_INSB_IlSD_SE_SE_EEEEZNS1_13binary_searchIS3_S5_NSA_INS8_10device_ptrItEEEESG_SI_NS1_21lower_bound_search_opENS9_16wrapped_functionINS8_6system6detail7generic6detail18binary_search_lessEbEEEE10hipError_tPvRmT1_T2_T3_mmT4_T5_P12ihipStream_tbEUlRKtE_EESV_SZ_S10_mS11_S14_bEUlT_E_NS1_11comp_targetILNS1_3genE0ELNS1_11target_archE4294967295ELNS1_3gpuE0ELNS1_3repE0EEENS1_30default_config_static_selectorELNS0_4arch9wavefront6targetE1EEEvSY_,"axG",@progbits,_ZN7rocprim17ROCPRIM_400000_NS6detail17trampoline_kernelINS0_14default_configENS1_27lower_bound_config_selectorItlEEZNS1_14transform_implILb0ES3_S5_N6thrust23THRUST_200600_302600_NS6detail15normal_iteratorINS8_7pointerItNS8_11hip_rocprim5par_tENS8_11use_defaultESE_EEEENSA_INSB_IlSD_SE_SE_EEEEZNS1_13binary_searchIS3_S5_NSA_INS8_10device_ptrItEEEESG_SI_NS1_21lower_bound_search_opENS9_16wrapped_functionINS8_6system6detail7generic6detail18binary_search_lessEbEEEE10hipError_tPvRmT1_T2_T3_mmT4_T5_P12ihipStream_tbEUlRKtE_EESV_SZ_S10_mS11_S14_bEUlT_E_NS1_11comp_targetILNS1_3genE0ELNS1_11target_archE4294967295ELNS1_3gpuE0ELNS1_3repE0EEENS1_30default_config_static_selectorELNS0_4arch9wavefront6targetE1EEEvSY_,comdat
	.protected	_ZN7rocprim17ROCPRIM_400000_NS6detail17trampoline_kernelINS0_14default_configENS1_27lower_bound_config_selectorItlEEZNS1_14transform_implILb0ES3_S5_N6thrust23THRUST_200600_302600_NS6detail15normal_iteratorINS8_7pointerItNS8_11hip_rocprim5par_tENS8_11use_defaultESE_EEEENSA_INSB_IlSD_SE_SE_EEEEZNS1_13binary_searchIS3_S5_NSA_INS8_10device_ptrItEEEESG_SI_NS1_21lower_bound_search_opENS9_16wrapped_functionINS8_6system6detail7generic6detail18binary_search_lessEbEEEE10hipError_tPvRmT1_T2_T3_mmT4_T5_P12ihipStream_tbEUlRKtE_EESV_SZ_S10_mS11_S14_bEUlT_E_NS1_11comp_targetILNS1_3genE0ELNS1_11target_archE4294967295ELNS1_3gpuE0ELNS1_3repE0EEENS1_30default_config_static_selectorELNS0_4arch9wavefront6targetE1EEEvSY_ ; -- Begin function _ZN7rocprim17ROCPRIM_400000_NS6detail17trampoline_kernelINS0_14default_configENS1_27lower_bound_config_selectorItlEEZNS1_14transform_implILb0ES3_S5_N6thrust23THRUST_200600_302600_NS6detail15normal_iteratorINS8_7pointerItNS8_11hip_rocprim5par_tENS8_11use_defaultESE_EEEENSA_INSB_IlSD_SE_SE_EEEEZNS1_13binary_searchIS3_S5_NSA_INS8_10device_ptrItEEEESG_SI_NS1_21lower_bound_search_opENS9_16wrapped_functionINS8_6system6detail7generic6detail18binary_search_lessEbEEEE10hipError_tPvRmT1_T2_T3_mmT4_T5_P12ihipStream_tbEUlRKtE_EESV_SZ_S10_mS11_S14_bEUlT_E_NS1_11comp_targetILNS1_3genE0ELNS1_11target_archE4294967295ELNS1_3gpuE0ELNS1_3repE0EEENS1_30default_config_static_selectorELNS0_4arch9wavefront6targetE1EEEvSY_
	.globl	_ZN7rocprim17ROCPRIM_400000_NS6detail17trampoline_kernelINS0_14default_configENS1_27lower_bound_config_selectorItlEEZNS1_14transform_implILb0ES3_S5_N6thrust23THRUST_200600_302600_NS6detail15normal_iteratorINS8_7pointerItNS8_11hip_rocprim5par_tENS8_11use_defaultESE_EEEENSA_INSB_IlSD_SE_SE_EEEEZNS1_13binary_searchIS3_S5_NSA_INS8_10device_ptrItEEEESG_SI_NS1_21lower_bound_search_opENS9_16wrapped_functionINS8_6system6detail7generic6detail18binary_search_lessEbEEEE10hipError_tPvRmT1_T2_T3_mmT4_T5_P12ihipStream_tbEUlRKtE_EESV_SZ_S10_mS11_S14_bEUlT_E_NS1_11comp_targetILNS1_3genE0ELNS1_11target_archE4294967295ELNS1_3gpuE0ELNS1_3repE0EEENS1_30default_config_static_selectorELNS0_4arch9wavefront6targetE1EEEvSY_
	.p2align	8
	.type	_ZN7rocprim17ROCPRIM_400000_NS6detail17trampoline_kernelINS0_14default_configENS1_27lower_bound_config_selectorItlEEZNS1_14transform_implILb0ES3_S5_N6thrust23THRUST_200600_302600_NS6detail15normal_iteratorINS8_7pointerItNS8_11hip_rocprim5par_tENS8_11use_defaultESE_EEEENSA_INSB_IlSD_SE_SE_EEEEZNS1_13binary_searchIS3_S5_NSA_INS8_10device_ptrItEEEESG_SI_NS1_21lower_bound_search_opENS9_16wrapped_functionINS8_6system6detail7generic6detail18binary_search_lessEbEEEE10hipError_tPvRmT1_T2_T3_mmT4_T5_P12ihipStream_tbEUlRKtE_EESV_SZ_S10_mS11_S14_bEUlT_E_NS1_11comp_targetILNS1_3genE0ELNS1_11target_archE4294967295ELNS1_3gpuE0ELNS1_3repE0EEENS1_30default_config_static_selectorELNS0_4arch9wavefront6targetE1EEEvSY_,@function
_ZN7rocprim17ROCPRIM_400000_NS6detail17trampoline_kernelINS0_14default_configENS1_27lower_bound_config_selectorItlEEZNS1_14transform_implILb0ES3_S5_N6thrust23THRUST_200600_302600_NS6detail15normal_iteratorINS8_7pointerItNS8_11hip_rocprim5par_tENS8_11use_defaultESE_EEEENSA_INSB_IlSD_SE_SE_EEEEZNS1_13binary_searchIS3_S5_NSA_INS8_10device_ptrItEEEESG_SI_NS1_21lower_bound_search_opENS9_16wrapped_functionINS8_6system6detail7generic6detail18binary_search_lessEbEEEE10hipError_tPvRmT1_T2_T3_mmT4_T5_P12ihipStream_tbEUlRKtE_EESV_SZ_S10_mS11_S14_bEUlT_E_NS1_11comp_targetILNS1_3genE0ELNS1_11target_archE4294967295ELNS1_3gpuE0ELNS1_3repE0EEENS1_30default_config_static_selectorELNS0_4arch9wavefront6targetE1EEEvSY_: ; @_ZN7rocprim17ROCPRIM_400000_NS6detail17trampoline_kernelINS0_14default_configENS1_27lower_bound_config_selectorItlEEZNS1_14transform_implILb0ES3_S5_N6thrust23THRUST_200600_302600_NS6detail15normal_iteratorINS8_7pointerItNS8_11hip_rocprim5par_tENS8_11use_defaultESE_EEEENSA_INSB_IlSD_SE_SE_EEEEZNS1_13binary_searchIS3_S5_NSA_INS8_10device_ptrItEEEESG_SI_NS1_21lower_bound_search_opENS9_16wrapped_functionINS8_6system6detail7generic6detail18binary_search_lessEbEEEE10hipError_tPvRmT1_T2_T3_mmT4_T5_P12ihipStream_tbEUlRKtE_EESV_SZ_S10_mS11_S14_bEUlT_E_NS1_11comp_targetILNS1_3genE0ELNS1_11target_archE4294967295ELNS1_3gpuE0ELNS1_3repE0EEENS1_30default_config_static_selectorELNS0_4arch9wavefront6targetE1EEEvSY_
; %bb.0:
	.section	.rodata,"a",@progbits
	.p2align	6, 0x0
	.amdhsa_kernel _ZN7rocprim17ROCPRIM_400000_NS6detail17trampoline_kernelINS0_14default_configENS1_27lower_bound_config_selectorItlEEZNS1_14transform_implILb0ES3_S5_N6thrust23THRUST_200600_302600_NS6detail15normal_iteratorINS8_7pointerItNS8_11hip_rocprim5par_tENS8_11use_defaultESE_EEEENSA_INSB_IlSD_SE_SE_EEEEZNS1_13binary_searchIS3_S5_NSA_INS8_10device_ptrItEEEESG_SI_NS1_21lower_bound_search_opENS9_16wrapped_functionINS8_6system6detail7generic6detail18binary_search_lessEbEEEE10hipError_tPvRmT1_T2_T3_mmT4_T5_P12ihipStream_tbEUlRKtE_EESV_SZ_S10_mS11_S14_bEUlT_E_NS1_11comp_targetILNS1_3genE0ELNS1_11target_archE4294967295ELNS1_3gpuE0ELNS1_3repE0EEENS1_30default_config_static_selectorELNS0_4arch9wavefront6targetE1EEEvSY_
		.amdhsa_group_segment_fixed_size 0
		.amdhsa_private_segment_fixed_size 0
		.amdhsa_kernarg_size 56
		.amdhsa_user_sgpr_count 6
		.amdhsa_user_sgpr_private_segment_buffer 1
		.amdhsa_user_sgpr_dispatch_ptr 0
		.amdhsa_user_sgpr_queue_ptr 0
		.amdhsa_user_sgpr_kernarg_segment_ptr 1
		.amdhsa_user_sgpr_dispatch_id 0
		.amdhsa_user_sgpr_flat_scratch_init 0
		.amdhsa_user_sgpr_private_segment_size 0
		.amdhsa_uses_dynamic_stack 0
		.amdhsa_system_sgpr_private_segment_wavefront_offset 0
		.amdhsa_system_sgpr_workgroup_id_x 1
		.amdhsa_system_sgpr_workgroup_id_y 0
		.amdhsa_system_sgpr_workgroup_id_z 0
		.amdhsa_system_sgpr_workgroup_info 0
		.amdhsa_system_vgpr_workitem_id 0
		.amdhsa_next_free_vgpr 1
		.amdhsa_next_free_sgpr 0
		.amdhsa_reserve_vcc 0
		.amdhsa_reserve_flat_scratch 0
		.amdhsa_float_round_mode_32 0
		.amdhsa_float_round_mode_16_64 0
		.amdhsa_float_denorm_mode_32 3
		.amdhsa_float_denorm_mode_16_64 3
		.amdhsa_dx10_clamp 1
		.amdhsa_ieee_mode 1
		.amdhsa_fp16_overflow 0
		.amdhsa_exception_fp_ieee_invalid_op 0
		.amdhsa_exception_fp_denorm_src 0
		.amdhsa_exception_fp_ieee_div_zero 0
		.amdhsa_exception_fp_ieee_overflow 0
		.amdhsa_exception_fp_ieee_underflow 0
		.amdhsa_exception_fp_ieee_inexact 0
		.amdhsa_exception_int_div_zero 0
	.end_amdhsa_kernel
	.section	.text._ZN7rocprim17ROCPRIM_400000_NS6detail17trampoline_kernelINS0_14default_configENS1_27lower_bound_config_selectorItlEEZNS1_14transform_implILb0ES3_S5_N6thrust23THRUST_200600_302600_NS6detail15normal_iteratorINS8_7pointerItNS8_11hip_rocprim5par_tENS8_11use_defaultESE_EEEENSA_INSB_IlSD_SE_SE_EEEEZNS1_13binary_searchIS3_S5_NSA_INS8_10device_ptrItEEEESG_SI_NS1_21lower_bound_search_opENS9_16wrapped_functionINS8_6system6detail7generic6detail18binary_search_lessEbEEEE10hipError_tPvRmT1_T2_T3_mmT4_T5_P12ihipStream_tbEUlRKtE_EESV_SZ_S10_mS11_S14_bEUlT_E_NS1_11comp_targetILNS1_3genE0ELNS1_11target_archE4294967295ELNS1_3gpuE0ELNS1_3repE0EEENS1_30default_config_static_selectorELNS0_4arch9wavefront6targetE1EEEvSY_,"axG",@progbits,_ZN7rocprim17ROCPRIM_400000_NS6detail17trampoline_kernelINS0_14default_configENS1_27lower_bound_config_selectorItlEEZNS1_14transform_implILb0ES3_S5_N6thrust23THRUST_200600_302600_NS6detail15normal_iteratorINS8_7pointerItNS8_11hip_rocprim5par_tENS8_11use_defaultESE_EEEENSA_INSB_IlSD_SE_SE_EEEEZNS1_13binary_searchIS3_S5_NSA_INS8_10device_ptrItEEEESG_SI_NS1_21lower_bound_search_opENS9_16wrapped_functionINS8_6system6detail7generic6detail18binary_search_lessEbEEEE10hipError_tPvRmT1_T2_T3_mmT4_T5_P12ihipStream_tbEUlRKtE_EESV_SZ_S10_mS11_S14_bEUlT_E_NS1_11comp_targetILNS1_3genE0ELNS1_11target_archE4294967295ELNS1_3gpuE0ELNS1_3repE0EEENS1_30default_config_static_selectorELNS0_4arch9wavefront6targetE1EEEvSY_,comdat
.Lfunc_end376:
	.size	_ZN7rocprim17ROCPRIM_400000_NS6detail17trampoline_kernelINS0_14default_configENS1_27lower_bound_config_selectorItlEEZNS1_14transform_implILb0ES3_S5_N6thrust23THRUST_200600_302600_NS6detail15normal_iteratorINS8_7pointerItNS8_11hip_rocprim5par_tENS8_11use_defaultESE_EEEENSA_INSB_IlSD_SE_SE_EEEEZNS1_13binary_searchIS3_S5_NSA_INS8_10device_ptrItEEEESG_SI_NS1_21lower_bound_search_opENS9_16wrapped_functionINS8_6system6detail7generic6detail18binary_search_lessEbEEEE10hipError_tPvRmT1_T2_T3_mmT4_T5_P12ihipStream_tbEUlRKtE_EESV_SZ_S10_mS11_S14_bEUlT_E_NS1_11comp_targetILNS1_3genE0ELNS1_11target_archE4294967295ELNS1_3gpuE0ELNS1_3repE0EEENS1_30default_config_static_selectorELNS0_4arch9wavefront6targetE1EEEvSY_, .Lfunc_end376-_ZN7rocprim17ROCPRIM_400000_NS6detail17trampoline_kernelINS0_14default_configENS1_27lower_bound_config_selectorItlEEZNS1_14transform_implILb0ES3_S5_N6thrust23THRUST_200600_302600_NS6detail15normal_iteratorINS8_7pointerItNS8_11hip_rocprim5par_tENS8_11use_defaultESE_EEEENSA_INSB_IlSD_SE_SE_EEEEZNS1_13binary_searchIS3_S5_NSA_INS8_10device_ptrItEEEESG_SI_NS1_21lower_bound_search_opENS9_16wrapped_functionINS8_6system6detail7generic6detail18binary_search_lessEbEEEE10hipError_tPvRmT1_T2_T3_mmT4_T5_P12ihipStream_tbEUlRKtE_EESV_SZ_S10_mS11_S14_bEUlT_E_NS1_11comp_targetILNS1_3genE0ELNS1_11target_archE4294967295ELNS1_3gpuE0ELNS1_3repE0EEENS1_30default_config_static_selectorELNS0_4arch9wavefront6targetE1EEEvSY_
                                        ; -- End function
	.set _ZN7rocprim17ROCPRIM_400000_NS6detail17trampoline_kernelINS0_14default_configENS1_27lower_bound_config_selectorItlEEZNS1_14transform_implILb0ES3_S5_N6thrust23THRUST_200600_302600_NS6detail15normal_iteratorINS8_7pointerItNS8_11hip_rocprim5par_tENS8_11use_defaultESE_EEEENSA_INSB_IlSD_SE_SE_EEEEZNS1_13binary_searchIS3_S5_NSA_INS8_10device_ptrItEEEESG_SI_NS1_21lower_bound_search_opENS9_16wrapped_functionINS8_6system6detail7generic6detail18binary_search_lessEbEEEE10hipError_tPvRmT1_T2_T3_mmT4_T5_P12ihipStream_tbEUlRKtE_EESV_SZ_S10_mS11_S14_bEUlT_E_NS1_11comp_targetILNS1_3genE0ELNS1_11target_archE4294967295ELNS1_3gpuE0ELNS1_3repE0EEENS1_30default_config_static_selectorELNS0_4arch9wavefront6targetE1EEEvSY_.num_vgpr, 0
	.set _ZN7rocprim17ROCPRIM_400000_NS6detail17trampoline_kernelINS0_14default_configENS1_27lower_bound_config_selectorItlEEZNS1_14transform_implILb0ES3_S5_N6thrust23THRUST_200600_302600_NS6detail15normal_iteratorINS8_7pointerItNS8_11hip_rocprim5par_tENS8_11use_defaultESE_EEEENSA_INSB_IlSD_SE_SE_EEEEZNS1_13binary_searchIS3_S5_NSA_INS8_10device_ptrItEEEESG_SI_NS1_21lower_bound_search_opENS9_16wrapped_functionINS8_6system6detail7generic6detail18binary_search_lessEbEEEE10hipError_tPvRmT1_T2_T3_mmT4_T5_P12ihipStream_tbEUlRKtE_EESV_SZ_S10_mS11_S14_bEUlT_E_NS1_11comp_targetILNS1_3genE0ELNS1_11target_archE4294967295ELNS1_3gpuE0ELNS1_3repE0EEENS1_30default_config_static_selectorELNS0_4arch9wavefront6targetE1EEEvSY_.num_agpr, 0
	.set _ZN7rocprim17ROCPRIM_400000_NS6detail17trampoline_kernelINS0_14default_configENS1_27lower_bound_config_selectorItlEEZNS1_14transform_implILb0ES3_S5_N6thrust23THRUST_200600_302600_NS6detail15normal_iteratorINS8_7pointerItNS8_11hip_rocprim5par_tENS8_11use_defaultESE_EEEENSA_INSB_IlSD_SE_SE_EEEEZNS1_13binary_searchIS3_S5_NSA_INS8_10device_ptrItEEEESG_SI_NS1_21lower_bound_search_opENS9_16wrapped_functionINS8_6system6detail7generic6detail18binary_search_lessEbEEEE10hipError_tPvRmT1_T2_T3_mmT4_T5_P12ihipStream_tbEUlRKtE_EESV_SZ_S10_mS11_S14_bEUlT_E_NS1_11comp_targetILNS1_3genE0ELNS1_11target_archE4294967295ELNS1_3gpuE0ELNS1_3repE0EEENS1_30default_config_static_selectorELNS0_4arch9wavefront6targetE1EEEvSY_.numbered_sgpr, 0
	.set _ZN7rocprim17ROCPRIM_400000_NS6detail17trampoline_kernelINS0_14default_configENS1_27lower_bound_config_selectorItlEEZNS1_14transform_implILb0ES3_S5_N6thrust23THRUST_200600_302600_NS6detail15normal_iteratorINS8_7pointerItNS8_11hip_rocprim5par_tENS8_11use_defaultESE_EEEENSA_INSB_IlSD_SE_SE_EEEEZNS1_13binary_searchIS3_S5_NSA_INS8_10device_ptrItEEEESG_SI_NS1_21lower_bound_search_opENS9_16wrapped_functionINS8_6system6detail7generic6detail18binary_search_lessEbEEEE10hipError_tPvRmT1_T2_T3_mmT4_T5_P12ihipStream_tbEUlRKtE_EESV_SZ_S10_mS11_S14_bEUlT_E_NS1_11comp_targetILNS1_3genE0ELNS1_11target_archE4294967295ELNS1_3gpuE0ELNS1_3repE0EEENS1_30default_config_static_selectorELNS0_4arch9wavefront6targetE1EEEvSY_.num_named_barrier, 0
	.set _ZN7rocprim17ROCPRIM_400000_NS6detail17trampoline_kernelINS0_14default_configENS1_27lower_bound_config_selectorItlEEZNS1_14transform_implILb0ES3_S5_N6thrust23THRUST_200600_302600_NS6detail15normal_iteratorINS8_7pointerItNS8_11hip_rocprim5par_tENS8_11use_defaultESE_EEEENSA_INSB_IlSD_SE_SE_EEEEZNS1_13binary_searchIS3_S5_NSA_INS8_10device_ptrItEEEESG_SI_NS1_21lower_bound_search_opENS9_16wrapped_functionINS8_6system6detail7generic6detail18binary_search_lessEbEEEE10hipError_tPvRmT1_T2_T3_mmT4_T5_P12ihipStream_tbEUlRKtE_EESV_SZ_S10_mS11_S14_bEUlT_E_NS1_11comp_targetILNS1_3genE0ELNS1_11target_archE4294967295ELNS1_3gpuE0ELNS1_3repE0EEENS1_30default_config_static_selectorELNS0_4arch9wavefront6targetE1EEEvSY_.private_seg_size, 0
	.set _ZN7rocprim17ROCPRIM_400000_NS6detail17trampoline_kernelINS0_14default_configENS1_27lower_bound_config_selectorItlEEZNS1_14transform_implILb0ES3_S5_N6thrust23THRUST_200600_302600_NS6detail15normal_iteratorINS8_7pointerItNS8_11hip_rocprim5par_tENS8_11use_defaultESE_EEEENSA_INSB_IlSD_SE_SE_EEEEZNS1_13binary_searchIS3_S5_NSA_INS8_10device_ptrItEEEESG_SI_NS1_21lower_bound_search_opENS9_16wrapped_functionINS8_6system6detail7generic6detail18binary_search_lessEbEEEE10hipError_tPvRmT1_T2_T3_mmT4_T5_P12ihipStream_tbEUlRKtE_EESV_SZ_S10_mS11_S14_bEUlT_E_NS1_11comp_targetILNS1_3genE0ELNS1_11target_archE4294967295ELNS1_3gpuE0ELNS1_3repE0EEENS1_30default_config_static_selectorELNS0_4arch9wavefront6targetE1EEEvSY_.uses_vcc, 0
	.set _ZN7rocprim17ROCPRIM_400000_NS6detail17trampoline_kernelINS0_14default_configENS1_27lower_bound_config_selectorItlEEZNS1_14transform_implILb0ES3_S5_N6thrust23THRUST_200600_302600_NS6detail15normal_iteratorINS8_7pointerItNS8_11hip_rocprim5par_tENS8_11use_defaultESE_EEEENSA_INSB_IlSD_SE_SE_EEEEZNS1_13binary_searchIS3_S5_NSA_INS8_10device_ptrItEEEESG_SI_NS1_21lower_bound_search_opENS9_16wrapped_functionINS8_6system6detail7generic6detail18binary_search_lessEbEEEE10hipError_tPvRmT1_T2_T3_mmT4_T5_P12ihipStream_tbEUlRKtE_EESV_SZ_S10_mS11_S14_bEUlT_E_NS1_11comp_targetILNS1_3genE0ELNS1_11target_archE4294967295ELNS1_3gpuE0ELNS1_3repE0EEENS1_30default_config_static_selectorELNS0_4arch9wavefront6targetE1EEEvSY_.uses_flat_scratch, 0
	.set _ZN7rocprim17ROCPRIM_400000_NS6detail17trampoline_kernelINS0_14default_configENS1_27lower_bound_config_selectorItlEEZNS1_14transform_implILb0ES3_S5_N6thrust23THRUST_200600_302600_NS6detail15normal_iteratorINS8_7pointerItNS8_11hip_rocprim5par_tENS8_11use_defaultESE_EEEENSA_INSB_IlSD_SE_SE_EEEEZNS1_13binary_searchIS3_S5_NSA_INS8_10device_ptrItEEEESG_SI_NS1_21lower_bound_search_opENS9_16wrapped_functionINS8_6system6detail7generic6detail18binary_search_lessEbEEEE10hipError_tPvRmT1_T2_T3_mmT4_T5_P12ihipStream_tbEUlRKtE_EESV_SZ_S10_mS11_S14_bEUlT_E_NS1_11comp_targetILNS1_3genE0ELNS1_11target_archE4294967295ELNS1_3gpuE0ELNS1_3repE0EEENS1_30default_config_static_selectorELNS0_4arch9wavefront6targetE1EEEvSY_.has_dyn_sized_stack, 0
	.set _ZN7rocprim17ROCPRIM_400000_NS6detail17trampoline_kernelINS0_14default_configENS1_27lower_bound_config_selectorItlEEZNS1_14transform_implILb0ES3_S5_N6thrust23THRUST_200600_302600_NS6detail15normal_iteratorINS8_7pointerItNS8_11hip_rocprim5par_tENS8_11use_defaultESE_EEEENSA_INSB_IlSD_SE_SE_EEEEZNS1_13binary_searchIS3_S5_NSA_INS8_10device_ptrItEEEESG_SI_NS1_21lower_bound_search_opENS9_16wrapped_functionINS8_6system6detail7generic6detail18binary_search_lessEbEEEE10hipError_tPvRmT1_T2_T3_mmT4_T5_P12ihipStream_tbEUlRKtE_EESV_SZ_S10_mS11_S14_bEUlT_E_NS1_11comp_targetILNS1_3genE0ELNS1_11target_archE4294967295ELNS1_3gpuE0ELNS1_3repE0EEENS1_30default_config_static_selectorELNS0_4arch9wavefront6targetE1EEEvSY_.has_recursion, 0
	.set _ZN7rocprim17ROCPRIM_400000_NS6detail17trampoline_kernelINS0_14default_configENS1_27lower_bound_config_selectorItlEEZNS1_14transform_implILb0ES3_S5_N6thrust23THRUST_200600_302600_NS6detail15normal_iteratorINS8_7pointerItNS8_11hip_rocprim5par_tENS8_11use_defaultESE_EEEENSA_INSB_IlSD_SE_SE_EEEEZNS1_13binary_searchIS3_S5_NSA_INS8_10device_ptrItEEEESG_SI_NS1_21lower_bound_search_opENS9_16wrapped_functionINS8_6system6detail7generic6detail18binary_search_lessEbEEEE10hipError_tPvRmT1_T2_T3_mmT4_T5_P12ihipStream_tbEUlRKtE_EESV_SZ_S10_mS11_S14_bEUlT_E_NS1_11comp_targetILNS1_3genE0ELNS1_11target_archE4294967295ELNS1_3gpuE0ELNS1_3repE0EEENS1_30default_config_static_selectorELNS0_4arch9wavefront6targetE1EEEvSY_.has_indirect_call, 0
	.section	.AMDGPU.csdata,"",@progbits
; Kernel info:
; codeLenInByte = 0
; TotalNumSgprs: 4
; NumVgprs: 0
; ScratchSize: 0
; MemoryBound: 0
; FloatMode: 240
; IeeeMode: 1
; LDSByteSize: 0 bytes/workgroup (compile time only)
; SGPRBlocks: 0
; VGPRBlocks: 0
; NumSGPRsForWavesPerEU: 4
; NumVGPRsForWavesPerEU: 1
; Occupancy: 10
; WaveLimiterHint : 0
; COMPUTE_PGM_RSRC2:SCRATCH_EN: 0
; COMPUTE_PGM_RSRC2:USER_SGPR: 6
; COMPUTE_PGM_RSRC2:TRAP_HANDLER: 0
; COMPUTE_PGM_RSRC2:TGID_X_EN: 1
; COMPUTE_PGM_RSRC2:TGID_Y_EN: 0
; COMPUTE_PGM_RSRC2:TGID_Z_EN: 0
; COMPUTE_PGM_RSRC2:TIDIG_COMP_CNT: 0
	.section	.text._ZN7rocprim17ROCPRIM_400000_NS6detail17trampoline_kernelINS0_14default_configENS1_27lower_bound_config_selectorItlEEZNS1_14transform_implILb0ES3_S5_N6thrust23THRUST_200600_302600_NS6detail15normal_iteratorINS8_7pointerItNS8_11hip_rocprim5par_tENS8_11use_defaultESE_EEEENSA_INSB_IlSD_SE_SE_EEEEZNS1_13binary_searchIS3_S5_NSA_INS8_10device_ptrItEEEESG_SI_NS1_21lower_bound_search_opENS9_16wrapped_functionINS8_6system6detail7generic6detail18binary_search_lessEbEEEE10hipError_tPvRmT1_T2_T3_mmT4_T5_P12ihipStream_tbEUlRKtE_EESV_SZ_S10_mS11_S14_bEUlT_E_NS1_11comp_targetILNS1_3genE5ELNS1_11target_archE942ELNS1_3gpuE9ELNS1_3repE0EEENS1_30default_config_static_selectorELNS0_4arch9wavefront6targetE1EEEvSY_,"axG",@progbits,_ZN7rocprim17ROCPRIM_400000_NS6detail17trampoline_kernelINS0_14default_configENS1_27lower_bound_config_selectorItlEEZNS1_14transform_implILb0ES3_S5_N6thrust23THRUST_200600_302600_NS6detail15normal_iteratorINS8_7pointerItNS8_11hip_rocprim5par_tENS8_11use_defaultESE_EEEENSA_INSB_IlSD_SE_SE_EEEEZNS1_13binary_searchIS3_S5_NSA_INS8_10device_ptrItEEEESG_SI_NS1_21lower_bound_search_opENS9_16wrapped_functionINS8_6system6detail7generic6detail18binary_search_lessEbEEEE10hipError_tPvRmT1_T2_T3_mmT4_T5_P12ihipStream_tbEUlRKtE_EESV_SZ_S10_mS11_S14_bEUlT_E_NS1_11comp_targetILNS1_3genE5ELNS1_11target_archE942ELNS1_3gpuE9ELNS1_3repE0EEENS1_30default_config_static_selectorELNS0_4arch9wavefront6targetE1EEEvSY_,comdat
	.protected	_ZN7rocprim17ROCPRIM_400000_NS6detail17trampoline_kernelINS0_14default_configENS1_27lower_bound_config_selectorItlEEZNS1_14transform_implILb0ES3_S5_N6thrust23THRUST_200600_302600_NS6detail15normal_iteratorINS8_7pointerItNS8_11hip_rocprim5par_tENS8_11use_defaultESE_EEEENSA_INSB_IlSD_SE_SE_EEEEZNS1_13binary_searchIS3_S5_NSA_INS8_10device_ptrItEEEESG_SI_NS1_21lower_bound_search_opENS9_16wrapped_functionINS8_6system6detail7generic6detail18binary_search_lessEbEEEE10hipError_tPvRmT1_T2_T3_mmT4_T5_P12ihipStream_tbEUlRKtE_EESV_SZ_S10_mS11_S14_bEUlT_E_NS1_11comp_targetILNS1_3genE5ELNS1_11target_archE942ELNS1_3gpuE9ELNS1_3repE0EEENS1_30default_config_static_selectorELNS0_4arch9wavefront6targetE1EEEvSY_ ; -- Begin function _ZN7rocprim17ROCPRIM_400000_NS6detail17trampoline_kernelINS0_14default_configENS1_27lower_bound_config_selectorItlEEZNS1_14transform_implILb0ES3_S5_N6thrust23THRUST_200600_302600_NS6detail15normal_iteratorINS8_7pointerItNS8_11hip_rocprim5par_tENS8_11use_defaultESE_EEEENSA_INSB_IlSD_SE_SE_EEEEZNS1_13binary_searchIS3_S5_NSA_INS8_10device_ptrItEEEESG_SI_NS1_21lower_bound_search_opENS9_16wrapped_functionINS8_6system6detail7generic6detail18binary_search_lessEbEEEE10hipError_tPvRmT1_T2_T3_mmT4_T5_P12ihipStream_tbEUlRKtE_EESV_SZ_S10_mS11_S14_bEUlT_E_NS1_11comp_targetILNS1_3genE5ELNS1_11target_archE942ELNS1_3gpuE9ELNS1_3repE0EEENS1_30default_config_static_selectorELNS0_4arch9wavefront6targetE1EEEvSY_
	.globl	_ZN7rocprim17ROCPRIM_400000_NS6detail17trampoline_kernelINS0_14default_configENS1_27lower_bound_config_selectorItlEEZNS1_14transform_implILb0ES3_S5_N6thrust23THRUST_200600_302600_NS6detail15normal_iteratorINS8_7pointerItNS8_11hip_rocprim5par_tENS8_11use_defaultESE_EEEENSA_INSB_IlSD_SE_SE_EEEEZNS1_13binary_searchIS3_S5_NSA_INS8_10device_ptrItEEEESG_SI_NS1_21lower_bound_search_opENS9_16wrapped_functionINS8_6system6detail7generic6detail18binary_search_lessEbEEEE10hipError_tPvRmT1_T2_T3_mmT4_T5_P12ihipStream_tbEUlRKtE_EESV_SZ_S10_mS11_S14_bEUlT_E_NS1_11comp_targetILNS1_3genE5ELNS1_11target_archE942ELNS1_3gpuE9ELNS1_3repE0EEENS1_30default_config_static_selectorELNS0_4arch9wavefront6targetE1EEEvSY_
	.p2align	8
	.type	_ZN7rocprim17ROCPRIM_400000_NS6detail17trampoline_kernelINS0_14default_configENS1_27lower_bound_config_selectorItlEEZNS1_14transform_implILb0ES3_S5_N6thrust23THRUST_200600_302600_NS6detail15normal_iteratorINS8_7pointerItNS8_11hip_rocprim5par_tENS8_11use_defaultESE_EEEENSA_INSB_IlSD_SE_SE_EEEEZNS1_13binary_searchIS3_S5_NSA_INS8_10device_ptrItEEEESG_SI_NS1_21lower_bound_search_opENS9_16wrapped_functionINS8_6system6detail7generic6detail18binary_search_lessEbEEEE10hipError_tPvRmT1_T2_T3_mmT4_T5_P12ihipStream_tbEUlRKtE_EESV_SZ_S10_mS11_S14_bEUlT_E_NS1_11comp_targetILNS1_3genE5ELNS1_11target_archE942ELNS1_3gpuE9ELNS1_3repE0EEENS1_30default_config_static_selectorELNS0_4arch9wavefront6targetE1EEEvSY_,@function
_ZN7rocprim17ROCPRIM_400000_NS6detail17trampoline_kernelINS0_14default_configENS1_27lower_bound_config_selectorItlEEZNS1_14transform_implILb0ES3_S5_N6thrust23THRUST_200600_302600_NS6detail15normal_iteratorINS8_7pointerItNS8_11hip_rocprim5par_tENS8_11use_defaultESE_EEEENSA_INSB_IlSD_SE_SE_EEEEZNS1_13binary_searchIS3_S5_NSA_INS8_10device_ptrItEEEESG_SI_NS1_21lower_bound_search_opENS9_16wrapped_functionINS8_6system6detail7generic6detail18binary_search_lessEbEEEE10hipError_tPvRmT1_T2_T3_mmT4_T5_P12ihipStream_tbEUlRKtE_EESV_SZ_S10_mS11_S14_bEUlT_E_NS1_11comp_targetILNS1_3genE5ELNS1_11target_archE942ELNS1_3gpuE9ELNS1_3repE0EEENS1_30default_config_static_selectorELNS0_4arch9wavefront6targetE1EEEvSY_: ; @_ZN7rocprim17ROCPRIM_400000_NS6detail17trampoline_kernelINS0_14default_configENS1_27lower_bound_config_selectorItlEEZNS1_14transform_implILb0ES3_S5_N6thrust23THRUST_200600_302600_NS6detail15normal_iteratorINS8_7pointerItNS8_11hip_rocprim5par_tENS8_11use_defaultESE_EEEENSA_INSB_IlSD_SE_SE_EEEEZNS1_13binary_searchIS3_S5_NSA_INS8_10device_ptrItEEEESG_SI_NS1_21lower_bound_search_opENS9_16wrapped_functionINS8_6system6detail7generic6detail18binary_search_lessEbEEEE10hipError_tPvRmT1_T2_T3_mmT4_T5_P12ihipStream_tbEUlRKtE_EESV_SZ_S10_mS11_S14_bEUlT_E_NS1_11comp_targetILNS1_3genE5ELNS1_11target_archE942ELNS1_3gpuE9ELNS1_3repE0EEENS1_30default_config_static_selectorELNS0_4arch9wavefront6targetE1EEEvSY_
; %bb.0:
	.section	.rodata,"a",@progbits
	.p2align	6, 0x0
	.amdhsa_kernel _ZN7rocprim17ROCPRIM_400000_NS6detail17trampoline_kernelINS0_14default_configENS1_27lower_bound_config_selectorItlEEZNS1_14transform_implILb0ES3_S5_N6thrust23THRUST_200600_302600_NS6detail15normal_iteratorINS8_7pointerItNS8_11hip_rocprim5par_tENS8_11use_defaultESE_EEEENSA_INSB_IlSD_SE_SE_EEEEZNS1_13binary_searchIS3_S5_NSA_INS8_10device_ptrItEEEESG_SI_NS1_21lower_bound_search_opENS9_16wrapped_functionINS8_6system6detail7generic6detail18binary_search_lessEbEEEE10hipError_tPvRmT1_T2_T3_mmT4_T5_P12ihipStream_tbEUlRKtE_EESV_SZ_S10_mS11_S14_bEUlT_E_NS1_11comp_targetILNS1_3genE5ELNS1_11target_archE942ELNS1_3gpuE9ELNS1_3repE0EEENS1_30default_config_static_selectorELNS0_4arch9wavefront6targetE1EEEvSY_
		.amdhsa_group_segment_fixed_size 0
		.amdhsa_private_segment_fixed_size 0
		.amdhsa_kernarg_size 56
		.amdhsa_user_sgpr_count 6
		.amdhsa_user_sgpr_private_segment_buffer 1
		.amdhsa_user_sgpr_dispatch_ptr 0
		.amdhsa_user_sgpr_queue_ptr 0
		.amdhsa_user_sgpr_kernarg_segment_ptr 1
		.amdhsa_user_sgpr_dispatch_id 0
		.amdhsa_user_sgpr_flat_scratch_init 0
		.amdhsa_user_sgpr_private_segment_size 0
		.amdhsa_uses_dynamic_stack 0
		.amdhsa_system_sgpr_private_segment_wavefront_offset 0
		.amdhsa_system_sgpr_workgroup_id_x 1
		.amdhsa_system_sgpr_workgroup_id_y 0
		.amdhsa_system_sgpr_workgroup_id_z 0
		.amdhsa_system_sgpr_workgroup_info 0
		.amdhsa_system_vgpr_workitem_id 0
		.amdhsa_next_free_vgpr 1
		.amdhsa_next_free_sgpr 0
		.amdhsa_reserve_vcc 0
		.amdhsa_reserve_flat_scratch 0
		.amdhsa_float_round_mode_32 0
		.amdhsa_float_round_mode_16_64 0
		.amdhsa_float_denorm_mode_32 3
		.amdhsa_float_denorm_mode_16_64 3
		.amdhsa_dx10_clamp 1
		.amdhsa_ieee_mode 1
		.amdhsa_fp16_overflow 0
		.amdhsa_exception_fp_ieee_invalid_op 0
		.amdhsa_exception_fp_denorm_src 0
		.amdhsa_exception_fp_ieee_div_zero 0
		.amdhsa_exception_fp_ieee_overflow 0
		.amdhsa_exception_fp_ieee_underflow 0
		.amdhsa_exception_fp_ieee_inexact 0
		.amdhsa_exception_int_div_zero 0
	.end_amdhsa_kernel
	.section	.text._ZN7rocprim17ROCPRIM_400000_NS6detail17trampoline_kernelINS0_14default_configENS1_27lower_bound_config_selectorItlEEZNS1_14transform_implILb0ES3_S5_N6thrust23THRUST_200600_302600_NS6detail15normal_iteratorINS8_7pointerItNS8_11hip_rocprim5par_tENS8_11use_defaultESE_EEEENSA_INSB_IlSD_SE_SE_EEEEZNS1_13binary_searchIS3_S5_NSA_INS8_10device_ptrItEEEESG_SI_NS1_21lower_bound_search_opENS9_16wrapped_functionINS8_6system6detail7generic6detail18binary_search_lessEbEEEE10hipError_tPvRmT1_T2_T3_mmT4_T5_P12ihipStream_tbEUlRKtE_EESV_SZ_S10_mS11_S14_bEUlT_E_NS1_11comp_targetILNS1_3genE5ELNS1_11target_archE942ELNS1_3gpuE9ELNS1_3repE0EEENS1_30default_config_static_selectorELNS0_4arch9wavefront6targetE1EEEvSY_,"axG",@progbits,_ZN7rocprim17ROCPRIM_400000_NS6detail17trampoline_kernelINS0_14default_configENS1_27lower_bound_config_selectorItlEEZNS1_14transform_implILb0ES3_S5_N6thrust23THRUST_200600_302600_NS6detail15normal_iteratorINS8_7pointerItNS8_11hip_rocprim5par_tENS8_11use_defaultESE_EEEENSA_INSB_IlSD_SE_SE_EEEEZNS1_13binary_searchIS3_S5_NSA_INS8_10device_ptrItEEEESG_SI_NS1_21lower_bound_search_opENS9_16wrapped_functionINS8_6system6detail7generic6detail18binary_search_lessEbEEEE10hipError_tPvRmT1_T2_T3_mmT4_T5_P12ihipStream_tbEUlRKtE_EESV_SZ_S10_mS11_S14_bEUlT_E_NS1_11comp_targetILNS1_3genE5ELNS1_11target_archE942ELNS1_3gpuE9ELNS1_3repE0EEENS1_30default_config_static_selectorELNS0_4arch9wavefront6targetE1EEEvSY_,comdat
.Lfunc_end377:
	.size	_ZN7rocprim17ROCPRIM_400000_NS6detail17trampoline_kernelINS0_14default_configENS1_27lower_bound_config_selectorItlEEZNS1_14transform_implILb0ES3_S5_N6thrust23THRUST_200600_302600_NS6detail15normal_iteratorINS8_7pointerItNS8_11hip_rocprim5par_tENS8_11use_defaultESE_EEEENSA_INSB_IlSD_SE_SE_EEEEZNS1_13binary_searchIS3_S5_NSA_INS8_10device_ptrItEEEESG_SI_NS1_21lower_bound_search_opENS9_16wrapped_functionINS8_6system6detail7generic6detail18binary_search_lessEbEEEE10hipError_tPvRmT1_T2_T3_mmT4_T5_P12ihipStream_tbEUlRKtE_EESV_SZ_S10_mS11_S14_bEUlT_E_NS1_11comp_targetILNS1_3genE5ELNS1_11target_archE942ELNS1_3gpuE9ELNS1_3repE0EEENS1_30default_config_static_selectorELNS0_4arch9wavefront6targetE1EEEvSY_, .Lfunc_end377-_ZN7rocprim17ROCPRIM_400000_NS6detail17trampoline_kernelINS0_14default_configENS1_27lower_bound_config_selectorItlEEZNS1_14transform_implILb0ES3_S5_N6thrust23THRUST_200600_302600_NS6detail15normal_iteratorINS8_7pointerItNS8_11hip_rocprim5par_tENS8_11use_defaultESE_EEEENSA_INSB_IlSD_SE_SE_EEEEZNS1_13binary_searchIS3_S5_NSA_INS8_10device_ptrItEEEESG_SI_NS1_21lower_bound_search_opENS9_16wrapped_functionINS8_6system6detail7generic6detail18binary_search_lessEbEEEE10hipError_tPvRmT1_T2_T3_mmT4_T5_P12ihipStream_tbEUlRKtE_EESV_SZ_S10_mS11_S14_bEUlT_E_NS1_11comp_targetILNS1_3genE5ELNS1_11target_archE942ELNS1_3gpuE9ELNS1_3repE0EEENS1_30default_config_static_selectorELNS0_4arch9wavefront6targetE1EEEvSY_
                                        ; -- End function
	.set _ZN7rocprim17ROCPRIM_400000_NS6detail17trampoline_kernelINS0_14default_configENS1_27lower_bound_config_selectorItlEEZNS1_14transform_implILb0ES3_S5_N6thrust23THRUST_200600_302600_NS6detail15normal_iteratorINS8_7pointerItNS8_11hip_rocprim5par_tENS8_11use_defaultESE_EEEENSA_INSB_IlSD_SE_SE_EEEEZNS1_13binary_searchIS3_S5_NSA_INS8_10device_ptrItEEEESG_SI_NS1_21lower_bound_search_opENS9_16wrapped_functionINS8_6system6detail7generic6detail18binary_search_lessEbEEEE10hipError_tPvRmT1_T2_T3_mmT4_T5_P12ihipStream_tbEUlRKtE_EESV_SZ_S10_mS11_S14_bEUlT_E_NS1_11comp_targetILNS1_3genE5ELNS1_11target_archE942ELNS1_3gpuE9ELNS1_3repE0EEENS1_30default_config_static_selectorELNS0_4arch9wavefront6targetE1EEEvSY_.num_vgpr, 0
	.set _ZN7rocprim17ROCPRIM_400000_NS6detail17trampoline_kernelINS0_14default_configENS1_27lower_bound_config_selectorItlEEZNS1_14transform_implILb0ES3_S5_N6thrust23THRUST_200600_302600_NS6detail15normal_iteratorINS8_7pointerItNS8_11hip_rocprim5par_tENS8_11use_defaultESE_EEEENSA_INSB_IlSD_SE_SE_EEEEZNS1_13binary_searchIS3_S5_NSA_INS8_10device_ptrItEEEESG_SI_NS1_21lower_bound_search_opENS9_16wrapped_functionINS8_6system6detail7generic6detail18binary_search_lessEbEEEE10hipError_tPvRmT1_T2_T3_mmT4_T5_P12ihipStream_tbEUlRKtE_EESV_SZ_S10_mS11_S14_bEUlT_E_NS1_11comp_targetILNS1_3genE5ELNS1_11target_archE942ELNS1_3gpuE9ELNS1_3repE0EEENS1_30default_config_static_selectorELNS0_4arch9wavefront6targetE1EEEvSY_.num_agpr, 0
	.set _ZN7rocprim17ROCPRIM_400000_NS6detail17trampoline_kernelINS0_14default_configENS1_27lower_bound_config_selectorItlEEZNS1_14transform_implILb0ES3_S5_N6thrust23THRUST_200600_302600_NS6detail15normal_iteratorINS8_7pointerItNS8_11hip_rocprim5par_tENS8_11use_defaultESE_EEEENSA_INSB_IlSD_SE_SE_EEEEZNS1_13binary_searchIS3_S5_NSA_INS8_10device_ptrItEEEESG_SI_NS1_21lower_bound_search_opENS9_16wrapped_functionINS8_6system6detail7generic6detail18binary_search_lessEbEEEE10hipError_tPvRmT1_T2_T3_mmT4_T5_P12ihipStream_tbEUlRKtE_EESV_SZ_S10_mS11_S14_bEUlT_E_NS1_11comp_targetILNS1_3genE5ELNS1_11target_archE942ELNS1_3gpuE9ELNS1_3repE0EEENS1_30default_config_static_selectorELNS0_4arch9wavefront6targetE1EEEvSY_.numbered_sgpr, 0
	.set _ZN7rocprim17ROCPRIM_400000_NS6detail17trampoline_kernelINS0_14default_configENS1_27lower_bound_config_selectorItlEEZNS1_14transform_implILb0ES3_S5_N6thrust23THRUST_200600_302600_NS6detail15normal_iteratorINS8_7pointerItNS8_11hip_rocprim5par_tENS8_11use_defaultESE_EEEENSA_INSB_IlSD_SE_SE_EEEEZNS1_13binary_searchIS3_S5_NSA_INS8_10device_ptrItEEEESG_SI_NS1_21lower_bound_search_opENS9_16wrapped_functionINS8_6system6detail7generic6detail18binary_search_lessEbEEEE10hipError_tPvRmT1_T2_T3_mmT4_T5_P12ihipStream_tbEUlRKtE_EESV_SZ_S10_mS11_S14_bEUlT_E_NS1_11comp_targetILNS1_3genE5ELNS1_11target_archE942ELNS1_3gpuE9ELNS1_3repE0EEENS1_30default_config_static_selectorELNS0_4arch9wavefront6targetE1EEEvSY_.num_named_barrier, 0
	.set _ZN7rocprim17ROCPRIM_400000_NS6detail17trampoline_kernelINS0_14default_configENS1_27lower_bound_config_selectorItlEEZNS1_14transform_implILb0ES3_S5_N6thrust23THRUST_200600_302600_NS6detail15normal_iteratorINS8_7pointerItNS8_11hip_rocprim5par_tENS8_11use_defaultESE_EEEENSA_INSB_IlSD_SE_SE_EEEEZNS1_13binary_searchIS3_S5_NSA_INS8_10device_ptrItEEEESG_SI_NS1_21lower_bound_search_opENS9_16wrapped_functionINS8_6system6detail7generic6detail18binary_search_lessEbEEEE10hipError_tPvRmT1_T2_T3_mmT4_T5_P12ihipStream_tbEUlRKtE_EESV_SZ_S10_mS11_S14_bEUlT_E_NS1_11comp_targetILNS1_3genE5ELNS1_11target_archE942ELNS1_3gpuE9ELNS1_3repE0EEENS1_30default_config_static_selectorELNS0_4arch9wavefront6targetE1EEEvSY_.private_seg_size, 0
	.set _ZN7rocprim17ROCPRIM_400000_NS6detail17trampoline_kernelINS0_14default_configENS1_27lower_bound_config_selectorItlEEZNS1_14transform_implILb0ES3_S5_N6thrust23THRUST_200600_302600_NS6detail15normal_iteratorINS8_7pointerItNS8_11hip_rocprim5par_tENS8_11use_defaultESE_EEEENSA_INSB_IlSD_SE_SE_EEEEZNS1_13binary_searchIS3_S5_NSA_INS8_10device_ptrItEEEESG_SI_NS1_21lower_bound_search_opENS9_16wrapped_functionINS8_6system6detail7generic6detail18binary_search_lessEbEEEE10hipError_tPvRmT1_T2_T3_mmT4_T5_P12ihipStream_tbEUlRKtE_EESV_SZ_S10_mS11_S14_bEUlT_E_NS1_11comp_targetILNS1_3genE5ELNS1_11target_archE942ELNS1_3gpuE9ELNS1_3repE0EEENS1_30default_config_static_selectorELNS0_4arch9wavefront6targetE1EEEvSY_.uses_vcc, 0
	.set _ZN7rocprim17ROCPRIM_400000_NS6detail17trampoline_kernelINS0_14default_configENS1_27lower_bound_config_selectorItlEEZNS1_14transform_implILb0ES3_S5_N6thrust23THRUST_200600_302600_NS6detail15normal_iteratorINS8_7pointerItNS8_11hip_rocprim5par_tENS8_11use_defaultESE_EEEENSA_INSB_IlSD_SE_SE_EEEEZNS1_13binary_searchIS3_S5_NSA_INS8_10device_ptrItEEEESG_SI_NS1_21lower_bound_search_opENS9_16wrapped_functionINS8_6system6detail7generic6detail18binary_search_lessEbEEEE10hipError_tPvRmT1_T2_T3_mmT4_T5_P12ihipStream_tbEUlRKtE_EESV_SZ_S10_mS11_S14_bEUlT_E_NS1_11comp_targetILNS1_3genE5ELNS1_11target_archE942ELNS1_3gpuE9ELNS1_3repE0EEENS1_30default_config_static_selectorELNS0_4arch9wavefront6targetE1EEEvSY_.uses_flat_scratch, 0
	.set _ZN7rocprim17ROCPRIM_400000_NS6detail17trampoline_kernelINS0_14default_configENS1_27lower_bound_config_selectorItlEEZNS1_14transform_implILb0ES3_S5_N6thrust23THRUST_200600_302600_NS6detail15normal_iteratorINS8_7pointerItNS8_11hip_rocprim5par_tENS8_11use_defaultESE_EEEENSA_INSB_IlSD_SE_SE_EEEEZNS1_13binary_searchIS3_S5_NSA_INS8_10device_ptrItEEEESG_SI_NS1_21lower_bound_search_opENS9_16wrapped_functionINS8_6system6detail7generic6detail18binary_search_lessEbEEEE10hipError_tPvRmT1_T2_T3_mmT4_T5_P12ihipStream_tbEUlRKtE_EESV_SZ_S10_mS11_S14_bEUlT_E_NS1_11comp_targetILNS1_3genE5ELNS1_11target_archE942ELNS1_3gpuE9ELNS1_3repE0EEENS1_30default_config_static_selectorELNS0_4arch9wavefront6targetE1EEEvSY_.has_dyn_sized_stack, 0
	.set _ZN7rocprim17ROCPRIM_400000_NS6detail17trampoline_kernelINS0_14default_configENS1_27lower_bound_config_selectorItlEEZNS1_14transform_implILb0ES3_S5_N6thrust23THRUST_200600_302600_NS6detail15normal_iteratorINS8_7pointerItNS8_11hip_rocprim5par_tENS8_11use_defaultESE_EEEENSA_INSB_IlSD_SE_SE_EEEEZNS1_13binary_searchIS3_S5_NSA_INS8_10device_ptrItEEEESG_SI_NS1_21lower_bound_search_opENS9_16wrapped_functionINS8_6system6detail7generic6detail18binary_search_lessEbEEEE10hipError_tPvRmT1_T2_T3_mmT4_T5_P12ihipStream_tbEUlRKtE_EESV_SZ_S10_mS11_S14_bEUlT_E_NS1_11comp_targetILNS1_3genE5ELNS1_11target_archE942ELNS1_3gpuE9ELNS1_3repE0EEENS1_30default_config_static_selectorELNS0_4arch9wavefront6targetE1EEEvSY_.has_recursion, 0
	.set _ZN7rocprim17ROCPRIM_400000_NS6detail17trampoline_kernelINS0_14default_configENS1_27lower_bound_config_selectorItlEEZNS1_14transform_implILb0ES3_S5_N6thrust23THRUST_200600_302600_NS6detail15normal_iteratorINS8_7pointerItNS8_11hip_rocprim5par_tENS8_11use_defaultESE_EEEENSA_INSB_IlSD_SE_SE_EEEEZNS1_13binary_searchIS3_S5_NSA_INS8_10device_ptrItEEEESG_SI_NS1_21lower_bound_search_opENS9_16wrapped_functionINS8_6system6detail7generic6detail18binary_search_lessEbEEEE10hipError_tPvRmT1_T2_T3_mmT4_T5_P12ihipStream_tbEUlRKtE_EESV_SZ_S10_mS11_S14_bEUlT_E_NS1_11comp_targetILNS1_3genE5ELNS1_11target_archE942ELNS1_3gpuE9ELNS1_3repE0EEENS1_30default_config_static_selectorELNS0_4arch9wavefront6targetE1EEEvSY_.has_indirect_call, 0
	.section	.AMDGPU.csdata,"",@progbits
; Kernel info:
; codeLenInByte = 0
; TotalNumSgprs: 4
; NumVgprs: 0
; ScratchSize: 0
; MemoryBound: 0
; FloatMode: 240
; IeeeMode: 1
; LDSByteSize: 0 bytes/workgroup (compile time only)
; SGPRBlocks: 0
; VGPRBlocks: 0
; NumSGPRsForWavesPerEU: 4
; NumVGPRsForWavesPerEU: 1
; Occupancy: 10
; WaveLimiterHint : 0
; COMPUTE_PGM_RSRC2:SCRATCH_EN: 0
; COMPUTE_PGM_RSRC2:USER_SGPR: 6
; COMPUTE_PGM_RSRC2:TRAP_HANDLER: 0
; COMPUTE_PGM_RSRC2:TGID_X_EN: 1
; COMPUTE_PGM_RSRC2:TGID_Y_EN: 0
; COMPUTE_PGM_RSRC2:TGID_Z_EN: 0
; COMPUTE_PGM_RSRC2:TIDIG_COMP_CNT: 0
	.section	.text._ZN7rocprim17ROCPRIM_400000_NS6detail17trampoline_kernelINS0_14default_configENS1_27lower_bound_config_selectorItlEEZNS1_14transform_implILb0ES3_S5_N6thrust23THRUST_200600_302600_NS6detail15normal_iteratorINS8_7pointerItNS8_11hip_rocprim5par_tENS8_11use_defaultESE_EEEENSA_INSB_IlSD_SE_SE_EEEEZNS1_13binary_searchIS3_S5_NSA_INS8_10device_ptrItEEEESG_SI_NS1_21lower_bound_search_opENS9_16wrapped_functionINS8_6system6detail7generic6detail18binary_search_lessEbEEEE10hipError_tPvRmT1_T2_T3_mmT4_T5_P12ihipStream_tbEUlRKtE_EESV_SZ_S10_mS11_S14_bEUlT_E_NS1_11comp_targetILNS1_3genE4ELNS1_11target_archE910ELNS1_3gpuE8ELNS1_3repE0EEENS1_30default_config_static_selectorELNS0_4arch9wavefront6targetE1EEEvSY_,"axG",@progbits,_ZN7rocprim17ROCPRIM_400000_NS6detail17trampoline_kernelINS0_14default_configENS1_27lower_bound_config_selectorItlEEZNS1_14transform_implILb0ES3_S5_N6thrust23THRUST_200600_302600_NS6detail15normal_iteratorINS8_7pointerItNS8_11hip_rocprim5par_tENS8_11use_defaultESE_EEEENSA_INSB_IlSD_SE_SE_EEEEZNS1_13binary_searchIS3_S5_NSA_INS8_10device_ptrItEEEESG_SI_NS1_21lower_bound_search_opENS9_16wrapped_functionINS8_6system6detail7generic6detail18binary_search_lessEbEEEE10hipError_tPvRmT1_T2_T3_mmT4_T5_P12ihipStream_tbEUlRKtE_EESV_SZ_S10_mS11_S14_bEUlT_E_NS1_11comp_targetILNS1_3genE4ELNS1_11target_archE910ELNS1_3gpuE8ELNS1_3repE0EEENS1_30default_config_static_selectorELNS0_4arch9wavefront6targetE1EEEvSY_,comdat
	.protected	_ZN7rocprim17ROCPRIM_400000_NS6detail17trampoline_kernelINS0_14default_configENS1_27lower_bound_config_selectorItlEEZNS1_14transform_implILb0ES3_S5_N6thrust23THRUST_200600_302600_NS6detail15normal_iteratorINS8_7pointerItNS8_11hip_rocprim5par_tENS8_11use_defaultESE_EEEENSA_INSB_IlSD_SE_SE_EEEEZNS1_13binary_searchIS3_S5_NSA_INS8_10device_ptrItEEEESG_SI_NS1_21lower_bound_search_opENS9_16wrapped_functionINS8_6system6detail7generic6detail18binary_search_lessEbEEEE10hipError_tPvRmT1_T2_T3_mmT4_T5_P12ihipStream_tbEUlRKtE_EESV_SZ_S10_mS11_S14_bEUlT_E_NS1_11comp_targetILNS1_3genE4ELNS1_11target_archE910ELNS1_3gpuE8ELNS1_3repE0EEENS1_30default_config_static_selectorELNS0_4arch9wavefront6targetE1EEEvSY_ ; -- Begin function _ZN7rocprim17ROCPRIM_400000_NS6detail17trampoline_kernelINS0_14default_configENS1_27lower_bound_config_selectorItlEEZNS1_14transform_implILb0ES3_S5_N6thrust23THRUST_200600_302600_NS6detail15normal_iteratorINS8_7pointerItNS8_11hip_rocprim5par_tENS8_11use_defaultESE_EEEENSA_INSB_IlSD_SE_SE_EEEEZNS1_13binary_searchIS3_S5_NSA_INS8_10device_ptrItEEEESG_SI_NS1_21lower_bound_search_opENS9_16wrapped_functionINS8_6system6detail7generic6detail18binary_search_lessEbEEEE10hipError_tPvRmT1_T2_T3_mmT4_T5_P12ihipStream_tbEUlRKtE_EESV_SZ_S10_mS11_S14_bEUlT_E_NS1_11comp_targetILNS1_3genE4ELNS1_11target_archE910ELNS1_3gpuE8ELNS1_3repE0EEENS1_30default_config_static_selectorELNS0_4arch9wavefront6targetE1EEEvSY_
	.globl	_ZN7rocprim17ROCPRIM_400000_NS6detail17trampoline_kernelINS0_14default_configENS1_27lower_bound_config_selectorItlEEZNS1_14transform_implILb0ES3_S5_N6thrust23THRUST_200600_302600_NS6detail15normal_iteratorINS8_7pointerItNS8_11hip_rocprim5par_tENS8_11use_defaultESE_EEEENSA_INSB_IlSD_SE_SE_EEEEZNS1_13binary_searchIS3_S5_NSA_INS8_10device_ptrItEEEESG_SI_NS1_21lower_bound_search_opENS9_16wrapped_functionINS8_6system6detail7generic6detail18binary_search_lessEbEEEE10hipError_tPvRmT1_T2_T3_mmT4_T5_P12ihipStream_tbEUlRKtE_EESV_SZ_S10_mS11_S14_bEUlT_E_NS1_11comp_targetILNS1_3genE4ELNS1_11target_archE910ELNS1_3gpuE8ELNS1_3repE0EEENS1_30default_config_static_selectorELNS0_4arch9wavefront6targetE1EEEvSY_
	.p2align	8
	.type	_ZN7rocprim17ROCPRIM_400000_NS6detail17trampoline_kernelINS0_14default_configENS1_27lower_bound_config_selectorItlEEZNS1_14transform_implILb0ES3_S5_N6thrust23THRUST_200600_302600_NS6detail15normal_iteratorINS8_7pointerItNS8_11hip_rocprim5par_tENS8_11use_defaultESE_EEEENSA_INSB_IlSD_SE_SE_EEEEZNS1_13binary_searchIS3_S5_NSA_INS8_10device_ptrItEEEESG_SI_NS1_21lower_bound_search_opENS9_16wrapped_functionINS8_6system6detail7generic6detail18binary_search_lessEbEEEE10hipError_tPvRmT1_T2_T3_mmT4_T5_P12ihipStream_tbEUlRKtE_EESV_SZ_S10_mS11_S14_bEUlT_E_NS1_11comp_targetILNS1_3genE4ELNS1_11target_archE910ELNS1_3gpuE8ELNS1_3repE0EEENS1_30default_config_static_selectorELNS0_4arch9wavefront6targetE1EEEvSY_,@function
_ZN7rocprim17ROCPRIM_400000_NS6detail17trampoline_kernelINS0_14default_configENS1_27lower_bound_config_selectorItlEEZNS1_14transform_implILb0ES3_S5_N6thrust23THRUST_200600_302600_NS6detail15normal_iteratorINS8_7pointerItNS8_11hip_rocprim5par_tENS8_11use_defaultESE_EEEENSA_INSB_IlSD_SE_SE_EEEEZNS1_13binary_searchIS3_S5_NSA_INS8_10device_ptrItEEEESG_SI_NS1_21lower_bound_search_opENS9_16wrapped_functionINS8_6system6detail7generic6detail18binary_search_lessEbEEEE10hipError_tPvRmT1_T2_T3_mmT4_T5_P12ihipStream_tbEUlRKtE_EESV_SZ_S10_mS11_S14_bEUlT_E_NS1_11comp_targetILNS1_3genE4ELNS1_11target_archE910ELNS1_3gpuE8ELNS1_3repE0EEENS1_30default_config_static_selectorELNS0_4arch9wavefront6targetE1EEEvSY_: ; @_ZN7rocprim17ROCPRIM_400000_NS6detail17trampoline_kernelINS0_14default_configENS1_27lower_bound_config_selectorItlEEZNS1_14transform_implILb0ES3_S5_N6thrust23THRUST_200600_302600_NS6detail15normal_iteratorINS8_7pointerItNS8_11hip_rocprim5par_tENS8_11use_defaultESE_EEEENSA_INSB_IlSD_SE_SE_EEEEZNS1_13binary_searchIS3_S5_NSA_INS8_10device_ptrItEEEESG_SI_NS1_21lower_bound_search_opENS9_16wrapped_functionINS8_6system6detail7generic6detail18binary_search_lessEbEEEE10hipError_tPvRmT1_T2_T3_mmT4_T5_P12ihipStream_tbEUlRKtE_EESV_SZ_S10_mS11_S14_bEUlT_E_NS1_11comp_targetILNS1_3genE4ELNS1_11target_archE910ELNS1_3gpuE8ELNS1_3repE0EEENS1_30default_config_static_selectorELNS0_4arch9wavefront6targetE1EEEvSY_
; %bb.0:
	.section	.rodata,"a",@progbits
	.p2align	6, 0x0
	.amdhsa_kernel _ZN7rocprim17ROCPRIM_400000_NS6detail17trampoline_kernelINS0_14default_configENS1_27lower_bound_config_selectorItlEEZNS1_14transform_implILb0ES3_S5_N6thrust23THRUST_200600_302600_NS6detail15normal_iteratorINS8_7pointerItNS8_11hip_rocprim5par_tENS8_11use_defaultESE_EEEENSA_INSB_IlSD_SE_SE_EEEEZNS1_13binary_searchIS3_S5_NSA_INS8_10device_ptrItEEEESG_SI_NS1_21lower_bound_search_opENS9_16wrapped_functionINS8_6system6detail7generic6detail18binary_search_lessEbEEEE10hipError_tPvRmT1_T2_T3_mmT4_T5_P12ihipStream_tbEUlRKtE_EESV_SZ_S10_mS11_S14_bEUlT_E_NS1_11comp_targetILNS1_3genE4ELNS1_11target_archE910ELNS1_3gpuE8ELNS1_3repE0EEENS1_30default_config_static_selectorELNS0_4arch9wavefront6targetE1EEEvSY_
		.amdhsa_group_segment_fixed_size 0
		.amdhsa_private_segment_fixed_size 0
		.amdhsa_kernarg_size 56
		.amdhsa_user_sgpr_count 6
		.amdhsa_user_sgpr_private_segment_buffer 1
		.amdhsa_user_sgpr_dispatch_ptr 0
		.amdhsa_user_sgpr_queue_ptr 0
		.amdhsa_user_sgpr_kernarg_segment_ptr 1
		.amdhsa_user_sgpr_dispatch_id 0
		.amdhsa_user_sgpr_flat_scratch_init 0
		.amdhsa_user_sgpr_private_segment_size 0
		.amdhsa_uses_dynamic_stack 0
		.amdhsa_system_sgpr_private_segment_wavefront_offset 0
		.amdhsa_system_sgpr_workgroup_id_x 1
		.amdhsa_system_sgpr_workgroup_id_y 0
		.amdhsa_system_sgpr_workgroup_id_z 0
		.amdhsa_system_sgpr_workgroup_info 0
		.amdhsa_system_vgpr_workitem_id 0
		.amdhsa_next_free_vgpr 1
		.amdhsa_next_free_sgpr 0
		.amdhsa_reserve_vcc 0
		.amdhsa_reserve_flat_scratch 0
		.amdhsa_float_round_mode_32 0
		.amdhsa_float_round_mode_16_64 0
		.amdhsa_float_denorm_mode_32 3
		.amdhsa_float_denorm_mode_16_64 3
		.amdhsa_dx10_clamp 1
		.amdhsa_ieee_mode 1
		.amdhsa_fp16_overflow 0
		.amdhsa_exception_fp_ieee_invalid_op 0
		.amdhsa_exception_fp_denorm_src 0
		.amdhsa_exception_fp_ieee_div_zero 0
		.amdhsa_exception_fp_ieee_overflow 0
		.amdhsa_exception_fp_ieee_underflow 0
		.amdhsa_exception_fp_ieee_inexact 0
		.amdhsa_exception_int_div_zero 0
	.end_amdhsa_kernel
	.section	.text._ZN7rocprim17ROCPRIM_400000_NS6detail17trampoline_kernelINS0_14default_configENS1_27lower_bound_config_selectorItlEEZNS1_14transform_implILb0ES3_S5_N6thrust23THRUST_200600_302600_NS6detail15normal_iteratorINS8_7pointerItNS8_11hip_rocprim5par_tENS8_11use_defaultESE_EEEENSA_INSB_IlSD_SE_SE_EEEEZNS1_13binary_searchIS3_S5_NSA_INS8_10device_ptrItEEEESG_SI_NS1_21lower_bound_search_opENS9_16wrapped_functionINS8_6system6detail7generic6detail18binary_search_lessEbEEEE10hipError_tPvRmT1_T2_T3_mmT4_T5_P12ihipStream_tbEUlRKtE_EESV_SZ_S10_mS11_S14_bEUlT_E_NS1_11comp_targetILNS1_3genE4ELNS1_11target_archE910ELNS1_3gpuE8ELNS1_3repE0EEENS1_30default_config_static_selectorELNS0_4arch9wavefront6targetE1EEEvSY_,"axG",@progbits,_ZN7rocprim17ROCPRIM_400000_NS6detail17trampoline_kernelINS0_14default_configENS1_27lower_bound_config_selectorItlEEZNS1_14transform_implILb0ES3_S5_N6thrust23THRUST_200600_302600_NS6detail15normal_iteratorINS8_7pointerItNS8_11hip_rocprim5par_tENS8_11use_defaultESE_EEEENSA_INSB_IlSD_SE_SE_EEEEZNS1_13binary_searchIS3_S5_NSA_INS8_10device_ptrItEEEESG_SI_NS1_21lower_bound_search_opENS9_16wrapped_functionINS8_6system6detail7generic6detail18binary_search_lessEbEEEE10hipError_tPvRmT1_T2_T3_mmT4_T5_P12ihipStream_tbEUlRKtE_EESV_SZ_S10_mS11_S14_bEUlT_E_NS1_11comp_targetILNS1_3genE4ELNS1_11target_archE910ELNS1_3gpuE8ELNS1_3repE0EEENS1_30default_config_static_selectorELNS0_4arch9wavefront6targetE1EEEvSY_,comdat
.Lfunc_end378:
	.size	_ZN7rocprim17ROCPRIM_400000_NS6detail17trampoline_kernelINS0_14default_configENS1_27lower_bound_config_selectorItlEEZNS1_14transform_implILb0ES3_S5_N6thrust23THRUST_200600_302600_NS6detail15normal_iteratorINS8_7pointerItNS8_11hip_rocprim5par_tENS8_11use_defaultESE_EEEENSA_INSB_IlSD_SE_SE_EEEEZNS1_13binary_searchIS3_S5_NSA_INS8_10device_ptrItEEEESG_SI_NS1_21lower_bound_search_opENS9_16wrapped_functionINS8_6system6detail7generic6detail18binary_search_lessEbEEEE10hipError_tPvRmT1_T2_T3_mmT4_T5_P12ihipStream_tbEUlRKtE_EESV_SZ_S10_mS11_S14_bEUlT_E_NS1_11comp_targetILNS1_3genE4ELNS1_11target_archE910ELNS1_3gpuE8ELNS1_3repE0EEENS1_30default_config_static_selectorELNS0_4arch9wavefront6targetE1EEEvSY_, .Lfunc_end378-_ZN7rocprim17ROCPRIM_400000_NS6detail17trampoline_kernelINS0_14default_configENS1_27lower_bound_config_selectorItlEEZNS1_14transform_implILb0ES3_S5_N6thrust23THRUST_200600_302600_NS6detail15normal_iteratorINS8_7pointerItNS8_11hip_rocprim5par_tENS8_11use_defaultESE_EEEENSA_INSB_IlSD_SE_SE_EEEEZNS1_13binary_searchIS3_S5_NSA_INS8_10device_ptrItEEEESG_SI_NS1_21lower_bound_search_opENS9_16wrapped_functionINS8_6system6detail7generic6detail18binary_search_lessEbEEEE10hipError_tPvRmT1_T2_T3_mmT4_T5_P12ihipStream_tbEUlRKtE_EESV_SZ_S10_mS11_S14_bEUlT_E_NS1_11comp_targetILNS1_3genE4ELNS1_11target_archE910ELNS1_3gpuE8ELNS1_3repE0EEENS1_30default_config_static_selectorELNS0_4arch9wavefront6targetE1EEEvSY_
                                        ; -- End function
	.set _ZN7rocprim17ROCPRIM_400000_NS6detail17trampoline_kernelINS0_14default_configENS1_27lower_bound_config_selectorItlEEZNS1_14transform_implILb0ES3_S5_N6thrust23THRUST_200600_302600_NS6detail15normal_iteratorINS8_7pointerItNS8_11hip_rocprim5par_tENS8_11use_defaultESE_EEEENSA_INSB_IlSD_SE_SE_EEEEZNS1_13binary_searchIS3_S5_NSA_INS8_10device_ptrItEEEESG_SI_NS1_21lower_bound_search_opENS9_16wrapped_functionINS8_6system6detail7generic6detail18binary_search_lessEbEEEE10hipError_tPvRmT1_T2_T3_mmT4_T5_P12ihipStream_tbEUlRKtE_EESV_SZ_S10_mS11_S14_bEUlT_E_NS1_11comp_targetILNS1_3genE4ELNS1_11target_archE910ELNS1_3gpuE8ELNS1_3repE0EEENS1_30default_config_static_selectorELNS0_4arch9wavefront6targetE1EEEvSY_.num_vgpr, 0
	.set _ZN7rocprim17ROCPRIM_400000_NS6detail17trampoline_kernelINS0_14default_configENS1_27lower_bound_config_selectorItlEEZNS1_14transform_implILb0ES3_S5_N6thrust23THRUST_200600_302600_NS6detail15normal_iteratorINS8_7pointerItNS8_11hip_rocprim5par_tENS8_11use_defaultESE_EEEENSA_INSB_IlSD_SE_SE_EEEEZNS1_13binary_searchIS3_S5_NSA_INS8_10device_ptrItEEEESG_SI_NS1_21lower_bound_search_opENS9_16wrapped_functionINS8_6system6detail7generic6detail18binary_search_lessEbEEEE10hipError_tPvRmT1_T2_T3_mmT4_T5_P12ihipStream_tbEUlRKtE_EESV_SZ_S10_mS11_S14_bEUlT_E_NS1_11comp_targetILNS1_3genE4ELNS1_11target_archE910ELNS1_3gpuE8ELNS1_3repE0EEENS1_30default_config_static_selectorELNS0_4arch9wavefront6targetE1EEEvSY_.num_agpr, 0
	.set _ZN7rocprim17ROCPRIM_400000_NS6detail17trampoline_kernelINS0_14default_configENS1_27lower_bound_config_selectorItlEEZNS1_14transform_implILb0ES3_S5_N6thrust23THRUST_200600_302600_NS6detail15normal_iteratorINS8_7pointerItNS8_11hip_rocprim5par_tENS8_11use_defaultESE_EEEENSA_INSB_IlSD_SE_SE_EEEEZNS1_13binary_searchIS3_S5_NSA_INS8_10device_ptrItEEEESG_SI_NS1_21lower_bound_search_opENS9_16wrapped_functionINS8_6system6detail7generic6detail18binary_search_lessEbEEEE10hipError_tPvRmT1_T2_T3_mmT4_T5_P12ihipStream_tbEUlRKtE_EESV_SZ_S10_mS11_S14_bEUlT_E_NS1_11comp_targetILNS1_3genE4ELNS1_11target_archE910ELNS1_3gpuE8ELNS1_3repE0EEENS1_30default_config_static_selectorELNS0_4arch9wavefront6targetE1EEEvSY_.numbered_sgpr, 0
	.set _ZN7rocprim17ROCPRIM_400000_NS6detail17trampoline_kernelINS0_14default_configENS1_27lower_bound_config_selectorItlEEZNS1_14transform_implILb0ES3_S5_N6thrust23THRUST_200600_302600_NS6detail15normal_iteratorINS8_7pointerItNS8_11hip_rocprim5par_tENS8_11use_defaultESE_EEEENSA_INSB_IlSD_SE_SE_EEEEZNS1_13binary_searchIS3_S5_NSA_INS8_10device_ptrItEEEESG_SI_NS1_21lower_bound_search_opENS9_16wrapped_functionINS8_6system6detail7generic6detail18binary_search_lessEbEEEE10hipError_tPvRmT1_T2_T3_mmT4_T5_P12ihipStream_tbEUlRKtE_EESV_SZ_S10_mS11_S14_bEUlT_E_NS1_11comp_targetILNS1_3genE4ELNS1_11target_archE910ELNS1_3gpuE8ELNS1_3repE0EEENS1_30default_config_static_selectorELNS0_4arch9wavefront6targetE1EEEvSY_.num_named_barrier, 0
	.set _ZN7rocprim17ROCPRIM_400000_NS6detail17trampoline_kernelINS0_14default_configENS1_27lower_bound_config_selectorItlEEZNS1_14transform_implILb0ES3_S5_N6thrust23THRUST_200600_302600_NS6detail15normal_iteratorINS8_7pointerItNS8_11hip_rocprim5par_tENS8_11use_defaultESE_EEEENSA_INSB_IlSD_SE_SE_EEEEZNS1_13binary_searchIS3_S5_NSA_INS8_10device_ptrItEEEESG_SI_NS1_21lower_bound_search_opENS9_16wrapped_functionINS8_6system6detail7generic6detail18binary_search_lessEbEEEE10hipError_tPvRmT1_T2_T3_mmT4_T5_P12ihipStream_tbEUlRKtE_EESV_SZ_S10_mS11_S14_bEUlT_E_NS1_11comp_targetILNS1_3genE4ELNS1_11target_archE910ELNS1_3gpuE8ELNS1_3repE0EEENS1_30default_config_static_selectorELNS0_4arch9wavefront6targetE1EEEvSY_.private_seg_size, 0
	.set _ZN7rocprim17ROCPRIM_400000_NS6detail17trampoline_kernelINS0_14default_configENS1_27lower_bound_config_selectorItlEEZNS1_14transform_implILb0ES3_S5_N6thrust23THRUST_200600_302600_NS6detail15normal_iteratorINS8_7pointerItNS8_11hip_rocprim5par_tENS8_11use_defaultESE_EEEENSA_INSB_IlSD_SE_SE_EEEEZNS1_13binary_searchIS3_S5_NSA_INS8_10device_ptrItEEEESG_SI_NS1_21lower_bound_search_opENS9_16wrapped_functionINS8_6system6detail7generic6detail18binary_search_lessEbEEEE10hipError_tPvRmT1_T2_T3_mmT4_T5_P12ihipStream_tbEUlRKtE_EESV_SZ_S10_mS11_S14_bEUlT_E_NS1_11comp_targetILNS1_3genE4ELNS1_11target_archE910ELNS1_3gpuE8ELNS1_3repE0EEENS1_30default_config_static_selectorELNS0_4arch9wavefront6targetE1EEEvSY_.uses_vcc, 0
	.set _ZN7rocprim17ROCPRIM_400000_NS6detail17trampoline_kernelINS0_14default_configENS1_27lower_bound_config_selectorItlEEZNS1_14transform_implILb0ES3_S5_N6thrust23THRUST_200600_302600_NS6detail15normal_iteratorINS8_7pointerItNS8_11hip_rocprim5par_tENS8_11use_defaultESE_EEEENSA_INSB_IlSD_SE_SE_EEEEZNS1_13binary_searchIS3_S5_NSA_INS8_10device_ptrItEEEESG_SI_NS1_21lower_bound_search_opENS9_16wrapped_functionINS8_6system6detail7generic6detail18binary_search_lessEbEEEE10hipError_tPvRmT1_T2_T3_mmT4_T5_P12ihipStream_tbEUlRKtE_EESV_SZ_S10_mS11_S14_bEUlT_E_NS1_11comp_targetILNS1_3genE4ELNS1_11target_archE910ELNS1_3gpuE8ELNS1_3repE0EEENS1_30default_config_static_selectorELNS0_4arch9wavefront6targetE1EEEvSY_.uses_flat_scratch, 0
	.set _ZN7rocprim17ROCPRIM_400000_NS6detail17trampoline_kernelINS0_14default_configENS1_27lower_bound_config_selectorItlEEZNS1_14transform_implILb0ES3_S5_N6thrust23THRUST_200600_302600_NS6detail15normal_iteratorINS8_7pointerItNS8_11hip_rocprim5par_tENS8_11use_defaultESE_EEEENSA_INSB_IlSD_SE_SE_EEEEZNS1_13binary_searchIS3_S5_NSA_INS8_10device_ptrItEEEESG_SI_NS1_21lower_bound_search_opENS9_16wrapped_functionINS8_6system6detail7generic6detail18binary_search_lessEbEEEE10hipError_tPvRmT1_T2_T3_mmT4_T5_P12ihipStream_tbEUlRKtE_EESV_SZ_S10_mS11_S14_bEUlT_E_NS1_11comp_targetILNS1_3genE4ELNS1_11target_archE910ELNS1_3gpuE8ELNS1_3repE0EEENS1_30default_config_static_selectorELNS0_4arch9wavefront6targetE1EEEvSY_.has_dyn_sized_stack, 0
	.set _ZN7rocprim17ROCPRIM_400000_NS6detail17trampoline_kernelINS0_14default_configENS1_27lower_bound_config_selectorItlEEZNS1_14transform_implILb0ES3_S5_N6thrust23THRUST_200600_302600_NS6detail15normal_iteratorINS8_7pointerItNS8_11hip_rocprim5par_tENS8_11use_defaultESE_EEEENSA_INSB_IlSD_SE_SE_EEEEZNS1_13binary_searchIS3_S5_NSA_INS8_10device_ptrItEEEESG_SI_NS1_21lower_bound_search_opENS9_16wrapped_functionINS8_6system6detail7generic6detail18binary_search_lessEbEEEE10hipError_tPvRmT1_T2_T3_mmT4_T5_P12ihipStream_tbEUlRKtE_EESV_SZ_S10_mS11_S14_bEUlT_E_NS1_11comp_targetILNS1_3genE4ELNS1_11target_archE910ELNS1_3gpuE8ELNS1_3repE0EEENS1_30default_config_static_selectorELNS0_4arch9wavefront6targetE1EEEvSY_.has_recursion, 0
	.set _ZN7rocprim17ROCPRIM_400000_NS6detail17trampoline_kernelINS0_14default_configENS1_27lower_bound_config_selectorItlEEZNS1_14transform_implILb0ES3_S5_N6thrust23THRUST_200600_302600_NS6detail15normal_iteratorINS8_7pointerItNS8_11hip_rocprim5par_tENS8_11use_defaultESE_EEEENSA_INSB_IlSD_SE_SE_EEEEZNS1_13binary_searchIS3_S5_NSA_INS8_10device_ptrItEEEESG_SI_NS1_21lower_bound_search_opENS9_16wrapped_functionINS8_6system6detail7generic6detail18binary_search_lessEbEEEE10hipError_tPvRmT1_T2_T3_mmT4_T5_P12ihipStream_tbEUlRKtE_EESV_SZ_S10_mS11_S14_bEUlT_E_NS1_11comp_targetILNS1_3genE4ELNS1_11target_archE910ELNS1_3gpuE8ELNS1_3repE0EEENS1_30default_config_static_selectorELNS0_4arch9wavefront6targetE1EEEvSY_.has_indirect_call, 0
	.section	.AMDGPU.csdata,"",@progbits
; Kernel info:
; codeLenInByte = 0
; TotalNumSgprs: 4
; NumVgprs: 0
; ScratchSize: 0
; MemoryBound: 0
; FloatMode: 240
; IeeeMode: 1
; LDSByteSize: 0 bytes/workgroup (compile time only)
; SGPRBlocks: 0
; VGPRBlocks: 0
; NumSGPRsForWavesPerEU: 4
; NumVGPRsForWavesPerEU: 1
; Occupancy: 10
; WaveLimiterHint : 0
; COMPUTE_PGM_RSRC2:SCRATCH_EN: 0
; COMPUTE_PGM_RSRC2:USER_SGPR: 6
; COMPUTE_PGM_RSRC2:TRAP_HANDLER: 0
; COMPUTE_PGM_RSRC2:TGID_X_EN: 1
; COMPUTE_PGM_RSRC2:TGID_Y_EN: 0
; COMPUTE_PGM_RSRC2:TGID_Z_EN: 0
; COMPUTE_PGM_RSRC2:TIDIG_COMP_CNT: 0
	.section	.text._ZN7rocprim17ROCPRIM_400000_NS6detail17trampoline_kernelINS0_14default_configENS1_27lower_bound_config_selectorItlEEZNS1_14transform_implILb0ES3_S5_N6thrust23THRUST_200600_302600_NS6detail15normal_iteratorINS8_7pointerItNS8_11hip_rocprim5par_tENS8_11use_defaultESE_EEEENSA_INSB_IlSD_SE_SE_EEEEZNS1_13binary_searchIS3_S5_NSA_INS8_10device_ptrItEEEESG_SI_NS1_21lower_bound_search_opENS9_16wrapped_functionINS8_6system6detail7generic6detail18binary_search_lessEbEEEE10hipError_tPvRmT1_T2_T3_mmT4_T5_P12ihipStream_tbEUlRKtE_EESV_SZ_S10_mS11_S14_bEUlT_E_NS1_11comp_targetILNS1_3genE3ELNS1_11target_archE908ELNS1_3gpuE7ELNS1_3repE0EEENS1_30default_config_static_selectorELNS0_4arch9wavefront6targetE1EEEvSY_,"axG",@progbits,_ZN7rocprim17ROCPRIM_400000_NS6detail17trampoline_kernelINS0_14default_configENS1_27lower_bound_config_selectorItlEEZNS1_14transform_implILb0ES3_S5_N6thrust23THRUST_200600_302600_NS6detail15normal_iteratorINS8_7pointerItNS8_11hip_rocprim5par_tENS8_11use_defaultESE_EEEENSA_INSB_IlSD_SE_SE_EEEEZNS1_13binary_searchIS3_S5_NSA_INS8_10device_ptrItEEEESG_SI_NS1_21lower_bound_search_opENS9_16wrapped_functionINS8_6system6detail7generic6detail18binary_search_lessEbEEEE10hipError_tPvRmT1_T2_T3_mmT4_T5_P12ihipStream_tbEUlRKtE_EESV_SZ_S10_mS11_S14_bEUlT_E_NS1_11comp_targetILNS1_3genE3ELNS1_11target_archE908ELNS1_3gpuE7ELNS1_3repE0EEENS1_30default_config_static_selectorELNS0_4arch9wavefront6targetE1EEEvSY_,comdat
	.protected	_ZN7rocprim17ROCPRIM_400000_NS6detail17trampoline_kernelINS0_14default_configENS1_27lower_bound_config_selectorItlEEZNS1_14transform_implILb0ES3_S5_N6thrust23THRUST_200600_302600_NS6detail15normal_iteratorINS8_7pointerItNS8_11hip_rocprim5par_tENS8_11use_defaultESE_EEEENSA_INSB_IlSD_SE_SE_EEEEZNS1_13binary_searchIS3_S5_NSA_INS8_10device_ptrItEEEESG_SI_NS1_21lower_bound_search_opENS9_16wrapped_functionINS8_6system6detail7generic6detail18binary_search_lessEbEEEE10hipError_tPvRmT1_T2_T3_mmT4_T5_P12ihipStream_tbEUlRKtE_EESV_SZ_S10_mS11_S14_bEUlT_E_NS1_11comp_targetILNS1_3genE3ELNS1_11target_archE908ELNS1_3gpuE7ELNS1_3repE0EEENS1_30default_config_static_selectorELNS0_4arch9wavefront6targetE1EEEvSY_ ; -- Begin function _ZN7rocprim17ROCPRIM_400000_NS6detail17trampoline_kernelINS0_14default_configENS1_27lower_bound_config_selectorItlEEZNS1_14transform_implILb0ES3_S5_N6thrust23THRUST_200600_302600_NS6detail15normal_iteratorINS8_7pointerItNS8_11hip_rocprim5par_tENS8_11use_defaultESE_EEEENSA_INSB_IlSD_SE_SE_EEEEZNS1_13binary_searchIS3_S5_NSA_INS8_10device_ptrItEEEESG_SI_NS1_21lower_bound_search_opENS9_16wrapped_functionINS8_6system6detail7generic6detail18binary_search_lessEbEEEE10hipError_tPvRmT1_T2_T3_mmT4_T5_P12ihipStream_tbEUlRKtE_EESV_SZ_S10_mS11_S14_bEUlT_E_NS1_11comp_targetILNS1_3genE3ELNS1_11target_archE908ELNS1_3gpuE7ELNS1_3repE0EEENS1_30default_config_static_selectorELNS0_4arch9wavefront6targetE1EEEvSY_
	.globl	_ZN7rocprim17ROCPRIM_400000_NS6detail17trampoline_kernelINS0_14default_configENS1_27lower_bound_config_selectorItlEEZNS1_14transform_implILb0ES3_S5_N6thrust23THRUST_200600_302600_NS6detail15normal_iteratorINS8_7pointerItNS8_11hip_rocprim5par_tENS8_11use_defaultESE_EEEENSA_INSB_IlSD_SE_SE_EEEEZNS1_13binary_searchIS3_S5_NSA_INS8_10device_ptrItEEEESG_SI_NS1_21lower_bound_search_opENS9_16wrapped_functionINS8_6system6detail7generic6detail18binary_search_lessEbEEEE10hipError_tPvRmT1_T2_T3_mmT4_T5_P12ihipStream_tbEUlRKtE_EESV_SZ_S10_mS11_S14_bEUlT_E_NS1_11comp_targetILNS1_3genE3ELNS1_11target_archE908ELNS1_3gpuE7ELNS1_3repE0EEENS1_30default_config_static_selectorELNS0_4arch9wavefront6targetE1EEEvSY_
	.p2align	8
	.type	_ZN7rocprim17ROCPRIM_400000_NS6detail17trampoline_kernelINS0_14default_configENS1_27lower_bound_config_selectorItlEEZNS1_14transform_implILb0ES3_S5_N6thrust23THRUST_200600_302600_NS6detail15normal_iteratorINS8_7pointerItNS8_11hip_rocprim5par_tENS8_11use_defaultESE_EEEENSA_INSB_IlSD_SE_SE_EEEEZNS1_13binary_searchIS3_S5_NSA_INS8_10device_ptrItEEEESG_SI_NS1_21lower_bound_search_opENS9_16wrapped_functionINS8_6system6detail7generic6detail18binary_search_lessEbEEEE10hipError_tPvRmT1_T2_T3_mmT4_T5_P12ihipStream_tbEUlRKtE_EESV_SZ_S10_mS11_S14_bEUlT_E_NS1_11comp_targetILNS1_3genE3ELNS1_11target_archE908ELNS1_3gpuE7ELNS1_3repE0EEENS1_30default_config_static_selectorELNS0_4arch9wavefront6targetE1EEEvSY_,@function
_ZN7rocprim17ROCPRIM_400000_NS6detail17trampoline_kernelINS0_14default_configENS1_27lower_bound_config_selectorItlEEZNS1_14transform_implILb0ES3_S5_N6thrust23THRUST_200600_302600_NS6detail15normal_iteratorINS8_7pointerItNS8_11hip_rocprim5par_tENS8_11use_defaultESE_EEEENSA_INSB_IlSD_SE_SE_EEEEZNS1_13binary_searchIS3_S5_NSA_INS8_10device_ptrItEEEESG_SI_NS1_21lower_bound_search_opENS9_16wrapped_functionINS8_6system6detail7generic6detail18binary_search_lessEbEEEE10hipError_tPvRmT1_T2_T3_mmT4_T5_P12ihipStream_tbEUlRKtE_EESV_SZ_S10_mS11_S14_bEUlT_E_NS1_11comp_targetILNS1_3genE3ELNS1_11target_archE908ELNS1_3gpuE7ELNS1_3repE0EEENS1_30default_config_static_selectorELNS0_4arch9wavefront6targetE1EEEvSY_: ; @_ZN7rocprim17ROCPRIM_400000_NS6detail17trampoline_kernelINS0_14default_configENS1_27lower_bound_config_selectorItlEEZNS1_14transform_implILb0ES3_S5_N6thrust23THRUST_200600_302600_NS6detail15normal_iteratorINS8_7pointerItNS8_11hip_rocprim5par_tENS8_11use_defaultESE_EEEENSA_INSB_IlSD_SE_SE_EEEEZNS1_13binary_searchIS3_S5_NSA_INS8_10device_ptrItEEEESG_SI_NS1_21lower_bound_search_opENS9_16wrapped_functionINS8_6system6detail7generic6detail18binary_search_lessEbEEEE10hipError_tPvRmT1_T2_T3_mmT4_T5_P12ihipStream_tbEUlRKtE_EESV_SZ_S10_mS11_S14_bEUlT_E_NS1_11comp_targetILNS1_3genE3ELNS1_11target_archE908ELNS1_3gpuE7ELNS1_3repE0EEENS1_30default_config_static_selectorELNS0_4arch9wavefront6targetE1EEEvSY_
; %bb.0:
	.section	.rodata,"a",@progbits
	.p2align	6, 0x0
	.amdhsa_kernel _ZN7rocprim17ROCPRIM_400000_NS6detail17trampoline_kernelINS0_14default_configENS1_27lower_bound_config_selectorItlEEZNS1_14transform_implILb0ES3_S5_N6thrust23THRUST_200600_302600_NS6detail15normal_iteratorINS8_7pointerItNS8_11hip_rocprim5par_tENS8_11use_defaultESE_EEEENSA_INSB_IlSD_SE_SE_EEEEZNS1_13binary_searchIS3_S5_NSA_INS8_10device_ptrItEEEESG_SI_NS1_21lower_bound_search_opENS9_16wrapped_functionINS8_6system6detail7generic6detail18binary_search_lessEbEEEE10hipError_tPvRmT1_T2_T3_mmT4_T5_P12ihipStream_tbEUlRKtE_EESV_SZ_S10_mS11_S14_bEUlT_E_NS1_11comp_targetILNS1_3genE3ELNS1_11target_archE908ELNS1_3gpuE7ELNS1_3repE0EEENS1_30default_config_static_selectorELNS0_4arch9wavefront6targetE1EEEvSY_
		.amdhsa_group_segment_fixed_size 0
		.amdhsa_private_segment_fixed_size 0
		.amdhsa_kernarg_size 56
		.amdhsa_user_sgpr_count 6
		.amdhsa_user_sgpr_private_segment_buffer 1
		.amdhsa_user_sgpr_dispatch_ptr 0
		.amdhsa_user_sgpr_queue_ptr 0
		.amdhsa_user_sgpr_kernarg_segment_ptr 1
		.amdhsa_user_sgpr_dispatch_id 0
		.amdhsa_user_sgpr_flat_scratch_init 0
		.amdhsa_user_sgpr_private_segment_size 0
		.amdhsa_uses_dynamic_stack 0
		.amdhsa_system_sgpr_private_segment_wavefront_offset 0
		.amdhsa_system_sgpr_workgroup_id_x 1
		.amdhsa_system_sgpr_workgroup_id_y 0
		.amdhsa_system_sgpr_workgroup_id_z 0
		.amdhsa_system_sgpr_workgroup_info 0
		.amdhsa_system_vgpr_workitem_id 0
		.amdhsa_next_free_vgpr 1
		.amdhsa_next_free_sgpr 0
		.amdhsa_reserve_vcc 0
		.amdhsa_reserve_flat_scratch 0
		.amdhsa_float_round_mode_32 0
		.amdhsa_float_round_mode_16_64 0
		.amdhsa_float_denorm_mode_32 3
		.amdhsa_float_denorm_mode_16_64 3
		.amdhsa_dx10_clamp 1
		.amdhsa_ieee_mode 1
		.amdhsa_fp16_overflow 0
		.amdhsa_exception_fp_ieee_invalid_op 0
		.amdhsa_exception_fp_denorm_src 0
		.amdhsa_exception_fp_ieee_div_zero 0
		.amdhsa_exception_fp_ieee_overflow 0
		.amdhsa_exception_fp_ieee_underflow 0
		.amdhsa_exception_fp_ieee_inexact 0
		.amdhsa_exception_int_div_zero 0
	.end_amdhsa_kernel
	.section	.text._ZN7rocprim17ROCPRIM_400000_NS6detail17trampoline_kernelINS0_14default_configENS1_27lower_bound_config_selectorItlEEZNS1_14transform_implILb0ES3_S5_N6thrust23THRUST_200600_302600_NS6detail15normal_iteratorINS8_7pointerItNS8_11hip_rocprim5par_tENS8_11use_defaultESE_EEEENSA_INSB_IlSD_SE_SE_EEEEZNS1_13binary_searchIS3_S5_NSA_INS8_10device_ptrItEEEESG_SI_NS1_21lower_bound_search_opENS9_16wrapped_functionINS8_6system6detail7generic6detail18binary_search_lessEbEEEE10hipError_tPvRmT1_T2_T3_mmT4_T5_P12ihipStream_tbEUlRKtE_EESV_SZ_S10_mS11_S14_bEUlT_E_NS1_11comp_targetILNS1_3genE3ELNS1_11target_archE908ELNS1_3gpuE7ELNS1_3repE0EEENS1_30default_config_static_selectorELNS0_4arch9wavefront6targetE1EEEvSY_,"axG",@progbits,_ZN7rocprim17ROCPRIM_400000_NS6detail17trampoline_kernelINS0_14default_configENS1_27lower_bound_config_selectorItlEEZNS1_14transform_implILb0ES3_S5_N6thrust23THRUST_200600_302600_NS6detail15normal_iteratorINS8_7pointerItNS8_11hip_rocprim5par_tENS8_11use_defaultESE_EEEENSA_INSB_IlSD_SE_SE_EEEEZNS1_13binary_searchIS3_S5_NSA_INS8_10device_ptrItEEEESG_SI_NS1_21lower_bound_search_opENS9_16wrapped_functionINS8_6system6detail7generic6detail18binary_search_lessEbEEEE10hipError_tPvRmT1_T2_T3_mmT4_T5_P12ihipStream_tbEUlRKtE_EESV_SZ_S10_mS11_S14_bEUlT_E_NS1_11comp_targetILNS1_3genE3ELNS1_11target_archE908ELNS1_3gpuE7ELNS1_3repE0EEENS1_30default_config_static_selectorELNS0_4arch9wavefront6targetE1EEEvSY_,comdat
.Lfunc_end379:
	.size	_ZN7rocprim17ROCPRIM_400000_NS6detail17trampoline_kernelINS0_14default_configENS1_27lower_bound_config_selectorItlEEZNS1_14transform_implILb0ES3_S5_N6thrust23THRUST_200600_302600_NS6detail15normal_iteratorINS8_7pointerItNS8_11hip_rocprim5par_tENS8_11use_defaultESE_EEEENSA_INSB_IlSD_SE_SE_EEEEZNS1_13binary_searchIS3_S5_NSA_INS8_10device_ptrItEEEESG_SI_NS1_21lower_bound_search_opENS9_16wrapped_functionINS8_6system6detail7generic6detail18binary_search_lessEbEEEE10hipError_tPvRmT1_T2_T3_mmT4_T5_P12ihipStream_tbEUlRKtE_EESV_SZ_S10_mS11_S14_bEUlT_E_NS1_11comp_targetILNS1_3genE3ELNS1_11target_archE908ELNS1_3gpuE7ELNS1_3repE0EEENS1_30default_config_static_selectorELNS0_4arch9wavefront6targetE1EEEvSY_, .Lfunc_end379-_ZN7rocprim17ROCPRIM_400000_NS6detail17trampoline_kernelINS0_14default_configENS1_27lower_bound_config_selectorItlEEZNS1_14transform_implILb0ES3_S5_N6thrust23THRUST_200600_302600_NS6detail15normal_iteratorINS8_7pointerItNS8_11hip_rocprim5par_tENS8_11use_defaultESE_EEEENSA_INSB_IlSD_SE_SE_EEEEZNS1_13binary_searchIS3_S5_NSA_INS8_10device_ptrItEEEESG_SI_NS1_21lower_bound_search_opENS9_16wrapped_functionINS8_6system6detail7generic6detail18binary_search_lessEbEEEE10hipError_tPvRmT1_T2_T3_mmT4_T5_P12ihipStream_tbEUlRKtE_EESV_SZ_S10_mS11_S14_bEUlT_E_NS1_11comp_targetILNS1_3genE3ELNS1_11target_archE908ELNS1_3gpuE7ELNS1_3repE0EEENS1_30default_config_static_selectorELNS0_4arch9wavefront6targetE1EEEvSY_
                                        ; -- End function
	.set _ZN7rocprim17ROCPRIM_400000_NS6detail17trampoline_kernelINS0_14default_configENS1_27lower_bound_config_selectorItlEEZNS1_14transform_implILb0ES3_S5_N6thrust23THRUST_200600_302600_NS6detail15normal_iteratorINS8_7pointerItNS8_11hip_rocprim5par_tENS8_11use_defaultESE_EEEENSA_INSB_IlSD_SE_SE_EEEEZNS1_13binary_searchIS3_S5_NSA_INS8_10device_ptrItEEEESG_SI_NS1_21lower_bound_search_opENS9_16wrapped_functionINS8_6system6detail7generic6detail18binary_search_lessEbEEEE10hipError_tPvRmT1_T2_T3_mmT4_T5_P12ihipStream_tbEUlRKtE_EESV_SZ_S10_mS11_S14_bEUlT_E_NS1_11comp_targetILNS1_3genE3ELNS1_11target_archE908ELNS1_3gpuE7ELNS1_3repE0EEENS1_30default_config_static_selectorELNS0_4arch9wavefront6targetE1EEEvSY_.num_vgpr, 0
	.set _ZN7rocprim17ROCPRIM_400000_NS6detail17trampoline_kernelINS0_14default_configENS1_27lower_bound_config_selectorItlEEZNS1_14transform_implILb0ES3_S5_N6thrust23THRUST_200600_302600_NS6detail15normal_iteratorINS8_7pointerItNS8_11hip_rocprim5par_tENS8_11use_defaultESE_EEEENSA_INSB_IlSD_SE_SE_EEEEZNS1_13binary_searchIS3_S5_NSA_INS8_10device_ptrItEEEESG_SI_NS1_21lower_bound_search_opENS9_16wrapped_functionINS8_6system6detail7generic6detail18binary_search_lessEbEEEE10hipError_tPvRmT1_T2_T3_mmT4_T5_P12ihipStream_tbEUlRKtE_EESV_SZ_S10_mS11_S14_bEUlT_E_NS1_11comp_targetILNS1_3genE3ELNS1_11target_archE908ELNS1_3gpuE7ELNS1_3repE0EEENS1_30default_config_static_selectorELNS0_4arch9wavefront6targetE1EEEvSY_.num_agpr, 0
	.set _ZN7rocprim17ROCPRIM_400000_NS6detail17trampoline_kernelINS0_14default_configENS1_27lower_bound_config_selectorItlEEZNS1_14transform_implILb0ES3_S5_N6thrust23THRUST_200600_302600_NS6detail15normal_iteratorINS8_7pointerItNS8_11hip_rocprim5par_tENS8_11use_defaultESE_EEEENSA_INSB_IlSD_SE_SE_EEEEZNS1_13binary_searchIS3_S5_NSA_INS8_10device_ptrItEEEESG_SI_NS1_21lower_bound_search_opENS9_16wrapped_functionINS8_6system6detail7generic6detail18binary_search_lessEbEEEE10hipError_tPvRmT1_T2_T3_mmT4_T5_P12ihipStream_tbEUlRKtE_EESV_SZ_S10_mS11_S14_bEUlT_E_NS1_11comp_targetILNS1_3genE3ELNS1_11target_archE908ELNS1_3gpuE7ELNS1_3repE0EEENS1_30default_config_static_selectorELNS0_4arch9wavefront6targetE1EEEvSY_.numbered_sgpr, 0
	.set _ZN7rocprim17ROCPRIM_400000_NS6detail17trampoline_kernelINS0_14default_configENS1_27lower_bound_config_selectorItlEEZNS1_14transform_implILb0ES3_S5_N6thrust23THRUST_200600_302600_NS6detail15normal_iteratorINS8_7pointerItNS8_11hip_rocprim5par_tENS8_11use_defaultESE_EEEENSA_INSB_IlSD_SE_SE_EEEEZNS1_13binary_searchIS3_S5_NSA_INS8_10device_ptrItEEEESG_SI_NS1_21lower_bound_search_opENS9_16wrapped_functionINS8_6system6detail7generic6detail18binary_search_lessEbEEEE10hipError_tPvRmT1_T2_T3_mmT4_T5_P12ihipStream_tbEUlRKtE_EESV_SZ_S10_mS11_S14_bEUlT_E_NS1_11comp_targetILNS1_3genE3ELNS1_11target_archE908ELNS1_3gpuE7ELNS1_3repE0EEENS1_30default_config_static_selectorELNS0_4arch9wavefront6targetE1EEEvSY_.num_named_barrier, 0
	.set _ZN7rocprim17ROCPRIM_400000_NS6detail17trampoline_kernelINS0_14default_configENS1_27lower_bound_config_selectorItlEEZNS1_14transform_implILb0ES3_S5_N6thrust23THRUST_200600_302600_NS6detail15normal_iteratorINS8_7pointerItNS8_11hip_rocprim5par_tENS8_11use_defaultESE_EEEENSA_INSB_IlSD_SE_SE_EEEEZNS1_13binary_searchIS3_S5_NSA_INS8_10device_ptrItEEEESG_SI_NS1_21lower_bound_search_opENS9_16wrapped_functionINS8_6system6detail7generic6detail18binary_search_lessEbEEEE10hipError_tPvRmT1_T2_T3_mmT4_T5_P12ihipStream_tbEUlRKtE_EESV_SZ_S10_mS11_S14_bEUlT_E_NS1_11comp_targetILNS1_3genE3ELNS1_11target_archE908ELNS1_3gpuE7ELNS1_3repE0EEENS1_30default_config_static_selectorELNS0_4arch9wavefront6targetE1EEEvSY_.private_seg_size, 0
	.set _ZN7rocprim17ROCPRIM_400000_NS6detail17trampoline_kernelINS0_14default_configENS1_27lower_bound_config_selectorItlEEZNS1_14transform_implILb0ES3_S5_N6thrust23THRUST_200600_302600_NS6detail15normal_iteratorINS8_7pointerItNS8_11hip_rocprim5par_tENS8_11use_defaultESE_EEEENSA_INSB_IlSD_SE_SE_EEEEZNS1_13binary_searchIS3_S5_NSA_INS8_10device_ptrItEEEESG_SI_NS1_21lower_bound_search_opENS9_16wrapped_functionINS8_6system6detail7generic6detail18binary_search_lessEbEEEE10hipError_tPvRmT1_T2_T3_mmT4_T5_P12ihipStream_tbEUlRKtE_EESV_SZ_S10_mS11_S14_bEUlT_E_NS1_11comp_targetILNS1_3genE3ELNS1_11target_archE908ELNS1_3gpuE7ELNS1_3repE0EEENS1_30default_config_static_selectorELNS0_4arch9wavefront6targetE1EEEvSY_.uses_vcc, 0
	.set _ZN7rocprim17ROCPRIM_400000_NS6detail17trampoline_kernelINS0_14default_configENS1_27lower_bound_config_selectorItlEEZNS1_14transform_implILb0ES3_S5_N6thrust23THRUST_200600_302600_NS6detail15normal_iteratorINS8_7pointerItNS8_11hip_rocprim5par_tENS8_11use_defaultESE_EEEENSA_INSB_IlSD_SE_SE_EEEEZNS1_13binary_searchIS3_S5_NSA_INS8_10device_ptrItEEEESG_SI_NS1_21lower_bound_search_opENS9_16wrapped_functionINS8_6system6detail7generic6detail18binary_search_lessEbEEEE10hipError_tPvRmT1_T2_T3_mmT4_T5_P12ihipStream_tbEUlRKtE_EESV_SZ_S10_mS11_S14_bEUlT_E_NS1_11comp_targetILNS1_3genE3ELNS1_11target_archE908ELNS1_3gpuE7ELNS1_3repE0EEENS1_30default_config_static_selectorELNS0_4arch9wavefront6targetE1EEEvSY_.uses_flat_scratch, 0
	.set _ZN7rocprim17ROCPRIM_400000_NS6detail17trampoline_kernelINS0_14default_configENS1_27lower_bound_config_selectorItlEEZNS1_14transform_implILb0ES3_S5_N6thrust23THRUST_200600_302600_NS6detail15normal_iteratorINS8_7pointerItNS8_11hip_rocprim5par_tENS8_11use_defaultESE_EEEENSA_INSB_IlSD_SE_SE_EEEEZNS1_13binary_searchIS3_S5_NSA_INS8_10device_ptrItEEEESG_SI_NS1_21lower_bound_search_opENS9_16wrapped_functionINS8_6system6detail7generic6detail18binary_search_lessEbEEEE10hipError_tPvRmT1_T2_T3_mmT4_T5_P12ihipStream_tbEUlRKtE_EESV_SZ_S10_mS11_S14_bEUlT_E_NS1_11comp_targetILNS1_3genE3ELNS1_11target_archE908ELNS1_3gpuE7ELNS1_3repE0EEENS1_30default_config_static_selectorELNS0_4arch9wavefront6targetE1EEEvSY_.has_dyn_sized_stack, 0
	.set _ZN7rocprim17ROCPRIM_400000_NS6detail17trampoline_kernelINS0_14default_configENS1_27lower_bound_config_selectorItlEEZNS1_14transform_implILb0ES3_S5_N6thrust23THRUST_200600_302600_NS6detail15normal_iteratorINS8_7pointerItNS8_11hip_rocprim5par_tENS8_11use_defaultESE_EEEENSA_INSB_IlSD_SE_SE_EEEEZNS1_13binary_searchIS3_S5_NSA_INS8_10device_ptrItEEEESG_SI_NS1_21lower_bound_search_opENS9_16wrapped_functionINS8_6system6detail7generic6detail18binary_search_lessEbEEEE10hipError_tPvRmT1_T2_T3_mmT4_T5_P12ihipStream_tbEUlRKtE_EESV_SZ_S10_mS11_S14_bEUlT_E_NS1_11comp_targetILNS1_3genE3ELNS1_11target_archE908ELNS1_3gpuE7ELNS1_3repE0EEENS1_30default_config_static_selectorELNS0_4arch9wavefront6targetE1EEEvSY_.has_recursion, 0
	.set _ZN7rocprim17ROCPRIM_400000_NS6detail17trampoline_kernelINS0_14default_configENS1_27lower_bound_config_selectorItlEEZNS1_14transform_implILb0ES3_S5_N6thrust23THRUST_200600_302600_NS6detail15normal_iteratorINS8_7pointerItNS8_11hip_rocprim5par_tENS8_11use_defaultESE_EEEENSA_INSB_IlSD_SE_SE_EEEEZNS1_13binary_searchIS3_S5_NSA_INS8_10device_ptrItEEEESG_SI_NS1_21lower_bound_search_opENS9_16wrapped_functionINS8_6system6detail7generic6detail18binary_search_lessEbEEEE10hipError_tPvRmT1_T2_T3_mmT4_T5_P12ihipStream_tbEUlRKtE_EESV_SZ_S10_mS11_S14_bEUlT_E_NS1_11comp_targetILNS1_3genE3ELNS1_11target_archE908ELNS1_3gpuE7ELNS1_3repE0EEENS1_30default_config_static_selectorELNS0_4arch9wavefront6targetE1EEEvSY_.has_indirect_call, 0
	.section	.AMDGPU.csdata,"",@progbits
; Kernel info:
; codeLenInByte = 0
; TotalNumSgprs: 4
; NumVgprs: 0
; ScratchSize: 0
; MemoryBound: 0
; FloatMode: 240
; IeeeMode: 1
; LDSByteSize: 0 bytes/workgroup (compile time only)
; SGPRBlocks: 0
; VGPRBlocks: 0
; NumSGPRsForWavesPerEU: 4
; NumVGPRsForWavesPerEU: 1
; Occupancy: 10
; WaveLimiterHint : 0
; COMPUTE_PGM_RSRC2:SCRATCH_EN: 0
; COMPUTE_PGM_RSRC2:USER_SGPR: 6
; COMPUTE_PGM_RSRC2:TRAP_HANDLER: 0
; COMPUTE_PGM_RSRC2:TGID_X_EN: 1
; COMPUTE_PGM_RSRC2:TGID_Y_EN: 0
; COMPUTE_PGM_RSRC2:TGID_Z_EN: 0
; COMPUTE_PGM_RSRC2:TIDIG_COMP_CNT: 0
	.section	.text._ZN7rocprim17ROCPRIM_400000_NS6detail17trampoline_kernelINS0_14default_configENS1_27lower_bound_config_selectorItlEEZNS1_14transform_implILb0ES3_S5_N6thrust23THRUST_200600_302600_NS6detail15normal_iteratorINS8_7pointerItNS8_11hip_rocprim5par_tENS8_11use_defaultESE_EEEENSA_INSB_IlSD_SE_SE_EEEEZNS1_13binary_searchIS3_S5_NSA_INS8_10device_ptrItEEEESG_SI_NS1_21lower_bound_search_opENS9_16wrapped_functionINS8_6system6detail7generic6detail18binary_search_lessEbEEEE10hipError_tPvRmT1_T2_T3_mmT4_T5_P12ihipStream_tbEUlRKtE_EESV_SZ_S10_mS11_S14_bEUlT_E_NS1_11comp_targetILNS1_3genE2ELNS1_11target_archE906ELNS1_3gpuE6ELNS1_3repE0EEENS1_30default_config_static_selectorELNS0_4arch9wavefront6targetE1EEEvSY_,"axG",@progbits,_ZN7rocprim17ROCPRIM_400000_NS6detail17trampoline_kernelINS0_14default_configENS1_27lower_bound_config_selectorItlEEZNS1_14transform_implILb0ES3_S5_N6thrust23THRUST_200600_302600_NS6detail15normal_iteratorINS8_7pointerItNS8_11hip_rocprim5par_tENS8_11use_defaultESE_EEEENSA_INSB_IlSD_SE_SE_EEEEZNS1_13binary_searchIS3_S5_NSA_INS8_10device_ptrItEEEESG_SI_NS1_21lower_bound_search_opENS9_16wrapped_functionINS8_6system6detail7generic6detail18binary_search_lessEbEEEE10hipError_tPvRmT1_T2_T3_mmT4_T5_P12ihipStream_tbEUlRKtE_EESV_SZ_S10_mS11_S14_bEUlT_E_NS1_11comp_targetILNS1_3genE2ELNS1_11target_archE906ELNS1_3gpuE6ELNS1_3repE0EEENS1_30default_config_static_selectorELNS0_4arch9wavefront6targetE1EEEvSY_,comdat
	.protected	_ZN7rocprim17ROCPRIM_400000_NS6detail17trampoline_kernelINS0_14default_configENS1_27lower_bound_config_selectorItlEEZNS1_14transform_implILb0ES3_S5_N6thrust23THRUST_200600_302600_NS6detail15normal_iteratorINS8_7pointerItNS8_11hip_rocprim5par_tENS8_11use_defaultESE_EEEENSA_INSB_IlSD_SE_SE_EEEEZNS1_13binary_searchIS3_S5_NSA_INS8_10device_ptrItEEEESG_SI_NS1_21lower_bound_search_opENS9_16wrapped_functionINS8_6system6detail7generic6detail18binary_search_lessEbEEEE10hipError_tPvRmT1_T2_T3_mmT4_T5_P12ihipStream_tbEUlRKtE_EESV_SZ_S10_mS11_S14_bEUlT_E_NS1_11comp_targetILNS1_3genE2ELNS1_11target_archE906ELNS1_3gpuE6ELNS1_3repE0EEENS1_30default_config_static_selectorELNS0_4arch9wavefront6targetE1EEEvSY_ ; -- Begin function _ZN7rocprim17ROCPRIM_400000_NS6detail17trampoline_kernelINS0_14default_configENS1_27lower_bound_config_selectorItlEEZNS1_14transform_implILb0ES3_S5_N6thrust23THRUST_200600_302600_NS6detail15normal_iteratorINS8_7pointerItNS8_11hip_rocprim5par_tENS8_11use_defaultESE_EEEENSA_INSB_IlSD_SE_SE_EEEEZNS1_13binary_searchIS3_S5_NSA_INS8_10device_ptrItEEEESG_SI_NS1_21lower_bound_search_opENS9_16wrapped_functionINS8_6system6detail7generic6detail18binary_search_lessEbEEEE10hipError_tPvRmT1_T2_T3_mmT4_T5_P12ihipStream_tbEUlRKtE_EESV_SZ_S10_mS11_S14_bEUlT_E_NS1_11comp_targetILNS1_3genE2ELNS1_11target_archE906ELNS1_3gpuE6ELNS1_3repE0EEENS1_30default_config_static_selectorELNS0_4arch9wavefront6targetE1EEEvSY_
	.globl	_ZN7rocprim17ROCPRIM_400000_NS6detail17trampoline_kernelINS0_14default_configENS1_27lower_bound_config_selectorItlEEZNS1_14transform_implILb0ES3_S5_N6thrust23THRUST_200600_302600_NS6detail15normal_iteratorINS8_7pointerItNS8_11hip_rocprim5par_tENS8_11use_defaultESE_EEEENSA_INSB_IlSD_SE_SE_EEEEZNS1_13binary_searchIS3_S5_NSA_INS8_10device_ptrItEEEESG_SI_NS1_21lower_bound_search_opENS9_16wrapped_functionINS8_6system6detail7generic6detail18binary_search_lessEbEEEE10hipError_tPvRmT1_T2_T3_mmT4_T5_P12ihipStream_tbEUlRKtE_EESV_SZ_S10_mS11_S14_bEUlT_E_NS1_11comp_targetILNS1_3genE2ELNS1_11target_archE906ELNS1_3gpuE6ELNS1_3repE0EEENS1_30default_config_static_selectorELNS0_4arch9wavefront6targetE1EEEvSY_
	.p2align	8
	.type	_ZN7rocprim17ROCPRIM_400000_NS6detail17trampoline_kernelINS0_14default_configENS1_27lower_bound_config_selectorItlEEZNS1_14transform_implILb0ES3_S5_N6thrust23THRUST_200600_302600_NS6detail15normal_iteratorINS8_7pointerItNS8_11hip_rocprim5par_tENS8_11use_defaultESE_EEEENSA_INSB_IlSD_SE_SE_EEEEZNS1_13binary_searchIS3_S5_NSA_INS8_10device_ptrItEEEESG_SI_NS1_21lower_bound_search_opENS9_16wrapped_functionINS8_6system6detail7generic6detail18binary_search_lessEbEEEE10hipError_tPvRmT1_T2_T3_mmT4_T5_P12ihipStream_tbEUlRKtE_EESV_SZ_S10_mS11_S14_bEUlT_E_NS1_11comp_targetILNS1_3genE2ELNS1_11target_archE906ELNS1_3gpuE6ELNS1_3repE0EEENS1_30default_config_static_selectorELNS0_4arch9wavefront6targetE1EEEvSY_,@function
_ZN7rocprim17ROCPRIM_400000_NS6detail17trampoline_kernelINS0_14default_configENS1_27lower_bound_config_selectorItlEEZNS1_14transform_implILb0ES3_S5_N6thrust23THRUST_200600_302600_NS6detail15normal_iteratorINS8_7pointerItNS8_11hip_rocprim5par_tENS8_11use_defaultESE_EEEENSA_INSB_IlSD_SE_SE_EEEEZNS1_13binary_searchIS3_S5_NSA_INS8_10device_ptrItEEEESG_SI_NS1_21lower_bound_search_opENS9_16wrapped_functionINS8_6system6detail7generic6detail18binary_search_lessEbEEEE10hipError_tPvRmT1_T2_T3_mmT4_T5_P12ihipStream_tbEUlRKtE_EESV_SZ_S10_mS11_S14_bEUlT_E_NS1_11comp_targetILNS1_3genE2ELNS1_11target_archE906ELNS1_3gpuE6ELNS1_3repE0EEENS1_30default_config_static_selectorELNS0_4arch9wavefront6targetE1EEEvSY_: ; @_ZN7rocprim17ROCPRIM_400000_NS6detail17trampoline_kernelINS0_14default_configENS1_27lower_bound_config_selectorItlEEZNS1_14transform_implILb0ES3_S5_N6thrust23THRUST_200600_302600_NS6detail15normal_iteratorINS8_7pointerItNS8_11hip_rocprim5par_tENS8_11use_defaultESE_EEEENSA_INSB_IlSD_SE_SE_EEEEZNS1_13binary_searchIS3_S5_NSA_INS8_10device_ptrItEEEESG_SI_NS1_21lower_bound_search_opENS9_16wrapped_functionINS8_6system6detail7generic6detail18binary_search_lessEbEEEE10hipError_tPvRmT1_T2_T3_mmT4_T5_P12ihipStream_tbEUlRKtE_EESV_SZ_S10_mS11_S14_bEUlT_E_NS1_11comp_targetILNS1_3genE2ELNS1_11target_archE906ELNS1_3gpuE6ELNS1_3repE0EEENS1_30default_config_static_selectorELNS0_4arch9wavefront6targetE1EEEvSY_
; %bb.0:
	s_load_dwordx8 s[8:15], s[4:5], 0x0
	s_load_dwordx4 s[16:19], s[4:5], 0x20
	s_load_dword s2, s[4:5], 0x38
	s_waitcnt lgkmcnt(0)
	s_lshl_b64 s[0:1], s[10:11], 1
	s_add_u32 s3, s8, s0
	s_addc_u32 s4, s9, s1
	s_lshl_b64 s[0:1], s[10:11], 3
	s_add_u32 s20, s14, s0
	s_addc_u32 s21, s15, s1
	s_lshl_b32 s8, s6, 10
	s_mov_b32 s9, 0
	s_add_i32 s2, s2, -1
	s_lshl_b64 s[0:1], s[8:9], 1
	s_add_u32 s13, s3, s0
	s_addc_u32 s14, s4, s1
	s_cmp_lg_u32 s6, s2
	s_cbranch_scc0 .LBB380_14
; %bb.1:
	v_lshlrev_b32_e32 v1, 1, v0
	v_mov_b32_e32 v2, s14
	v_add_co_u32_e32 v1, vcc, s13, v1
	v_addc_co_u32_e32 v2, vcc, 0, v2, vcc
	flat_load_ushort v7, v[1:2] offset:512
	flat_load_ushort v9, v[1:2] offset:1024
	;; [unrolled: 1-line block ×3, first 2 shown]
	s_cmp_lg_u64 s[18:19], 0
	s_cselect_b64 s[2:3], -1, 0
	s_cmp_eq_u64 s[18:19], 0
	s_mov_b64 s[0:1], 0
	s_cbranch_scc1 .LBB380_15
; %bb.2:
	flat_load_ushort v5, v[1:2]
	v_mov_b32_e32 v1, 0
	v_mov_b32_e32 v3, s18
	;; [unrolled: 1-line block ×5, first 2 shown]
.LBB380_3:                              ; =>This Inner Loop Header: Depth=1
	v_sub_co_u32_e32 v12, vcc, v3, v1
	v_subb_co_u32_e32 v13, vcc, v4, v2, vcc
	v_lshrrev_b64 v[14:15], 1, v[12:13]
	v_lshrrev_b64 v[12:13], 6, v[12:13]
	v_add_co_u32_e32 v8, vcc, v14, v1
	v_addc_co_u32_e32 v10, vcc, v15, v2, vcc
	v_add_co_u32_e32 v12, vcc, v8, v12
	v_addc_co_u32_e32 v13, vcc, v10, v13, vcc
	v_lshlrev_b64 v[14:15], 1, v[12:13]
	v_add_co_u32_e32 v14, vcc, s16, v14
	v_addc_co_u32_e32 v15, vcc, v6, v15, vcc
	global_load_ushort v8, v[14:15], off
	v_add_co_u32_e32 v10, vcc, 1, v12
	v_addc_co_u32_e32 v14, vcc, 0, v13, vcc
	s_waitcnt vmcnt(0) lgkmcnt(0)
	v_cmp_lt_u16_e32 vcc, v8, v5
	v_cndmask_b32_e32 v4, v13, v4, vcc
	v_cndmask_b32_e32 v3, v12, v3, vcc
	;; [unrolled: 1-line block ×4, first 2 shown]
	v_cmp_ge_u64_e32 vcc, v[1:2], v[3:4]
	s_or_b64 s[0:1], vcc, s[0:1]
	s_andn2_b64 exec, exec, s[0:1]
	s_cbranch_execnz .LBB380_3
; %bb.4:
	s_or_b64 exec, exec, s[0:1]
	v_cndmask_b32_e64 v3, 0, 1, s[2:3]
	v_cmp_ne_u32_e64 s[0:1], 1, v3
	s_andn2_b64 vcc, exec, s[2:3]
	s_cbranch_vccnz .LBB380_16
.LBB380_5:
	v_mov_b32_e32 v3, 0
	v_mov_b32_e32 v5, s18
	s_mov_b64 s[2:3], 0
	v_mov_b32_e32 v4, 0
	v_mov_b32_e32 v6, s19
	;; [unrolled: 1-line block ×3, first 2 shown]
.LBB380_6:                              ; =>This Inner Loop Header: Depth=1
	v_sub_co_u32_e32 v12, vcc, v5, v3
	v_subb_co_u32_e32 v13, vcc, v6, v4, vcc
	v_lshrrev_b64 v[14:15], 1, v[12:13]
	v_lshrrev_b64 v[12:13], 6, v[12:13]
	v_add_co_u32_e32 v10, vcc, v14, v3
	v_addc_co_u32_e32 v14, vcc, v15, v4, vcc
	v_add_co_u32_e32 v12, vcc, v10, v12
	v_addc_co_u32_e32 v13, vcc, v14, v13, vcc
	v_lshlrev_b64 v[14:15], 1, v[12:13]
	v_add_co_u32_e32 v14, vcc, s16, v14
	v_addc_co_u32_e32 v15, vcc, v8, v15, vcc
	global_load_ushort v10, v[14:15], off
	v_add_co_u32_e32 v14, vcc, 1, v12
	v_addc_co_u32_e32 v15, vcc, 0, v13, vcc
	s_waitcnt vmcnt(0) lgkmcnt(0)
	v_cmp_lt_u16_e32 vcc, v10, v7
	v_cndmask_b32_e32 v6, v13, v6, vcc
	v_cndmask_b32_e32 v5, v12, v5, vcc
	;; [unrolled: 1-line block ×4, first 2 shown]
	v_cmp_ge_u64_e32 vcc, v[3:4], v[5:6]
	s_or_b64 s[2:3], vcc, s[2:3]
	s_andn2_b64 exec, exec, s[2:3]
	s_cbranch_execnz .LBB380_6
; %bb.7:
	s_or_b64 exec, exec, s[2:3]
	s_and_b64 vcc, exec, s[0:1]
	s_cbranch_vccnz .LBB380_17
.LBB380_8:
	v_mov_b32_e32 v5, 0
	s_waitcnt vmcnt(0) lgkmcnt(0)
	v_mov_b32_e32 v7, s18
	s_mov_b64 s[2:3], 0
	v_mov_b32_e32 v6, 0
	v_mov_b32_e32 v8, s19
	;; [unrolled: 1-line block ×3, first 2 shown]
.LBB380_9:                              ; =>This Inner Loop Header: Depth=1
	v_sub_co_u32_e32 v12, vcc, v7, v5
	v_subb_co_u32_e32 v13, vcc, v8, v6, vcc
	v_lshrrev_b64 v[14:15], 1, v[12:13]
	v_lshrrev_b64 v[12:13], 6, v[12:13]
	v_add_co_u32_e32 v14, vcc, v14, v5
	v_addc_co_u32_e32 v15, vcc, v15, v6, vcc
	v_add_co_u32_e32 v12, vcc, v14, v12
	v_addc_co_u32_e32 v13, vcc, v15, v13, vcc
	v_lshlrev_b64 v[14:15], 1, v[12:13]
	v_add_co_u32_e32 v14, vcc, s16, v14
	v_addc_co_u32_e32 v15, vcc, v10, v15, vcc
	global_load_ushort v14, v[14:15], off
	v_add_co_u32_e32 v15, vcc, 1, v12
	v_addc_co_u32_e32 v16, vcc, 0, v13, vcc
	s_waitcnt vmcnt(0)
	v_cmp_lt_u16_e32 vcc, v14, v9
	v_cndmask_b32_e32 v8, v13, v8, vcc
	v_cndmask_b32_e32 v7, v12, v7, vcc
	;; [unrolled: 1-line block ×4, first 2 shown]
	v_cmp_ge_u64_e32 vcc, v[5:6], v[7:8]
	s_or_b64 s[2:3], vcc, s[2:3]
	s_andn2_b64 exec, exec, s[2:3]
	s_cbranch_execnz .LBB380_9
; %bb.10:
	s_or_b64 exec, exec, s[2:3]
	s_and_b64 vcc, exec, s[0:1]
	s_cbranch_vccnz .LBB380_18
.LBB380_11:
	s_waitcnt vmcnt(0) lgkmcnt(0)
	v_mov_b32_e32 v7, 0
	v_mov_b32_e32 v9, s18
	s_mov_b64 s[0:1], 0
	v_mov_b32_e32 v8, 0
	v_mov_b32_e32 v10, s19
	;; [unrolled: 1-line block ×3, first 2 shown]
.LBB380_12:                             ; =>This Inner Loop Header: Depth=1
	v_sub_co_u32_e32 v13, vcc, v9, v7
	v_subb_co_u32_e32 v14, vcc, v10, v8, vcc
	v_lshrrev_b64 v[15:16], 1, v[13:14]
	v_lshrrev_b64 v[13:14], 6, v[13:14]
	v_add_co_u32_e32 v15, vcc, v15, v7
	v_addc_co_u32_e32 v16, vcc, v16, v8, vcc
	v_add_co_u32_e32 v13, vcc, v15, v13
	v_addc_co_u32_e32 v14, vcc, v16, v14, vcc
	v_lshlrev_b64 v[15:16], 1, v[13:14]
	v_add_co_u32_e32 v15, vcc, s16, v15
	v_addc_co_u32_e32 v16, vcc, v12, v16, vcc
	global_load_ushort v15, v[15:16], off
	v_add_co_u32_e32 v16, vcc, 1, v13
	v_addc_co_u32_e32 v17, vcc, 0, v14, vcc
	s_waitcnt vmcnt(0)
	v_cmp_lt_u16_e32 vcc, v15, v11
	v_cndmask_b32_e32 v10, v14, v10, vcc
	v_cndmask_b32_e32 v9, v13, v9, vcc
	;; [unrolled: 1-line block ×4, first 2 shown]
	v_cmp_ge_u64_e32 vcc, v[7:8], v[9:10]
	s_or_b64 s[0:1], vcc, s[0:1]
	s_andn2_b64 exec, exec, s[0:1]
	s_cbranch_execnz .LBB380_12
; %bb.13:
	s_or_b64 exec, exec, s[0:1]
	s_branch .LBB380_19
.LBB380_14:
	s_mov_b64 s[6:7], 0
                                        ; implicit-def: $vgpr7_vgpr8
                                        ; implicit-def: $vgpr11_vgpr12
	s_cbranch_execnz .LBB380_20
	s_branch .LBB380_59
.LBB380_15:
	v_mov_b32_e32 v1, 0
	v_mov_b32_e32 v2, 0
	v_cndmask_b32_e64 v3, 0, 1, s[2:3]
	v_cmp_ne_u32_e64 s[0:1], 1, v3
	s_andn2_b64 vcc, exec, s[2:3]
	s_cbranch_vccz .LBB380_5
.LBB380_16:
	v_mov_b32_e32 v3, 0
	v_mov_b32_e32 v4, 0
	s_and_b64 vcc, exec, s[0:1]
	s_cbranch_vccz .LBB380_8
.LBB380_17:
	v_mov_b32_e32 v5, 0
	v_mov_b32_e32 v6, 0
	s_and_b64 vcc, exec, s[0:1]
	s_cbranch_vccz .LBB380_11
.LBB380_18:
	s_waitcnt vmcnt(0) lgkmcnt(0)
	v_mov_b32_e32 v7, 0
	v_mov_b32_e32 v8, 0
.LBB380_19:
	s_lshl_b64 s[0:1], s[8:9], 3
	s_add_u32 s0, s20, s0
	s_addc_u32 s1, s21, s1
	v_lshlrev_b32_e32 v9, 3, v0
	v_mov_b32_e32 v10, s1
	v_add_co_u32_e32 v11, vcc, s0, v9
	v_addc_co_u32_e32 v12, vcc, 0, v10, vcc
	flat_store_dwordx2 v[11:12], v[1:2]
	flat_store_dwordx2 v[11:12], v[3:4] offset:2048
	v_add_co_u32_e32 v1, vcc, 0x1000, v11
	v_addc_co_u32_e32 v2, vcc, 0, v12, vcc
	flat_store_dwordx2 v[1:2], v[5:6]
	s_mov_b64 s[6:7], -1
	s_branch .LBB380_59
.LBB380_20:
	s_sub_i32 s10, s12, s8
	v_mov_b32_e32 v1, 0
	v_cmp_gt_u32_e64 s[0:1], s10, v0
	v_mov_b32_e32 v2, v1
	s_and_saveexec_b64 s[2:3], s[0:1]
	s_cbranch_execz .LBB380_22
; %bb.21:
	v_lshlrev_b32_e32 v2, 1, v0
	v_mov_b32_e32 v3, s14
	v_add_co_u32_e32 v2, vcc, s13, v2
	v_addc_co_u32_e32 v3, vcc, 0, v3, vcc
	flat_load_ushort v2, v[2:3]
	v_mov_b32_e32 v3, v1
	s_waitcnt vmcnt(0) lgkmcnt(0)
	v_and_b32_e32 v2, 0xffff, v2
	v_mov_b32_e32 v1, v2
	v_mov_b32_e32 v2, v3
.LBB380_22:
	s_or_b64 exec, exec, s[2:3]
	v_or_b32_e32 v3, 0x100, v0
	v_cmp_gt_u32_e64 s[2:3], s10, v3
	s_and_saveexec_b64 s[4:5], s[2:3]
	s_cbranch_execz .LBB380_24
; %bb.23:
	v_lshlrev_b32_e32 v3, 1, v0
	v_mov_b32_e32 v4, s14
	v_add_co_u32_e32 v3, vcc, s13, v3
	v_addc_co_u32_e32 v4, vcc, 0, v4, vcc
	flat_load_ushort v3, v[3:4] offset:512
	s_mov_b32 s6, 0x5040100
	s_waitcnt vmcnt(0) lgkmcnt(0)
	v_perm_b32 v1, v3, v1, s6
.LBB380_24:
	s_or_b64 exec, exec, s[4:5]
	v_or_b32_e32 v3, 0x200, v0
	v_cmp_gt_u32_e64 s[4:5], s10, v3
	s_and_saveexec_b64 s[6:7], s[4:5]
	s_cbranch_execz .LBB380_26
; %bb.25:
	v_lshlrev_b32_e32 v3, 1, v0
	v_mov_b32_e32 v4, s14
	v_add_co_u32_e32 v3, vcc, s13, v3
	v_addc_co_u32_e32 v4, vcc, 0, v4, vcc
	flat_load_ushort v3, v[3:4] offset:1024
	s_mov_b32 s11, 0xffff
	s_waitcnt vmcnt(0) lgkmcnt(0)
	v_bfi_b32 v2, s11, v3, v2
.LBB380_26:
	s_or_b64 exec, exec, s[6:7]
	v_or_b32_e32 v3, 0x300, v0
	v_cmp_gt_u32_e64 s[6:7], s10, v3
	s_and_saveexec_b64 s[10:11], s[6:7]
	s_cbranch_execz .LBB380_28
; %bb.27:
	v_lshlrev_b32_e32 v3, 1, v0
	v_mov_b32_e32 v4, s14
	v_add_co_u32_e32 v3, vcc, s13, v3
	v_addc_co_u32_e32 v4, vcc, 0, v4, vcc
	flat_load_ushort v3, v[3:4] offset:1536
	s_mov_b32 s12, 0x5040100
	s_waitcnt vmcnt(0) lgkmcnt(0)
	v_perm_b32 v2, v3, v2, s12
.LBB380_28:
	s_or_b64 exec, exec, s[10:11]
	s_cmp_lg_u64 s[18:19], 0
	s_cselect_b64 s[10:11], -1, 0
                                        ; implicit-def: $vgpr3_vgpr4
	s_and_saveexec_b64 s[12:13], s[0:1]
	s_cbranch_execnz .LBB380_32
; %bb.29:
	s_or_b64 exec, exec, s[12:13]
                                        ; implicit-def: $vgpr5_vgpr6
	s_and_saveexec_b64 s[12:13], s[2:3]
	s_cbranch_execnz .LBB380_37
.LBB380_30:
	s_or_b64 exec, exec, s[12:13]
                                        ; implicit-def: $vgpr9_vgpr10
	s_and_saveexec_b64 s[12:13], s[4:5]
	s_cbranch_execnz .LBB380_42
.LBB380_31:
	s_or_b64 exec, exec, s[12:13]
                                        ; implicit-def: $vgpr7_vgpr8
	s_and_saveexec_b64 s[12:13], s[6:7]
	s_cbranch_execnz .LBB380_47
	s_branch .LBB380_52
.LBB380_32:
	s_andn2_b64 vcc, exec, s[10:11]
	s_cbranch_vccnz .LBB380_36
; %bb.33:
	v_mov_b32_e32 v3, 0
	v_mov_b32_e32 v5, s18
	s_mov_b64 s[14:15], 0
	v_mov_b32_e32 v4, 0
	v_mov_b32_e32 v6, s19
	v_mov_b32_e32 v7, s17
.LBB380_34:                             ; =>This Inner Loop Header: Depth=1
	v_sub_co_u32_e32 v8, vcc, v5, v3
	v_subb_co_u32_e32 v9, vcc, v6, v4, vcc
	v_lshrrev_b64 v[10:11], 1, v[8:9]
	v_lshrrev_b64 v[8:9], 6, v[8:9]
	v_add_co_u32_e32 v10, vcc, v10, v3
	v_addc_co_u32_e32 v11, vcc, v11, v4, vcc
	v_add_co_u32_e32 v8, vcc, v10, v8
	v_addc_co_u32_e32 v9, vcc, v11, v9, vcc
	v_lshlrev_b64 v[10:11], 1, v[8:9]
	v_add_co_u32_e32 v10, vcc, s16, v10
	v_addc_co_u32_e32 v11, vcc, v7, v11, vcc
	global_load_ushort v10, v[10:11], off
	v_add_co_u32_e32 v11, vcc, 1, v8
	v_addc_co_u32_e32 v12, vcc, 0, v9, vcc
	s_waitcnt vmcnt(0)
	v_cmp_lt_u16_e32 vcc, v10, v1
	v_cndmask_b32_e32 v6, v9, v6, vcc
	v_cndmask_b32_e32 v5, v8, v5, vcc
	;; [unrolled: 1-line block ×4, first 2 shown]
	v_cmp_ge_u64_e32 vcc, v[3:4], v[5:6]
	s_or_b64 s[14:15], vcc, s[14:15]
	s_andn2_b64 exec, exec, s[14:15]
	s_cbranch_execnz .LBB380_34
; %bb.35:
	s_or_b64 exec, exec, s[14:15]
	s_or_b64 exec, exec, s[12:13]
                                        ; implicit-def: $vgpr5_vgpr6
	s_and_saveexec_b64 s[12:13], s[2:3]
	s_cbranch_execz .LBB380_30
	s_branch .LBB380_37
.LBB380_36:
	v_mov_b32_e32 v3, 0
	v_mov_b32_e32 v4, 0
	s_or_b64 exec, exec, s[12:13]
                                        ; implicit-def: $vgpr5_vgpr6
	s_and_saveexec_b64 s[12:13], s[2:3]
	s_cbranch_execz .LBB380_30
.LBB380_37:
	s_andn2_b64 vcc, exec, s[10:11]
	s_cbranch_vccnz .LBB380_41
; %bb.38:
	v_mov_b32_e32 v5, 0
	v_mov_b32_e32 v7, s18
	s_mov_b64 s[14:15], 0
	v_mov_b32_e32 v6, 0
	v_mov_b32_e32 v8, s19
	;; [unrolled: 1-line block ×3, first 2 shown]
.LBB380_39:                             ; =>This Inner Loop Header: Depth=1
	v_sub_co_u32_e32 v10, vcc, v7, v5
	v_subb_co_u32_e32 v11, vcc, v8, v6, vcc
	v_lshrrev_b64 v[12:13], 1, v[10:11]
	v_lshrrev_b64 v[10:11], 6, v[10:11]
	v_add_co_u32_e32 v12, vcc, v12, v5
	v_addc_co_u32_e32 v13, vcc, v13, v6, vcc
	v_add_co_u32_e32 v10, vcc, v12, v10
	v_addc_co_u32_e32 v11, vcc, v13, v11, vcc
	v_lshlrev_b64 v[12:13], 1, v[10:11]
	v_add_co_u32_e32 v12, vcc, s16, v12
	v_addc_co_u32_e32 v13, vcc, v9, v13, vcc
	global_load_ushort v12, v[12:13], off
	v_add_co_u32_e32 v13, vcc, 1, v10
	v_addc_co_u32_e32 v14, vcc, 0, v11, vcc
	s_waitcnt vmcnt(0)
	v_cmp_lt_u16_sdwa vcc, v12, v1 src0_sel:DWORD src1_sel:WORD_1
	v_cndmask_b32_e32 v8, v11, v8, vcc
	v_cndmask_b32_e32 v7, v10, v7, vcc
	;; [unrolled: 1-line block ×4, first 2 shown]
	v_cmp_ge_u64_e32 vcc, v[5:6], v[7:8]
	s_or_b64 s[14:15], vcc, s[14:15]
	s_andn2_b64 exec, exec, s[14:15]
	s_cbranch_execnz .LBB380_39
; %bb.40:
	s_or_b64 exec, exec, s[14:15]
	s_or_b64 exec, exec, s[12:13]
                                        ; implicit-def: $vgpr9_vgpr10
	s_and_saveexec_b64 s[12:13], s[4:5]
	s_cbranch_execz .LBB380_31
	s_branch .LBB380_42
.LBB380_41:
	v_mov_b32_e32 v5, 0
	v_mov_b32_e32 v6, 0
	s_or_b64 exec, exec, s[12:13]
                                        ; implicit-def: $vgpr9_vgpr10
	s_and_saveexec_b64 s[12:13], s[4:5]
	s_cbranch_execz .LBB380_31
.LBB380_42:
	s_andn2_b64 vcc, exec, s[10:11]
	s_cbranch_vccnz .LBB380_46
; %bb.43:
	v_mov_b32_e32 v9, 0
	v_mov_b32_e32 v7, s18
	s_mov_b64 s[14:15], 0
	v_mov_b32_e32 v10, 0
	v_mov_b32_e32 v8, s19
	;; [unrolled: 1-line block ×3, first 2 shown]
.LBB380_44:                             ; =>This Inner Loop Header: Depth=1
	v_sub_co_u32_e32 v11, vcc, v7, v9
	v_subb_co_u32_e32 v12, vcc, v8, v10, vcc
	v_lshrrev_b64 v[13:14], 1, v[11:12]
	v_lshrrev_b64 v[11:12], 6, v[11:12]
	v_add_co_u32_e32 v13, vcc, v13, v9
	v_addc_co_u32_e32 v14, vcc, v14, v10, vcc
	v_add_co_u32_e32 v11, vcc, v13, v11
	v_addc_co_u32_e32 v12, vcc, v14, v12, vcc
	v_lshlrev_b64 v[13:14], 1, v[11:12]
	v_add_co_u32_e32 v13, vcc, s16, v13
	v_addc_co_u32_e32 v14, vcc, v1, v14, vcc
	global_load_ushort v13, v[13:14], off
	v_add_co_u32_e32 v14, vcc, 1, v11
	v_addc_co_u32_e32 v15, vcc, 0, v12, vcc
	s_waitcnt vmcnt(0)
	v_cmp_lt_u16_e32 vcc, v13, v2
	v_cndmask_b32_e32 v8, v12, v8, vcc
	v_cndmask_b32_e32 v7, v11, v7, vcc
	;; [unrolled: 1-line block ×4, first 2 shown]
	v_cmp_ge_u64_e32 vcc, v[9:10], v[7:8]
	s_or_b64 s[14:15], vcc, s[14:15]
	s_andn2_b64 exec, exec, s[14:15]
	s_cbranch_execnz .LBB380_44
; %bb.45:
	s_or_b64 exec, exec, s[14:15]
	s_or_b64 exec, exec, s[12:13]
                                        ; implicit-def: $vgpr7_vgpr8
	s_and_saveexec_b64 s[12:13], s[6:7]
	s_cbranch_execnz .LBB380_47
	s_branch .LBB380_52
.LBB380_46:
	v_mov_b32_e32 v9, 0
	v_mov_b32_e32 v10, 0
	s_or_b64 exec, exec, s[12:13]
                                        ; implicit-def: $vgpr7_vgpr8
	s_and_saveexec_b64 s[12:13], s[6:7]
	s_cbranch_execz .LBB380_52
.LBB380_47:
	s_andn2_b64 vcc, exec, s[10:11]
	s_cbranch_vccnz .LBB380_51
; %bb.48:
	v_mov_b32_e32 v7, 0
	v_mov_b32_e32 v11, s18
	s_mov_b64 s[10:11], 0
	v_mov_b32_e32 v8, 0
	v_mov_b32_e32 v12, s19
	;; [unrolled: 1-line block ×3, first 2 shown]
.LBB380_49:                             ; =>This Inner Loop Header: Depth=1
	v_sub_co_u32_e32 v13, vcc, v11, v7
	v_subb_co_u32_e32 v14, vcc, v12, v8, vcc
	v_lshrrev_b64 v[15:16], 1, v[13:14]
	v_lshrrev_b64 v[13:14], 6, v[13:14]
	v_add_co_u32_e32 v15, vcc, v15, v7
	v_addc_co_u32_e32 v16, vcc, v16, v8, vcc
	v_add_co_u32_e32 v13, vcc, v15, v13
	v_addc_co_u32_e32 v14, vcc, v16, v14, vcc
	v_lshlrev_b64 v[15:16], 1, v[13:14]
	v_add_co_u32_e32 v15, vcc, s16, v15
	v_addc_co_u32_e32 v16, vcc, v1, v16, vcc
	global_load_ushort v15, v[15:16], off
	v_add_co_u32_e32 v16, vcc, 1, v13
	v_addc_co_u32_e32 v17, vcc, 0, v14, vcc
	s_waitcnt vmcnt(0)
	v_cmp_lt_u16_sdwa vcc, v15, v2 src0_sel:DWORD src1_sel:WORD_1
	v_cndmask_b32_e32 v12, v14, v12, vcc
	v_cndmask_b32_e32 v11, v13, v11, vcc
	;; [unrolled: 1-line block ×4, first 2 shown]
	v_cmp_ge_u64_e32 vcc, v[7:8], v[11:12]
	s_or_b64 s[10:11], vcc, s[10:11]
	s_andn2_b64 exec, exec, s[10:11]
	s_cbranch_execnz .LBB380_49
; %bb.50:
	s_or_b64 exec, exec, s[10:11]
	s_branch .LBB380_52
.LBB380_51:
	v_mov_b32_e32 v7, 0
	v_mov_b32_e32 v8, 0
.LBB380_52:
	s_or_b64 exec, exec, s[12:13]
	s_lshl_b64 s[8:9], s[8:9], 3
	s_add_u32 s8, s20, s8
	s_addc_u32 s9, s21, s9
	v_lshlrev_b32_e32 v0, 3, v0
	v_mov_b32_e32 v1, s9
	v_add_co_u32_e32 v11, vcc, s8, v0
	v_addc_co_u32_e32 v12, vcc, 0, v1, vcc
	s_and_saveexec_b64 s[8:9], s[0:1]
	s_xor_b64 s[0:1], exec, s[8:9]
	s_cbranch_execz .LBB380_54
; %bb.53:
	flat_store_dwordx2 v[11:12], v[3:4]
.LBB380_54:
	s_or_b64 exec, exec, s[0:1]
	s_and_saveexec_b64 s[0:1], s[2:3]
	s_cbranch_execz .LBB380_56
; %bb.55:
	flat_store_dwordx2 v[11:12], v[5:6] offset:2048
.LBB380_56:
	s_or_b64 exec, exec, s[0:1]
	s_and_saveexec_b64 s[0:1], s[4:5]
	s_cbranch_execz .LBB380_58
; %bb.57:
	v_add_co_u32_e32 v0, vcc, 0x1000, v11
	v_addc_co_u32_e32 v1, vcc, 0, v12, vcc
	flat_store_dwordx2 v[0:1], v[9:10]
.LBB380_58:
	s_or_b64 exec, exec, s[0:1]
.LBB380_59:
	s_and_saveexec_b64 s[0:1], s[6:7]
	s_cbranch_execnz .LBB380_61
; %bb.60:
	s_endpgm
.LBB380_61:
	v_add_co_u32_e32 v0, vcc, 0x1000, v11
	v_addc_co_u32_e32 v1, vcc, 0, v12, vcc
	flat_store_dwordx2 v[0:1], v[7:8] offset:2048
	s_endpgm
	.section	.rodata,"a",@progbits
	.p2align	6, 0x0
	.amdhsa_kernel _ZN7rocprim17ROCPRIM_400000_NS6detail17trampoline_kernelINS0_14default_configENS1_27lower_bound_config_selectorItlEEZNS1_14transform_implILb0ES3_S5_N6thrust23THRUST_200600_302600_NS6detail15normal_iteratorINS8_7pointerItNS8_11hip_rocprim5par_tENS8_11use_defaultESE_EEEENSA_INSB_IlSD_SE_SE_EEEEZNS1_13binary_searchIS3_S5_NSA_INS8_10device_ptrItEEEESG_SI_NS1_21lower_bound_search_opENS9_16wrapped_functionINS8_6system6detail7generic6detail18binary_search_lessEbEEEE10hipError_tPvRmT1_T2_T3_mmT4_T5_P12ihipStream_tbEUlRKtE_EESV_SZ_S10_mS11_S14_bEUlT_E_NS1_11comp_targetILNS1_3genE2ELNS1_11target_archE906ELNS1_3gpuE6ELNS1_3repE0EEENS1_30default_config_static_selectorELNS0_4arch9wavefront6targetE1EEEvSY_
		.amdhsa_group_segment_fixed_size 0
		.amdhsa_private_segment_fixed_size 0
		.amdhsa_kernarg_size 312
		.amdhsa_user_sgpr_count 6
		.amdhsa_user_sgpr_private_segment_buffer 1
		.amdhsa_user_sgpr_dispatch_ptr 0
		.amdhsa_user_sgpr_queue_ptr 0
		.amdhsa_user_sgpr_kernarg_segment_ptr 1
		.amdhsa_user_sgpr_dispatch_id 0
		.amdhsa_user_sgpr_flat_scratch_init 0
		.amdhsa_user_sgpr_private_segment_size 0
		.amdhsa_uses_dynamic_stack 0
		.amdhsa_system_sgpr_private_segment_wavefront_offset 0
		.amdhsa_system_sgpr_workgroup_id_x 1
		.amdhsa_system_sgpr_workgroup_id_y 0
		.amdhsa_system_sgpr_workgroup_id_z 0
		.amdhsa_system_sgpr_workgroup_info 0
		.amdhsa_system_vgpr_workitem_id 0
		.amdhsa_next_free_vgpr 18
		.amdhsa_next_free_sgpr 22
		.amdhsa_reserve_vcc 1
		.amdhsa_reserve_flat_scratch 0
		.amdhsa_float_round_mode_32 0
		.amdhsa_float_round_mode_16_64 0
		.amdhsa_float_denorm_mode_32 3
		.amdhsa_float_denorm_mode_16_64 3
		.amdhsa_dx10_clamp 1
		.amdhsa_ieee_mode 1
		.amdhsa_fp16_overflow 0
		.amdhsa_exception_fp_ieee_invalid_op 0
		.amdhsa_exception_fp_denorm_src 0
		.amdhsa_exception_fp_ieee_div_zero 0
		.amdhsa_exception_fp_ieee_overflow 0
		.amdhsa_exception_fp_ieee_underflow 0
		.amdhsa_exception_fp_ieee_inexact 0
		.amdhsa_exception_int_div_zero 0
	.end_amdhsa_kernel
	.section	.text._ZN7rocprim17ROCPRIM_400000_NS6detail17trampoline_kernelINS0_14default_configENS1_27lower_bound_config_selectorItlEEZNS1_14transform_implILb0ES3_S5_N6thrust23THRUST_200600_302600_NS6detail15normal_iteratorINS8_7pointerItNS8_11hip_rocprim5par_tENS8_11use_defaultESE_EEEENSA_INSB_IlSD_SE_SE_EEEEZNS1_13binary_searchIS3_S5_NSA_INS8_10device_ptrItEEEESG_SI_NS1_21lower_bound_search_opENS9_16wrapped_functionINS8_6system6detail7generic6detail18binary_search_lessEbEEEE10hipError_tPvRmT1_T2_T3_mmT4_T5_P12ihipStream_tbEUlRKtE_EESV_SZ_S10_mS11_S14_bEUlT_E_NS1_11comp_targetILNS1_3genE2ELNS1_11target_archE906ELNS1_3gpuE6ELNS1_3repE0EEENS1_30default_config_static_selectorELNS0_4arch9wavefront6targetE1EEEvSY_,"axG",@progbits,_ZN7rocprim17ROCPRIM_400000_NS6detail17trampoline_kernelINS0_14default_configENS1_27lower_bound_config_selectorItlEEZNS1_14transform_implILb0ES3_S5_N6thrust23THRUST_200600_302600_NS6detail15normal_iteratorINS8_7pointerItNS8_11hip_rocprim5par_tENS8_11use_defaultESE_EEEENSA_INSB_IlSD_SE_SE_EEEEZNS1_13binary_searchIS3_S5_NSA_INS8_10device_ptrItEEEESG_SI_NS1_21lower_bound_search_opENS9_16wrapped_functionINS8_6system6detail7generic6detail18binary_search_lessEbEEEE10hipError_tPvRmT1_T2_T3_mmT4_T5_P12ihipStream_tbEUlRKtE_EESV_SZ_S10_mS11_S14_bEUlT_E_NS1_11comp_targetILNS1_3genE2ELNS1_11target_archE906ELNS1_3gpuE6ELNS1_3repE0EEENS1_30default_config_static_selectorELNS0_4arch9wavefront6targetE1EEEvSY_,comdat
.Lfunc_end380:
	.size	_ZN7rocprim17ROCPRIM_400000_NS6detail17trampoline_kernelINS0_14default_configENS1_27lower_bound_config_selectorItlEEZNS1_14transform_implILb0ES3_S5_N6thrust23THRUST_200600_302600_NS6detail15normal_iteratorINS8_7pointerItNS8_11hip_rocprim5par_tENS8_11use_defaultESE_EEEENSA_INSB_IlSD_SE_SE_EEEEZNS1_13binary_searchIS3_S5_NSA_INS8_10device_ptrItEEEESG_SI_NS1_21lower_bound_search_opENS9_16wrapped_functionINS8_6system6detail7generic6detail18binary_search_lessEbEEEE10hipError_tPvRmT1_T2_T3_mmT4_T5_P12ihipStream_tbEUlRKtE_EESV_SZ_S10_mS11_S14_bEUlT_E_NS1_11comp_targetILNS1_3genE2ELNS1_11target_archE906ELNS1_3gpuE6ELNS1_3repE0EEENS1_30default_config_static_selectorELNS0_4arch9wavefront6targetE1EEEvSY_, .Lfunc_end380-_ZN7rocprim17ROCPRIM_400000_NS6detail17trampoline_kernelINS0_14default_configENS1_27lower_bound_config_selectorItlEEZNS1_14transform_implILb0ES3_S5_N6thrust23THRUST_200600_302600_NS6detail15normal_iteratorINS8_7pointerItNS8_11hip_rocprim5par_tENS8_11use_defaultESE_EEEENSA_INSB_IlSD_SE_SE_EEEEZNS1_13binary_searchIS3_S5_NSA_INS8_10device_ptrItEEEESG_SI_NS1_21lower_bound_search_opENS9_16wrapped_functionINS8_6system6detail7generic6detail18binary_search_lessEbEEEE10hipError_tPvRmT1_T2_T3_mmT4_T5_P12ihipStream_tbEUlRKtE_EESV_SZ_S10_mS11_S14_bEUlT_E_NS1_11comp_targetILNS1_3genE2ELNS1_11target_archE906ELNS1_3gpuE6ELNS1_3repE0EEENS1_30default_config_static_selectorELNS0_4arch9wavefront6targetE1EEEvSY_
                                        ; -- End function
	.set _ZN7rocprim17ROCPRIM_400000_NS6detail17trampoline_kernelINS0_14default_configENS1_27lower_bound_config_selectorItlEEZNS1_14transform_implILb0ES3_S5_N6thrust23THRUST_200600_302600_NS6detail15normal_iteratorINS8_7pointerItNS8_11hip_rocprim5par_tENS8_11use_defaultESE_EEEENSA_INSB_IlSD_SE_SE_EEEEZNS1_13binary_searchIS3_S5_NSA_INS8_10device_ptrItEEEESG_SI_NS1_21lower_bound_search_opENS9_16wrapped_functionINS8_6system6detail7generic6detail18binary_search_lessEbEEEE10hipError_tPvRmT1_T2_T3_mmT4_T5_P12ihipStream_tbEUlRKtE_EESV_SZ_S10_mS11_S14_bEUlT_E_NS1_11comp_targetILNS1_3genE2ELNS1_11target_archE906ELNS1_3gpuE6ELNS1_3repE0EEENS1_30default_config_static_selectorELNS0_4arch9wavefront6targetE1EEEvSY_.num_vgpr, 18
	.set _ZN7rocprim17ROCPRIM_400000_NS6detail17trampoline_kernelINS0_14default_configENS1_27lower_bound_config_selectorItlEEZNS1_14transform_implILb0ES3_S5_N6thrust23THRUST_200600_302600_NS6detail15normal_iteratorINS8_7pointerItNS8_11hip_rocprim5par_tENS8_11use_defaultESE_EEEENSA_INSB_IlSD_SE_SE_EEEEZNS1_13binary_searchIS3_S5_NSA_INS8_10device_ptrItEEEESG_SI_NS1_21lower_bound_search_opENS9_16wrapped_functionINS8_6system6detail7generic6detail18binary_search_lessEbEEEE10hipError_tPvRmT1_T2_T3_mmT4_T5_P12ihipStream_tbEUlRKtE_EESV_SZ_S10_mS11_S14_bEUlT_E_NS1_11comp_targetILNS1_3genE2ELNS1_11target_archE906ELNS1_3gpuE6ELNS1_3repE0EEENS1_30default_config_static_selectorELNS0_4arch9wavefront6targetE1EEEvSY_.num_agpr, 0
	.set _ZN7rocprim17ROCPRIM_400000_NS6detail17trampoline_kernelINS0_14default_configENS1_27lower_bound_config_selectorItlEEZNS1_14transform_implILb0ES3_S5_N6thrust23THRUST_200600_302600_NS6detail15normal_iteratorINS8_7pointerItNS8_11hip_rocprim5par_tENS8_11use_defaultESE_EEEENSA_INSB_IlSD_SE_SE_EEEEZNS1_13binary_searchIS3_S5_NSA_INS8_10device_ptrItEEEESG_SI_NS1_21lower_bound_search_opENS9_16wrapped_functionINS8_6system6detail7generic6detail18binary_search_lessEbEEEE10hipError_tPvRmT1_T2_T3_mmT4_T5_P12ihipStream_tbEUlRKtE_EESV_SZ_S10_mS11_S14_bEUlT_E_NS1_11comp_targetILNS1_3genE2ELNS1_11target_archE906ELNS1_3gpuE6ELNS1_3repE0EEENS1_30default_config_static_selectorELNS0_4arch9wavefront6targetE1EEEvSY_.numbered_sgpr, 22
	.set _ZN7rocprim17ROCPRIM_400000_NS6detail17trampoline_kernelINS0_14default_configENS1_27lower_bound_config_selectorItlEEZNS1_14transform_implILb0ES3_S5_N6thrust23THRUST_200600_302600_NS6detail15normal_iteratorINS8_7pointerItNS8_11hip_rocprim5par_tENS8_11use_defaultESE_EEEENSA_INSB_IlSD_SE_SE_EEEEZNS1_13binary_searchIS3_S5_NSA_INS8_10device_ptrItEEEESG_SI_NS1_21lower_bound_search_opENS9_16wrapped_functionINS8_6system6detail7generic6detail18binary_search_lessEbEEEE10hipError_tPvRmT1_T2_T3_mmT4_T5_P12ihipStream_tbEUlRKtE_EESV_SZ_S10_mS11_S14_bEUlT_E_NS1_11comp_targetILNS1_3genE2ELNS1_11target_archE906ELNS1_3gpuE6ELNS1_3repE0EEENS1_30default_config_static_selectorELNS0_4arch9wavefront6targetE1EEEvSY_.num_named_barrier, 0
	.set _ZN7rocprim17ROCPRIM_400000_NS6detail17trampoline_kernelINS0_14default_configENS1_27lower_bound_config_selectorItlEEZNS1_14transform_implILb0ES3_S5_N6thrust23THRUST_200600_302600_NS6detail15normal_iteratorINS8_7pointerItNS8_11hip_rocprim5par_tENS8_11use_defaultESE_EEEENSA_INSB_IlSD_SE_SE_EEEEZNS1_13binary_searchIS3_S5_NSA_INS8_10device_ptrItEEEESG_SI_NS1_21lower_bound_search_opENS9_16wrapped_functionINS8_6system6detail7generic6detail18binary_search_lessEbEEEE10hipError_tPvRmT1_T2_T3_mmT4_T5_P12ihipStream_tbEUlRKtE_EESV_SZ_S10_mS11_S14_bEUlT_E_NS1_11comp_targetILNS1_3genE2ELNS1_11target_archE906ELNS1_3gpuE6ELNS1_3repE0EEENS1_30default_config_static_selectorELNS0_4arch9wavefront6targetE1EEEvSY_.private_seg_size, 0
	.set _ZN7rocprim17ROCPRIM_400000_NS6detail17trampoline_kernelINS0_14default_configENS1_27lower_bound_config_selectorItlEEZNS1_14transform_implILb0ES3_S5_N6thrust23THRUST_200600_302600_NS6detail15normal_iteratorINS8_7pointerItNS8_11hip_rocprim5par_tENS8_11use_defaultESE_EEEENSA_INSB_IlSD_SE_SE_EEEEZNS1_13binary_searchIS3_S5_NSA_INS8_10device_ptrItEEEESG_SI_NS1_21lower_bound_search_opENS9_16wrapped_functionINS8_6system6detail7generic6detail18binary_search_lessEbEEEE10hipError_tPvRmT1_T2_T3_mmT4_T5_P12ihipStream_tbEUlRKtE_EESV_SZ_S10_mS11_S14_bEUlT_E_NS1_11comp_targetILNS1_3genE2ELNS1_11target_archE906ELNS1_3gpuE6ELNS1_3repE0EEENS1_30default_config_static_selectorELNS0_4arch9wavefront6targetE1EEEvSY_.uses_vcc, 1
	.set _ZN7rocprim17ROCPRIM_400000_NS6detail17trampoline_kernelINS0_14default_configENS1_27lower_bound_config_selectorItlEEZNS1_14transform_implILb0ES3_S5_N6thrust23THRUST_200600_302600_NS6detail15normal_iteratorINS8_7pointerItNS8_11hip_rocprim5par_tENS8_11use_defaultESE_EEEENSA_INSB_IlSD_SE_SE_EEEEZNS1_13binary_searchIS3_S5_NSA_INS8_10device_ptrItEEEESG_SI_NS1_21lower_bound_search_opENS9_16wrapped_functionINS8_6system6detail7generic6detail18binary_search_lessEbEEEE10hipError_tPvRmT1_T2_T3_mmT4_T5_P12ihipStream_tbEUlRKtE_EESV_SZ_S10_mS11_S14_bEUlT_E_NS1_11comp_targetILNS1_3genE2ELNS1_11target_archE906ELNS1_3gpuE6ELNS1_3repE0EEENS1_30default_config_static_selectorELNS0_4arch9wavefront6targetE1EEEvSY_.uses_flat_scratch, 0
	.set _ZN7rocprim17ROCPRIM_400000_NS6detail17trampoline_kernelINS0_14default_configENS1_27lower_bound_config_selectorItlEEZNS1_14transform_implILb0ES3_S5_N6thrust23THRUST_200600_302600_NS6detail15normal_iteratorINS8_7pointerItNS8_11hip_rocprim5par_tENS8_11use_defaultESE_EEEENSA_INSB_IlSD_SE_SE_EEEEZNS1_13binary_searchIS3_S5_NSA_INS8_10device_ptrItEEEESG_SI_NS1_21lower_bound_search_opENS9_16wrapped_functionINS8_6system6detail7generic6detail18binary_search_lessEbEEEE10hipError_tPvRmT1_T2_T3_mmT4_T5_P12ihipStream_tbEUlRKtE_EESV_SZ_S10_mS11_S14_bEUlT_E_NS1_11comp_targetILNS1_3genE2ELNS1_11target_archE906ELNS1_3gpuE6ELNS1_3repE0EEENS1_30default_config_static_selectorELNS0_4arch9wavefront6targetE1EEEvSY_.has_dyn_sized_stack, 0
	.set _ZN7rocprim17ROCPRIM_400000_NS6detail17trampoline_kernelINS0_14default_configENS1_27lower_bound_config_selectorItlEEZNS1_14transform_implILb0ES3_S5_N6thrust23THRUST_200600_302600_NS6detail15normal_iteratorINS8_7pointerItNS8_11hip_rocprim5par_tENS8_11use_defaultESE_EEEENSA_INSB_IlSD_SE_SE_EEEEZNS1_13binary_searchIS3_S5_NSA_INS8_10device_ptrItEEEESG_SI_NS1_21lower_bound_search_opENS9_16wrapped_functionINS8_6system6detail7generic6detail18binary_search_lessEbEEEE10hipError_tPvRmT1_T2_T3_mmT4_T5_P12ihipStream_tbEUlRKtE_EESV_SZ_S10_mS11_S14_bEUlT_E_NS1_11comp_targetILNS1_3genE2ELNS1_11target_archE906ELNS1_3gpuE6ELNS1_3repE0EEENS1_30default_config_static_selectorELNS0_4arch9wavefront6targetE1EEEvSY_.has_recursion, 0
	.set _ZN7rocprim17ROCPRIM_400000_NS6detail17trampoline_kernelINS0_14default_configENS1_27lower_bound_config_selectorItlEEZNS1_14transform_implILb0ES3_S5_N6thrust23THRUST_200600_302600_NS6detail15normal_iteratorINS8_7pointerItNS8_11hip_rocprim5par_tENS8_11use_defaultESE_EEEENSA_INSB_IlSD_SE_SE_EEEEZNS1_13binary_searchIS3_S5_NSA_INS8_10device_ptrItEEEESG_SI_NS1_21lower_bound_search_opENS9_16wrapped_functionINS8_6system6detail7generic6detail18binary_search_lessEbEEEE10hipError_tPvRmT1_T2_T3_mmT4_T5_P12ihipStream_tbEUlRKtE_EESV_SZ_S10_mS11_S14_bEUlT_E_NS1_11comp_targetILNS1_3genE2ELNS1_11target_archE906ELNS1_3gpuE6ELNS1_3repE0EEENS1_30default_config_static_selectorELNS0_4arch9wavefront6targetE1EEEvSY_.has_indirect_call, 0
	.section	.AMDGPU.csdata,"",@progbits
; Kernel info:
; codeLenInByte = 2136
; TotalNumSgprs: 26
; NumVgprs: 18
; ScratchSize: 0
; MemoryBound: 0
; FloatMode: 240
; IeeeMode: 1
; LDSByteSize: 0 bytes/workgroup (compile time only)
; SGPRBlocks: 3
; VGPRBlocks: 4
; NumSGPRsForWavesPerEU: 26
; NumVGPRsForWavesPerEU: 18
; Occupancy: 10
; WaveLimiterHint : 1
; COMPUTE_PGM_RSRC2:SCRATCH_EN: 0
; COMPUTE_PGM_RSRC2:USER_SGPR: 6
; COMPUTE_PGM_RSRC2:TRAP_HANDLER: 0
; COMPUTE_PGM_RSRC2:TGID_X_EN: 1
; COMPUTE_PGM_RSRC2:TGID_Y_EN: 0
; COMPUTE_PGM_RSRC2:TGID_Z_EN: 0
; COMPUTE_PGM_RSRC2:TIDIG_COMP_CNT: 0
	.section	.text._ZN7rocprim17ROCPRIM_400000_NS6detail17trampoline_kernelINS0_14default_configENS1_27lower_bound_config_selectorItlEEZNS1_14transform_implILb0ES3_S5_N6thrust23THRUST_200600_302600_NS6detail15normal_iteratorINS8_7pointerItNS8_11hip_rocprim5par_tENS8_11use_defaultESE_EEEENSA_INSB_IlSD_SE_SE_EEEEZNS1_13binary_searchIS3_S5_NSA_INS8_10device_ptrItEEEESG_SI_NS1_21lower_bound_search_opENS9_16wrapped_functionINS8_6system6detail7generic6detail18binary_search_lessEbEEEE10hipError_tPvRmT1_T2_T3_mmT4_T5_P12ihipStream_tbEUlRKtE_EESV_SZ_S10_mS11_S14_bEUlT_E_NS1_11comp_targetILNS1_3genE10ELNS1_11target_archE1201ELNS1_3gpuE5ELNS1_3repE0EEENS1_30default_config_static_selectorELNS0_4arch9wavefront6targetE1EEEvSY_,"axG",@progbits,_ZN7rocprim17ROCPRIM_400000_NS6detail17trampoline_kernelINS0_14default_configENS1_27lower_bound_config_selectorItlEEZNS1_14transform_implILb0ES3_S5_N6thrust23THRUST_200600_302600_NS6detail15normal_iteratorINS8_7pointerItNS8_11hip_rocprim5par_tENS8_11use_defaultESE_EEEENSA_INSB_IlSD_SE_SE_EEEEZNS1_13binary_searchIS3_S5_NSA_INS8_10device_ptrItEEEESG_SI_NS1_21lower_bound_search_opENS9_16wrapped_functionINS8_6system6detail7generic6detail18binary_search_lessEbEEEE10hipError_tPvRmT1_T2_T3_mmT4_T5_P12ihipStream_tbEUlRKtE_EESV_SZ_S10_mS11_S14_bEUlT_E_NS1_11comp_targetILNS1_3genE10ELNS1_11target_archE1201ELNS1_3gpuE5ELNS1_3repE0EEENS1_30default_config_static_selectorELNS0_4arch9wavefront6targetE1EEEvSY_,comdat
	.protected	_ZN7rocprim17ROCPRIM_400000_NS6detail17trampoline_kernelINS0_14default_configENS1_27lower_bound_config_selectorItlEEZNS1_14transform_implILb0ES3_S5_N6thrust23THRUST_200600_302600_NS6detail15normal_iteratorINS8_7pointerItNS8_11hip_rocprim5par_tENS8_11use_defaultESE_EEEENSA_INSB_IlSD_SE_SE_EEEEZNS1_13binary_searchIS3_S5_NSA_INS8_10device_ptrItEEEESG_SI_NS1_21lower_bound_search_opENS9_16wrapped_functionINS8_6system6detail7generic6detail18binary_search_lessEbEEEE10hipError_tPvRmT1_T2_T3_mmT4_T5_P12ihipStream_tbEUlRKtE_EESV_SZ_S10_mS11_S14_bEUlT_E_NS1_11comp_targetILNS1_3genE10ELNS1_11target_archE1201ELNS1_3gpuE5ELNS1_3repE0EEENS1_30default_config_static_selectorELNS0_4arch9wavefront6targetE1EEEvSY_ ; -- Begin function _ZN7rocprim17ROCPRIM_400000_NS6detail17trampoline_kernelINS0_14default_configENS1_27lower_bound_config_selectorItlEEZNS1_14transform_implILb0ES3_S5_N6thrust23THRUST_200600_302600_NS6detail15normal_iteratorINS8_7pointerItNS8_11hip_rocprim5par_tENS8_11use_defaultESE_EEEENSA_INSB_IlSD_SE_SE_EEEEZNS1_13binary_searchIS3_S5_NSA_INS8_10device_ptrItEEEESG_SI_NS1_21lower_bound_search_opENS9_16wrapped_functionINS8_6system6detail7generic6detail18binary_search_lessEbEEEE10hipError_tPvRmT1_T2_T3_mmT4_T5_P12ihipStream_tbEUlRKtE_EESV_SZ_S10_mS11_S14_bEUlT_E_NS1_11comp_targetILNS1_3genE10ELNS1_11target_archE1201ELNS1_3gpuE5ELNS1_3repE0EEENS1_30default_config_static_selectorELNS0_4arch9wavefront6targetE1EEEvSY_
	.globl	_ZN7rocprim17ROCPRIM_400000_NS6detail17trampoline_kernelINS0_14default_configENS1_27lower_bound_config_selectorItlEEZNS1_14transform_implILb0ES3_S5_N6thrust23THRUST_200600_302600_NS6detail15normal_iteratorINS8_7pointerItNS8_11hip_rocprim5par_tENS8_11use_defaultESE_EEEENSA_INSB_IlSD_SE_SE_EEEEZNS1_13binary_searchIS3_S5_NSA_INS8_10device_ptrItEEEESG_SI_NS1_21lower_bound_search_opENS9_16wrapped_functionINS8_6system6detail7generic6detail18binary_search_lessEbEEEE10hipError_tPvRmT1_T2_T3_mmT4_T5_P12ihipStream_tbEUlRKtE_EESV_SZ_S10_mS11_S14_bEUlT_E_NS1_11comp_targetILNS1_3genE10ELNS1_11target_archE1201ELNS1_3gpuE5ELNS1_3repE0EEENS1_30default_config_static_selectorELNS0_4arch9wavefront6targetE1EEEvSY_
	.p2align	8
	.type	_ZN7rocprim17ROCPRIM_400000_NS6detail17trampoline_kernelINS0_14default_configENS1_27lower_bound_config_selectorItlEEZNS1_14transform_implILb0ES3_S5_N6thrust23THRUST_200600_302600_NS6detail15normal_iteratorINS8_7pointerItNS8_11hip_rocprim5par_tENS8_11use_defaultESE_EEEENSA_INSB_IlSD_SE_SE_EEEEZNS1_13binary_searchIS3_S5_NSA_INS8_10device_ptrItEEEESG_SI_NS1_21lower_bound_search_opENS9_16wrapped_functionINS8_6system6detail7generic6detail18binary_search_lessEbEEEE10hipError_tPvRmT1_T2_T3_mmT4_T5_P12ihipStream_tbEUlRKtE_EESV_SZ_S10_mS11_S14_bEUlT_E_NS1_11comp_targetILNS1_3genE10ELNS1_11target_archE1201ELNS1_3gpuE5ELNS1_3repE0EEENS1_30default_config_static_selectorELNS0_4arch9wavefront6targetE1EEEvSY_,@function
_ZN7rocprim17ROCPRIM_400000_NS6detail17trampoline_kernelINS0_14default_configENS1_27lower_bound_config_selectorItlEEZNS1_14transform_implILb0ES3_S5_N6thrust23THRUST_200600_302600_NS6detail15normal_iteratorINS8_7pointerItNS8_11hip_rocprim5par_tENS8_11use_defaultESE_EEEENSA_INSB_IlSD_SE_SE_EEEEZNS1_13binary_searchIS3_S5_NSA_INS8_10device_ptrItEEEESG_SI_NS1_21lower_bound_search_opENS9_16wrapped_functionINS8_6system6detail7generic6detail18binary_search_lessEbEEEE10hipError_tPvRmT1_T2_T3_mmT4_T5_P12ihipStream_tbEUlRKtE_EESV_SZ_S10_mS11_S14_bEUlT_E_NS1_11comp_targetILNS1_3genE10ELNS1_11target_archE1201ELNS1_3gpuE5ELNS1_3repE0EEENS1_30default_config_static_selectorELNS0_4arch9wavefront6targetE1EEEvSY_: ; @_ZN7rocprim17ROCPRIM_400000_NS6detail17trampoline_kernelINS0_14default_configENS1_27lower_bound_config_selectorItlEEZNS1_14transform_implILb0ES3_S5_N6thrust23THRUST_200600_302600_NS6detail15normal_iteratorINS8_7pointerItNS8_11hip_rocprim5par_tENS8_11use_defaultESE_EEEENSA_INSB_IlSD_SE_SE_EEEEZNS1_13binary_searchIS3_S5_NSA_INS8_10device_ptrItEEEESG_SI_NS1_21lower_bound_search_opENS9_16wrapped_functionINS8_6system6detail7generic6detail18binary_search_lessEbEEEE10hipError_tPvRmT1_T2_T3_mmT4_T5_P12ihipStream_tbEUlRKtE_EESV_SZ_S10_mS11_S14_bEUlT_E_NS1_11comp_targetILNS1_3genE10ELNS1_11target_archE1201ELNS1_3gpuE5ELNS1_3repE0EEENS1_30default_config_static_selectorELNS0_4arch9wavefront6targetE1EEEvSY_
; %bb.0:
	.section	.rodata,"a",@progbits
	.p2align	6, 0x0
	.amdhsa_kernel _ZN7rocprim17ROCPRIM_400000_NS6detail17trampoline_kernelINS0_14default_configENS1_27lower_bound_config_selectorItlEEZNS1_14transform_implILb0ES3_S5_N6thrust23THRUST_200600_302600_NS6detail15normal_iteratorINS8_7pointerItNS8_11hip_rocprim5par_tENS8_11use_defaultESE_EEEENSA_INSB_IlSD_SE_SE_EEEEZNS1_13binary_searchIS3_S5_NSA_INS8_10device_ptrItEEEESG_SI_NS1_21lower_bound_search_opENS9_16wrapped_functionINS8_6system6detail7generic6detail18binary_search_lessEbEEEE10hipError_tPvRmT1_T2_T3_mmT4_T5_P12ihipStream_tbEUlRKtE_EESV_SZ_S10_mS11_S14_bEUlT_E_NS1_11comp_targetILNS1_3genE10ELNS1_11target_archE1201ELNS1_3gpuE5ELNS1_3repE0EEENS1_30default_config_static_selectorELNS0_4arch9wavefront6targetE1EEEvSY_
		.amdhsa_group_segment_fixed_size 0
		.amdhsa_private_segment_fixed_size 0
		.amdhsa_kernarg_size 56
		.amdhsa_user_sgpr_count 6
		.amdhsa_user_sgpr_private_segment_buffer 1
		.amdhsa_user_sgpr_dispatch_ptr 0
		.amdhsa_user_sgpr_queue_ptr 0
		.amdhsa_user_sgpr_kernarg_segment_ptr 1
		.amdhsa_user_sgpr_dispatch_id 0
		.amdhsa_user_sgpr_flat_scratch_init 0
		.amdhsa_user_sgpr_private_segment_size 0
		.amdhsa_uses_dynamic_stack 0
		.amdhsa_system_sgpr_private_segment_wavefront_offset 0
		.amdhsa_system_sgpr_workgroup_id_x 1
		.amdhsa_system_sgpr_workgroup_id_y 0
		.amdhsa_system_sgpr_workgroup_id_z 0
		.amdhsa_system_sgpr_workgroup_info 0
		.amdhsa_system_vgpr_workitem_id 0
		.amdhsa_next_free_vgpr 1
		.amdhsa_next_free_sgpr 0
		.amdhsa_reserve_vcc 0
		.amdhsa_reserve_flat_scratch 0
		.amdhsa_float_round_mode_32 0
		.amdhsa_float_round_mode_16_64 0
		.amdhsa_float_denorm_mode_32 3
		.amdhsa_float_denorm_mode_16_64 3
		.amdhsa_dx10_clamp 1
		.amdhsa_ieee_mode 1
		.amdhsa_fp16_overflow 0
		.amdhsa_exception_fp_ieee_invalid_op 0
		.amdhsa_exception_fp_denorm_src 0
		.amdhsa_exception_fp_ieee_div_zero 0
		.amdhsa_exception_fp_ieee_overflow 0
		.amdhsa_exception_fp_ieee_underflow 0
		.amdhsa_exception_fp_ieee_inexact 0
		.amdhsa_exception_int_div_zero 0
	.end_amdhsa_kernel
	.section	.text._ZN7rocprim17ROCPRIM_400000_NS6detail17trampoline_kernelINS0_14default_configENS1_27lower_bound_config_selectorItlEEZNS1_14transform_implILb0ES3_S5_N6thrust23THRUST_200600_302600_NS6detail15normal_iteratorINS8_7pointerItNS8_11hip_rocprim5par_tENS8_11use_defaultESE_EEEENSA_INSB_IlSD_SE_SE_EEEEZNS1_13binary_searchIS3_S5_NSA_INS8_10device_ptrItEEEESG_SI_NS1_21lower_bound_search_opENS9_16wrapped_functionINS8_6system6detail7generic6detail18binary_search_lessEbEEEE10hipError_tPvRmT1_T2_T3_mmT4_T5_P12ihipStream_tbEUlRKtE_EESV_SZ_S10_mS11_S14_bEUlT_E_NS1_11comp_targetILNS1_3genE10ELNS1_11target_archE1201ELNS1_3gpuE5ELNS1_3repE0EEENS1_30default_config_static_selectorELNS0_4arch9wavefront6targetE1EEEvSY_,"axG",@progbits,_ZN7rocprim17ROCPRIM_400000_NS6detail17trampoline_kernelINS0_14default_configENS1_27lower_bound_config_selectorItlEEZNS1_14transform_implILb0ES3_S5_N6thrust23THRUST_200600_302600_NS6detail15normal_iteratorINS8_7pointerItNS8_11hip_rocprim5par_tENS8_11use_defaultESE_EEEENSA_INSB_IlSD_SE_SE_EEEEZNS1_13binary_searchIS3_S5_NSA_INS8_10device_ptrItEEEESG_SI_NS1_21lower_bound_search_opENS9_16wrapped_functionINS8_6system6detail7generic6detail18binary_search_lessEbEEEE10hipError_tPvRmT1_T2_T3_mmT4_T5_P12ihipStream_tbEUlRKtE_EESV_SZ_S10_mS11_S14_bEUlT_E_NS1_11comp_targetILNS1_3genE10ELNS1_11target_archE1201ELNS1_3gpuE5ELNS1_3repE0EEENS1_30default_config_static_selectorELNS0_4arch9wavefront6targetE1EEEvSY_,comdat
.Lfunc_end381:
	.size	_ZN7rocprim17ROCPRIM_400000_NS6detail17trampoline_kernelINS0_14default_configENS1_27lower_bound_config_selectorItlEEZNS1_14transform_implILb0ES3_S5_N6thrust23THRUST_200600_302600_NS6detail15normal_iteratorINS8_7pointerItNS8_11hip_rocprim5par_tENS8_11use_defaultESE_EEEENSA_INSB_IlSD_SE_SE_EEEEZNS1_13binary_searchIS3_S5_NSA_INS8_10device_ptrItEEEESG_SI_NS1_21lower_bound_search_opENS9_16wrapped_functionINS8_6system6detail7generic6detail18binary_search_lessEbEEEE10hipError_tPvRmT1_T2_T3_mmT4_T5_P12ihipStream_tbEUlRKtE_EESV_SZ_S10_mS11_S14_bEUlT_E_NS1_11comp_targetILNS1_3genE10ELNS1_11target_archE1201ELNS1_3gpuE5ELNS1_3repE0EEENS1_30default_config_static_selectorELNS0_4arch9wavefront6targetE1EEEvSY_, .Lfunc_end381-_ZN7rocprim17ROCPRIM_400000_NS6detail17trampoline_kernelINS0_14default_configENS1_27lower_bound_config_selectorItlEEZNS1_14transform_implILb0ES3_S5_N6thrust23THRUST_200600_302600_NS6detail15normal_iteratorINS8_7pointerItNS8_11hip_rocprim5par_tENS8_11use_defaultESE_EEEENSA_INSB_IlSD_SE_SE_EEEEZNS1_13binary_searchIS3_S5_NSA_INS8_10device_ptrItEEEESG_SI_NS1_21lower_bound_search_opENS9_16wrapped_functionINS8_6system6detail7generic6detail18binary_search_lessEbEEEE10hipError_tPvRmT1_T2_T3_mmT4_T5_P12ihipStream_tbEUlRKtE_EESV_SZ_S10_mS11_S14_bEUlT_E_NS1_11comp_targetILNS1_3genE10ELNS1_11target_archE1201ELNS1_3gpuE5ELNS1_3repE0EEENS1_30default_config_static_selectorELNS0_4arch9wavefront6targetE1EEEvSY_
                                        ; -- End function
	.set _ZN7rocprim17ROCPRIM_400000_NS6detail17trampoline_kernelINS0_14default_configENS1_27lower_bound_config_selectorItlEEZNS1_14transform_implILb0ES3_S5_N6thrust23THRUST_200600_302600_NS6detail15normal_iteratorINS8_7pointerItNS8_11hip_rocprim5par_tENS8_11use_defaultESE_EEEENSA_INSB_IlSD_SE_SE_EEEEZNS1_13binary_searchIS3_S5_NSA_INS8_10device_ptrItEEEESG_SI_NS1_21lower_bound_search_opENS9_16wrapped_functionINS8_6system6detail7generic6detail18binary_search_lessEbEEEE10hipError_tPvRmT1_T2_T3_mmT4_T5_P12ihipStream_tbEUlRKtE_EESV_SZ_S10_mS11_S14_bEUlT_E_NS1_11comp_targetILNS1_3genE10ELNS1_11target_archE1201ELNS1_3gpuE5ELNS1_3repE0EEENS1_30default_config_static_selectorELNS0_4arch9wavefront6targetE1EEEvSY_.num_vgpr, 0
	.set _ZN7rocprim17ROCPRIM_400000_NS6detail17trampoline_kernelINS0_14default_configENS1_27lower_bound_config_selectorItlEEZNS1_14transform_implILb0ES3_S5_N6thrust23THRUST_200600_302600_NS6detail15normal_iteratorINS8_7pointerItNS8_11hip_rocprim5par_tENS8_11use_defaultESE_EEEENSA_INSB_IlSD_SE_SE_EEEEZNS1_13binary_searchIS3_S5_NSA_INS8_10device_ptrItEEEESG_SI_NS1_21lower_bound_search_opENS9_16wrapped_functionINS8_6system6detail7generic6detail18binary_search_lessEbEEEE10hipError_tPvRmT1_T2_T3_mmT4_T5_P12ihipStream_tbEUlRKtE_EESV_SZ_S10_mS11_S14_bEUlT_E_NS1_11comp_targetILNS1_3genE10ELNS1_11target_archE1201ELNS1_3gpuE5ELNS1_3repE0EEENS1_30default_config_static_selectorELNS0_4arch9wavefront6targetE1EEEvSY_.num_agpr, 0
	.set _ZN7rocprim17ROCPRIM_400000_NS6detail17trampoline_kernelINS0_14default_configENS1_27lower_bound_config_selectorItlEEZNS1_14transform_implILb0ES3_S5_N6thrust23THRUST_200600_302600_NS6detail15normal_iteratorINS8_7pointerItNS8_11hip_rocprim5par_tENS8_11use_defaultESE_EEEENSA_INSB_IlSD_SE_SE_EEEEZNS1_13binary_searchIS3_S5_NSA_INS8_10device_ptrItEEEESG_SI_NS1_21lower_bound_search_opENS9_16wrapped_functionINS8_6system6detail7generic6detail18binary_search_lessEbEEEE10hipError_tPvRmT1_T2_T3_mmT4_T5_P12ihipStream_tbEUlRKtE_EESV_SZ_S10_mS11_S14_bEUlT_E_NS1_11comp_targetILNS1_3genE10ELNS1_11target_archE1201ELNS1_3gpuE5ELNS1_3repE0EEENS1_30default_config_static_selectorELNS0_4arch9wavefront6targetE1EEEvSY_.numbered_sgpr, 0
	.set _ZN7rocprim17ROCPRIM_400000_NS6detail17trampoline_kernelINS0_14default_configENS1_27lower_bound_config_selectorItlEEZNS1_14transform_implILb0ES3_S5_N6thrust23THRUST_200600_302600_NS6detail15normal_iteratorINS8_7pointerItNS8_11hip_rocprim5par_tENS8_11use_defaultESE_EEEENSA_INSB_IlSD_SE_SE_EEEEZNS1_13binary_searchIS3_S5_NSA_INS8_10device_ptrItEEEESG_SI_NS1_21lower_bound_search_opENS9_16wrapped_functionINS8_6system6detail7generic6detail18binary_search_lessEbEEEE10hipError_tPvRmT1_T2_T3_mmT4_T5_P12ihipStream_tbEUlRKtE_EESV_SZ_S10_mS11_S14_bEUlT_E_NS1_11comp_targetILNS1_3genE10ELNS1_11target_archE1201ELNS1_3gpuE5ELNS1_3repE0EEENS1_30default_config_static_selectorELNS0_4arch9wavefront6targetE1EEEvSY_.num_named_barrier, 0
	.set _ZN7rocprim17ROCPRIM_400000_NS6detail17trampoline_kernelINS0_14default_configENS1_27lower_bound_config_selectorItlEEZNS1_14transform_implILb0ES3_S5_N6thrust23THRUST_200600_302600_NS6detail15normal_iteratorINS8_7pointerItNS8_11hip_rocprim5par_tENS8_11use_defaultESE_EEEENSA_INSB_IlSD_SE_SE_EEEEZNS1_13binary_searchIS3_S5_NSA_INS8_10device_ptrItEEEESG_SI_NS1_21lower_bound_search_opENS9_16wrapped_functionINS8_6system6detail7generic6detail18binary_search_lessEbEEEE10hipError_tPvRmT1_T2_T3_mmT4_T5_P12ihipStream_tbEUlRKtE_EESV_SZ_S10_mS11_S14_bEUlT_E_NS1_11comp_targetILNS1_3genE10ELNS1_11target_archE1201ELNS1_3gpuE5ELNS1_3repE0EEENS1_30default_config_static_selectorELNS0_4arch9wavefront6targetE1EEEvSY_.private_seg_size, 0
	.set _ZN7rocprim17ROCPRIM_400000_NS6detail17trampoline_kernelINS0_14default_configENS1_27lower_bound_config_selectorItlEEZNS1_14transform_implILb0ES3_S5_N6thrust23THRUST_200600_302600_NS6detail15normal_iteratorINS8_7pointerItNS8_11hip_rocprim5par_tENS8_11use_defaultESE_EEEENSA_INSB_IlSD_SE_SE_EEEEZNS1_13binary_searchIS3_S5_NSA_INS8_10device_ptrItEEEESG_SI_NS1_21lower_bound_search_opENS9_16wrapped_functionINS8_6system6detail7generic6detail18binary_search_lessEbEEEE10hipError_tPvRmT1_T2_T3_mmT4_T5_P12ihipStream_tbEUlRKtE_EESV_SZ_S10_mS11_S14_bEUlT_E_NS1_11comp_targetILNS1_3genE10ELNS1_11target_archE1201ELNS1_3gpuE5ELNS1_3repE0EEENS1_30default_config_static_selectorELNS0_4arch9wavefront6targetE1EEEvSY_.uses_vcc, 0
	.set _ZN7rocprim17ROCPRIM_400000_NS6detail17trampoline_kernelINS0_14default_configENS1_27lower_bound_config_selectorItlEEZNS1_14transform_implILb0ES3_S5_N6thrust23THRUST_200600_302600_NS6detail15normal_iteratorINS8_7pointerItNS8_11hip_rocprim5par_tENS8_11use_defaultESE_EEEENSA_INSB_IlSD_SE_SE_EEEEZNS1_13binary_searchIS3_S5_NSA_INS8_10device_ptrItEEEESG_SI_NS1_21lower_bound_search_opENS9_16wrapped_functionINS8_6system6detail7generic6detail18binary_search_lessEbEEEE10hipError_tPvRmT1_T2_T3_mmT4_T5_P12ihipStream_tbEUlRKtE_EESV_SZ_S10_mS11_S14_bEUlT_E_NS1_11comp_targetILNS1_3genE10ELNS1_11target_archE1201ELNS1_3gpuE5ELNS1_3repE0EEENS1_30default_config_static_selectorELNS0_4arch9wavefront6targetE1EEEvSY_.uses_flat_scratch, 0
	.set _ZN7rocprim17ROCPRIM_400000_NS6detail17trampoline_kernelINS0_14default_configENS1_27lower_bound_config_selectorItlEEZNS1_14transform_implILb0ES3_S5_N6thrust23THRUST_200600_302600_NS6detail15normal_iteratorINS8_7pointerItNS8_11hip_rocprim5par_tENS8_11use_defaultESE_EEEENSA_INSB_IlSD_SE_SE_EEEEZNS1_13binary_searchIS3_S5_NSA_INS8_10device_ptrItEEEESG_SI_NS1_21lower_bound_search_opENS9_16wrapped_functionINS8_6system6detail7generic6detail18binary_search_lessEbEEEE10hipError_tPvRmT1_T2_T3_mmT4_T5_P12ihipStream_tbEUlRKtE_EESV_SZ_S10_mS11_S14_bEUlT_E_NS1_11comp_targetILNS1_3genE10ELNS1_11target_archE1201ELNS1_3gpuE5ELNS1_3repE0EEENS1_30default_config_static_selectorELNS0_4arch9wavefront6targetE1EEEvSY_.has_dyn_sized_stack, 0
	.set _ZN7rocprim17ROCPRIM_400000_NS6detail17trampoline_kernelINS0_14default_configENS1_27lower_bound_config_selectorItlEEZNS1_14transform_implILb0ES3_S5_N6thrust23THRUST_200600_302600_NS6detail15normal_iteratorINS8_7pointerItNS8_11hip_rocprim5par_tENS8_11use_defaultESE_EEEENSA_INSB_IlSD_SE_SE_EEEEZNS1_13binary_searchIS3_S5_NSA_INS8_10device_ptrItEEEESG_SI_NS1_21lower_bound_search_opENS9_16wrapped_functionINS8_6system6detail7generic6detail18binary_search_lessEbEEEE10hipError_tPvRmT1_T2_T3_mmT4_T5_P12ihipStream_tbEUlRKtE_EESV_SZ_S10_mS11_S14_bEUlT_E_NS1_11comp_targetILNS1_3genE10ELNS1_11target_archE1201ELNS1_3gpuE5ELNS1_3repE0EEENS1_30default_config_static_selectorELNS0_4arch9wavefront6targetE1EEEvSY_.has_recursion, 0
	.set _ZN7rocprim17ROCPRIM_400000_NS6detail17trampoline_kernelINS0_14default_configENS1_27lower_bound_config_selectorItlEEZNS1_14transform_implILb0ES3_S5_N6thrust23THRUST_200600_302600_NS6detail15normal_iteratorINS8_7pointerItNS8_11hip_rocprim5par_tENS8_11use_defaultESE_EEEENSA_INSB_IlSD_SE_SE_EEEEZNS1_13binary_searchIS3_S5_NSA_INS8_10device_ptrItEEEESG_SI_NS1_21lower_bound_search_opENS9_16wrapped_functionINS8_6system6detail7generic6detail18binary_search_lessEbEEEE10hipError_tPvRmT1_T2_T3_mmT4_T5_P12ihipStream_tbEUlRKtE_EESV_SZ_S10_mS11_S14_bEUlT_E_NS1_11comp_targetILNS1_3genE10ELNS1_11target_archE1201ELNS1_3gpuE5ELNS1_3repE0EEENS1_30default_config_static_selectorELNS0_4arch9wavefront6targetE1EEEvSY_.has_indirect_call, 0
	.section	.AMDGPU.csdata,"",@progbits
; Kernel info:
; codeLenInByte = 0
; TotalNumSgprs: 4
; NumVgprs: 0
; ScratchSize: 0
; MemoryBound: 0
; FloatMode: 240
; IeeeMode: 1
; LDSByteSize: 0 bytes/workgroup (compile time only)
; SGPRBlocks: 0
; VGPRBlocks: 0
; NumSGPRsForWavesPerEU: 4
; NumVGPRsForWavesPerEU: 1
; Occupancy: 10
; WaveLimiterHint : 0
; COMPUTE_PGM_RSRC2:SCRATCH_EN: 0
; COMPUTE_PGM_RSRC2:USER_SGPR: 6
; COMPUTE_PGM_RSRC2:TRAP_HANDLER: 0
; COMPUTE_PGM_RSRC2:TGID_X_EN: 1
; COMPUTE_PGM_RSRC2:TGID_Y_EN: 0
; COMPUTE_PGM_RSRC2:TGID_Z_EN: 0
; COMPUTE_PGM_RSRC2:TIDIG_COMP_CNT: 0
	.section	.text._ZN7rocprim17ROCPRIM_400000_NS6detail17trampoline_kernelINS0_14default_configENS1_27lower_bound_config_selectorItlEEZNS1_14transform_implILb0ES3_S5_N6thrust23THRUST_200600_302600_NS6detail15normal_iteratorINS8_7pointerItNS8_11hip_rocprim5par_tENS8_11use_defaultESE_EEEENSA_INSB_IlSD_SE_SE_EEEEZNS1_13binary_searchIS3_S5_NSA_INS8_10device_ptrItEEEESG_SI_NS1_21lower_bound_search_opENS9_16wrapped_functionINS8_6system6detail7generic6detail18binary_search_lessEbEEEE10hipError_tPvRmT1_T2_T3_mmT4_T5_P12ihipStream_tbEUlRKtE_EESV_SZ_S10_mS11_S14_bEUlT_E_NS1_11comp_targetILNS1_3genE10ELNS1_11target_archE1200ELNS1_3gpuE4ELNS1_3repE0EEENS1_30default_config_static_selectorELNS0_4arch9wavefront6targetE1EEEvSY_,"axG",@progbits,_ZN7rocprim17ROCPRIM_400000_NS6detail17trampoline_kernelINS0_14default_configENS1_27lower_bound_config_selectorItlEEZNS1_14transform_implILb0ES3_S5_N6thrust23THRUST_200600_302600_NS6detail15normal_iteratorINS8_7pointerItNS8_11hip_rocprim5par_tENS8_11use_defaultESE_EEEENSA_INSB_IlSD_SE_SE_EEEEZNS1_13binary_searchIS3_S5_NSA_INS8_10device_ptrItEEEESG_SI_NS1_21lower_bound_search_opENS9_16wrapped_functionINS8_6system6detail7generic6detail18binary_search_lessEbEEEE10hipError_tPvRmT1_T2_T3_mmT4_T5_P12ihipStream_tbEUlRKtE_EESV_SZ_S10_mS11_S14_bEUlT_E_NS1_11comp_targetILNS1_3genE10ELNS1_11target_archE1200ELNS1_3gpuE4ELNS1_3repE0EEENS1_30default_config_static_selectorELNS0_4arch9wavefront6targetE1EEEvSY_,comdat
	.protected	_ZN7rocprim17ROCPRIM_400000_NS6detail17trampoline_kernelINS0_14default_configENS1_27lower_bound_config_selectorItlEEZNS1_14transform_implILb0ES3_S5_N6thrust23THRUST_200600_302600_NS6detail15normal_iteratorINS8_7pointerItNS8_11hip_rocprim5par_tENS8_11use_defaultESE_EEEENSA_INSB_IlSD_SE_SE_EEEEZNS1_13binary_searchIS3_S5_NSA_INS8_10device_ptrItEEEESG_SI_NS1_21lower_bound_search_opENS9_16wrapped_functionINS8_6system6detail7generic6detail18binary_search_lessEbEEEE10hipError_tPvRmT1_T2_T3_mmT4_T5_P12ihipStream_tbEUlRKtE_EESV_SZ_S10_mS11_S14_bEUlT_E_NS1_11comp_targetILNS1_3genE10ELNS1_11target_archE1200ELNS1_3gpuE4ELNS1_3repE0EEENS1_30default_config_static_selectorELNS0_4arch9wavefront6targetE1EEEvSY_ ; -- Begin function _ZN7rocprim17ROCPRIM_400000_NS6detail17trampoline_kernelINS0_14default_configENS1_27lower_bound_config_selectorItlEEZNS1_14transform_implILb0ES3_S5_N6thrust23THRUST_200600_302600_NS6detail15normal_iteratorINS8_7pointerItNS8_11hip_rocprim5par_tENS8_11use_defaultESE_EEEENSA_INSB_IlSD_SE_SE_EEEEZNS1_13binary_searchIS3_S5_NSA_INS8_10device_ptrItEEEESG_SI_NS1_21lower_bound_search_opENS9_16wrapped_functionINS8_6system6detail7generic6detail18binary_search_lessEbEEEE10hipError_tPvRmT1_T2_T3_mmT4_T5_P12ihipStream_tbEUlRKtE_EESV_SZ_S10_mS11_S14_bEUlT_E_NS1_11comp_targetILNS1_3genE10ELNS1_11target_archE1200ELNS1_3gpuE4ELNS1_3repE0EEENS1_30default_config_static_selectorELNS0_4arch9wavefront6targetE1EEEvSY_
	.globl	_ZN7rocprim17ROCPRIM_400000_NS6detail17trampoline_kernelINS0_14default_configENS1_27lower_bound_config_selectorItlEEZNS1_14transform_implILb0ES3_S5_N6thrust23THRUST_200600_302600_NS6detail15normal_iteratorINS8_7pointerItNS8_11hip_rocprim5par_tENS8_11use_defaultESE_EEEENSA_INSB_IlSD_SE_SE_EEEEZNS1_13binary_searchIS3_S5_NSA_INS8_10device_ptrItEEEESG_SI_NS1_21lower_bound_search_opENS9_16wrapped_functionINS8_6system6detail7generic6detail18binary_search_lessEbEEEE10hipError_tPvRmT1_T2_T3_mmT4_T5_P12ihipStream_tbEUlRKtE_EESV_SZ_S10_mS11_S14_bEUlT_E_NS1_11comp_targetILNS1_3genE10ELNS1_11target_archE1200ELNS1_3gpuE4ELNS1_3repE0EEENS1_30default_config_static_selectorELNS0_4arch9wavefront6targetE1EEEvSY_
	.p2align	8
	.type	_ZN7rocprim17ROCPRIM_400000_NS6detail17trampoline_kernelINS0_14default_configENS1_27lower_bound_config_selectorItlEEZNS1_14transform_implILb0ES3_S5_N6thrust23THRUST_200600_302600_NS6detail15normal_iteratorINS8_7pointerItNS8_11hip_rocprim5par_tENS8_11use_defaultESE_EEEENSA_INSB_IlSD_SE_SE_EEEEZNS1_13binary_searchIS3_S5_NSA_INS8_10device_ptrItEEEESG_SI_NS1_21lower_bound_search_opENS9_16wrapped_functionINS8_6system6detail7generic6detail18binary_search_lessEbEEEE10hipError_tPvRmT1_T2_T3_mmT4_T5_P12ihipStream_tbEUlRKtE_EESV_SZ_S10_mS11_S14_bEUlT_E_NS1_11comp_targetILNS1_3genE10ELNS1_11target_archE1200ELNS1_3gpuE4ELNS1_3repE0EEENS1_30default_config_static_selectorELNS0_4arch9wavefront6targetE1EEEvSY_,@function
_ZN7rocprim17ROCPRIM_400000_NS6detail17trampoline_kernelINS0_14default_configENS1_27lower_bound_config_selectorItlEEZNS1_14transform_implILb0ES3_S5_N6thrust23THRUST_200600_302600_NS6detail15normal_iteratorINS8_7pointerItNS8_11hip_rocprim5par_tENS8_11use_defaultESE_EEEENSA_INSB_IlSD_SE_SE_EEEEZNS1_13binary_searchIS3_S5_NSA_INS8_10device_ptrItEEEESG_SI_NS1_21lower_bound_search_opENS9_16wrapped_functionINS8_6system6detail7generic6detail18binary_search_lessEbEEEE10hipError_tPvRmT1_T2_T3_mmT4_T5_P12ihipStream_tbEUlRKtE_EESV_SZ_S10_mS11_S14_bEUlT_E_NS1_11comp_targetILNS1_3genE10ELNS1_11target_archE1200ELNS1_3gpuE4ELNS1_3repE0EEENS1_30default_config_static_selectorELNS0_4arch9wavefront6targetE1EEEvSY_: ; @_ZN7rocprim17ROCPRIM_400000_NS6detail17trampoline_kernelINS0_14default_configENS1_27lower_bound_config_selectorItlEEZNS1_14transform_implILb0ES3_S5_N6thrust23THRUST_200600_302600_NS6detail15normal_iteratorINS8_7pointerItNS8_11hip_rocprim5par_tENS8_11use_defaultESE_EEEENSA_INSB_IlSD_SE_SE_EEEEZNS1_13binary_searchIS3_S5_NSA_INS8_10device_ptrItEEEESG_SI_NS1_21lower_bound_search_opENS9_16wrapped_functionINS8_6system6detail7generic6detail18binary_search_lessEbEEEE10hipError_tPvRmT1_T2_T3_mmT4_T5_P12ihipStream_tbEUlRKtE_EESV_SZ_S10_mS11_S14_bEUlT_E_NS1_11comp_targetILNS1_3genE10ELNS1_11target_archE1200ELNS1_3gpuE4ELNS1_3repE0EEENS1_30default_config_static_selectorELNS0_4arch9wavefront6targetE1EEEvSY_
; %bb.0:
	.section	.rodata,"a",@progbits
	.p2align	6, 0x0
	.amdhsa_kernel _ZN7rocprim17ROCPRIM_400000_NS6detail17trampoline_kernelINS0_14default_configENS1_27lower_bound_config_selectorItlEEZNS1_14transform_implILb0ES3_S5_N6thrust23THRUST_200600_302600_NS6detail15normal_iteratorINS8_7pointerItNS8_11hip_rocprim5par_tENS8_11use_defaultESE_EEEENSA_INSB_IlSD_SE_SE_EEEEZNS1_13binary_searchIS3_S5_NSA_INS8_10device_ptrItEEEESG_SI_NS1_21lower_bound_search_opENS9_16wrapped_functionINS8_6system6detail7generic6detail18binary_search_lessEbEEEE10hipError_tPvRmT1_T2_T3_mmT4_T5_P12ihipStream_tbEUlRKtE_EESV_SZ_S10_mS11_S14_bEUlT_E_NS1_11comp_targetILNS1_3genE10ELNS1_11target_archE1200ELNS1_3gpuE4ELNS1_3repE0EEENS1_30default_config_static_selectorELNS0_4arch9wavefront6targetE1EEEvSY_
		.amdhsa_group_segment_fixed_size 0
		.amdhsa_private_segment_fixed_size 0
		.amdhsa_kernarg_size 56
		.amdhsa_user_sgpr_count 6
		.amdhsa_user_sgpr_private_segment_buffer 1
		.amdhsa_user_sgpr_dispatch_ptr 0
		.amdhsa_user_sgpr_queue_ptr 0
		.amdhsa_user_sgpr_kernarg_segment_ptr 1
		.amdhsa_user_sgpr_dispatch_id 0
		.amdhsa_user_sgpr_flat_scratch_init 0
		.amdhsa_user_sgpr_private_segment_size 0
		.amdhsa_uses_dynamic_stack 0
		.amdhsa_system_sgpr_private_segment_wavefront_offset 0
		.amdhsa_system_sgpr_workgroup_id_x 1
		.amdhsa_system_sgpr_workgroup_id_y 0
		.amdhsa_system_sgpr_workgroup_id_z 0
		.amdhsa_system_sgpr_workgroup_info 0
		.amdhsa_system_vgpr_workitem_id 0
		.amdhsa_next_free_vgpr 1
		.amdhsa_next_free_sgpr 0
		.amdhsa_reserve_vcc 0
		.amdhsa_reserve_flat_scratch 0
		.amdhsa_float_round_mode_32 0
		.amdhsa_float_round_mode_16_64 0
		.amdhsa_float_denorm_mode_32 3
		.amdhsa_float_denorm_mode_16_64 3
		.amdhsa_dx10_clamp 1
		.amdhsa_ieee_mode 1
		.amdhsa_fp16_overflow 0
		.amdhsa_exception_fp_ieee_invalid_op 0
		.amdhsa_exception_fp_denorm_src 0
		.amdhsa_exception_fp_ieee_div_zero 0
		.amdhsa_exception_fp_ieee_overflow 0
		.amdhsa_exception_fp_ieee_underflow 0
		.amdhsa_exception_fp_ieee_inexact 0
		.amdhsa_exception_int_div_zero 0
	.end_amdhsa_kernel
	.section	.text._ZN7rocprim17ROCPRIM_400000_NS6detail17trampoline_kernelINS0_14default_configENS1_27lower_bound_config_selectorItlEEZNS1_14transform_implILb0ES3_S5_N6thrust23THRUST_200600_302600_NS6detail15normal_iteratorINS8_7pointerItNS8_11hip_rocprim5par_tENS8_11use_defaultESE_EEEENSA_INSB_IlSD_SE_SE_EEEEZNS1_13binary_searchIS3_S5_NSA_INS8_10device_ptrItEEEESG_SI_NS1_21lower_bound_search_opENS9_16wrapped_functionINS8_6system6detail7generic6detail18binary_search_lessEbEEEE10hipError_tPvRmT1_T2_T3_mmT4_T5_P12ihipStream_tbEUlRKtE_EESV_SZ_S10_mS11_S14_bEUlT_E_NS1_11comp_targetILNS1_3genE10ELNS1_11target_archE1200ELNS1_3gpuE4ELNS1_3repE0EEENS1_30default_config_static_selectorELNS0_4arch9wavefront6targetE1EEEvSY_,"axG",@progbits,_ZN7rocprim17ROCPRIM_400000_NS6detail17trampoline_kernelINS0_14default_configENS1_27lower_bound_config_selectorItlEEZNS1_14transform_implILb0ES3_S5_N6thrust23THRUST_200600_302600_NS6detail15normal_iteratorINS8_7pointerItNS8_11hip_rocprim5par_tENS8_11use_defaultESE_EEEENSA_INSB_IlSD_SE_SE_EEEEZNS1_13binary_searchIS3_S5_NSA_INS8_10device_ptrItEEEESG_SI_NS1_21lower_bound_search_opENS9_16wrapped_functionINS8_6system6detail7generic6detail18binary_search_lessEbEEEE10hipError_tPvRmT1_T2_T3_mmT4_T5_P12ihipStream_tbEUlRKtE_EESV_SZ_S10_mS11_S14_bEUlT_E_NS1_11comp_targetILNS1_3genE10ELNS1_11target_archE1200ELNS1_3gpuE4ELNS1_3repE0EEENS1_30default_config_static_selectorELNS0_4arch9wavefront6targetE1EEEvSY_,comdat
.Lfunc_end382:
	.size	_ZN7rocprim17ROCPRIM_400000_NS6detail17trampoline_kernelINS0_14default_configENS1_27lower_bound_config_selectorItlEEZNS1_14transform_implILb0ES3_S5_N6thrust23THRUST_200600_302600_NS6detail15normal_iteratorINS8_7pointerItNS8_11hip_rocprim5par_tENS8_11use_defaultESE_EEEENSA_INSB_IlSD_SE_SE_EEEEZNS1_13binary_searchIS3_S5_NSA_INS8_10device_ptrItEEEESG_SI_NS1_21lower_bound_search_opENS9_16wrapped_functionINS8_6system6detail7generic6detail18binary_search_lessEbEEEE10hipError_tPvRmT1_T2_T3_mmT4_T5_P12ihipStream_tbEUlRKtE_EESV_SZ_S10_mS11_S14_bEUlT_E_NS1_11comp_targetILNS1_3genE10ELNS1_11target_archE1200ELNS1_3gpuE4ELNS1_3repE0EEENS1_30default_config_static_selectorELNS0_4arch9wavefront6targetE1EEEvSY_, .Lfunc_end382-_ZN7rocprim17ROCPRIM_400000_NS6detail17trampoline_kernelINS0_14default_configENS1_27lower_bound_config_selectorItlEEZNS1_14transform_implILb0ES3_S5_N6thrust23THRUST_200600_302600_NS6detail15normal_iteratorINS8_7pointerItNS8_11hip_rocprim5par_tENS8_11use_defaultESE_EEEENSA_INSB_IlSD_SE_SE_EEEEZNS1_13binary_searchIS3_S5_NSA_INS8_10device_ptrItEEEESG_SI_NS1_21lower_bound_search_opENS9_16wrapped_functionINS8_6system6detail7generic6detail18binary_search_lessEbEEEE10hipError_tPvRmT1_T2_T3_mmT4_T5_P12ihipStream_tbEUlRKtE_EESV_SZ_S10_mS11_S14_bEUlT_E_NS1_11comp_targetILNS1_3genE10ELNS1_11target_archE1200ELNS1_3gpuE4ELNS1_3repE0EEENS1_30default_config_static_selectorELNS0_4arch9wavefront6targetE1EEEvSY_
                                        ; -- End function
	.set _ZN7rocprim17ROCPRIM_400000_NS6detail17trampoline_kernelINS0_14default_configENS1_27lower_bound_config_selectorItlEEZNS1_14transform_implILb0ES3_S5_N6thrust23THRUST_200600_302600_NS6detail15normal_iteratorINS8_7pointerItNS8_11hip_rocprim5par_tENS8_11use_defaultESE_EEEENSA_INSB_IlSD_SE_SE_EEEEZNS1_13binary_searchIS3_S5_NSA_INS8_10device_ptrItEEEESG_SI_NS1_21lower_bound_search_opENS9_16wrapped_functionINS8_6system6detail7generic6detail18binary_search_lessEbEEEE10hipError_tPvRmT1_T2_T3_mmT4_T5_P12ihipStream_tbEUlRKtE_EESV_SZ_S10_mS11_S14_bEUlT_E_NS1_11comp_targetILNS1_3genE10ELNS1_11target_archE1200ELNS1_3gpuE4ELNS1_3repE0EEENS1_30default_config_static_selectorELNS0_4arch9wavefront6targetE1EEEvSY_.num_vgpr, 0
	.set _ZN7rocprim17ROCPRIM_400000_NS6detail17trampoline_kernelINS0_14default_configENS1_27lower_bound_config_selectorItlEEZNS1_14transform_implILb0ES3_S5_N6thrust23THRUST_200600_302600_NS6detail15normal_iteratorINS8_7pointerItNS8_11hip_rocprim5par_tENS8_11use_defaultESE_EEEENSA_INSB_IlSD_SE_SE_EEEEZNS1_13binary_searchIS3_S5_NSA_INS8_10device_ptrItEEEESG_SI_NS1_21lower_bound_search_opENS9_16wrapped_functionINS8_6system6detail7generic6detail18binary_search_lessEbEEEE10hipError_tPvRmT1_T2_T3_mmT4_T5_P12ihipStream_tbEUlRKtE_EESV_SZ_S10_mS11_S14_bEUlT_E_NS1_11comp_targetILNS1_3genE10ELNS1_11target_archE1200ELNS1_3gpuE4ELNS1_3repE0EEENS1_30default_config_static_selectorELNS0_4arch9wavefront6targetE1EEEvSY_.num_agpr, 0
	.set _ZN7rocprim17ROCPRIM_400000_NS6detail17trampoline_kernelINS0_14default_configENS1_27lower_bound_config_selectorItlEEZNS1_14transform_implILb0ES3_S5_N6thrust23THRUST_200600_302600_NS6detail15normal_iteratorINS8_7pointerItNS8_11hip_rocprim5par_tENS8_11use_defaultESE_EEEENSA_INSB_IlSD_SE_SE_EEEEZNS1_13binary_searchIS3_S5_NSA_INS8_10device_ptrItEEEESG_SI_NS1_21lower_bound_search_opENS9_16wrapped_functionINS8_6system6detail7generic6detail18binary_search_lessEbEEEE10hipError_tPvRmT1_T2_T3_mmT4_T5_P12ihipStream_tbEUlRKtE_EESV_SZ_S10_mS11_S14_bEUlT_E_NS1_11comp_targetILNS1_3genE10ELNS1_11target_archE1200ELNS1_3gpuE4ELNS1_3repE0EEENS1_30default_config_static_selectorELNS0_4arch9wavefront6targetE1EEEvSY_.numbered_sgpr, 0
	.set _ZN7rocprim17ROCPRIM_400000_NS6detail17trampoline_kernelINS0_14default_configENS1_27lower_bound_config_selectorItlEEZNS1_14transform_implILb0ES3_S5_N6thrust23THRUST_200600_302600_NS6detail15normal_iteratorINS8_7pointerItNS8_11hip_rocprim5par_tENS8_11use_defaultESE_EEEENSA_INSB_IlSD_SE_SE_EEEEZNS1_13binary_searchIS3_S5_NSA_INS8_10device_ptrItEEEESG_SI_NS1_21lower_bound_search_opENS9_16wrapped_functionINS8_6system6detail7generic6detail18binary_search_lessEbEEEE10hipError_tPvRmT1_T2_T3_mmT4_T5_P12ihipStream_tbEUlRKtE_EESV_SZ_S10_mS11_S14_bEUlT_E_NS1_11comp_targetILNS1_3genE10ELNS1_11target_archE1200ELNS1_3gpuE4ELNS1_3repE0EEENS1_30default_config_static_selectorELNS0_4arch9wavefront6targetE1EEEvSY_.num_named_barrier, 0
	.set _ZN7rocprim17ROCPRIM_400000_NS6detail17trampoline_kernelINS0_14default_configENS1_27lower_bound_config_selectorItlEEZNS1_14transform_implILb0ES3_S5_N6thrust23THRUST_200600_302600_NS6detail15normal_iteratorINS8_7pointerItNS8_11hip_rocprim5par_tENS8_11use_defaultESE_EEEENSA_INSB_IlSD_SE_SE_EEEEZNS1_13binary_searchIS3_S5_NSA_INS8_10device_ptrItEEEESG_SI_NS1_21lower_bound_search_opENS9_16wrapped_functionINS8_6system6detail7generic6detail18binary_search_lessEbEEEE10hipError_tPvRmT1_T2_T3_mmT4_T5_P12ihipStream_tbEUlRKtE_EESV_SZ_S10_mS11_S14_bEUlT_E_NS1_11comp_targetILNS1_3genE10ELNS1_11target_archE1200ELNS1_3gpuE4ELNS1_3repE0EEENS1_30default_config_static_selectorELNS0_4arch9wavefront6targetE1EEEvSY_.private_seg_size, 0
	.set _ZN7rocprim17ROCPRIM_400000_NS6detail17trampoline_kernelINS0_14default_configENS1_27lower_bound_config_selectorItlEEZNS1_14transform_implILb0ES3_S5_N6thrust23THRUST_200600_302600_NS6detail15normal_iteratorINS8_7pointerItNS8_11hip_rocprim5par_tENS8_11use_defaultESE_EEEENSA_INSB_IlSD_SE_SE_EEEEZNS1_13binary_searchIS3_S5_NSA_INS8_10device_ptrItEEEESG_SI_NS1_21lower_bound_search_opENS9_16wrapped_functionINS8_6system6detail7generic6detail18binary_search_lessEbEEEE10hipError_tPvRmT1_T2_T3_mmT4_T5_P12ihipStream_tbEUlRKtE_EESV_SZ_S10_mS11_S14_bEUlT_E_NS1_11comp_targetILNS1_3genE10ELNS1_11target_archE1200ELNS1_3gpuE4ELNS1_3repE0EEENS1_30default_config_static_selectorELNS0_4arch9wavefront6targetE1EEEvSY_.uses_vcc, 0
	.set _ZN7rocprim17ROCPRIM_400000_NS6detail17trampoline_kernelINS0_14default_configENS1_27lower_bound_config_selectorItlEEZNS1_14transform_implILb0ES3_S5_N6thrust23THRUST_200600_302600_NS6detail15normal_iteratorINS8_7pointerItNS8_11hip_rocprim5par_tENS8_11use_defaultESE_EEEENSA_INSB_IlSD_SE_SE_EEEEZNS1_13binary_searchIS3_S5_NSA_INS8_10device_ptrItEEEESG_SI_NS1_21lower_bound_search_opENS9_16wrapped_functionINS8_6system6detail7generic6detail18binary_search_lessEbEEEE10hipError_tPvRmT1_T2_T3_mmT4_T5_P12ihipStream_tbEUlRKtE_EESV_SZ_S10_mS11_S14_bEUlT_E_NS1_11comp_targetILNS1_3genE10ELNS1_11target_archE1200ELNS1_3gpuE4ELNS1_3repE0EEENS1_30default_config_static_selectorELNS0_4arch9wavefront6targetE1EEEvSY_.uses_flat_scratch, 0
	.set _ZN7rocprim17ROCPRIM_400000_NS6detail17trampoline_kernelINS0_14default_configENS1_27lower_bound_config_selectorItlEEZNS1_14transform_implILb0ES3_S5_N6thrust23THRUST_200600_302600_NS6detail15normal_iteratorINS8_7pointerItNS8_11hip_rocprim5par_tENS8_11use_defaultESE_EEEENSA_INSB_IlSD_SE_SE_EEEEZNS1_13binary_searchIS3_S5_NSA_INS8_10device_ptrItEEEESG_SI_NS1_21lower_bound_search_opENS9_16wrapped_functionINS8_6system6detail7generic6detail18binary_search_lessEbEEEE10hipError_tPvRmT1_T2_T3_mmT4_T5_P12ihipStream_tbEUlRKtE_EESV_SZ_S10_mS11_S14_bEUlT_E_NS1_11comp_targetILNS1_3genE10ELNS1_11target_archE1200ELNS1_3gpuE4ELNS1_3repE0EEENS1_30default_config_static_selectorELNS0_4arch9wavefront6targetE1EEEvSY_.has_dyn_sized_stack, 0
	.set _ZN7rocprim17ROCPRIM_400000_NS6detail17trampoline_kernelINS0_14default_configENS1_27lower_bound_config_selectorItlEEZNS1_14transform_implILb0ES3_S5_N6thrust23THRUST_200600_302600_NS6detail15normal_iteratorINS8_7pointerItNS8_11hip_rocprim5par_tENS8_11use_defaultESE_EEEENSA_INSB_IlSD_SE_SE_EEEEZNS1_13binary_searchIS3_S5_NSA_INS8_10device_ptrItEEEESG_SI_NS1_21lower_bound_search_opENS9_16wrapped_functionINS8_6system6detail7generic6detail18binary_search_lessEbEEEE10hipError_tPvRmT1_T2_T3_mmT4_T5_P12ihipStream_tbEUlRKtE_EESV_SZ_S10_mS11_S14_bEUlT_E_NS1_11comp_targetILNS1_3genE10ELNS1_11target_archE1200ELNS1_3gpuE4ELNS1_3repE0EEENS1_30default_config_static_selectorELNS0_4arch9wavefront6targetE1EEEvSY_.has_recursion, 0
	.set _ZN7rocprim17ROCPRIM_400000_NS6detail17trampoline_kernelINS0_14default_configENS1_27lower_bound_config_selectorItlEEZNS1_14transform_implILb0ES3_S5_N6thrust23THRUST_200600_302600_NS6detail15normal_iteratorINS8_7pointerItNS8_11hip_rocprim5par_tENS8_11use_defaultESE_EEEENSA_INSB_IlSD_SE_SE_EEEEZNS1_13binary_searchIS3_S5_NSA_INS8_10device_ptrItEEEESG_SI_NS1_21lower_bound_search_opENS9_16wrapped_functionINS8_6system6detail7generic6detail18binary_search_lessEbEEEE10hipError_tPvRmT1_T2_T3_mmT4_T5_P12ihipStream_tbEUlRKtE_EESV_SZ_S10_mS11_S14_bEUlT_E_NS1_11comp_targetILNS1_3genE10ELNS1_11target_archE1200ELNS1_3gpuE4ELNS1_3repE0EEENS1_30default_config_static_selectorELNS0_4arch9wavefront6targetE1EEEvSY_.has_indirect_call, 0
	.section	.AMDGPU.csdata,"",@progbits
; Kernel info:
; codeLenInByte = 0
; TotalNumSgprs: 4
; NumVgprs: 0
; ScratchSize: 0
; MemoryBound: 0
; FloatMode: 240
; IeeeMode: 1
; LDSByteSize: 0 bytes/workgroup (compile time only)
; SGPRBlocks: 0
; VGPRBlocks: 0
; NumSGPRsForWavesPerEU: 4
; NumVGPRsForWavesPerEU: 1
; Occupancy: 10
; WaveLimiterHint : 0
; COMPUTE_PGM_RSRC2:SCRATCH_EN: 0
; COMPUTE_PGM_RSRC2:USER_SGPR: 6
; COMPUTE_PGM_RSRC2:TRAP_HANDLER: 0
; COMPUTE_PGM_RSRC2:TGID_X_EN: 1
; COMPUTE_PGM_RSRC2:TGID_Y_EN: 0
; COMPUTE_PGM_RSRC2:TGID_Z_EN: 0
; COMPUTE_PGM_RSRC2:TIDIG_COMP_CNT: 0
	.section	.text._ZN7rocprim17ROCPRIM_400000_NS6detail17trampoline_kernelINS0_14default_configENS1_27lower_bound_config_selectorItlEEZNS1_14transform_implILb0ES3_S5_N6thrust23THRUST_200600_302600_NS6detail15normal_iteratorINS8_7pointerItNS8_11hip_rocprim5par_tENS8_11use_defaultESE_EEEENSA_INSB_IlSD_SE_SE_EEEEZNS1_13binary_searchIS3_S5_NSA_INS8_10device_ptrItEEEESG_SI_NS1_21lower_bound_search_opENS9_16wrapped_functionINS8_6system6detail7generic6detail18binary_search_lessEbEEEE10hipError_tPvRmT1_T2_T3_mmT4_T5_P12ihipStream_tbEUlRKtE_EESV_SZ_S10_mS11_S14_bEUlT_E_NS1_11comp_targetILNS1_3genE9ELNS1_11target_archE1100ELNS1_3gpuE3ELNS1_3repE0EEENS1_30default_config_static_selectorELNS0_4arch9wavefront6targetE1EEEvSY_,"axG",@progbits,_ZN7rocprim17ROCPRIM_400000_NS6detail17trampoline_kernelINS0_14default_configENS1_27lower_bound_config_selectorItlEEZNS1_14transform_implILb0ES3_S5_N6thrust23THRUST_200600_302600_NS6detail15normal_iteratorINS8_7pointerItNS8_11hip_rocprim5par_tENS8_11use_defaultESE_EEEENSA_INSB_IlSD_SE_SE_EEEEZNS1_13binary_searchIS3_S5_NSA_INS8_10device_ptrItEEEESG_SI_NS1_21lower_bound_search_opENS9_16wrapped_functionINS8_6system6detail7generic6detail18binary_search_lessEbEEEE10hipError_tPvRmT1_T2_T3_mmT4_T5_P12ihipStream_tbEUlRKtE_EESV_SZ_S10_mS11_S14_bEUlT_E_NS1_11comp_targetILNS1_3genE9ELNS1_11target_archE1100ELNS1_3gpuE3ELNS1_3repE0EEENS1_30default_config_static_selectorELNS0_4arch9wavefront6targetE1EEEvSY_,comdat
	.protected	_ZN7rocprim17ROCPRIM_400000_NS6detail17trampoline_kernelINS0_14default_configENS1_27lower_bound_config_selectorItlEEZNS1_14transform_implILb0ES3_S5_N6thrust23THRUST_200600_302600_NS6detail15normal_iteratorINS8_7pointerItNS8_11hip_rocprim5par_tENS8_11use_defaultESE_EEEENSA_INSB_IlSD_SE_SE_EEEEZNS1_13binary_searchIS3_S5_NSA_INS8_10device_ptrItEEEESG_SI_NS1_21lower_bound_search_opENS9_16wrapped_functionINS8_6system6detail7generic6detail18binary_search_lessEbEEEE10hipError_tPvRmT1_T2_T3_mmT4_T5_P12ihipStream_tbEUlRKtE_EESV_SZ_S10_mS11_S14_bEUlT_E_NS1_11comp_targetILNS1_3genE9ELNS1_11target_archE1100ELNS1_3gpuE3ELNS1_3repE0EEENS1_30default_config_static_selectorELNS0_4arch9wavefront6targetE1EEEvSY_ ; -- Begin function _ZN7rocprim17ROCPRIM_400000_NS6detail17trampoline_kernelINS0_14default_configENS1_27lower_bound_config_selectorItlEEZNS1_14transform_implILb0ES3_S5_N6thrust23THRUST_200600_302600_NS6detail15normal_iteratorINS8_7pointerItNS8_11hip_rocprim5par_tENS8_11use_defaultESE_EEEENSA_INSB_IlSD_SE_SE_EEEEZNS1_13binary_searchIS3_S5_NSA_INS8_10device_ptrItEEEESG_SI_NS1_21lower_bound_search_opENS9_16wrapped_functionINS8_6system6detail7generic6detail18binary_search_lessEbEEEE10hipError_tPvRmT1_T2_T3_mmT4_T5_P12ihipStream_tbEUlRKtE_EESV_SZ_S10_mS11_S14_bEUlT_E_NS1_11comp_targetILNS1_3genE9ELNS1_11target_archE1100ELNS1_3gpuE3ELNS1_3repE0EEENS1_30default_config_static_selectorELNS0_4arch9wavefront6targetE1EEEvSY_
	.globl	_ZN7rocprim17ROCPRIM_400000_NS6detail17trampoline_kernelINS0_14default_configENS1_27lower_bound_config_selectorItlEEZNS1_14transform_implILb0ES3_S5_N6thrust23THRUST_200600_302600_NS6detail15normal_iteratorINS8_7pointerItNS8_11hip_rocprim5par_tENS8_11use_defaultESE_EEEENSA_INSB_IlSD_SE_SE_EEEEZNS1_13binary_searchIS3_S5_NSA_INS8_10device_ptrItEEEESG_SI_NS1_21lower_bound_search_opENS9_16wrapped_functionINS8_6system6detail7generic6detail18binary_search_lessEbEEEE10hipError_tPvRmT1_T2_T3_mmT4_T5_P12ihipStream_tbEUlRKtE_EESV_SZ_S10_mS11_S14_bEUlT_E_NS1_11comp_targetILNS1_3genE9ELNS1_11target_archE1100ELNS1_3gpuE3ELNS1_3repE0EEENS1_30default_config_static_selectorELNS0_4arch9wavefront6targetE1EEEvSY_
	.p2align	8
	.type	_ZN7rocprim17ROCPRIM_400000_NS6detail17trampoline_kernelINS0_14default_configENS1_27lower_bound_config_selectorItlEEZNS1_14transform_implILb0ES3_S5_N6thrust23THRUST_200600_302600_NS6detail15normal_iteratorINS8_7pointerItNS8_11hip_rocprim5par_tENS8_11use_defaultESE_EEEENSA_INSB_IlSD_SE_SE_EEEEZNS1_13binary_searchIS3_S5_NSA_INS8_10device_ptrItEEEESG_SI_NS1_21lower_bound_search_opENS9_16wrapped_functionINS8_6system6detail7generic6detail18binary_search_lessEbEEEE10hipError_tPvRmT1_T2_T3_mmT4_T5_P12ihipStream_tbEUlRKtE_EESV_SZ_S10_mS11_S14_bEUlT_E_NS1_11comp_targetILNS1_3genE9ELNS1_11target_archE1100ELNS1_3gpuE3ELNS1_3repE0EEENS1_30default_config_static_selectorELNS0_4arch9wavefront6targetE1EEEvSY_,@function
_ZN7rocprim17ROCPRIM_400000_NS6detail17trampoline_kernelINS0_14default_configENS1_27lower_bound_config_selectorItlEEZNS1_14transform_implILb0ES3_S5_N6thrust23THRUST_200600_302600_NS6detail15normal_iteratorINS8_7pointerItNS8_11hip_rocprim5par_tENS8_11use_defaultESE_EEEENSA_INSB_IlSD_SE_SE_EEEEZNS1_13binary_searchIS3_S5_NSA_INS8_10device_ptrItEEEESG_SI_NS1_21lower_bound_search_opENS9_16wrapped_functionINS8_6system6detail7generic6detail18binary_search_lessEbEEEE10hipError_tPvRmT1_T2_T3_mmT4_T5_P12ihipStream_tbEUlRKtE_EESV_SZ_S10_mS11_S14_bEUlT_E_NS1_11comp_targetILNS1_3genE9ELNS1_11target_archE1100ELNS1_3gpuE3ELNS1_3repE0EEENS1_30default_config_static_selectorELNS0_4arch9wavefront6targetE1EEEvSY_: ; @_ZN7rocprim17ROCPRIM_400000_NS6detail17trampoline_kernelINS0_14default_configENS1_27lower_bound_config_selectorItlEEZNS1_14transform_implILb0ES3_S5_N6thrust23THRUST_200600_302600_NS6detail15normal_iteratorINS8_7pointerItNS8_11hip_rocprim5par_tENS8_11use_defaultESE_EEEENSA_INSB_IlSD_SE_SE_EEEEZNS1_13binary_searchIS3_S5_NSA_INS8_10device_ptrItEEEESG_SI_NS1_21lower_bound_search_opENS9_16wrapped_functionINS8_6system6detail7generic6detail18binary_search_lessEbEEEE10hipError_tPvRmT1_T2_T3_mmT4_T5_P12ihipStream_tbEUlRKtE_EESV_SZ_S10_mS11_S14_bEUlT_E_NS1_11comp_targetILNS1_3genE9ELNS1_11target_archE1100ELNS1_3gpuE3ELNS1_3repE0EEENS1_30default_config_static_selectorELNS0_4arch9wavefront6targetE1EEEvSY_
; %bb.0:
	.section	.rodata,"a",@progbits
	.p2align	6, 0x0
	.amdhsa_kernel _ZN7rocprim17ROCPRIM_400000_NS6detail17trampoline_kernelINS0_14default_configENS1_27lower_bound_config_selectorItlEEZNS1_14transform_implILb0ES3_S5_N6thrust23THRUST_200600_302600_NS6detail15normal_iteratorINS8_7pointerItNS8_11hip_rocprim5par_tENS8_11use_defaultESE_EEEENSA_INSB_IlSD_SE_SE_EEEEZNS1_13binary_searchIS3_S5_NSA_INS8_10device_ptrItEEEESG_SI_NS1_21lower_bound_search_opENS9_16wrapped_functionINS8_6system6detail7generic6detail18binary_search_lessEbEEEE10hipError_tPvRmT1_T2_T3_mmT4_T5_P12ihipStream_tbEUlRKtE_EESV_SZ_S10_mS11_S14_bEUlT_E_NS1_11comp_targetILNS1_3genE9ELNS1_11target_archE1100ELNS1_3gpuE3ELNS1_3repE0EEENS1_30default_config_static_selectorELNS0_4arch9wavefront6targetE1EEEvSY_
		.amdhsa_group_segment_fixed_size 0
		.amdhsa_private_segment_fixed_size 0
		.amdhsa_kernarg_size 56
		.amdhsa_user_sgpr_count 6
		.amdhsa_user_sgpr_private_segment_buffer 1
		.amdhsa_user_sgpr_dispatch_ptr 0
		.amdhsa_user_sgpr_queue_ptr 0
		.amdhsa_user_sgpr_kernarg_segment_ptr 1
		.amdhsa_user_sgpr_dispatch_id 0
		.amdhsa_user_sgpr_flat_scratch_init 0
		.amdhsa_user_sgpr_private_segment_size 0
		.amdhsa_uses_dynamic_stack 0
		.amdhsa_system_sgpr_private_segment_wavefront_offset 0
		.amdhsa_system_sgpr_workgroup_id_x 1
		.amdhsa_system_sgpr_workgroup_id_y 0
		.amdhsa_system_sgpr_workgroup_id_z 0
		.amdhsa_system_sgpr_workgroup_info 0
		.amdhsa_system_vgpr_workitem_id 0
		.amdhsa_next_free_vgpr 1
		.amdhsa_next_free_sgpr 0
		.amdhsa_reserve_vcc 0
		.amdhsa_reserve_flat_scratch 0
		.amdhsa_float_round_mode_32 0
		.amdhsa_float_round_mode_16_64 0
		.amdhsa_float_denorm_mode_32 3
		.amdhsa_float_denorm_mode_16_64 3
		.amdhsa_dx10_clamp 1
		.amdhsa_ieee_mode 1
		.amdhsa_fp16_overflow 0
		.amdhsa_exception_fp_ieee_invalid_op 0
		.amdhsa_exception_fp_denorm_src 0
		.amdhsa_exception_fp_ieee_div_zero 0
		.amdhsa_exception_fp_ieee_overflow 0
		.amdhsa_exception_fp_ieee_underflow 0
		.amdhsa_exception_fp_ieee_inexact 0
		.amdhsa_exception_int_div_zero 0
	.end_amdhsa_kernel
	.section	.text._ZN7rocprim17ROCPRIM_400000_NS6detail17trampoline_kernelINS0_14default_configENS1_27lower_bound_config_selectorItlEEZNS1_14transform_implILb0ES3_S5_N6thrust23THRUST_200600_302600_NS6detail15normal_iteratorINS8_7pointerItNS8_11hip_rocprim5par_tENS8_11use_defaultESE_EEEENSA_INSB_IlSD_SE_SE_EEEEZNS1_13binary_searchIS3_S5_NSA_INS8_10device_ptrItEEEESG_SI_NS1_21lower_bound_search_opENS9_16wrapped_functionINS8_6system6detail7generic6detail18binary_search_lessEbEEEE10hipError_tPvRmT1_T2_T3_mmT4_T5_P12ihipStream_tbEUlRKtE_EESV_SZ_S10_mS11_S14_bEUlT_E_NS1_11comp_targetILNS1_3genE9ELNS1_11target_archE1100ELNS1_3gpuE3ELNS1_3repE0EEENS1_30default_config_static_selectorELNS0_4arch9wavefront6targetE1EEEvSY_,"axG",@progbits,_ZN7rocprim17ROCPRIM_400000_NS6detail17trampoline_kernelINS0_14default_configENS1_27lower_bound_config_selectorItlEEZNS1_14transform_implILb0ES3_S5_N6thrust23THRUST_200600_302600_NS6detail15normal_iteratorINS8_7pointerItNS8_11hip_rocprim5par_tENS8_11use_defaultESE_EEEENSA_INSB_IlSD_SE_SE_EEEEZNS1_13binary_searchIS3_S5_NSA_INS8_10device_ptrItEEEESG_SI_NS1_21lower_bound_search_opENS9_16wrapped_functionINS8_6system6detail7generic6detail18binary_search_lessEbEEEE10hipError_tPvRmT1_T2_T3_mmT4_T5_P12ihipStream_tbEUlRKtE_EESV_SZ_S10_mS11_S14_bEUlT_E_NS1_11comp_targetILNS1_3genE9ELNS1_11target_archE1100ELNS1_3gpuE3ELNS1_3repE0EEENS1_30default_config_static_selectorELNS0_4arch9wavefront6targetE1EEEvSY_,comdat
.Lfunc_end383:
	.size	_ZN7rocprim17ROCPRIM_400000_NS6detail17trampoline_kernelINS0_14default_configENS1_27lower_bound_config_selectorItlEEZNS1_14transform_implILb0ES3_S5_N6thrust23THRUST_200600_302600_NS6detail15normal_iteratorINS8_7pointerItNS8_11hip_rocprim5par_tENS8_11use_defaultESE_EEEENSA_INSB_IlSD_SE_SE_EEEEZNS1_13binary_searchIS3_S5_NSA_INS8_10device_ptrItEEEESG_SI_NS1_21lower_bound_search_opENS9_16wrapped_functionINS8_6system6detail7generic6detail18binary_search_lessEbEEEE10hipError_tPvRmT1_T2_T3_mmT4_T5_P12ihipStream_tbEUlRKtE_EESV_SZ_S10_mS11_S14_bEUlT_E_NS1_11comp_targetILNS1_3genE9ELNS1_11target_archE1100ELNS1_3gpuE3ELNS1_3repE0EEENS1_30default_config_static_selectorELNS0_4arch9wavefront6targetE1EEEvSY_, .Lfunc_end383-_ZN7rocprim17ROCPRIM_400000_NS6detail17trampoline_kernelINS0_14default_configENS1_27lower_bound_config_selectorItlEEZNS1_14transform_implILb0ES3_S5_N6thrust23THRUST_200600_302600_NS6detail15normal_iteratorINS8_7pointerItNS8_11hip_rocprim5par_tENS8_11use_defaultESE_EEEENSA_INSB_IlSD_SE_SE_EEEEZNS1_13binary_searchIS3_S5_NSA_INS8_10device_ptrItEEEESG_SI_NS1_21lower_bound_search_opENS9_16wrapped_functionINS8_6system6detail7generic6detail18binary_search_lessEbEEEE10hipError_tPvRmT1_T2_T3_mmT4_T5_P12ihipStream_tbEUlRKtE_EESV_SZ_S10_mS11_S14_bEUlT_E_NS1_11comp_targetILNS1_3genE9ELNS1_11target_archE1100ELNS1_3gpuE3ELNS1_3repE0EEENS1_30default_config_static_selectorELNS0_4arch9wavefront6targetE1EEEvSY_
                                        ; -- End function
	.set _ZN7rocprim17ROCPRIM_400000_NS6detail17trampoline_kernelINS0_14default_configENS1_27lower_bound_config_selectorItlEEZNS1_14transform_implILb0ES3_S5_N6thrust23THRUST_200600_302600_NS6detail15normal_iteratorINS8_7pointerItNS8_11hip_rocprim5par_tENS8_11use_defaultESE_EEEENSA_INSB_IlSD_SE_SE_EEEEZNS1_13binary_searchIS3_S5_NSA_INS8_10device_ptrItEEEESG_SI_NS1_21lower_bound_search_opENS9_16wrapped_functionINS8_6system6detail7generic6detail18binary_search_lessEbEEEE10hipError_tPvRmT1_T2_T3_mmT4_T5_P12ihipStream_tbEUlRKtE_EESV_SZ_S10_mS11_S14_bEUlT_E_NS1_11comp_targetILNS1_3genE9ELNS1_11target_archE1100ELNS1_3gpuE3ELNS1_3repE0EEENS1_30default_config_static_selectorELNS0_4arch9wavefront6targetE1EEEvSY_.num_vgpr, 0
	.set _ZN7rocprim17ROCPRIM_400000_NS6detail17trampoline_kernelINS0_14default_configENS1_27lower_bound_config_selectorItlEEZNS1_14transform_implILb0ES3_S5_N6thrust23THRUST_200600_302600_NS6detail15normal_iteratorINS8_7pointerItNS8_11hip_rocprim5par_tENS8_11use_defaultESE_EEEENSA_INSB_IlSD_SE_SE_EEEEZNS1_13binary_searchIS3_S5_NSA_INS8_10device_ptrItEEEESG_SI_NS1_21lower_bound_search_opENS9_16wrapped_functionINS8_6system6detail7generic6detail18binary_search_lessEbEEEE10hipError_tPvRmT1_T2_T3_mmT4_T5_P12ihipStream_tbEUlRKtE_EESV_SZ_S10_mS11_S14_bEUlT_E_NS1_11comp_targetILNS1_3genE9ELNS1_11target_archE1100ELNS1_3gpuE3ELNS1_3repE0EEENS1_30default_config_static_selectorELNS0_4arch9wavefront6targetE1EEEvSY_.num_agpr, 0
	.set _ZN7rocprim17ROCPRIM_400000_NS6detail17trampoline_kernelINS0_14default_configENS1_27lower_bound_config_selectorItlEEZNS1_14transform_implILb0ES3_S5_N6thrust23THRUST_200600_302600_NS6detail15normal_iteratorINS8_7pointerItNS8_11hip_rocprim5par_tENS8_11use_defaultESE_EEEENSA_INSB_IlSD_SE_SE_EEEEZNS1_13binary_searchIS3_S5_NSA_INS8_10device_ptrItEEEESG_SI_NS1_21lower_bound_search_opENS9_16wrapped_functionINS8_6system6detail7generic6detail18binary_search_lessEbEEEE10hipError_tPvRmT1_T2_T3_mmT4_T5_P12ihipStream_tbEUlRKtE_EESV_SZ_S10_mS11_S14_bEUlT_E_NS1_11comp_targetILNS1_3genE9ELNS1_11target_archE1100ELNS1_3gpuE3ELNS1_3repE0EEENS1_30default_config_static_selectorELNS0_4arch9wavefront6targetE1EEEvSY_.numbered_sgpr, 0
	.set _ZN7rocprim17ROCPRIM_400000_NS6detail17trampoline_kernelINS0_14default_configENS1_27lower_bound_config_selectorItlEEZNS1_14transform_implILb0ES3_S5_N6thrust23THRUST_200600_302600_NS6detail15normal_iteratorINS8_7pointerItNS8_11hip_rocprim5par_tENS8_11use_defaultESE_EEEENSA_INSB_IlSD_SE_SE_EEEEZNS1_13binary_searchIS3_S5_NSA_INS8_10device_ptrItEEEESG_SI_NS1_21lower_bound_search_opENS9_16wrapped_functionINS8_6system6detail7generic6detail18binary_search_lessEbEEEE10hipError_tPvRmT1_T2_T3_mmT4_T5_P12ihipStream_tbEUlRKtE_EESV_SZ_S10_mS11_S14_bEUlT_E_NS1_11comp_targetILNS1_3genE9ELNS1_11target_archE1100ELNS1_3gpuE3ELNS1_3repE0EEENS1_30default_config_static_selectorELNS0_4arch9wavefront6targetE1EEEvSY_.num_named_barrier, 0
	.set _ZN7rocprim17ROCPRIM_400000_NS6detail17trampoline_kernelINS0_14default_configENS1_27lower_bound_config_selectorItlEEZNS1_14transform_implILb0ES3_S5_N6thrust23THRUST_200600_302600_NS6detail15normal_iteratorINS8_7pointerItNS8_11hip_rocprim5par_tENS8_11use_defaultESE_EEEENSA_INSB_IlSD_SE_SE_EEEEZNS1_13binary_searchIS3_S5_NSA_INS8_10device_ptrItEEEESG_SI_NS1_21lower_bound_search_opENS9_16wrapped_functionINS8_6system6detail7generic6detail18binary_search_lessEbEEEE10hipError_tPvRmT1_T2_T3_mmT4_T5_P12ihipStream_tbEUlRKtE_EESV_SZ_S10_mS11_S14_bEUlT_E_NS1_11comp_targetILNS1_3genE9ELNS1_11target_archE1100ELNS1_3gpuE3ELNS1_3repE0EEENS1_30default_config_static_selectorELNS0_4arch9wavefront6targetE1EEEvSY_.private_seg_size, 0
	.set _ZN7rocprim17ROCPRIM_400000_NS6detail17trampoline_kernelINS0_14default_configENS1_27lower_bound_config_selectorItlEEZNS1_14transform_implILb0ES3_S5_N6thrust23THRUST_200600_302600_NS6detail15normal_iteratorINS8_7pointerItNS8_11hip_rocprim5par_tENS8_11use_defaultESE_EEEENSA_INSB_IlSD_SE_SE_EEEEZNS1_13binary_searchIS3_S5_NSA_INS8_10device_ptrItEEEESG_SI_NS1_21lower_bound_search_opENS9_16wrapped_functionINS8_6system6detail7generic6detail18binary_search_lessEbEEEE10hipError_tPvRmT1_T2_T3_mmT4_T5_P12ihipStream_tbEUlRKtE_EESV_SZ_S10_mS11_S14_bEUlT_E_NS1_11comp_targetILNS1_3genE9ELNS1_11target_archE1100ELNS1_3gpuE3ELNS1_3repE0EEENS1_30default_config_static_selectorELNS0_4arch9wavefront6targetE1EEEvSY_.uses_vcc, 0
	.set _ZN7rocprim17ROCPRIM_400000_NS6detail17trampoline_kernelINS0_14default_configENS1_27lower_bound_config_selectorItlEEZNS1_14transform_implILb0ES3_S5_N6thrust23THRUST_200600_302600_NS6detail15normal_iteratorINS8_7pointerItNS8_11hip_rocprim5par_tENS8_11use_defaultESE_EEEENSA_INSB_IlSD_SE_SE_EEEEZNS1_13binary_searchIS3_S5_NSA_INS8_10device_ptrItEEEESG_SI_NS1_21lower_bound_search_opENS9_16wrapped_functionINS8_6system6detail7generic6detail18binary_search_lessEbEEEE10hipError_tPvRmT1_T2_T3_mmT4_T5_P12ihipStream_tbEUlRKtE_EESV_SZ_S10_mS11_S14_bEUlT_E_NS1_11comp_targetILNS1_3genE9ELNS1_11target_archE1100ELNS1_3gpuE3ELNS1_3repE0EEENS1_30default_config_static_selectorELNS0_4arch9wavefront6targetE1EEEvSY_.uses_flat_scratch, 0
	.set _ZN7rocprim17ROCPRIM_400000_NS6detail17trampoline_kernelINS0_14default_configENS1_27lower_bound_config_selectorItlEEZNS1_14transform_implILb0ES3_S5_N6thrust23THRUST_200600_302600_NS6detail15normal_iteratorINS8_7pointerItNS8_11hip_rocprim5par_tENS8_11use_defaultESE_EEEENSA_INSB_IlSD_SE_SE_EEEEZNS1_13binary_searchIS3_S5_NSA_INS8_10device_ptrItEEEESG_SI_NS1_21lower_bound_search_opENS9_16wrapped_functionINS8_6system6detail7generic6detail18binary_search_lessEbEEEE10hipError_tPvRmT1_T2_T3_mmT4_T5_P12ihipStream_tbEUlRKtE_EESV_SZ_S10_mS11_S14_bEUlT_E_NS1_11comp_targetILNS1_3genE9ELNS1_11target_archE1100ELNS1_3gpuE3ELNS1_3repE0EEENS1_30default_config_static_selectorELNS0_4arch9wavefront6targetE1EEEvSY_.has_dyn_sized_stack, 0
	.set _ZN7rocprim17ROCPRIM_400000_NS6detail17trampoline_kernelINS0_14default_configENS1_27lower_bound_config_selectorItlEEZNS1_14transform_implILb0ES3_S5_N6thrust23THRUST_200600_302600_NS6detail15normal_iteratorINS8_7pointerItNS8_11hip_rocprim5par_tENS8_11use_defaultESE_EEEENSA_INSB_IlSD_SE_SE_EEEEZNS1_13binary_searchIS3_S5_NSA_INS8_10device_ptrItEEEESG_SI_NS1_21lower_bound_search_opENS9_16wrapped_functionINS8_6system6detail7generic6detail18binary_search_lessEbEEEE10hipError_tPvRmT1_T2_T3_mmT4_T5_P12ihipStream_tbEUlRKtE_EESV_SZ_S10_mS11_S14_bEUlT_E_NS1_11comp_targetILNS1_3genE9ELNS1_11target_archE1100ELNS1_3gpuE3ELNS1_3repE0EEENS1_30default_config_static_selectorELNS0_4arch9wavefront6targetE1EEEvSY_.has_recursion, 0
	.set _ZN7rocprim17ROCPRIM_400000_NS6detail17trampoline_kernelINS0_14default_configENS1_27lower_bound_config_selectorItlEEZNS1_14transform_implILb0ES3_S5_N6thrust23THRUST_200600_302600_NS6detail15normal_iteratorINS8_7pointerItNS8_11hip_rocprim5par_tENS8_11use_defaultESE_EEEENSA_INSB_IlSD_SE_SE_EEEEZNS1_13binary_searchIS3_S5_NSA_INS8_10device_ptrItEEEESG_SI_NS1_21lower_bound_search_opENS9_16wrapped_functionINS8_6system6detail7generic6detail18binary_search_lessEbEEEE10hipError_tPvRmT1_T2_T3_mmT4_T5_P12ihipStream_tbEUlRKtE_EESV_SZ_S10_mS11_S14_bEUlT_E_NS1_11comp_targetILNS1_3genE9ELNS1_11target_archE1100ELNS1_3gpuE3ELNS1_3repE0EEENS1_30default_config_static_selectorELNS0_4arch9wavefront6targetE1EEEvSY_.has_indirect_call, 0
	.section	.AMDGPU.csdata,"",@progbits
; Kernel info:
; codeLenInByte = 0
; TotalNumSgprs: 4
; NumVgprs: 0
; ScratchSize: 0
; MemoryBound: 0
; FloatMode: 240
; IeeeMode: 1
; LDSByteSize: 0 bytes/workgroup (compile time only)
; SGPRBlocks: 0
; VGPRBlocks: 0
; NumSGPRsForWavesPerEU: 4
; NumVGPRsForWavesPerEU: 1
; Occupancy: 10
; WaveLimiterHint : 0
; COMPUTE_PGM_RSRC2:SCRATCH_EN: 0
; COMPUTE_PGM_RSRC2:USER_SGPR: 6
; COMPUTE_PGM_RSRC2:TRAP_HANDLER: 0
; COMPUTE_PGM_RSRC2:TGID_X_EN: 1
; COMPUTE_PGM_RSRC2:TGID_Y_EN: 0
; COMPUTE_PGM_RSRC2:TGID_Z_EN: 0
; COMPUTE_PGM_RSRC2:TIDIG_COMP_CNT: 0
	.section	.text._ZN7rocprim17ROCPRIM_400000_NS6detail17trampoline_kernelINS0_14default_configENS1_27lower_bound_config_selectorItlEEZNS1_14transform_implILb0ES3_S5_N6thrust23THRUST_200600_302600_NS6detail15normal_iteratorINS8_7pointerItNS8_11hip_rocprim5par_tENS8_11use_defaultESE_EEEENSA_INSB_IlSD_SE_SE_EEEEZNS1_13binary_searchIS3_S5_NSA_INS8_10device_ptrItEEEESG_SI_NS1_21lower_bound_search_opENS9_16wrapped_functionINS8_6system6detail7generic6detail18binary_search_lessEbEEEE10hipError_tPvRmT1_T2_T3_mmT4_T5_P12ihipStream_tbEUlRKtE_EESV_SZ_S10_mS11_S14_bEUlT_E_NS1_11comp_targetILNS1_3genE8ELNS1_11target_archE1030ELNS1_3gpuE2ELNS1_3repE0EEENS1_30default_config_static_selectorELNS0_4arch9wavefront6targetE1EEEvSY_,"axG",@progbits,_ZN7rocprim17ROCPRIM_400000_NS6detail17trampoline_kernelINS0_14default_configENS1_27lower_bound_config_selectorItlEEZNS1_14transform_implILb0ES3_S5_N6thrust23THRUST_200600_302600_NS6detail15normal_iteratorINS8_7pointerItNS8_11hip_rocprim5par_tENS8_11use_defaultESE_EEEENSA_INSB_IlSD_SE_SE_EEEEZNS1_13binary_searchIS3_S5_NSA_INS8_10device_ptrItEEEESG_SI_NS1_21lower_bound_search_opENS9_16wrapped_functionINS8_6system6detail7generic6detail18binary_search_lessEbEEEE10hipError_tPvRmT1_T2_T3_mmT4_T5_P12ihipStream_tbEUlRKtE_EESV_SZ_S10_mS11_S14_bEUlT_E_NS1_11comp_targetILNS1_3genE8ELNS1_11target_archE1030ELNS1_3gpuE2ELNS1_3repE0EEENS1_30default_config_static_selectorELNS0_4arch9wavefront6targetE1EEEvSY_,comdat
	.protected	_ZN7rocprim17ROCPRIM_400000_NS6detail17trampoline_kernelINS0_14default_configENS1_27lower_bound_config_selectorItlEEZNS1_14transform_implILb0ES3_S5_N6thrust23THRUST_200600_302600_NS6detail15normal_iteratorINS8_7pointerItNS8_11hip_rocprim5par_tENS8_11use_defaultESE_EEEENSA_INSB_IlSD_SE_SE_EEEEZNS1_13binary_searchIS3_S5_NSA_INS8_10device_ptrItEEEESG_SI_NS1_21lower_bound_search_opENS9_16wrapped_functionINS8_6system6detail7generic6detail18binary_search_lessEbEEEE10hipError_tPvRmT1_T2_T3_mmT4_T5_P12ihipStream_tbEUlRKtE_EESV_SZ_S10_mS11_S14_bEUlT_E_NS1_11comp_targetILNS1_3genE8ELNS1_11target_archE1030ELNS1_3gpuE2ELNS1_3repE0EEENS1_30default_config_static_selectorELNS0_4arch9wavefront6targetE1EEEvSY_ ; -- Begin function _ZN7rocprim17ROCPRIM_400000_NS6detail17trampoline_kernelINS0_14default_configENS1_27lower_bound_config_selectorItlEEZNS1_14transform_implILb0ES3_S5_N6thrust23THRUST_200600_302600_NS6detail15normal_iteratorINS8_7pointerItNS8_11hip_rocprim5par_tENS8_11use_defaultESE_EEEENSA_INSB_IlSD_SE_SE_EEEEZNS1_13binary_searchIS3_S5_NSA_INS8_10device_ptrItEEEESG_SI_NS1_21lower_bound_search_opENS9_16wrapped_functionINS8_6system6detail7generic6detail18binary_search_lessEbEEEE10hipError_tPvRmT1_T2_T3_mmT4_T5_P12ihipStream_tbEUlRKtE_EESV_SZ_S10_mS11_S14_bEUlT_E_NS1_11comp_targetILNS1_3genE8ELNS1_11target_archE1030ELNS1_3gpuE2ELNS1_3repE0EEENS1_30default_config_static_selectorELNS0_4arch9wavefront6targetE1EEEvSY_
	.globl	_ZN7rocprim17ROCPRIM_400000_NS6detail17trampoline_kernelINS0_14default_configENS1_27lower_bound_config_selectorItlEEZNS1_14transform_implILb0ES3_S5_N6thrust23THRUST_200600_302600_NS6detail15normal_iteratorINS8_7pointerItNS8_11hip_rocprim5par_tENS8_11use_defaultESE_EEEENSA_INSB_IlSD_SE_SE_EEEEZNS1_13binary_searchIS3_S5_NSA_INS8_10device_ptrItEEEESG_SI_NS1_21lower_bound_search_opENS9_16wrapped_functionINS8_6system6detail7generic6detail18binary_search_lessEbEEEE10hipError_tPvRmT1_T2_T3_mmT4_T5_P12ihipStream_tbEUlRKtE_EESV_SZ_S10_mS11_S14_bEUlT_E_NS1_11comp_targetILNS1_3genE8ELNS1_11target_archE1030ELNS1_3gpuE2ELNS1_3repE0EEENS1_30default_config_static_selectorELNS0_4arch9wavefront6targetE1EEEvSY_
	.p2align	8
	.type	_ZN7rocprim17ROCPRIM_400000_NS6detail17trampoline_kernelINS0_14default_configENS1_27lower_bound_config_selectorItlEEZNS1_14transform_implILb0ES3_S5_N6thrust23THRUST_200600_302600_NS6detail15normal_iteratorINS8_7pointerItNS8_11hip_rocprim5par_tENS8_11use_defaultESE_EEEENSA_INSB_IlSD_SE_SE_EEEEZNS1_13binary_searchIS3_S5_NSA_INS8_10device_ptrItEEEESG_SI_NS1_21lower_bound_search_opENS9_16wrapped_functionINS8_6system6detail7generic6detail18binary_search_lessEbEEEE10hipError_tPvRmT1_T2_T3_mmT4_T5_P12ihipStream_tbEUlRKtE_EESV_SZ_S10_mS11_S14_bEUlT_E_NS1_11comp_targetILNS1_3genE8ELNS1_11target_archE1030ELNS1_3gpuE2ELNS1_3repE0EEENS1_30default_config_static_selectorELNS0_4arch9wavefront6targetE1EEEvSY_,@function
_ZN7rocprim17ROCPRIM_400000_NS6detail17trampoline_kernelINS0_14default_configENS1_27lower_bound_config_selectorItlEEZNS1_14transform_implILb0ES3_S5_N6thrust23THRUST_200600_302600_NS6detail15normal_iteratorINS8_7pointerItNS8_11hip_rocprim5par_tENS8_11use_defaultESE_EEEENSA_INSB_IlSD_SE_SE_EEEEZNS1_13binary_searchIS3_S5_NSA_INS8_10device_ptrItEEEESG_SI_NS1_21lower_bound_search_opENS9_16wrapped_functionINS8_6system6detail7generic6detail18binary_search_lessEbEEEE10hipError_tPvRmT1_T2_T3_mmT4_T5_P12ihipStream_tbEUlRKtE_EESV_SZ_S10_mS11_S14_bEUlT_E_NS1_11comp_targetILNS1_3genE8ELNS1_11target_archE1030ELNS1_3gpuE2ELNS1_3repE0EEENS1_30default_config_static_selectorELNS0_4arch9wavefront6targetE1EEEvSY_: ; @_ZN7rocprim17ROCPRIM_400000_NS6detail17trampoline_kernelINS0_14default_configENS1_27lower_bound_config_selectorItlEEZNS1_14transform_implILb0ES3_S5_N6thrust23THRUST_200600_302600_NS6detail15normal_iteratorINS8_7pointerItNS8_11hip_rocprim5par_tENS8_11use_defaultESE_EEEENSA_INSB_IlSD_SE_SE_EEEEZNS1_13binary_searchIS3_S5_NSA_INS8_10device_ptrItEEEESG_SI_NS1_21lower_bound_search_opENS9_16wrapped_functionINS8_6system6detail7generic6detail18binary_search_lessEbEEEE10hipError_tPvRmT1_T2_T3_mmT4_T5_P12ihipStream_tbEUlRKtE_EESV_SZ_S10_mS11_S14_bEUlT_E_NS1_11comp_targetILNS1_3genE8ELNS1_11target_archE1030ELNS1_3gpuE2ELNS1_3repE0EEENS1_30default_config_static_selectorELNS0_4arch9wavefront6targetE1EEEvSY_
; %bb.0:
	.section	.rodata,"a",@progbits
	.p2align	6, 0x0
	.amdhsa_kernel _ZN7rocprim17ROCPRIM_400000_NS6detail17trampoline_kernelINS0_14default_configENS1_27lower_bound_config_selectorItlEEZNS1_14transform_implILb0ES3_S5_N6thrust23THRUST_200600_302600_NS6detail15normal_iteratorINS8_7pointerItNS8_11hip_rocprim5par_tENS8_11use_defaultESE_EEEENSA_INSB_IlSD_SE_SE_EEEEZNS1_13binary_searchIS3_S5_NSA_INS8_10device_ptrItEEEESG_SI_NS1_21lower_bound_search_opENS9_16wrapped_functionINS8_6system6detail7generic6detail18binary_search_lessEbEEEE10hipError_tPvRmT1_T2_T3_mmT4_T5_P12ihipStream_tbEUlRKtE_EESV_SZ_S10_mS11_S14_bEUlT_E_NS1_11comp_targetILNS1_3genE8ELNS1_11target_archE1030ELNS1_3gpuE2ELNS1_3repE0EEENS1_30default_config_static_selectorELNS0_4arch9wavefront6targetE1EEEvSY_
		.amdhsa_group_segment_fixed_size 0
		.amdhsa_private_segment_fixed_size 0
		.amdhsa_kernarg_size 56
		.amdhsa_user_sgpr_count 6
		.amdhsa_user_sgpr_private_segment_buffer 1
		.amdhsa_user_sgpr_dispatch_ptr 0
		.amdhsa_user_sgpr_queue_ptr 0
		.amdhsa_user_sgpr_kernarg_segment_ptr 1
		.amdhsa_user_sgpr_dispatch_id 0
		.amdhsa_user_sgpr_flat_scratch_init 0
		.amdhsa_user_sgpr_private_segment_size 0
		.amdhsa_uses_dynamic_stack 0
		.amdhsa_system_sgpr_private_segment_wavefront_offset 0
		.amdhsa_system_sgpr_workgroup_id_x 1
		.amdhsa_system_sgpr_workgroup_id_y 0
		.amdhsa_system_sgpr_workgroup_id_z 0
		.amdhsa_system_sgpr_workgroup_info 0
		.amdhsa_system_vgpr_workitem_id 0
		.amdhsa_next_free_vgpr 1
		.amdhsa_next_free_sgpr 0
		.amdhsa_reserve_vcc 0
		.amdhsa_reserve_flat_scratch 0
		.amdhsa_float_round_mode_32 0
		.amdhsa_float_round_mode_16_64 0
		.amdhsa_float_denorm_mode_32 3
		.amdhsa_float_denorm_mode_16_64 3
		.amdhsa_dx10_clamp 1
		.amdhsa_ieee_mode 1
		.amdhsa_fp16_overflow 0
		.amdhsa_exception_fp_ieee_invalid_op 0
		.amdhsa_exception_fp_denorm_src 0
		.amdhsa_exception_fp_ieee_div_zero 0
		.amdhsa_exception_fp_ieee_overflow 0
		.amdhsa_exception_fp_ieee_underflow 0
		.amdhsa_exception_fp_ieee_inexact 0
		.amdhsa_exception_int_div_zero 0
	.end_amdhsa_kernel
	.section	.text._ZN7rocprim17ROCPRIM_400000_NS6detail17trampoline_kernelINS0_14default_configENS1_27lower_bound_config_selectorItlEEZNS1_14transform_implILb0ES3_S5_N6thrust23THRUST_200600_302600_NS6detail15normal_iteratorINS8_7pointerItNS8_11hip_rocprim5par_tENS8_11use_defaultESE_EEEENSA_INSB_IlSD_SE_SE_EEEEZNS1_13binary_searchIS3_S5_NSA_INS8_10device_ptrItEEEESG_SI_NS1_21lower_bound_search_opENS9_16wrapped_functionINS8_6system6detail7generic6detail18binary_search_lessEbEEEE10hipError_tPvRmT1_T2_T3_mmT4_T5_P12ihipStream_tbEUlRKtE_EESV_SZ_S10_mS11_S14_bEUlT_E_NS1_11comp_targetILNS1_3genE8ELNS1_11target_archE1030ELNS1_3gpuE2ELNS1_3repE0EEENS1_30default_config_static_selectorELNS0_4arch9wavefront6targetE1EEEvSY_,"axG",@progbits,_ZN7rocprim17ROCPRIM_400000_NS6detail17trampoline_kernelINS0_14default_configENS1_27lower_bound_config_selectorItlEEZNS1_14transform_implILb0ES3_S5_N6thrust23THRUST_200600_302600_NS6detail15normal_iteratorINS8_7pointerItNS8_11hip_rocprim5par_tENS8_11use_defaultESE_EEEENSA_INSB_IlSD_SE_SE_EEEEZNS1_13binary_searchIS3_S5_NSA_INS8_10device_ptrItEEEESG_SI_NS1_21lower_bound_search_opENS9_16wrapped_functionINS8_6system6detail7generic6detail18binary_search_lessEbEEEE10hipError_tPvRmT1_T2_T3_mmT4_T5_P12ihipStream_tbEUlRKtE_EESV_SZ_S10_mS11_S14_bEUlT_E_NS1_11comp_targetILNS1_3genE8ELNS1_11target_archE1030ELNS1_3gpuE2ELNS1_3repE0EEENS1_30default_config_static_selectorELNS0_4arch9wavefront6targetE1EEEvSY_,comdat
.Lfunc_end384:
	.size	_ZN7rocprim17ROCPRIM_400000_NS6detail17trampoline_kernelINS0_14default_configENS1_27lower_bound_config_selectorItlEEZNS1_14transform_implILb0ES3_S5_N6thrust23THRUST_200600_302600_NS6detail15normal_iteratorINS8_7pointerItNS8_11hip_rocprim5par_tENS8_11use_defaultESE_EEEENSA_INSB_IlSD_SE_SE_EEEEZNS1_13binary_searchIS3_S5_NSA_INS8_10device_ptrItEEEESG_SI_NS1_21lower_bound_search_opENS9_16wrapped_functionINS8_6system6detail7generic6detail18binary_search_lessEbEEEE10hipError_tPvRmT1_T2_T3_mmT4_T5_P12ihipStream_tbEUlRKtE_EESV_SZ_S10_mS11_S14_bEUlT_E_NS1_11comp_targetILNS1_3genE8ELNS1_11target_archE1030ELNS1_3gpuE2ELNS1_3repE0EEENS1_30default_config_static_selectorELNS0_4arch9wavefront6targetE1EEEvSY_, .Lfunc_end384-_ZN7rocprim17ROCPRIM_400000_NS6detail17trampoline_kernelINS0_14default_configENS1_27lower_bound_config_selectorItlEEZNS1_14transform_implILb0ES3_S5_N6thrust23THRUST_200600_302600_NS6detail15normal_iteratorINS8_7pointerItNS8_11hip_rocprim5par_tENS8_11use_defaultESE_EEEENSA_INSB_IlSD_SE_SE_EEEEZNS1_13binary_searchIS3_S5_NSA_INS8_10device_ptrItEEEESG_SI_NS1_21lower_bound_search_opENS9_16wrapped_functionINS8_6system6detail7generic6detail18binary_search_lessEbEEEE10hipError_tPvRmT1_T2_T3_mmT4_T5_P12ihipStream_tbEUlRKtE_EESV_SZ_S10_mS11_S14_bEUlT_E_NS1_11comp_targetILNS1_3genE8ELNS1_11target_archE1030ELNS1_3gpuE2ELNS1_3repE0EEENS1_30default_config_static_selectorELNS0_4arch9wavefront6targetE1EEEvSY_
                                        ; -- End function
	.set _ZN7rocprim17ROCPRIM_400000_NS6detail17trampoline_kernelINS0_14default_configENS1_27lower_bound_config_selectorItlEEZNS1_14transform_implILb0ES3_S5_N6thrust23THRUST_200600_302600_NS6detail15normal_iteratorINS8_7pointerItNS8_11hip_rocprim5par_tENS8_11use_defaultESE_EEEENSA_INSB_IlSD_SE_SE_EEEEZNS1_13binary_searchIS3_S5_NSA_INS8_10device_ptrItEEEESG_SI_NS1_21lower_bound_search_opENS9_16wrapped_functionINS8_6system6detail7generic6detail18binary_search_lessEbEEEE10hipError_tPvRmT1_T2_T3_mmT4_T5_P12ihipStream_tbEUlRKtE_EESV_SZ_S10_mS11_S14_bEUlT_E_NS1_11comp_targetILNS1_3genE8ELNS1_11target_archE1030ELNS1_3gpuE2ELNS1_3repE0EEENS1_30default_config_static_selectorELNS0_4arch9wavefront6targetE1EEEvSY_.num_vgpr, 0
	.set _ZN7rocprim17ROCPRIM_400000_NS6detail17trampoline_kernelINS0_14default_configENS1_27lower_bound_config_selectorItlEEZNS1_14transform_implILb0ES3_S5_N6thrust23THRUST_200600_302600_NS6detail15normal_iteratorINS8_7pointerItNS8_11hip_rocprim5par_tENS8_11use_defaultESE_EEEENSA_INSB_IlSD_SE_SE_EEEEZNS1_13binary_searchIS3_S5_NSA_INS8_10device_ptrItEEEESG_SI_NS1_21lower_bound_search_opENS9_16wrapped_functionINS8_6system6detail7generic6detail18binary_search_lessEbEEEE10hipError_tPvRmT1_T2_T3_mmT4_T5_P12ihipStream_tbEUlRKtE_EESV_SZ_S10_mS11_S14_bEUlT_E_NS1_11comp_targetILNS1_3genE8ELNS1_11target_archE1030ELNS1_3gpuE2ELNS1_3repE0EEENS1_30default_config_static_selectorELNS0_4arch9wavefront6targetE1EEEvSY_.num_agpr, 0
	.set _ZN7rocprim17ROCPRIM_400000_NS6detail17trampoline_kernelINS0_14default_configENS1_27lower_bound_config_selectorItlEEZNS1_14transform_implILb0ES3_S5_N6thrust23THRUST_200600_302600_NS6detail15normal_iteratorINS8_7pointerItNS8_11hip_rocprim5par_tENS8_11use_defaultESE_EEEENSA_INSB_IlSD_SE_SE_EEEEZNS1_13binary_searchIS3_S5_NSA_INS8_10device_ptrItEEEESG_SI_NS1_21lower_bound_search_opENS9_16wrapped_functionINS8_6system6detail7generic6detail18binary_search_lessEbEEEE10hipError_tPvRmT1_T2_T3_mmT4_T5_P12ihipStream_tbEUlRKtE_EESV_SZ_S10_mS11_S14_bEUlT_E_NS1_11comp_targetILNS1_3genE8ELNS1_11target_archE1030ELNS1_3gpuE2ELNS1_3repE0EEENS1_30default_config_static_selectorELNS0_4arch9wavefront6targetE1EEEvSY_.numbered_sgpr, 0
	.set _ZN7rocprim17ROCPRIM_400000_NS6detail17trampoline_kernelINS0_14default_configENS1_27lower_bound_config_selectorItlEEZNS1_14transform_implILb0ES3_S5_N6thrust23THRUST_200600_302600_NS6detail15normal_iteratorINS8_7pointerItNS8_11hip_rocprim5par_tENS8_11use_defaultESE_EEEENSA_INSB_IlSD_SE_SE_EEEEZNS1_13binary_searchIS3_S5_NSA_INS8_10device_ptrItEEEESG_SI_NS1_21lower_bound_search_opENS9_16wrapped_functionINS8_6system6detail7generic6detail18binary_search_lessEbEEEE10hipError_tPvRmT1_T2_T3_mmT4_T5_P12ihipStream_tbEUlRKtE_EESV_SZ_S10_mS11_S14_bEUlT_E_NS1_11comp_targetILNS1_3genE8ELNS1_11target_archE1030ELNS1_3gpuE2ELNS1_3repE0EEENS1_30default_config_static_selectorELNS0_4arch9wavefront6targetE1EEEvSY_.num_named_barrier, 0
	.set _ZN7rocprim17ROCPRIM_400000_NS6detail17trampoline_kernelINS0_14default_configENS1_27lower_bound_config_selectorItlEEZNS1_14transform_implILb0ES3_S5_N6thrust23THRUST_200600_302600_NS6detail15normal_iteratorINS8_7pointerItNS8_11hip_rocprim5par_tENS8_11use_defaultESE_EEEENSA_INSB_IlSD_SE_SE_EEEEZNS1_13binary_searchIS3_S5_NSA_INS8_10device_ptrItEEEESG_SI_NS1_21lower_bound_search_opENS9_16wrapped_functionINS8_6system6detail7generic6detail18binary_search_lessEbEEEE10hipError_tPvRmT1_T2_T3_mmT4_T5_P12ihipStream_tbEUlRKtE_EESV_SZ_S10_mS11_S14_bEUlT_E_NS1_11comp_targetILNS1_3genE8ELNS1_11target_archE1030ELNS1_3gpuE2ELNS1_3repE0EEENS1_30default_config_static_selectorELNS0_4arch9wavefront6targetE1EEEvSY_.private_seg_size, 0
	.set _ZN7rocprim17ROCPRIM_400000_NS6detail17trampoline_kernelINS0_14default_configENS1_27lower_bound_config_selectorItlEEZNS1_14transform_implILb0ES3_S5_N6thrust23THRUST_200600_302600_NS6detail15normal_iteratorINS8_7pointerItNS8_11hip_rocprim5par_tENS8_11use_defaultESE_EEEENSA_INSB_IlSD_SE_SE_EEEEZNS1_13binary_searchIS3_S5_NSA_INS8_10device_ptrItEEEESG_SI_NS1_21lower_bound_search_opENS9_16wrapped_functionINS8_6system6detail7generic6detail18binary_search_lessEbEEEE10hipError_tPvRmT1_T2_T3_mmT4_T5_P12ihipStream_tbEUlRKtE_EESV_SZ_S10_mS11_S14_bEUlT_E_NS1_11comp_targetILNS1_3genE8ELNS1_11target_archE1030ELNS1_3gpuE2ELNS1_3repE0EEENS1_30default_config_static_selectorELNS0_4arch9wavefront6targetE1EEEvSY_.uses_vcc, 0
	.set _ZN7rocprim17ROCPRIM_400000_NS6detail17trampoline_kernelINS0_14default_configENS1_27lower_bound_config_selectorItlEEZNS1_14transform_implILb0ES3_S5_N6thrust23THRUST_200600_302600_NS6detail15normal_iteratorINS8_7pointerItNS8_11hip_rocprim5par_tENS8_11use_defaultESE_EEEENSA_INSB_IlSD_SE_SE_EEEEZNS1_13binary_searchIS3_S5_NSA_INS8_10device_ptrItEEEESG_SI_NS1_21lower_bound_search_opENS9_16wrapped_functionINS8_6system6detail7generic6detail18binary_search_lessEbEEEE10hipError_tPvRmT1_T2_T3_mmT4_T5_P12ihipStream_tbEUlRKtE_EESV_SZ_S10_mS11_S14_bEUlT_E_NS1_11comp_targetILNS1_3genE8ELNS1_11target_archE1030ELNS1_3gpuE2ELNS1_3repE0EEENS1_30default_config_static_selectorELNS0_4arch9wavefront6targetE1EEEvSY_.uses_flat_scratch, 0
	.set _ZN7rocprim17ROCPRIM_400000_NS6detail17trampoline_kernelINS0_14default_configENS1_27lower_bound_config_selectorItlEEZNS1_14transform_implILb0ES3_S5_N6thrust23THRUST_200600_302600_NS6detail15normal_iteratorINS8_7pointerItNS8_11hip_rocprim5par_tENS8_11use_defaultESE_EEEENSA_INSB_IlSD_SE_SE_EEEEZNS1_13binary_searchIS3_S5_NSA_INS8_10device_ptrItEEEESG_SI_NS1_21lower_bound_search_opENS9_16wrapped_functionINS8_6system6detail7generic6detail18binary_search_lessEbEEEE10hipError_tPvRmT1_T2_T3_mmT4_T5_P12ihipStream_tbEUlRKtE_EESV_SZ_S10_mS11_S14_bEUlT_E_NS1_11comp_targetILNS1_3genE8ELNS1_11target_archE1030ELNS1_3gpuE2ELNS1_3repE0EEENS1_30default_config_static_selectorELNS0_4arch9wavefront6targetE1EEEvSY_.has_dyn_sized_stack, 0
	.set _ZN7rocprim17ROCPRIM_400000_NS6detail17trampoline_kernelINS0_14default_configENS1_27lower_bound_config_selectorItlEEZNS1_14transform_implILb0ES3_S5_N6thrust23THRUST_200600_302600_NS6detail15normal_iteratorINS8_7pointerItNS8_11hip_rocprim5par_tENS8_11use_defaultESE_EEEENSA_INSB_IlSD_SE_SE_EEEEZNS1_13binary_searchIS3_S5_NSA_INS8_10device_ptrItEEEESG_SI_NS1_21lower_bound_search_opENS9_16wrapped_functionINS8_6system6detail7generic6detail18binary_search_lessEbEEEE10hipError_tPvRmT1_T2_T3_mmT4_T5_P12ihipStream_tbEUlRKtE_EESV_SZ_S10_mS11_S14_bEUlT_E_NS1_11comp_targetILNS1_3genE8ELNS1_11target_archE1030ELNS1_3gpuE2ELNS1_3repE0EEENS1_30default_config_static_selectorELNS0_4arch9wavefront6targetE1EEEvSY_.has_recursion, 0
	.set _ZN7rocprim17ROCPRIM_400000_NS6detail17trampoline_kernelINS0_14default_configENS1_27lower_bound_config_selectorItlEEZNS1_14transform_implILb0ES3_S5_N6thrust23THRUST_200600_302600_NS6detail15normal_iteratorINS8_7pointerItNS8_11hip_rocprim5par_tENS8_11use_defaultESE_EEEENSA_INSB_IlSD_SE_SE_EEEEZNS1_13binary_searchIS3_S5_NSA_INS8_10device_ptrItEEEESG_SI_NS1_21lower_bound_search_opENS9_16wrapped_functionINS8_6system6detail7generic6detail18binary_search_lessEbEEEE10hipError_tPvRmT1_T2_T3_mmT4_T5_P12ihipStream_tbEUlRKtE_EESV_SZ_S10_mS11_S14_bEUlT_E_NS1_11comp_targetILNS1_3genE8ELNS1_11target_archE1030ELNS1_3gpuE2ELNS1_3repE0EEENS1_30default_config_static_selectorELNS0_4arch9wavefront6targetE1EEEvSY_.has_indirect_call, 0
	.section	.AMDGPU.csdata,"",@progbits
; Kernel info:
; codeLenInByte = 0
; TotalNumSgprs: 4
; NumVgprs: 0
; ScratchSize: 0
; MemoryBound: 0
; FloatMode: 240
; IeeeMode: 1
; LDSByteSize: 0 bytes/workgroup (compile time only)
; SGPRBlocks: 0
; VGPRBlocks: 0
; NumSGPRsForWavesPerEU: 4
; NumVGPRsForWavesPerEU: 1
; Occupancy: 10
; WaveLimiterHint : 0
; COMPUTE_PGM_RSRC2:SCRATCH_EN: 0
; COMPUTE_PGM_RSRC2:USER_SGPR: 6
; COMPUTE_PGM_RSRC2:TRAP_HANDLER: 0
; COMPUTE_PGM_RSRC2:TGID_X_EN: 1
; COMPUTE_PGM_RSRC2:TGID_Y_EN: 0
; COMPUTE_PGM_RSRC2:TGID_Z_EN: 0
; COMPUTE_PGM_RSRC2:TIDIG_COMP_CNT: 0
	.section	.text._ZN7rocprim17ROCPRIM_400000_NS6detail17trampoline_kernelINS0_14default_configENS1_27lower_bound_config_selectorIxlEEZNS1_14transform_implILb0ES3_S5_N6thrust23THRUST_200600_302600_NS6detail15normal_iteratorINS8_7pointerIxNS8_11hip_rocprim5par_tENS8_11use_defaultESE_EEEENSA_INSB_IlSD_SE_SE_EEEEZNS1_13binary_searchIS3_S5_NSA_INS8_10device_ptrIxEEEESG_SI_NS1_21lower_bound_search_opENS9_16wrapped_functionINS8_6system6detail7generic6detail18binary_search_lessEbEEEE10hipError_tPvRmT1_T2_T3_mmT4_T5_P12ihipStream_tbEUlRKxE_EESV_SZ_S10_mS11_S14_bEUlT_E_NS1_11comp_targetILNS1_3genE0ELNS1_11target_archE4294967295ELNS1_3gpuE0ELNS1_3repE0EEENS1_30default_config_static_selectorELNS0_4arch9wavefront6targetE1EEEvSY_,"axG",@progbits,_ZN7rocprim17ROCPRIM_400000_NS6detail17trampoline_kernelINS0_14default_configENS1_27lower_bound_config_selectorIxlEEZNS1_14transform_implILb0ES3_S5_N6thrust23THRUST_200600_302600_NS6detail15normal_iteratorINS8_7pointerIxNS8_11hip_rocprim5par_tENS8_11use_defaultESE_EEEENSA_INSB_IlSD_SE_SE_EEEEZNS1_13binary_searchIS3_S5_NSA_INS8_10device_ptrIxEEEESG_SI_NS1_21lower_bound_search_opENS9_16wrapped_functionINS8_6system6detail7generic6detail18binary_search_lessEbEEEE10hipError_tPvRmT1_T2_T3_mmT4_T5_P12ihipStream_tbEUlRKxE_EESV_SZ_S10_mS11_S14_bEUlT_E_NS1_11comp_targetILNS1_3genE0ELNS1_11target_archE4294967295ELNS1_3gpuE0ELNS1_3repE0EEENS1_30default_config_static_selectorELNS0_4arch9wavefront6targetE1EEEvSY_,comdat
	.protected	_ZN7rocprim17ROCPRIM_400000_NS6detail17trampoline_kernelINS0_14default_configENS1_27lower_bound_config_selectorIxlEEZNS1_14transform_implILb0ES3_S5_N6thrust23THRUST_200600_302600_NS6detail15normal_iteratorINS8_7pointerIxNS8_11hip_rocprim5par_tENS8_11use_defaultESE_EEEENSA_INSB_IlSD_SE_SE_EEEEZNS1_13binary_searchIS3_S5_NSA_INS8_10device_ptrIxEEEESG_SI_NS1_21lower_bound_search_opENS9_16wrapped_functionINS8_6system6detail7generic6detail18binary_search_lessEbEEEE10hipError_tPvRmT1_T2_T3_mmT4_T5_P12ihipStream_tbEUlRKxE_EESV_SZ_S10_mS11_S14_bEUlT_E_NS1_11comp_targetILNS1_3genE0ELNS1_11target_archE4294967295ELNS1_3gpuE0ELNS1_3repE0EEENS1_30default_config_static_selectorELNS0_4arch9wavefront6targetE1EEEvSY_ ; -- Begin function _ZN7rocprim17ROCPRIM_400000_NS6detail17trampoline_kernelINS0_14default_configENS1_27lower_bound_config_selectorIxlEEZNS1_14transform_implILb0ES3_S5_N6thrust23THRUST_200600_302600_NS6detail15normal_iteratorINS8_7pointerIxNS8_11hip_rocprim5par_tENS8_11use_defaultESE_EEEENSA_INSB_IlSD_SE_SE_EEEEZNS1_13binary_searchIS3_S5_NSA_INS8_10device_ptrIxEEEESG_SI_NS1_21lower_bound_search_opENS9_16wrapped_functionINS8_6system6detail7generic6detail18binary_search_lessEbEEEE10hipError_tPvRmT1_T2_T3_mmT4_T5_P12ihipStream_tbEUlRKxE_EESV_SZ_S10_mS11_S14_bEUlT_E_NS1_11comp_targetILNS1_3genE0ELNS1_11target_archE4294967295ELNS1_3gpuE0ELNS1_3repE0EEENS1_30default_config_static_selectorELNS0_4arch9wavefront6targetE1EEEvSY_
	.globl	_ZN7rocprim17ROCPRIM_400000_NS6detail17trampoline_kernelINS0_14default_configENS1_27lower_bound_config_selectorIxlEEZNS1_14transform_implILb0ES3_S5_N6thrust23THRUST_200600_302600_NS6detail15normal_iteratorINS8_7pointerIxNS8_11hip_rocprim5par_tENS8_11use_defaultESE_EEEENSA_INSB_IlSD_SE_SE_EEEEZNS1_13binary_searchIS3_S5_NSA_INS8_10device_ptrIxEEEESG_SI_NS1_21lower_bound_search_opENS9_16wrapped_functionINS8_6system6detail7generic6detail18binary_search_lessEbEEEE10hipError_tPvRmT1_T2_T3_mmT4_T5_P12ihipStream_tbEUlRKxE_EESV_SZ_S10_mS11_S14_bEUlT_E_NS1_11comp_targetILNS1_3genE0ELNS1_11target_archE4294967295ELNS1_3gpuE0ELNS1_3repE0EEENS1_30default_config_static_selectorELNS0_4arch9wavefront6targetE1EEEvSY_
	.p2align	8
	.type	_ZN7rocprim17ROCPRIM_400000_NS6detail17trampoline_kernelINS0_14default_configENS1_27lower_bound_config_selectorIxlEEZNS1_14transform_implILb0ES3_S5_N6thrust23THRUST_200600_302600_NS6detail15normal_iteratorINS8_7pointerIxNS8_11hip_rocprim5par_tENS8_11use_defaultESE_EEEENSA_INSB_IlSD_SE_SE_EEEEZNS1_13binary_searchIS3_S5_NSA_INS8_10device_ptrIxEEEESG_SI_NS1_21lower_bound_search_opENS9_16wrapped_functionINS8_6system6detail7generic6detail18binary_search_lessEbEEEE10hipError_tPvRmT1_T2_T3_mmT4_T5_P12ihipStream_tbEUlRKxE_EESV_SZ_S10_mS11_S14_bEUlT_E_NS1_11comp_targetILNS1_3genE0ELNS1_11target_archE4294967295ELNS1_3gpuE0ELNS1_3repE0EEENS1_30default_config_static_selectorELNS0_4arch9wavefront6targetE1EEEvSY_,@function
_ZN7rocprim17ROCPRIM_400000_NS6detail17trampoline_kernelINS0_14default_configENS1_27lower_bound_config_selectorIxlEEZNS1_14transform_implILb0ES3_S5_N6thrust23THRUST_200600_302600_NS6detail15normal_iteratorINS8_7pointerIxNS8_11hip_rocprim5par_tENS8_11use_defaultESE_EEEENSA_INSB_IlSD_SE_SE_EEEEZNS1_13binary_searchIS3_S5_NSA_INS8_10device_ptrIxEEEESG_SI_NS1_21lower_bound_search_opENS9_16wrapped_functionINS8_6system6detail7generic6detail18binary_search_lessEbEEEE10hipError_tPvRmT1_T2_T3_mmT4_T5_P12ihipStream_tbEUlRKxE_EESV_SZ_S10_mS11_S14_bEUlT_E_NS1_11comp_targetILNS1_3genE0ELNS1_11target_archE4294967295ELNS1_3gpuE0ELNS1_3repE0EEENS1_30default_config_static_selectorELNS0_4arch9wavefront6targetE1EEEvSY_: ; @_ZN7rocprim17ROCPRIM_400000_NS6detail17trampoline_kernelINS0_14default_configENS1_27lower_bound_config_selectorIxlEEZNS1_14transform_implILb0ES3_S5_N6thrust23THRUST_200600_302600_NS6detail15normal_iteratorINS8_7pointerIxNS8_11hip_rocprim5par_tENS8_11use_defaultESE_EEEENSA_INSB_IlSD_SE_SE_EEEEZNS1_13binary_searchIS3_S5_NSA_INS8_10device_ptrIxEEEESG_SI_NS1_21lower_bound_search_opENS9_16wrapped_functionINS8_6system6detail7generic6detail18binary_search_lessEbEEEE10hipError_tPvRmT1_T2_T3_mmT4_T5_P12ihipStream_tbEUlRKxE_EESV_SZ_S10_mS11_S14_bEUlT_E_NS1_11comp_targetILNS1_3genE0ELNS1_11target_archE4294967295ELNS1_3gpuE0ELNS1_3repE0EEENS1_30default_config_static_selectorELNS0_4arch9wavefront6targetE1EEEvSY_
; %bb.0:
	.section	.rodata,"a",@progbits
	.p2align	6, 0x0
	.amdhsa_kernel _ZN7rocprim17ROCPRIM_400000_NS6detail17trampoline_kernelINS0_14default_configENS1_27lower_bound_config_selectorIxlEEZNS1_14transform_implILb0ES3_S5_N6thrust23THRUST_200600_302600_NS6detail15normal_iteratorINS8_7pointerIxNS8_11hip_rocprim5par_tENS8_11use_defaultESE_EEEENSA_INSB_IlSD_SE_SE_EEEEZNS1_13binary_searchIS3_S5_NSA_INS8_10device_ptrIxEEEESG_SI_NS1_21lower_bound_search_opENS9_16wrapped_functionINS8_6system6detail7generic6detail18binary_search_lessEbEEEE10hipError_tPvRmT1_T2_T3_mmT4_T5_P12ihipStream_tbEUlRKxE_EESV_SZ_S10_mS11_S14_bEUlT_E_NS1_11comp_targetILNS1_3genE0ELNS1_11target_archE4294967295ELNS1_3gpuE0ELNS1_3repE0EEENS1_30default_config_static_selectorELNS0_4arch9wavefront6targetE1EEEvSY_
		.amdhsa_group_segment_fixed_size 0
		.amdhsa_private_segment_fixed_size 0
		.amdhsa_kernarg_size 56
		.amdhsa_user_sgpr_count 6
		.amdhsa_user_sgpr_private_segment_buffer 1
		.amdhsa_user_sgpr_dispatch_ptr 0
		.amdhsa_user_sgpr_queue_ptr 0
		.amdhsa_user_sgpr_kernarg_segment_ptr 1
		.amdhsa_user_sgpr_dispatch_id 0
		.amdhsa_user_sgpr_flat_scratch_init 0
		.amdhsa_user_sgpr_private_segment_size 0
		.amdhsa_uses_dynamic_stack 0
		.amdhsa_system_sgpr_private_segment_wavefront_offset 0
		.amdhsa_system_sgpr_workgroup_id_x 1
		.amdhsa_system_sgpr_workgroup_id_y 0
		.amdhsa_system_sgpr_workgroup_id_z 0
		.amdhsa_system_sgpr_workgroup_info 0
		.amdhsa_system_vgpr_workitem_id 0
		.amdhsa_next_free_vgpr 1
		.amdhsa_next_free_sgpr 0
		.amdhsa_reserve_vcc 0
		.amdhsa_reserve_flat_scratch 0
		.amdhsa_float_round_mode_32 0
		.amdhsa_float_round_mode_16_64 0
		.amdhsa_float_denorm_mode_32 3
		.amdhsa_float_denorm_mode_16_64 3
		.amdhsa_dx10_clamp 1
		.amdhsa_ieee_mode 1
		.amdhsa_fp16_overflow 0
		.amdhsa_exception_fp_ieee_invalid_op 0
		.amdhsa_exception_fp_denorm_src 0
		.amdhsa_exception_fp_ieee_div_zero 0
		.amdhsa_exception_fp_ieee_overflow 0
		.amdhsa_exception_fp_ieee_underflow 0
		.amdhsa_exception_fp_ieee_inexact 0
		.amdhsa_exception_int_div_zero 0
	.end_amdhsa_kernel
	.section	.text._ZN7rocprim17ROCPRIM_400000_NS6detail17trampoline_kernelINS0_14default_configENS1_27lower_bound_config_selectorIxlEEZNS1_14transform_implILb0ES3_S5_N6thrust23THRUST_200600_302600_NS6detail15normal_iteratorINS8_7pointerIxNS8_11hip_rocprim5par_tENS8_11use_defaultESE_EEEENSA_INSB_IlSD_SE_SE_EEEEZNS1_13binary_searchIS3_S5_NSA_INS8_10device_ptrIxEEEESG_SI_NS1_21lower_bound_search_opENS9_16wrapped_functionINS8_6system6detail7generic6detail18binary_search_lessEbEEEE10hipError_tPvRmT1_T2_T3_mmT4_T5_P12ihipStream_tbEUlRKxE_EESV_SZ_S10_mS11_S14_bEUlT_E_NS1_11comp_targetILNS1_3genE0ELNS1_11target_archE4294967295ELNS1_3gpuE0ELNS1_3repE0EEENS1_30default_config_static_selectorELNS0_4arch9wavefront6targetE1EEEvSY_,"axG",@progbits,_ZN7rocprim17ROCPRIM_400000_NS6detail17trampoline_kernelINS0_14default_configENS1_27lower_bound_config_selectorIxlEEZNS1_14transform_implILb0ES3_S5_N6thrust23THRUST_200600_302600_NS6detail15normal_iteratorINS8_7pointerIxNS8_11hip_rocprim5par_tENS8_11use_defaultESE_EEEENSA_INSB_IlSD_SE_SE_EEEEZNS1_13binary_searchIS3_S5_NSA_INS8_10device_ptrIxEEEESG_SI_NS1_21lower_bound_search_opENS9_16wrapped_functionINS8_6system6detail7generic6detail18binary_search_lessEbEEEE10hipError_tPvRmT1_T2_T3_mmT4_T5_P12ihipStream_tbEUlRKxE_EESV_SZ_S10_mS11_S14_bEUlT_E_NS1_11comp_targetILNS1_3genE0ELNS1_11target_archE4294967295ELNS1_3gpuE0ELNS1_3repE0EEENS1_30default_config_static_selectorELNS0_4arch9wavefront6targetE1EEEvSY_,comdat
.Lfunc_end385:
	.size	_ZN7rocprim17ROCPRIM_400000_NS6detail17trampoline_kernelINS0_14default_configENS1_27lower_bound_config_selectorIxlEEZNS1_14transform_implILb0ES3_S5_N6thrust23THRUST_200600_302600_NS6detail15normal_iteratorINS8_7pointerIxNS8_11hip_rocprim5par_tENS8_11use_defaultESE_EEEENSA_INSB_IlSD_SE_SE_EEEEZNS1_13binary_searchIS3_S5_NSA_INS8_10device_ptrIxEEEESG_SI_NS1_21lower_bound_search_opENS9_16wrapped_functionINS8_6system6detail7generic6detail18binary_search_lessEbEEEE10hipError_tPvRmT1_T2_T3_mmT4_T5_P12ihipStream_tbEUlRKxE_EESV_SZ_S10_mS11_S14_bEUlT_E_NS1_11comp_targetILNS1_3genE0ELNS1_11target_archE4294967295ELNS1_3gpuE0ELNS1_3repE0EEENS1_30default_config_static_selectorELNS0_4arch9wavefront6targetE1EEEvSY_, .Lfunc_end385-_ZN7rocprim17ROCPRIM_400000_NS6detail17trampoline_kernelINS0_14default_configENS1_27lower_bound_config_selectorIxlEEZNS1_14transform_implILb0ES3_S5_N6thrust23THRUST_200600_302600_NS6detail15normal_iteratorINS8_7pointerIxNS8_11hip_rocprim5par_tENS8_11use_defaultESE_EEEENSA_INSB_IlSD_SE_SE_EEEEZNS1_13binary_searchIS3_S5_NSA_INS8_10device_ptrIxEEEESG_SI_NS1_21lower_bound_search_opENS9_16wrapped_functionINS8_6system6detail7generic6detail18binary_search_lessEbEEEE10hipError_tPvRmT1_T2_T3_mmT4_T5_P12ihipStream_tbEUlRKxE_EESV_SZ_S10_mS11_S14_bEUlT_E_NS1_11comp_targetILNS1_3genE0ELNS1_11target_archE4294967295ELNS1_3gpuE0ELNS1_3repE0EEENS1_30default_config_static_selectorELNS0_4arch9wavefront6targetE1EEEvSY_
                                        ; -- End function
	.set _ZN7rocprim17ROCPRIM_400000_NS6detail17trampoline_kernelINS0_14default_configENS1_27lower_bound_config_selectorIxlEEZNS1_14transform_implILb0ES3_S5_N6thrust23THRUST_200600_302600_NS6detail15normal_iteratorINS8_7pointerIxNS8_11hip_rocprim5par_tENS8_11use_defaultESE_EEEENSA_INSB_IlSD_SE_SE_EEEEZNS1_13binary_searchIS3_S5_NSA_INS8_10device_ptrIxEEEESG_SI_NS1_21lower_bound_search_opENS9_16wrapped_functionINS8_6system6detail7generic6detail18binary_search_lessEbEEEE10hipError_tPvRmT1_T2_T3_mmT4_T5_P12ihipStream_tbEUlRKxE_EESV_SZ_S10_mS11_S14_bEUlT_E_NS1_11comp_targetILNS1_3genE0ELNS1_11target_archE4294967295ELNS1_3gpuE0ELNS1_3repE0EEENS1_30default_config_static_selectorELNS0_4arch9wavefront6targetE1EEEvSY_.num_vgpr, 0
	.set _ZN7rocprim17ROCPRIM_400000_NS6detail17trampoline_kernelINS0_14default_configENS1_27lower_bound_config_selectorIxlEEZNS1_14transform_implILb0ES3_S5_N6thrust23THRUST_200600_302600_NS6detail15normal_iteratorINS8_7pointerIxNS8_11hip_rocprim5par_tENS8_11use_defaultESE_EEEENSA_INSB_IlSD_SE_SE_EEEEZNS1_13binary_searchIS3_S5_NSA_INS8_10device_ptrIxEEEESG_SI_NS1_21lower_bound_search_opENS9_16wrapped_functionINS8_6system6detail7generic6detail18binary_search_lessEbEEEE10hipError_tPvRmT1_T2_T3_mmT4_T5_P12ihipStream_tbEUlRKxE_EESV_SZ_S10_mS11_S14_bEUlT_E_NS1_11comp_targetILNS1_3genE0ELNS1_11target_archE4294967295ELNS1_3gpuE0ELNS1_3repE0EEENS1_30default_config_static_selectorELNS0_4arch9wavefront6targetE1EEEvSY_.num_agpr, 0
	.set _ZN7rocprim17ROCPRIM_400000_NS6detail17trampoline_kernelINS0_14default_configENS1_27lower_bound_config_selectorIxlEEZNS1_14transform_implILb0ES3_S5_N6thrust23THRUST_200600_302600_NS6detail15normal_iteratorINS8_7pointerIxNS8_11hip_rocprim5par_tENS8_11use_defaultESE_EEEENSA_INSB_IlSD_SE_SE_EEEEZNS1_13binary_searchIS3_S5_NSA_INS8_10device_ptrIxEEEESG_SI_NS1_21lower_bound_search_opENS9_16wrapped_functionINS8_6system6detail7generic6detail18binary_search_lessEbEEEE10hipError_tPvRmT1_T2_T3_mmT4_T5_P12ihipStream_tbEUlRKxE_EESV_SZ_S10_mS11_S14_bEUlT_E_NS1_11comp_targetILNS1_3genE0ELNS1_11target_archE4294967295ELNS1_3gpuE0ELNS1_3repE0EEENS1_30default_config_static_selectorELNS0_4arch9wavefront6targetE1EEEvSY_.numbered_sgpr, 0
	.set _ZN7rocprim17ROCPRIM_400000_NS6detail17trampoline_kernelINS0_14default_configENS1_27lower_bound_config_selectorIxlEEZNS1_14transform_implILb0ES3_S5_N6thrust23THRUST_200600_302600_NS6detail15normal_iteratorINS8_7pointerIxNS8_11hip_rocprim5par_tENS8_11use_defaultESE_EEEENSA_INSB_IlSD_SE_SE_EEEEZNS1_13binary_searchIS3_S5_NSA_INS8_10device_ptrIxEEEESG_SI_NS1_21lower_bound_search_opENS9_16wrapped_functionINS8_6system6detail7generic6detail18binary_search_lessEbEEEE10hipError_tPvRmT1_T2_T3_mmT4_T5_P12ihipStream_tbEUlRKxE_EESV_SZ_S10_mS11_S14_bEUlT_E_NS1_11comp_targetILNS1_3genE0ELNS1_11target_archE4294967295ELNS1_3gpuE0ELNS1_3repE0EEENS1_30default_config_static_selectorELNS0_4arch9wavefront6targetE1EEEvSY_.num_named_barrier, 0
	.set _ZN7rocprim17ROCPRIM_400000_NS6detail17trampoline_kernelINS0_14default_configENS1_27lower_bound_config_selectorIxlEEZNS1_14transform_implILb0ES3_S5_N6thrust23THRUST_200600_302600_NS6detail15normal_iteratorINS8_7pointerIxNS8_11hip_rocprim5par_tENS8_11use_defaultESE_EEEENSA_INSB_IlSD_SE_SE_EEEEZNS1_13binary_searchIS3_S5_NSA_INS8_10device_ptrIxEEEESG_SI_NS1_21lower_bound_search_opENS9_16wrapped_functionINS8_6system6detail7generic6detail18binary_search_lessEbEEEE10hipError_tPvRmT1_T2_T3_mmT4_T5_P12ihipStream_tbEUlRKxE_EESV_SZ_S10_mS11_S14_bEUlT_E_NS1_11comp_targetILNS1_3genE0ELNS1_11target_archE4294967295ELNS1_3gpuE0ELNS1_3repE0EEENS1_30default_config_static_selectorELNS0_4arch9wavefront6targetE1EEEvSY_.private_seg_size, 0
	.set _ZN7rocprim17ROCPRIM_400000_NS6detail17trampoline_kernelINS0_14default_configENS1_27lower_bound_config_selectorIxlEEZNS1_14transform_implILb0ES3_S5_N6thrust23THRUST_200600_302600_NS6detail15normal_iteratorINS8_7pointerIxNS8_11hip_rocprim5par_tENS8_11use_defaultESE_EEEENSA_INSB_IlSD_SE_SE_EEEEZNS1_13binary_searchIS3_S5_NSA_INS8_10device_ptrIxEEEESG_SI_NS1_21lower_bound_search_opENS9_16wrapped_functionINS8_6system6detail7generic6detail18binary_search_lessEbEEEE10hipError_tPvRmT1_T2_T3_mmT4_T5_P12ihipStream_tbEUlRKxE_EESV_SZ_S10_mS11_S14_bEUlT_E_NS1_11comp_targetILNS1_3genE0ELNS1_11target_archE4294967295ELNS1_3gpuE0ELNS1_3repE0EEENS1_30default_config_static_selectorELNS0_4arch9wavefront6targetE1EEEvSY_.uses_vcc, 0
	.set _ZN7rocprim17ROCPRIM_400000_NS6detail17trampoline_kernelINS0_14default_configENS1_27lower_bound_config_selectorIxlEEZNS1_14transform_implILb0ES3_S5_N6thrust23THRUST_200600_302600_NS6detail15normal_iteratorINS8_7pointerIxNS8_11hip_rocprim5par_tENS8_11use_defaultESE_EEEENSA_INSB_IlSD_SE_SE_EEEEZNS1_13binary_searchIS3_S5_NSA_INS8_10device_ptrIxEEEESG_SI_NS1_21lower_bound_search_opENS9_16wrapped_functionINS8_6system6detail7generic6detail18binary_search_lessEbEEEE10hipError_tPvRmT1_T2_T3_mmT4_T5_P12ihipStream_tbEUlRKxE_EESV_SZ_S10_mS11_S14_bEUlT_E_NS1_11comp_targetILNS1_3genE0ELNS1_11target_archE4294967295ELNS1_3gpuE0ELNS1_3repE0EEENS1_30default_config_static_selectorELNS0_4arch9wavefront6targetE1EEEvSY_.uses_flat_scratch, 0
	.set _ZN7rocprim17ROCPRIM_400000_NS6detail17trampoline_kernelINS0_14default_configENS1_27lower_bound_config_selectorIxlEEZNS1_14transform_implILb0ES3_S5_N6thrust23THRUST_200600_302600_NS6detail15normal_iteratorINS8_7pointerIxNS8_11hip_rocprim5par_tENS8_11use_defaultESE_EEEENSA_INSB_IlSD_SE_SE_EEEEZNS1_13binary_searchIS3_S5_NSA_INS8_10device_ptrIxEEEESG_SI_NS1_21lower_bound_search_opENS9_16wrapped_functionINS8_6system6detail7generic6detail18binary_search_lessEbEEEE10hipError_tPvRmT1_T2_T3_mmT4_T5_P12ihipStream_tbEUlRKxE_EESV_SZ_S10_mS11_S14_bEUlT_E_NS1_11comp_targetILNS1_3genE0ELNS1_11target_archE4294967295ELNS1_3gpuE0ELNS1_3repE0EEENS1_30default_config_static_selectorELNS0_4arch9wavefront6targetE1EEEvSY_.has_dyn_sized_stack, 0
	.set _ZN7rocprim17ROCPRIM_400000_NS6detail17trampoline_kernelINS0_14default_configENS1_27lower_bound_config_selectorIxlEEZNS1_14transform_implILb0ES3_S5_N6thrust23THRUST_200600_302600_NS6detail15normal_iteratorINS8_7pointerIxNS8_11hip_rocprim5par_tENS8_11use_defaultESE_EEEENSA_INSB_IlSD_SE_SE_EEEEZNS1_13binary_searchIS3_S5_NSA_INS8_10device_ptrIxEEEESG_SI_NS1_21lower_bound_search_opENS9_16wrapped_functionINS8_6system6detail7generic6detail18binary_search_lessEbEEEE10hipError_tPvRmT1_T2_T3_mmT4_T5_P12ihipStream_tbEUlRKxE_EESV_SZ_S10_mS11_S14_bEUlT_E_NS1_11comp_targetILNS1_3genE0ELNS1_11target_archE4294967295ELNS1_3gpuE0ELNS1_3repE0EEENS1_30default_config_static_selectorELNS0_4arch9wavefront6targetE1EEEvSY_.has_recursion, 0
	.set _ZN7rocprim17ROCPRIM_400000_NS6detail17trampoline_kernelINS0_14default_configENS1_27lower_bound_config_selectorIxlEEZNS1_14transform_implILb0ES3_S5_N6thrust23THRUST_200600_302600_NS6detail15normal_iteratorINS8_7pointerIxNS8_11hip_rocprim5par_tENS8_11use_defaultESE_EEEENSA_INSB_IlSD_SE_SE_EEEEZNS1_13binary_searchIS3_S5_NSA_INS8_10device_ptrIxEEEESG_SI_NS1_21lower_bound_search_opENS9_16wrapped_functionINS8_6system6detail7generic6detail18binary_search_lessEbEEEE10hipError_tPvRmT1_T2_T3_mmT4_T5_P12ihipStream_tbEUlRKxE_EESV_SZ_S10_mS11_S14_bEUlT_E_NS1_11comp_targetILNS1_3genE0ELNS1_11target_archE4294967295ELNS1_3gpuE0ELNS1_3repE0EEENS1_30default_config_static_selectorELNS0_4arch9wavefront6targetE1EEEvSY_.has_indirect_call, 0
	.section	.AMDGPU.csdata,"",@progbits
; Kernel info:
; codeLenInByte = 0
; TotalNumSgprs: 4
; NumVgprs: 0
; ScratchSize: 0
; MemoryBound: 0
; FloatMode: 240
; IeeeMode: 1
; LDSByteSize: 0 bytes/workgroup (compile time only)
; SGPRBlocks: 0
; VGPRBlocks: 0
; NumSGPRsForWavesPerEU: 4
; NumVGPRsForWavesPerEU: 1
; Occupancy: 10
; WaveLimiterHint : 0
; COMPUTE_PGM_RSRC2:SCRATCH_EN: 0
; COMPUTE_PGM_RSRC2:USER_SGPR: 6
; COMPUTE_PGM_RSRC2:TRAP_HANDLER: 0
; COMPUTE_PGM_RSRC2:TGID_X_EN: 1
; COMPUTE_PGM_RSRC2:TGID_Y_EN: 0
; COMPUTE_PGM_RSRC2:TGID_Z_EN: 0
; COMPUTE_PGM_RSRC2:TIDIG_COMP_CNT: 0
	.section	.text._ZN7rocprim17ROCPRIM_400000_NS6detail17trampoline_kernelINS0_14default_configENS1_27lower_bound_config_selectorIxlEEZNS1_14transform_implILb0ES3_S5_N6thrust23THRUST_200600_302600_NS6detail15normal_iteratorINS8_7pointerIxNS8_11hip_rocprim5par_tENS8_11use_defaultESE_EEEENSA_INSB_IlSD_SE_SE_EEEEZNS1_13binary_searchIS3_S5_NSA_INS8_10device_ptrIxEEEESG_SI_NS1_21lower_bound_search_opENS9_16wrapped_functionINS8_6system6detail7generic6detail18binary_search_lessEbEEEE10hipError_tPvRmT1_T2_T3_mmT4_T5_P12ihipStream_tbEUlRKxE_EESV_SZ_S10_mS11_S14_bEUlT_E_NS1_11comp_targetILNS1_3genE5ELNS1_11target_archE942ELNS1_3gpuE9ELNS1_3repE0EEENS1_30default_config_static_selectorELNS0_4arch9wavefront6targetE1EEEvSY_,"axG",@progbits,_ZN7rocprim17ROCPRIM_400000_NS6detail17trampoline_kernelINS0_14default_configENS1_27lower_bound_config_selectorIxlEEZNS1_14transform_implILb0ES3_S5_N6thrust23THRUST_200600_302600_NS6detail15normal_iteratorINS8_7pointerIxNS8_11hip_rocprim5par_tENS8_11use_defaultESE_EEEENSA_INSB_IlSD_SE_SE_EEEEZNS1_13binary_searchIS3_S5_NSA_INS8_10device_ptrIxEEEESG_SI_NS1_21lower_bound_search_opENS9_16wrapped_functionINS8_6system6detail7generic6detail18binary_search_lessEbEEEE10hipError_tPvRmT1_T2_T3_mmT4_T5_P12ihipStream_tbEUlRKxE_EESV_SZ_S10_mS11_S14_bEUlT_E_NS1_11comp_targetILNS1_3genE5ELNS1_11target_archE942ELNS1_3gpuE9ELNS1_3repE0EEENS1_30default_config_static_selectorELNS0_4arch9wavefront6targetE1EEEvSY_,comdat
	.protected	_ZN7rocprim17ROCPRIM_400000_NS6detail17trampoline_kernelINS0_14default_configENS1_27lower_bound_config_selectorIxlEEZNS1_14transform_implILb0ES3_S5_N6thrust23THRUST_200600_302600_NS6detail15normal_iteratorINS8_7pointerIxNS8_11hip_rocprim5par_tENS8_11use_defaultESE_EEEENSA_INSB_IlSD_SE_SE_EEEEZNS1_13binary_searchIS3_S5_NSA_INS8_10device_ptrIxEEEESG_SI_NS1_21lower_bound_search_opENS9_16wrapped_functionINS8_6system6detail7generic6detail18binary_search_lessEbEEEE10hipError_tPvRmT1_T2_T3_mmT4_T5_P12ihipStream_tbEUlRKxE_EESV_SZ_S10_mS11_S14_bEUlT_E_NS1_11comp_targetILNS1_3genE5ELNS1_11target_archE942ELNS1_3gpuE9ELNS1_3repE0EEENS1_30default_config_static_selectorELNS0_4arch9wavefront6targetE1EEEvSY_ ; -- Begin function _ZN7rocprim17ROCPRIM_400000_NS6detail17trampoline_kernelINS0_14default_configENS1_27lower_bound_config_selectorIxlEEZNS1_14transform_implILb0ES3_S5_N6thrust23THRUST_200600_302600_NS6detail15normal_iteratorINS8_7pointerIxNS8_11hip_rocprim5par_tENS8_11use_defaultESE_EEEENSA_INSB_IlSD_SE_SE_EEEEZNS1_13binary_searchIS3_S5_NSA_INS8_10device_ptrIxEEEESG_SI_NS1_21lower_bound_search_opENS9_16wrapped_functionINS8_6system6detail7generic6detail18binary_search_lessEbEEEE10hipError_tPvRmT1_T2_T3_mmT4_T5_P12ihipStream_tbEUlRKxE_EESV_SZ_S10_mS11_S14_bEUlT_E_NS1_11comp_targetILNS1_3genE5ELNS1_11target_archE942ELNS1_3gpuE9ELNS1_3repE0EEENS1_30default_config_static_selectorELNS0_4arch9wavefront6targetE1EEEvSY_
	.globl	_ZN7rocprim17ROCPRIM_400000_NS6detail17trampoline_kernelINS0_14default_configENS1_27lower_bound_config_selectorIxlEEZNS1_14transform_implILb0ES3_S5_N6thrust23THRUST_200600_302600_NS6detail15normal_iteratorINS8_7pointerIxNS8_11hip_rocprim5par_tENS8_11use_defaultESE_EEEENSA_INSB_IlSD_SE_SE_EEEEZNS1_13binary_searchIS3_S5_NSA_INS8_10device_ptrIxEEEESG_SI_NS1_21lower_bound_search_opENS9_16wrapped_functionINS8_6system6detail7generic6detail18binary_search_lessEbEEEE10hipError_tPvRmT1_T2_T3_mmT4_T5_P12ihipStream_tbEUlRKxE_EESV_SZ_S10_mS11_S14_bEUlT_E_NS1_11comp_targetILNS1_3genE5ELNS1_11target_archE942ELNS1_3gpuE9ELNS1_3repE0EEENS1_30default_config_static_selectorELNS0_4arch9wavefront6targetE1EEEvSY_
	.p2align	8
	.type	_ZN7rocprim17ROCPRIM_400000_NS6detail17trampoline_kernelINS0_14default_configENS1_27lower_bound_config_selectorIxlEEZNS1_14transform_implILb0ES3_S5_N6thrust23THRUST_200600_302600_NS6detail15normal_iteratorINS8_7pointerIxNS8_11hip_rocprim5par_tENS8_11use_defaultESE_EEEENSA_INSB_IlSD_SE_SE_EEEEZNS1_13binary_searchIS3_S5_NSA_INS8_10device_ptrIxEEEESG_SI_NS1_21lower_bound_search_opENS9_16wrapped_functionINS8_6system6detail7generic6detail18binary_search_lessEbEEEE10hipError_tPvRmT1_T2_T3_mmT4_T5_P12ihipStream_tbEUlRKxE_EESV_SZ_S10_mS11_S14_bEUlT_E_NS1_11comp_targetILNS1_3genE5ELNS1_11target_archE942ELNS1_3gpuE9ELNS1_3repE0EEENS1_30default_config_static_selectorELNS0_4arch9wavefront6targetE1EEEvSY_,@function
_ZN7rocprim17ROCPRIM_400000_NS6detail17trampoline_kernelINS0_14default_configENS1_27lower_bound_config_selectorIxlEEZNS1_14transform_implILb0ES3_S5_N6thrust23THRUST_200600_302600_NS6detail15normal_iteratorINS8_7pointerIxNS8_11hip_rocprim5par_tENS8_11use_defaultESE_EEEENSA_INSB_IlSD_SE_SE_EEEEZNS1_13binary_searchIS3_S5_NSA_INS8_10device_ptrIxEEEESG_SI_NS1_21lower_bound_search_opENS9_16wrapped_functionINS8_6system6detail7generic6detail18binary_search_lessEbEEEE10hipError_tPvRmT1_T2_T3_mmT4_T5_P12ihipStream_tbEUlRKxE_EESV_SZ_S10_mS11_S14_bEUlT_E_NS1_11comp_targetILNS1_3genE5ELNS1_11target_archE942ELNS1_3gpuE9ELNS1_3repE0EEENS1_30default_config_static_selectorELNS0_4arch9wavefront6targetE1EEEvSY_: ; @_ZN7rocprim17ROCPRIM_400000_NS6detail17trampoline_kernelINS0_14default_configENS1_27lower_bound_config_selectorIxlEEZNS1_14transform_implILb0ES3_S5_N6thrust23THRUST_200600_302600_NS6detail15normal_iteratorINS8_7pointerIxNS8_11hip_rocprim5par_tENS8_11use_defaultESE_EEEENSA_INSB_IlSD_SE_SE_EEEEZNS1_13binary_searchIS3_S5_NSA_INS8_10device_ptrIxEEEESG_SI_NS1_21lower_bound_search_opENS9_16wrapped_functionINS8_6system6detail7generic6detail18binary_search_lessEbEEEE10hipError_tPvRmT1_T2_T3_mmT4_T5_P12ihipStream_tbEUlRKxE_EESV_SZ_S10_mS11_S14_bEUlT_E_NS1_11comp_targetILNS1_3genE5ELNS1_11target_archE942ELNS1_3gpuE9ELNS1_3repE0EEENS1_30default_config_static_selectorELNS0_4arch9wavefront6targetE1EEEvSY_
; %bb.0:
	.section	.rodata,"a",@progbits
	.p2align	6, 0x0
	.amdhsa_kernel _ZN7rocprim17ROCPRIM_400000_NS6detail17trampoline_kernelINS0_14default_configENS1_27lower_bound_config_selectorIxlEEZNS1_14transform_implILb0ES3_S5_N6thrust23THRUST_200600_302600_NS6detail15normal_iteratorINS8_7pointerIxNS8_11hip_rocprim5par_tENS8_11use_defaultESE_EEEENSA_INSB_IlSD_SE_SE_EEEEZNS1_13binary_searchIS3_S5_NSA_INS8_10device_ptrIxEEEESG_SI_NS1_21lower_bound_search_opENS9_16wrapped_functionINS8_6system6detail7generic6detail18binary_search_lessEbEEEE10hipError_tPvRmT1_T2_T3_mmT4_T5_P12ihipStream_tbEUlRKxE_EESV_SZ_S10_mS11_S14_bEUlT_E_NS1_11comp_targetILNS1_3genE5ELNS1_11target_archE942ELNS1_3gpuE9ELNS1_3repE0EEENS1_30default_config_static_selectorELNS0_4arch9wavefront6targetE1EEEvSY_
		.amdhsa_group_segment_fixed_size 0
		.amdhsa_private_segment_fixed_size 0
		.amdhsa_kernarg_size 56
		.amdhsa_user_sgpr_count 6
		.amdhsa_user_sgpr_private_segment_buffer 1
		.amdhsa_user_sgpr_dispatch_ptr 0
		.amdhsa_user_sgpr_queue_ptr 0
		.amdhsa_user_sgpr_kernarg_segment_ptr 1
		.amdhsa_user_sgpr_dispatch_id 0
		.amdhsa_user_sgpr_flat_scratch_init 0
		.amdhsa_user_sgpr_private_segment_size 0
		.amdhsa_uses_dynamic_stack 0
		.amdhsa_system_sgpr_private_segment_wavefront_offset 0
		.amdhsa_system_sgpr_workgroup_id_x 1
		.amdhsa_system_sgpr_workgroup_id_y 0
		.amdhsa_system_sgpr_workgroup_id_z 0
		.amdhsa_system_sgpr_workgroup_info 0
		.amdhsa_system_vgpr_workitem_id 0
		.amdhsa_next_free_vgpr 1
		.amdhsa_next_free_sgpr 0
		.amdhsa_reserve_vcc 0
		.amdhsa_reserve_flat_scratch 0
		.amdhsa_float_round_mode_32 0
		.amdhsa_float_round_mode_16_64 0
		.amdhsa_float_denorm_mode_32 3
		.amdhsa_float_denorm_mode_16_64 3
		.amdhsa_dx10_clamp 1
		.amdhsa_ieee_mode 1
		.amdhsa_fp16_overflow 0
		.amdhsa_exception_fp_ieee_invalid_op 0
		.amdhsa_exception_fp_denorm_src 0
		.amdhsa_exception_fp_ieee_div_zero 0
		.amdhsa_exception_fp_ieee_overflow 0
		.amdhsa_exception_fp_ieee_underflow 0
		.amdhsa_exception_fp_ieee_inexact 0
		.amdhsa_exception_int_div_zero 0
	.end_amdhsa_kernel
	.section	.text._ZN7rocprim17ROCPRIM_400000_NS6detail17trampoline_kernelINS0_14default_configENS1_27lower_bound_config_selectorIxlEEZNS1_14transform_implILb0ES3_S5_N6thrust23THRUST_200600_302600_NS6detail15normal_iteratorINS8_7pointerIxNS8_11hip_rocprim5par_tENS8_11use_defaultESE_EEEENSA_INSB_IlSD_SE_SE_EEEEZNS1_13binary_searchIS3_S5_NSA_INS8_10device_ptrIxEEEESG_SI_NS1_21lower_bound_search_opENS9_16wrapped_functionINS8_6system6detail7generic6detail18binary_search_lessEbEEEE10hipError_tPvRmT1_T2_T3_mmT4_T5_P12ihipStream_tbEUlRKxE_EESV_SZ_S10_mS11_S14_bEUlT_E_NS1_11comp_targetILNS1_3genE5ELNS1_11target_archE942ELNS1_3gpuE9ELNS1_3repE0EEENS1_30default_config_static_selectorELNS0_4arch9wavefront6targetE1EEEvSY_,"axG",@progbits,_ZN7rocprim17ROCPRIM_400000_NS6detail17trampoline_kernelINS0_14default_configENS1_27lower_bound_config_selectorIxlEEZNS1_14transform_implILb0ES3_S5_N6thrust23THRUST_200600_302600_NS6detail15normal_iteratorINS8_7pointerIxNS8_11hip_rocprim5par_tENS8_11use_defaultESE_EEEENSA_INSB_IlSD_SE_SE_EEEEZNS1_13binary_searchIS3_S5_NSA_INS8_10device_ptrIxEEEESG_SI_NS1_21lower_bound_search_opENS9_16wrapped_functionINS8_6system6detail7generic6detail18binary_search_lessEbEEEE10hipError_tPvRmT1_T2_T3_mmT4_T5_P12ihipStream_tbEUlRKxE_EESV_SZ_S10_mS11_S14_bEUlT_E_NS1_11comp_targetILNS1_3genE5ELNS1_11target_archE942ELNS1_3gpuE9ELNS1_3repE0EEENS1_30default_config_static_selectorELNS0_4arch9wavefront6targetE1EEEvSY_,comdat
.Lfunc_end386:
	.size	_ZN7rocprim17ROCPRIM_400000_NS6detail17trampoline_kernelINS0_14default_configENS1_27lower_bound_config_selectorIxlEEZNS1_14transform_implILb0ES3_S5_N6thrust23THRUST_200600_302600_NS6detail15normal_iteratorINS8_7pointerIxNS8_11hip_rocprim5par_tENS8_11use_defaultESE_EEEENSA_INSB_IlSD_SE_SE_EEEEZNS1_13binary_searchIS3_S5_NSA_INS8_10device_ptrIxEEEESG_SI_NS1_21lower_bound_search_opENS9_16wrapped_functionINS8_6system6detail7generic6detail18binary_search_lessEbEEEE10hipError_tPvRmT1_T2_T3_mmT4_T5_P12ihipStream_tbEUlRKxE_EESV_SZ_S10_mS11_S14_bEUlT_E_NS1_11comp_targetILNS1_3genE5ELNS1_11target_archE942ELNS1_3gpuE9ELNS1_3repE0EEENS1_30default_config_static_selectorELNS0_4arch9wavefront6targetE1EEEvSY_, .Lfunc_end386-_ZN7rocprim17ROCPRIM_400000_NS6detail17trampoline_kernelINS0_14default_configENS1_27lower_bound_config_selectorIxlEEZNS1_14transform_implILb0ES3_S5_N6thrust23THRUST_200600_302600_NS6detail15normal_iteratorINS8_7pointerIxNS8_11hip_rocprim5par_tENS8_11use_defaultESE_EEEENSA_INSB_IlSD_SE_SE_EEEEZNS1_13binary_searchIS3_S5_NSA_INS8_10device_ptrIxEEEESG_SI_NS1_21lower_bound_search_opENS9_16wrapped_functionINS8_6system6detail7generic6detail18binary_search_lessEbEEEE10hipError_tPvRmT1_T2_T3_mmT4_T5_P12ihipStream_tbEUlRKxE_EESV_SZ_S10_mS11_S14_bEUlT_E_NS1_11comp_targetILNS1_3genE5ELNS1_11target_archE942ELNS1_3gpuE9ELNS1_3repE0EEENS1_30default_config_static_selectorELNS0_4arch9wavefront6targetE1EEEvSY_
                                        ; -- End function
	.set _ZN7rocprim17ROCPRIM_400000_NS6detail17trampoline_kernelINS0_14default_configENS1_27lower_bound_config_selectorIxlEEZNS1_14transform_implILb0ES3_S5_N6thrust23THRUST_200600_302600_NS6detail15normal_iteratorINS8_7pointerIxNS8_11hip_rocprim5par_tENS8_11use_defaultESE_EEEENSA_INSB_IlSD_SE_SE_EEEEZNS1_13binary_searchIS3_S5_NSA_INS8_10device_ptrIxEEEESG_SI_NS1_21lower_bound_search_opENS9_16wrapped_functionINS8_6system6detail7generic6detail18binary_search_lessEbEEEE10hipError_tPvRmT1_T2_T3_mmT4_T5_P12ihipStream_tbEUlRKxE_EESV_SZ_S10_mS11_S14_bEUlT_E_NS1_11comp_targetILNS1_3genE5ELNS1_11target_archE942ELNS1_3gpuE9ELNS1_3repE0EEENS1_30default_config_static_selectorELNS0_4arch9wavefront6targetE1EEEvSY_.num_vgpr, 0
	.set _ZN7rocprim17ROCPRIM_400000_NS6detail17trampoline_kernelINS0_14default_configENS1_27lower_bound_config_selectorIxlEEZNS1_14transform_implILb0ES3_S5_N6thrust23THRUST_200600_302600_NS6detail15normal_iteratorINS8_7pointerIxNS8_11hip_rocprim5par_tENS8_11use_defaultESE_EEEENSA_INSB_IlSD_SE_SE_EEEEZNS1_13binary_searchIS3_S5_NSA_INS8_10device_ptrIxEEEESG_SI_NS1_21lower_bound_search_opENS9_16wrapped_functionINS8_6system6detail7generic6detail18binary_search_lessEbEEEE10hipError_tPvRmT1_T2_T3_mmT4_T5_P12ihipStream_tbEUlRKxE_EESV_SZ_S10_mS11_S14_bEUlT_E_NS1_11comp_targetILNS1_3genE5ELNS1_11target_archE942ELNS1_3gpuE9ELNS1_3repE0EEENS1_30default_config_static_selectorELNS0_4arch9wavefront6targetE1EEEvSY_.num_agpr, 0
	.set _ZN7rocprim17ROCPRIM_400000_NS6detail17trampoline_kernelINS0_14default_configENS1_27lower_bound_config_selectorIxlEEZNS1_14transform_implILb0ES3_S5_N6thrust23THRUST_200600_302600_NS6detail15normal_iteratorINS8_7pointerIxNS8_11hip_rocprim5par_tENS8_11use_defaultESE_EEEENSA_INSB_IlSD_SE_SE_EEEEZNS1_13binary_searchIS3_S5_NSA_INS8_10device_ptrIxEEEESG_SI_NS1_21lower_bound_search_opENS9_16wrapped_functionINS8_6system6detail7generic6detail18binary_search_lessEbEEEE10hipError_tPvRmT1_T2_T3_mmT4_T5_P12ihipStream_tbEUlRKxE_EESV_SZ_S10_mS11_S14_bEUlT_E_NS1_11comp_targetILNS1_3genE5ELNS1_11target_archE942ELNS1_3gpuE9ELNS1_3repE0EEENS1_30default_config_static_selectorELNS0_4arch9wavefront6targetE1EEEvSY_.numbered_sgpr, 0
	.set _ZN7rocprim17ROCPRIM_400000_NS6detail17trampoline_kernelINS0_14default_configENS1_27lower_bound_config_selectorIxlEEZNS1_14transform_implILb0ES3_S5_N6thrust23THRUST_200600_302600_NS6detail15normal_iteratorINS8_7pointerIxNS8_11hip_rocprim5par_tENS8_11use_defaultESE_EEEENSA_INSB_IlSD_SE_SE_EEEEZNS1_13binary_searchIS3_S5_NSA_INS8_10device_ptrIxEEEESG_SI_NS1_21lower_bound_search_opENS9_16wrapped_functionINS8_6system6detail7generic6detail18binary_search_lessEbEEEE10hipError_tPvRmT1_T2_T3_mmT4_T5_P12ihipStream_tbEUlRKxE_EESV_SZ_S10_mS11_S14_bEUlT_E_NS1_11comp_targetILNS1_3genE5ELNS1_11target_archE942ELNS1_3gpuE9ELNS1_3repE0EEENS1_30default_config_static_selectorELNS0_4arch9wavefront6targetE1EEEvSY_.num_named_barrier, 0
	.set _ZN7rocprim17ROCPRIM_400000_NS6detail17trampoline_kernelINS0_14default_configENS1_27lower_bound_config_selectorIxlEEZNS1_14transform_implILb0ES3_S5_N6thrust23THRUST_200600_302600_NS6detail15normal_iteratorINS8_7pointerIxNS8_11hip_rocprim5par_tENS8_11use_defaultESE_EEEENSA_INSB_IlSD_SE_SE_EEEEZNS1_13binary_searchIS3_S5_NSA_INS8_10device_ptrIxEEEESG_SI_NS1_21lower_bound_search_opENS9_16wrapped_functionINS8_6system6detail7generic6detail18binary_search_lessEbEEEE10hipError_tPvRmT1_T2_T3_mmT4_T5_P12ihipStream_tbEUlRKxE_EESV_SZ_S10_mS11_S14_bEUlT_E_NS1_11comp_targetILNS1_3genE5ELNS1_11target_archE942ELNS1_3gpuE9ELNS1_3repE0EEENS1_30default_config_static_selectorELNS0_4arch9wavefront6targetE1EEEvSY_.private_seg_size, 0
	.set _ZN7rocprim17ROCPRIM_400000_NS6detail17trampoline_kernelINS0_14default_configENS1_27lower_bound_config_selectorIxlEEZNS1_14transform_implILb0ES3_S5_N6thrust23THRUST_200600_302600_NS6detail15normal_iteratorINS8_7pointerIxNS8_11hip_rocprim5par_tENS8_11use_defaultESE_EEEENSA_INSB_IlSD_SE_SE_EEEEZNS1_13binary_searchIS3_S5_NSA_INS8_10device_ptrIxEEEESG_SI_NS1_21lower_bound_search_opENS9_16wrapped_functionINS8_6system6detail7generic6detail18binary_search_lessEbEEEE10hipError_tPvRmT1_T2_T3_mmT4_T5_P12ihipStream_tbEUlRKxE_EESV_SZ_S10_mS11_S14_bEUlT_E_NS1_11comp_targetILNS1_3genE5ELNS1_11target_archE942ELNS1_3gpuE9ELNS1_3repE0EEENS1_30default_config_static_selectorELNS0_4arch9wavefront6targetE1EEEvSY_.uses_vcc, 0
	.set _ZN7rocprim17ROCPRIM_400000_NS6detail17trampoline_kernelINS0_14default_configENS1_27lower_bound_config_selectorIxlEEZNS1_14transform_implILb0ES3_S5_N6thrust23THRUST_200600_302600_NS6detail15normal_iteratorINS8_7pointerIxNS8_11hip_rocprim5par_tENS8_11use_defaultESE_EEEENSA_INSB_IlSD_SE_SE_EEEEZNS1_13binary_searchIS3_S5_NSA_INS8_10device_ptrIxEEEESG_SI_NS1_21lower_bound_search_opENS9_16wrapped_functionINS8_6system6detail7generic6detail18binary_search_lessEbEEEE10hipError_tPvRmT1_T2_T3_mmT4_T5_P12ihipStream_tbEUlRKxE_EESV_SZ_S10_mS11_S14_bEUlT_E_NS1_11comp_targetILNS1_3genE5ELNS1_11target_archE942ELNS1_3gpuE9ELNS1_3repE0EEENS1_30default_config_static_selectorELNS0_4arch9wavefront6targetE1EEEvSY_.uses_flat_scratch, 0
	.set _ZN7rocprim17ROCPRIM_400000_NS6detail17trampoline_kernelINS0_14default_configENS1_27lower_bound_config_selectorIxlEEZNS1_14transform_implILb0ES3_S5_N6thrust23THRUST_200600_302600_NS6detail15normal_iteratorINS8_7pointerIxNS8_11hip_rocprim5par_tENS8_11use_defaultESE_EEEENSA_INSB_IlSD_SE_SE_EEEEZNS1_13binary_searchIS3_S5_NSA_INS8_10device_ptrIxEEEESG_SI_NS1_21lower_bound_search_opENS9_16wrapped_functionINS8_6system6detail7generic6detail18binary_search_lessEbEEEE10hipError_tPvRmT1_T2_T3_mmT4_T5_P12ihipStream_tbEUlRKxE_EESV_SZ_S10_mS11_S14_bEUlT_E_NS1_11comp_targetILNS1_3genE5ELNS1_11target_archE942ELNS1_3gpuE9ELNS1_3repE0EEENS1_30default_config_static_selectorELNS0_4arch9wavefront6targetE1EEEvSY_.has_dyn_sized_stack, 0
	.set _ZN7rocprim17ROCPRIM_400000_NS6detail17trampoline_kernelINS0_14default_configENS1_27lower_bound_config_selectorIxlEEZNS1_14transform_implILb0ES3_S5_N6thrust23THRUST_200600_302600_NS6detail15normal_iteratorINS8_7pointerIxNS8_11hip_rocprim5par_tENS8_11use_defaultESE_EEEENSA_INSB_IlSD_SE_SE_EEEEZNS1_13binary_searchIS3_S5_NSA_INS8_10device_ptrIxEEEESG_SI_NS1_21lower_bound_search_opENS9_16wrapped_functionINS8_6system6detail7generic6detail18binary_search_lessEbEEEE10hipError_tPvRmT1_T2_T3_mmT4_T5_P12ihipStream_tbEUlRKxE_EESV_SZ_S10_mS11_S14_bEUlT_E_NS1_11comp_targetILNS1_3genE5ELNS1_11target_archE942ELNS1_3gpuE9ELNS1_3repE0EEENS1_30default_config_static_selectorELNS0_4arch9wavefront6targetE1EEEvSY_.has_recursion, 0
	.set _ZN7rocprim17ROCPRIM_400000_NS6detail17trampoline_kernelINS0_14default_configENS1_27lower_bound_config_selectorIxlEEZNS1_14transform_implILb0ES3_S5_N6thrust23THRUST_200600_302600_NS6detail15normal_iteratorINS8_7pointerIxNS8_11hip_rocprim5par_tENS8_11use_defaultESE_EEEENSA_INSB_IlSD_SE_SE_EEEEZNS1_13binary_searchIS3_S5_NSA_INS8_10device_ptrIxEEEESG_SI_NS1_21lower_bound_search_opENS9_16wrapped_functionINS8_6system6detail7generic6detail18binary_search_lessEbEEEE10hipError_tPvRmT1_T2_T3_mmT4_T5_P12ihipStream_tbEUlRKxE_EESV_SZ_S10_mS11_S14_bEUlT_E_NS1_11comp_targetILNS1_3genE5ELNS1_11target_archE942ELNS1_3gpuE9ELNS1_3repE0EEENS1_30default_config_static_selectorELNS0_4arch9wavefront6targetE1EEEvSY_.has_indirect_call, 0
	.section	.AMDGPU.csdata,"",@progbits
; Kernel info:
; codeLenInByte = 0
; TotalNumSgprs: 4
; NumVgprs: 0
; ScratchSize: 0
; MemoryBound: 0
; FloatMode: 240
; IeeeMode: 1
; LDSByteSize: 0 bytes/workgroup (compile time only)
; SGPRBlocks: 0
; VGPRBlocks: 0
; NumSGPRsForWavesPerEU: 4
; NumVGPRsForWavesPerEU: 1
; Occupancy: 10
; WaveLimiterHint : 0
; COMPUTE_PGM_RSRC2:SCRATCH_EN: 0
; COMPUTE_PGM_RSRC2:USER_SGPR: 6
; COMPUTE_PGM_RSRC2:TRAP_HANDLER: 0
; COMPUTE_PGM_RSRC2:TGID_X_EN: 1
; COMPUTE_PGM_RSRC2:TGID_Y_EN: 0
; COMPUTE_PGM_RSRC2:TGID_Z_EN: 0
; COMPUTE_PGM_RSRC2:TIDIG_COMP_CNT: 0
	.section	.text._ZN7rocprim17ROCPRIM_400000_NS6detail17trampoline_kernelINS0_14default_configENS1_27lower_bound_config_selectorIxlEEZNS1_14transform_implILb0ES3_S5_N6thrust23THRUST_200600_302600_NS6detail15normal_iteratorINS8_7pointerIxNS8_11hip_rocprim5par_tENS8_11use_defaultESE_EEEENSA_INSB_IlSD_SE_SE_EEEEZNS1_13binary_searchIS3_S5_NSA_INS8_10device_ptrIxEEEESG_SI_NS1_21lower_bound_search_opENS9_16wrapped_functionINS8_6system6detail7generic6detail18binary_search_lessEbEEEE10hipError_tPvRmT1_T2_T3_mmT4_T5_P12ihipStream_tbEUlRKxE_EESV_SZ_S10_mS11_S14_bEUlT_E_NS1_11comp_targetILNS1_3genE4ELNS1_11target_archE910ELNS1_3gpuE8ELNS1_3repE0EEENS1_30default_config_static_selectorELNS0_4arch9wavefront6targetE1EEEvSY_,"axG",@progbits,_ZN7rocprim17ROCPRIM_400000_NS6detail17trampoline_kernelINS0_14default_configENS1_27lower_bound_config_selectorIxlEEZNS1_14transform_implILb0ES3_S5_N6thrust23THRUST_200600_302600_NS6detail15normal_iteratorINS8_7pointerIxNS8_11hip_rocprim5par_tENS8_11use_defaultESE_EEEENSA_INSB_IlSD_SE_SE_EEEEZNS1_13binary_searchIS3_S5_NSA_INS8_10device_ptrIxEEEESG_SI_NS1_21lower_bound_search_opENS9_16wrapped_functionINS8_6system6detail7generic6detail18binary_search_lessEbEEEE10hipError_tPvRmT1_T2_T3_mmT4_T5_P12ihipStream_tbEUlRKxE_EESV_SZ_S10_mS11_S14_bEUlT_E_NS1_11comp_targetILNS1_3genE4ELNS1_11target_archE910ELNS1_3gpuE8ELNS1_3repE0EEENS1_30default_config_static_selectorELNS0_4arch9wavefront6targetE1EEEvSY_,comdat
	.protected	_ZN7rocprim17ROCPRIM_400000_NS6detail17trampoline_kernelINS0_14default_configENS1_27lower_bound_config_selectorIxlEEZNS1_14transform_implILb0ES3_S5_N6thrust23THRUST_200600_302600_NS6detail15normal_iteratorINS8_7pointerIxNS8_11hip_rocprim5par_tENS8_11use_defaultESE_EEEENSA_INSB_IlSD_SE_SE_EEEEZNS1_13binary_searchIS3_S5_NSA_INS8_10device_ptrIxEEEESG_SI_NS1_21lower_bound_search_opENS9_16wrapped_functionINS8_6system6detail7generic6detail18binary_search_lessEbEEEE10hipError_tPvRmT1_T2_T3_mmT4_T5_P12ihipStream_tbEUlRKxE_EESV_SZ_S10_mS11_S14_bEUlT_E_NS1_11comp_targetILNS1_3genE4ELNS1_11target_archE910ELNS1_3gpuE8ELNS1_3repE0EEENS1_30default_config_static_selectorELNS0_4arch9wavefront6targetE1EEEvSY_ ; -- Begin function _ZN7rocprim17ROCPRIM_400000_NS6detail17trampoline_kernelINS0_14default_configENS1_27lower_bound_config_selectorIxlEEZNS1_14transform_implILb0ES3_S5_N6thrust23THRUST_200600_302600_NS6detail15normal_iteratorINS8_7pointerIxNS8_11hip_rocprim5par_tENS8_11use_defaultESE_EEEENSA_INSB_IlSD_SE_SE_EEEEZNS1_13binary_searchIS3_S5_NSA_INS8_10device_ptrIxEEEESG_SI_NS1_21lower_bound_search_opENS9_16wrapped_functionINS8_6system6detail7generic6detail18binary_search_lessEbEEEE10hipError_tPvRmT1_T2_T3_mmT4_T5_P12ihipStream_tbEUlRKxE_EESV_SZ_S10_mS11_S14_bEUlT_E_NS1_11comp_targetILNS1_3genE4ELNS1_11target_archE910ELNS1_3gpuE8ELNS1_3repE0EEENS1_30default_config_static_selectorELNS0_4arch9wavefront6targetE1EEEvSY_
	.globl	_ZN7rocprim17ROCPRIM_400000_NS6detail17trampoline_kernelINS0_14default_configENS1_27lower_bound_config_selectorIxlEEZNS1_14transform_implILb0ES3_S5_N6thrust23THRUST_200600_302600_NS6detail15normal_iteratorINS8_7pointerIxNS8_11hip_rocprim5par_tENS8_11use_defaultESE_EEEENSA_INSB_IlSD_SE_SE_EEEEZNS1_13binary_searchIS3_S5_NSA_INS8_10device_ptrIxEEEESG_SI_NS1_21lower_bound_search_opENS9_16wrapped_functionINS8_6system6detail7generic6detail18binary_search_lessEbEEEE10hipError_tPvRmT1_T2_T3_mmT4_T5_P12ihipStream_tbEUlRKxE_EESV_SZ_S10_mS11_S14_bEUlT_E_NS1_11comp_targetILNS1_3genE4ELNS1_11target_archE910ELNS1_3gpuE8ELNS1_3repE0EEENS1_30default_config_static_selectorELNS0_4arch9wavefront6targetE1EEEvSY_
	.p2align	8
	.type	_ZN7rocprim17ROCPRIM_400000_NS6detail17trampoline_kernelINS0_14default_configENS1_27lower_bound_config_selectorIxlEEZNS1_14transform_implILb0ES3_S5_N6thrust23THRUST_200600_302600_NS6detail15normal_iteratorINS8_7pointerIxNS8_11hip_rocprim5par_tENS8_11use_defaultESE_EEEENSA_INSB_IlSD_SE_SE_EEEEZNS1_13binary_searchIS3_S5_NSA_INS8_10device_ptrIxEEEESG_SI_NS1_21lower_bound_search_opENS9_16wrapped_functionINS8_6system6detail7generic6detail18binary_search_lessEbEEEE10hipError_tPvRmT1_T2_T3_mmT4_T5_P12ihipStream_tbEUlRKxE_EESV_SZ_S10_mS11_S14_bEUlT_E_NS1_11comp_targetILNS1_3genE4ELNS1_11target_archE910ELNS1_3gpuE8ELNS1_3repE0EEENS1_30default_config_static_selectorELNS0_4arch9wavefront6targetE1EEEvSY_,@function
_ZN7rocprim17ROCPRIM_400000_NS6detail17trampoline_kernelINS0_14default_configENS1_27lower_bound_config_selectorIxlEEZNS1_14transform_implILb0ES3_S5_N6thrust23THRUST_200600_302600_NS6detail15normal_iteratorINS8_7pointerIxNS8_11hip_rocprim5par_tENS8_11use_defaultESE_EEEENSA_INSB_IlSD_SE_SE_EEEEZNS1_13binary_searchIS3_S5_NSA_INS8_10device_ptrIxEEEESG_SI_NS1_21lower_bound_search_opENS9_16wrapped_functionINS8_6system6detail7generic6detail18binary_search_lessEbEEEE10hipError_tPvRmT1_T2_T3_mmT4_T5_P12ihipStream_tbEUlRKxE_EESV_SZ_S10_mS11_S14_bEUlT_E_NS1_11comp_targetILNS1_3genE4ELNS1_11target_archE910ELNS1_3gpuE8ELNS1_3repE0EEENS1_30default_config_static_selectorELNS0_4arch9wavefront6targetE1EEEvSY_: ; @_ZN7rocprim17ROCPRIM_400000_NS6detail17trampoline_kernelINS0_14default_configENS1_27lower_bound_config_selectorIxlEEZNS1_14transform_implILb0ES3_S5_N6thrust23THRUST_200600_302600_NS6detail15normal_iteratorINS8_7pointerIxNS8_11hip_rocprim5par_tENS8_11use_defaultESE_EEEENSA_INSB_IlSD_SE_SE_EEEEZNS1_13binary_searchIS3_S5_NSA_INS8_10device_ptrIxEEEESG_SI_NS1_21lower_bound_search_opENS9_16wrapped_functionINS8_6system6detail7generic6detail18binary_search_lessEbEEEE10hipError_tPvRmT1_T2_T3_mmT4_T5_P12ihipStream_tbEUlRKxE_EESV_SZ_S10_mS11_S14_bEUlT_E_NS1_11comp_targetILNS1_3genE4ELNS1_11target_archE910ELNS1_3gpuE8ELNS1_3repE0EEENS1_30default_config_static_selectorELNS0_4arch9wavefront6targetE1EEEvSY_
; %bb.0:
	.section	.rodata,"a",@progbits
	.p2align	6, 0x0
	.amdhsa_kernel _ZN7rocprim17ROCPRIM_400000_NS6detail17trampoline_kernelINS0_14default_configENS1_27lower_bound_config_selectorIxlEEZNS1_14transform_implILb0ES3_S5_N6thrust23THRUST_200600_302600_NS6detail15normal_iteratorINS8_7pointerIxNS8_11hip_rocprim5par_tENS8_11use_defaultESE_EEEENSA_INSB_IlSD_SE_SE_EEEEZNS1_13binary_searchIS3_S5_NSA_INS8_10device_ptrIxEEEESG_SI_NS1_21lower_bound_search_opENS9_16wrapped_functionINS8_6system6detail7generic6detail18binary_search_lessEbEEEE10hipError_tPvRmT1_T2_T3_mmT4_T5_P12ihipStream_tbEUlRKxE_EESV_SZ_S10_mS11_S14_bEUlT_E_NS1_11comp_targetILNS1_3genE4ELNS1_11target_archE910ELNS1_3gpuE8ELNS1_3repE0EEENS1_30default_config_static_selectorELNS0_4arch9wavefront6targetE1EEEvSY_
		.amdhsa_group_segment_fixed_size 0
		.amdhsa_private_segment_fixed_size 0
		.amdhsa_kernarg_size 56
		.amdhsa_user_sgpr_count 6
		.amdhsa_user_sgpr_private_segment_buffer 1
		.amdhsa_user_sgpr_dispatch_ptr 0
		.amdhsa_user_sgpr_queue_ptr 0
		.amdhsa_user_sgpr_kernarg_segment_ptr 1
		.amdhsa_user_sgpr_dispatch_id 0
		.amdhsa_user_sgpr_flat_scratch_init 0
		.amdhsa_user_sgpr_private_segment_size 0
		.amdhsa_uses_dynamic_stack 0
		.amdhsa_system_sgpr_private_segment_wavefront_offset 0
		.amdhsa_system_sgpr_workgroup_id_x 1
		.amdhsa_system_sgpr_workgroup_id_y 0
		.amdhsa_system_sgpr_workgroup_id_z 0
		.amdhsa_system_sgpr_workgroup_info 0
		.amdhsa_system_vgpr_workitem_id 0
		.amdhsa_next_free_vgpr 1
		.amdhsa_next_free_sgpr 0
		.amdhsa_reserve_vcc 0
		.amdhsa_reserve_flat_scratch 0
		.amdhsa_float_round_mode_32 0
		.amdhsa_float_round_mode_16_64 0
		.amdhsa_float_denorm_mode_32 3
		.amdhsa_float_denorm_mode_16_64 3
		.amdhsa_dx10_clamp 1
		.amdhsa_ieee_mode 1
		.amdhsa_fp16_overflow 0
		.amdhsa_exception_fp_ieee_invalid_op 0
		.amdhsa_exception_fp_denorm_src 0
		.amdhsa_exception_fp_ieee_div_zero 0
		.amdhsa_exception_fp_ieee_overflow 0
		.amdhsa_exception_fp_ieee_underflow 0
		.amdhsa_exception_fp_ieee_inexact 0
		.amdhsa_exception_int_div_zero 0
	.end_amdhsa_kernel
	.section	.text._ZN7rocprim17ROCPRIM_400000_NS6detail17trampoline_kernelINS0_14default_configENS1_27lower_bound_config_selectorIxlEEZNS1_14transform_implILb0ES3_S5_N6thrust23THRUST_200600_302600_NS6detail15normal_iteratorINS8_7pointerIxNS8_11hip_rocprim5par_tENS8_11use_defaultESE_EEEENSA_INSB_IlSD_SE_SE_EEEEZNS1_13binary_searchIS3_S5_NSA_INS8_10device_ptrIxEEEESG_SI_NS1_21lower_bound_search_opENS9_16wrapped_functionINS8_6system6detail7generic6detail18binary_search_lessEbEEEE10hipError_tPvRmT1_T2_T3_mmT4_T5_P12ihipStream_tbEUlRKxE_EESV_SZ_S10_mS11_S14_bEUlT_E_NS1_11comp_targetILNS1_3genE4ELNS1_11target_archE910ELNS1_3gpuE8ELNS1_3repE0EEENS1_30default_config_static_selectorELNS0_4arch9wavefront6targetE1EEEvSY_,"axG",@progbits,_ZN7rocprim17ROCPRIM_400000_NS6detail17trampoline_kernelINS0_14default_configENS1_27lower_bound_config_selectorIxlEEZNS1_14transform_implILb0ES3_S5_N6thrust23THRUST_200600_302600_NS6detail15normal_iteratorINS8_7pointerIxNS8_11hip_rocprim5par_tENS8_11use_defaultESE_EEEENSA_INSB_IlSD_SE_SE_EEEEZNS1_13binary_searchIS3_S5_NSA_INS8_10device_ptrIxEEEESG_SI_NS1_21lower_bound_search_opENS9_16wrapped_functionINS8_6system6detail7generic6detail18binary_search_lessEbEEEE10hipError_tPvRmT1_T2_T3_mmT4_T5_P12ihipStream_tbEUlRKxE_EESV_SZ_S10_mS11_S14_bEUlT_E_NS1_11comp_targetILNS1_3genE4ELNS1_11target_archE910ELNS1_3gpuE8ELNS1_3repE0EEENS1_30default_config_static_selectorELNS0_4arch9wavefront6targetE1EEEvSY_,comdat
.Lfunc_end387:
	.size	_ZN7rocprim17ROCPRIM_400000_NS6detail17trampoline_kernelINS0_14default_configENS1_27lower_bound_config_selectorIxlEEZNS1_14transform_implILb0ES3_S5_N6thrust23THRUST_200600_302600_NS6detail15normal_iteratorINS8_7pointerIxNS8_11hip_rocprim5par_tENS8_11use_defaultESE_EEEENSA_INSB_IlSD_SE_SE_EEEEZNS1_13binary_searchIS3_S5_NSA_INS8_10device_ptrIxEEEESG_SI_NS1_21lower_bound_search_opENS9_16wrapped_functionINS8_6system6detail7generic6detail18binary_search_lessEbEEEE10hipError_tPvRmT1_T2_T3_mmT4_T5_P12ihipStream_tbEUlRKxE_EESV_SZ_S10_mS11_S14_bEUlT_E_NS1_11comp_targetILNS1_3genE4ELNS1_11target_archE910ELNS1_3gpuE8ELNS1_3repE0EEENS1_30default_config_static_selectorELNS0_4arch9wavefront6targetE1EEEvSY_, .Lfunc_end387-_ZN7rocprim17ROCPRIM_400000_NS6detail17trampoline_kernelINS0_14default_configENS1_27lower_bound_config_selectorIxlEEZNS1_14transform_implILb0ES3_S5_N6thrust23THRUST_200600_302600_NS6detail15normal_iteratorINS8_7pointerIxNS8_11hip_rocprim5par_tENS8_11use_defaultESE_EEEENSA_INSB_IlSD_SE_SE_EEEEZNS1_13binary_searchIS3_S5_NSA_INS8_10device_ptrIxEEEESG_SI_NS1_21lower_bound_search_opENS9_16wrapped_functionINS8_6system6detail7generic6detail18binary_search_lessEbEEEE10hipError_tPvRmT1_T2_T3_mmT4_T5_P12ihipStream_tbEUlRKxE_EESV_SZ_S10_mS11_S14_bEUlT_E_NS1_11comp_targetILNS1_3genE4ELNS1_11target_archE910ELNS1_3gpuE8ELNS1_3repE0EEENS1_30default_config_static_selectorELNS0_4arch9wavefront6targetE1EEEvSY_
                                        ; -- End function
	.set _ZN7rocprim17ROCPRIM_400000_NS6detail17trampoline_kernelINS0_14default_configENS1_27lower_bound_config_selectorIxlEEZNS1_14transform_implILb0ES3_S5_N6thrust23THRUST_200600_302600_NS6detail15normal_iteratorINS8_7pointerIxNS8_11hip_rocprim5par_tENS8_11use_defaultESE_EEEENSA_INSB_IlSD_SE_SE_EEEEZNS1_13binary_searchIS3_S5_NSA_INS8_10device_ptrIxEEEESG_SI_NS1_21lower_bound_search_opENS9_16wrapped_functionINS8_6system6detail7generic6detail18binary_search_lessEbEEEE10hipError_tPvRmT1_T2_T3_mmT4_T5_P12ihipStream_tbEUlRKxE_EESV_SZ_S10_mS11_S14_bEUlT_E_NS1_11comp_targetILNS1_3genE4ELNS1_11target_archE910ELNS1_3gpuE8ELNS1_3repE0EEENS1_30default_config_static_selectorELNS0_4arch9wavefront6targetE1EEEvSY_.num_vgpr, 0
	.set _ZN7rocprim17ROCPRIM_400000_NS6detail17trampoline_kernelINS0_14default_configENS1_27lower_bound_config_selectorIxlEEZNS1_14transform_implILb0ES3_S5_N6thrust23THRUST_200600_302600_NS6detail15normal_iteratorINS8_7pointerIxNS8_11hip_rocprim5par_tENS8_11use_defaultESE_EEEENSA_INSB_IlSD_SE_SE_EEEEZNS1_13binary_searchIS3_S5_NSA_INS8_10device_ptrIxEEEESG_SI_NS1_21lower_bound_search_opENS9_16wrapped_functionINS8_6system6detail7generic6detail18binary_search_lessEbEEEE10hipError_tPvRmT1_T2_T3_mmT4_T5_P12ihipStream_tbEUlRKxE_EESV_SZ_S10_mS11_S14_bEUlT_E_NS1_11comp_targetILNS1_3genE4ELNS1_11target_archE910ELNS1_3gpuE8ELNS1_3repE0EEENS1_30default_config_static_selectorELNS0_4arch9wavefront6targetE1EEEvSY_.num_agpr, 0
	.set _ZN7rocprim17ROCPRIM_400000_NS6detail17trampoline_kernelINS0_14default_configENS1_27lower_bound_config_selectorIxlEEZNS1_14transform_implILb0ES3_S5_N6thrust23THRUST_200600_302600_NS6detail15normal_iteratorINS8_7pointerIxNS8_11hip_rocprim5par_tENS8_11use_defaultESE_EEEENSA_INSB_IlSD_SE_SE_EEEEZNS1_13binary_searchIS3_S5_NSA_INS8_10device_ptrIxEEEESG_SI_NS1_21lower_bound_search_opENS9_16wrapped_functionINS8_6system6detail7generic6detail18binary_search_lessEbEEEE10hipError_tPvRmT1_T2_T3_mmT4_T5_P12ihipStream_tbEUlRKxE_EESV_SZ_S10_mS11_S14_bEUlT_E_NS1_11comp_targetILNS1_3genE4ELNS1_11target_archE910ELNS1_3gpuE8ELNS1_3repE0EEENS1_30default_config_static_selectorELNS0_4arch9wavefront6targetE1EEEvSY_.numbered_sgpr, 0
	.set _ZN7rocprim17ROCPRIM_400000_NS6detail17trampoline_kernelINS0_14default_configENS1_27lower_bound_config_selectorIxlEEZNS1_14transform_implILb0ES3_S5_N6thrust23THRUST_200600_302600_NS6detail15normal_iteratorINS8_7pointerIxNS8_11hip_rocprim5par_tENS8_11use_defaultESE_EEEENSA_INSB_IlSD_SE_SE_EEEEZNS1_13binary_searchIS3_S5_NSA_INS8_10device_ptrIxEEEESG_SI_NS1_21lower_bound_search_opENS9_16wrapped_functionINS8_6system6detail7generic6detail18binary_search_lessEbEEEE10hipError_tPvRmT1_T2_T3_mmT4_T5_P12ihipStream_tbEUlRKxE_EESV_SZ_S10_mS11_S14_bEUlT_E_NS1_11comp_targetILNS1_3genE4ELNS1_11target_archE910ELNS1_3gpuE8ELNS1_3repE0EEENS1_30default_config_static_selectorELNS0_4arch9wavefront6targetE1EEEvSY_.num_named_barrier, 0
	.set _ZN7rocprim17ROCPRIM_400000_NS6detail17trampoline_kernelINS0_14default_configENS1_27lower_bound_config_selectorIxlEEZNS1_14transform_implILb0ES3_S5_N6thrust23THRUST_200600_302600_NS6detail15normal_iteratorINS8_7pointerIxNS8_11hip_rocprim5par_tENS8_11use_defaultESE_EEEENSA_INSB_IlSD_SE_SE_EEEEZNS1_13binary_searchIS3_S5_NSA_INS8_10device_ptrIxEEEESG_SI_NS1_21lower_bound_search_opENS9_16wrapped_functionINS8_6system6detail7generic6detail18binary_search_lessEbEEEE10hipError_tPvRmT1_T2_T3_mmT4_T5_P12ihipStream_tbEUlRKxE_EESV_SZ_S10_mS11_S14_bEUlT_E_NS1_11comp_targetILNS1_3genE4ELNS1_11target_archE910ELNS1_3gpuE8ELNS1_3repE0EEENS1_30default_config_static_selectorELNS0_4arch9wavefront6targetE1EEEvSY_.private_seg_size, 0
	.set _ZN7rocprim17ROCPRIM_400000_NS6detail17trampoline_kernelINS0_14default_configENS1_27lower_bound_config_selectorIxlEEZNS1_14transform_implILb0ES3_S5_N6thrust23THRUST_200600_302600_NS6detail15normal_iteratorINS8_7pointerIxNS8_11hip_rocprim5par_tENS8_11use_defaultESE_EEEENSA_INSB_IlSD_SE_SE_EEEEZNS1_13binary_searchIS3_S5_NSA_INS8_10device_ptrIxEEEESG_SI_NS1_21lower_bound_search_opENS9_16wrapped_functionINS8_6system6detail7generic6detail18binary_search_lessEbEEEE10hipError_tPvRmT1_T2_T3_mmT4_T5_P12ihipStream_tbEUlRKxE_EESV_SZ_S10_mS11_S14_bEUlT_E_NS1_11comp_targetILNS1_3genE4ELNS1_11target_archE910ELNS1_3gpuE8ELNS1_3repE0EEENS1_30default_config_static_selectorELNS0_4arch9wavefront6targetE1EEEvSY_.uses_vcc, 0
	.set _ZN7rocprim17ROCPRIM_400000_NS6detail17trampoline_kernelINS0_14default_configENS1_27lower_bound_config_selectorIxlEEZNS1_14transform_implILb0ES3_S5_N6thrust23THRUST_200600_302600_NS6detail15normal_iteratorINS8_7pointerIxNS8_11hip_rocprim5par_tENS8_11use_defaultESE_EEEENSA_INSB_IlSD_SE_SE_EEEEZNS1_13binary_searchIS3_S5_NSA_INS8_10device_ptrIxEEEESG_SI_NS1_21lower_bound_search_opENS9_16wrapped_functionINS8_6system6detail7generic6detail18binary_search_lessEbEEEE10hipError_tPvRmT1_T2_T3_mmT4_T5_P12ihipStream_tbEUlRKxE_EESV_SZ_S10_mS11_S14_bEUlT_E_NS1_11comp_targetILNS1_3genE4ELNS1_11target_archE910ELNS1_3gpuE8ELNS1_3repE0EEENS1_30default_config_static_selectorELNS0_4arch9wavefront6targetE1EEEvSY_.uses_flat_scratch, 0
	.set _ZN7rocprim17ROCPRIM_400000_NS6detail17trampoline_kernelINS0_14default_configENS1_27lower_bound_config_selectorIxlEEZNS1_14transform_implILb0ES3_S5_N6thrust23THRUST_200600_302600_NS6detail15normal_iteratorINS8_7pointerIxNS8_11hip_rocprim5par_tENS8_11use_defaultESE_EEEENSA_INSB_IlSD_SE_SE_EEEEZNS1_13binary_searchIS3_S5_NSA_INS8_10device_ptrIxEEEESG_SI_NS1_21lower_bound_search_opENS9_16wrapped_functionINS8_6system6detail7generic6detail18binary_search_lessEbEEEE10hipError_tPvRmT1_T2_T3_mmT4_T5_P12ihipStream_tbEUlRKxE_EESV_SZ_S10_mS11_S14_bEUlT_E_NS1_11comp_targetILNS1_3genE4ELNS1_11target_archE910ELNS1_3gpuE8ELNS1_3repE0EEENS1_30default_config_static_selectorELNS0_4arch9wavefront6targetE1EEEvSY_.has_dyn_sized_stack, 0
	.set _ZN7rocprim17ROCPRIM_400000_NS6detail17trampoline_kernelINS0_14default_configENS1_27lower_bound_config_selectorIxlEEZNS1_14transform_implILb0ES3_S5_N6thrust23THRUST_200600_302600_NS6detail15normal_iteratorINS8_7pointerIxNS8_11hip_rocprim5par_tENS8_11use_defaultESE_EEEENSA_INSB_IlSD_SE_SE_EEEEZNS1_13binary_searchIS3_S5_NSA_INS8_10device_ptrIxEEEESG_SI_NS1_21lower_bound_search_opENS9_16wrapped_functionINS8_6system6detail7generic6detail18binary_search_lessEbEEEE10hipError_tPvRmT1_T2_T3_mmT4_T5_P12ihipStream_tbEUlRKxE_EESV_SZ_S10_mS11_S14_bEUlT_E_NS1_11comp_targetILNS1_3genE4ELNS1_11target_archE910ELNS1_3gpuE8ELNS1_3repE0EEENS1_30default_config_static_selectorELNS0_4arch9wavefront6targetE1EEEvSY_.has_recursion, 0
	.set _ZN7rocprim17ROCPRIM_400000_NS6detail17trampoline_kernelINS0_14default_configENS1_27lower_bound_config_selectorIxlEEZNS1_14transform_implILb0ES3_S5_N6thrust23THRUST_200600_302600_NS6detail15normal_iteratorINS8_7pointerIxNS8_11hip_rocprim5par_tENS8_11use_defaultESE_EEEENSA_INSB_IlSD_SE_SE_EEEEZNS1_13binary_searchIS3_S5_NSA_INS8_10device_ptrIxEEEESG_SI_NS1_21lower_bound_search_opENS9_16wrapped_functionINS8_6system6detail7generic6detail18binary_search_lessEbEEEE10hipError_tPvRmT1_T2_T3_mmT4_T5_P12ihipStream_tbEUlRKxE_EESV_SZ_S10_mS11_S14_bEUlT_E_NS1_11comp_targetILNS1_3genE4ELNS1_11target_archE910ELNS1_3gpuE8ELNS1_3repE0EEENS1_30default_config_static_selectorELNS0_4arch9wavefront6targetE1EEEvSY_.has_indirect_call, 0
	.section	.AMDGPU.csdata,"",@progbits
; Kernel info:
; codeLenInByte = 0
; TotalNumSgprs: 4
; NumVgprs: 0
; ScratchSize: 0
; MemoryBound: 0
; FloatMode: 240
; IeeeMode: 1
; LDSByteSize: 0 bytes/workgroup (compile time only)
; SGPRBlocks: 0
; VGPRBlocks: 0
; NumSGPRsForWavesPerEU: 4
; NumVGPRsForWavesPerEU: 1
; Occupancy: 10
; WaveLimiterHint : 0
; COMPUTE_PGM_RSRC2:SCRATCH_EN: 0
; COMPUTE_PGM_RSRC2:USER_SGPR: 6
; COMPUTE_PGM_RSRC2:TRAP_HANDLER: 0
; COMPUTE_PGM_RSRC2:TGID_X_EN: 1
; COMPUTE_PGM_RSRC2:TGID_Y_EN: 0
; COMPUTE_PGM_RSRC2:TGID_Z_EN: 0
; COMPUTE_PGM_RSRC2:TIDIG_COMP_CNT: 0
	.section	.text._ZN7rocprim17ROCPRIM_400000_NS6detail17trampoline_kernelINS0_14default_configENS1_27lower_bound_config_selectorIxlEEZNS1_14transform_implILb0ES3_S5_N6thrust23THRUST_200600_302600_NS6detail15normal_iteratorINS8_7pointerIxNS8_11hip_rocprim5par_tENS8_11use_defaultESE_EEEENSA_INSB_IlSD_SE_SE_EEEEZNS1_13binary_searchIS3_S5_NSA_INS8_10device_ptrIxEEEESG_SI_NS1_21lower_bound_search_opENS9_16wrapped_functionINS8_6system6detail7generic6detail18binary_search_lessEbEEEE10hipError_tPvRmT1_T2_T3_mmT4_T5_P12ihipStream_tbEUlRKxE_EESV_SZ_S10_mS11_S14_bEUlT_E_NS1_11comp_targetILNS1_3genE3ELNS1_11target_archE908ELNS1_3gpuE7ELNS1_3repE0EEENS1_30default_config_static_selectorELNS0_4arch9wavefront6targetE1EEEvSY_,"axG",@progbits,_ZN7rocprim17ROCPRIM_400000_NS6detail17trampoline_kernelINS0_14default_configENS1_27lower_bound_config_selectorIxlEEZNS1_14transform_implILb0ES3_S5_N6thrust23THRUST_200600_302600_NS6detail15normal_iteratorINS8_7pointerIxNS8_11hip_rocprim5par_tENS8_11use_defaultESE_EEEENSA_INSB_IlSD_SE_SE_EEEEZNS1_13binary_searchIS3_S5_NSA_INS8_10device_ptrIxEEEESG_SI_NS1_21lower_bound_search_opENS9_16wrapped_functionINS8_6system6detail7generic6detail18binary_search_lessEbEEEE10hipError_tPvRmT1_T2_T3_mmT4_T5_P12ihipStream_tbEUlRKxE_EESV_SZ_S10_mS11_S14_bEUlT_E_NS1_11comp_targetILNS1_3genE3ELNS1_11target_archE908ELNS1_3gpuE7ELNS1_3repE0EEENS1_30default_config_static_selectorELNS0_4arch9wavefront6targetE1EEEvSY_,comdat
	.protected	_ZN7rocprim17ROCPRIM_400000_NS6detail17trampoline_kernelINS0_14default_configENS1_27lower_bound_config_selectorIxlEEZNS1_14transform_implILb0ES3_S5_N6thrust23THRUST_200600_302600_NS6detail15normal_iteratorINS8_7pointerIxNS8_11hip_rocprim5par_tENS8_11use_defaultESE_EEEENSA_INSB_IlSD_SE_SE_EEEEZNS1_13binary_searchIS3_S5_NSA_INS8_10device_ptrIxEEEESG_SI_NS1_21lower_bound_search_opENS9_16wrapped_functionINS8_6system6detail7generic6detail18binary_search_lessEbEEEE10hipError_tPvRmT1_T2_T3_mmT4_T5_P12ihipStream_tbEUlRKxE_EESV_SZ_S10_mS11_S14_bEUlT_E_NS1_11comp_targetILNS1_3genE3ELNS1_11target_archE908ELNS1_3gpuE7ELNS1_3repE0EEENS1_30default_config_static_selectorELNS0_4arch9wavefront6targetE1EEEvSY_ ; -- Begin function _ZN7rocprim17ROCPRIM_400000_NS6detail17trampoline_kernelINS0_14default_configENS1_27lower_bound_config_selectorIxlEEZNS1_14transform_implILb0ES3_S5_N6thrust23THRUST_200600_302600_NS6detail15normal_iteratorINS8_7pointerIxNS8_11hip_rocprim5par_tENS8_11use_defaultESE_EEEENSA_INSB_IlSD_SE_SE_EEEEZNS1_13binary_searchIS3_S5_NSA_INS8_10device_ptrIxEEEESG_SI_NS1_21lower_bound_search_opENS9_16wrapped_functionINS8_6system6detail7generic6detail18binary_search_lessEbEEEE10hipError_tPvRmT1_T2_T3_mmT4_T5_P12ihipStream_tbEUlRKxE_EESV_SZ_S10_mS11_S14_bEUlT_E_NS1_11comp_targetILNS1_3genE3ELNS1_11target_archE908ELNS1_3gpuE7ELNS1_3repE0EEENS1_30default_config_static_selectorELNS0_4arch9wavefront6targetE1EEEvSY_
	.globl	_ZN7rocprim17ROCPRIM_400000_NS6detail17trampoline_kernelINS0_14default_configENS1_27lower_bound_config_selectorIxlEEZNS1_14transform_implILb0ES3_S5_N6thrust23THRUST_200600_302600_NS6detail15normal_iteratorINS8_7pointerIxNS8_11hip_rocprim5par_tENS8_11use_defaultESE_EEEENSA_INSB_IlSD_SE_SE_EEEEZNS1_13binary_searchIS3_S5_NSA_INS8_10device_ptrIxEEEESG_SI_NS1_21lower_bound_search_opENS9_16wrapped_functionINS8_6system6detail7generic6detail18binary_search_lessEbEEEE10hipError_tPvRmT1_T2_T3_mmT4_T5_P12ihipStream_tbEUlRKxE_EESV_SZ_S10_mS11_S14_bEUlT_E_NS1_11comp_targetILNS1_3genE3ELNS1_11target_archE908ELNS1_3gpuE7ELNS1_3repE0EEENS1_30default_config_static_selectorELNS0_4arch9wavefront6targetE1EEEvSY_
	.p2align	8
	.type	_ZN7rocprim17ROCPRIM_400000_NS6detail17trampoline_kernelINS0_14default_configENS1_27lower_bound_config_selectorIxlEEZNS1_14transform_implILb0ES3_S5_N6thrust23THRUST_200600_302600_NS6detail15normal_iteratorINS8_7pointerIxNS8_11hip_rocprim5par_tENS8_11use_defaultESE_EEEENSA_INSB_IlSD_SE_SE_EEEEZNS1_13binary_searchIS3_S5_NSA_INS8_10device_ptrIxEEEESG_SI_NS1_21lower_bound_search_opENS9_16wrapped_functionINS8_6system6detail7generic6detail18binary_search_lessEbEEEE10hipError_tPvRmT1_T2_T3_mmT4_T5_P12ihipStream_tbEUlRKxE_EESV_SZ_S10_mS11_S14_bEUlT_E_NS1_11comp_targetILNS1_3genE3ELNS1_11target_archE908ELNS1_3gpuE7ELNS1_3repE0EEENS1_30default_config_static_selectorELNS0_4arch9wavefront6targetE1EEEvSY_,@function
_ZN7rocprim17ROCPRIM_400000_NS6detail17trampoline_kernelINS0_14default_configENS1_27lower_bound_config_selectorIxlEEZNS1_14transform_implILb0ES3_S5_N6thrust23THRUST_200600_302600_NS6detail15normal_iteratorINS8_7pointerIxNS8_11hip_rocprim5par_tENS8_11use_defaultESE_EEEENSA_INSB_IlSD_SE_SE_EEEEZNS1_13binary_searchIS3_S5_NSA_INS8_10device_ptrIxEEEESG_SI_NS1_21lower_bound_search_opENS9_16wrapped_functionINS8_6system6detail7generic6detail18binary_search_lessEbEEEE10hipError_tPvRmT1_T2_T3_mmT4_T5_P12ihipStream_tbEUlRKxE_EESV_SZ_S10_mS11_S14_bEUlT_E_NS1_11comp_targetILNS1_3genE3ELNS1_11target_archE908ELNS1_3gpuE7ELNS1_3repE0EEENS1_30default_config_static_selectorELNS0_4arch9wavefront6targetE1EEEvSY_: ; @_ZN7rocprim17ROCPRIM_400000_NS6detail17trampoline_kernelINS0_14default_configENS1_27lower_bound_config_selectorIxlEEZNS1_14transform_implILb0ES3_S5_N6thrust23THRUST_200600_302600_NS6detail15normal_iteratorINS8_7pointerIxNS8_11hip_rocprim5par_tENS8_11use_defaultESE_EEEENSA_INSB_IlSD_SE_SE_EEEEZNS1_13binary_searchIS3_S5_NSA_INS8_10device_ptrIxEEEESG_SI_NS1_21lower_bound_search_opENS9_16wrapped_functionINS8_6system6detail7generic6detail18binary_search_lessEbEEEE10hipError_tPvRmT1_T2_T3_mmT4_T5_P12ihipStream_tbEUlRKxE_EESV_SZ_S10_mS11_S14_bEUlT_E_NS1_11comp_targetILNS1_3genE3ELNS1_11target_archE908ELNS1_3gpuE7ELNS1_3repE0EEENS1_30default_config_static_selectorELNS0_4arch9wavefront6targetE1EEEvSY_
; %bb.0:
	.section	.rodata,"a",@progbits
	.p2align	6, 0x0
	.amdhsa_kernel _ZN7rocprim17ROCPRIM_400000_NS6detail17trampoline_kernelINS0_14default_configENS1_27lower_bound_config_selectorIxlEEZNS1_14transform_implILb0ES3_S5_N6thrust23THRUST_200600_302600_NS6detail15normal_iteratorINS8_7pointerIxNS8_11hip_rocprim5par_tENS8_11use_defaultESE_EEEENSA_INSB_IlSD_SE_SE_EEEEZNS1_13binary_searchIS3_S5_NSA_INS8_10device_ptrIxEEEESG_SI_NS1_21lower_bound_search_opENS9_16wrapped_functionINS8_6system6detail7generic6detail18binary_search_lessEbEEEE10hipError_tPvRmT1_T2_T3_mmT4_T5_P12ihipStream_tbEUlRKxE_EESV_SZ_S10_mS11_S14_bEUlT_E_NS1_11comp_targetILNS1_3genE3ELNS1_11target_archE908ELNS1_3gpuE7ELNS1_3repE0EEENS1_30default_config_static_selectorELNS0_4arch9wavefront6targetE1EEEvSY_
		.amdhsa_group_segment_fixed_size 0
		.amdhsa_private_segment_fixed_size 0
		.amdhsa_kernarg_size 56
		.amdhsa_user_sgpr_count 6
		.amdhsa_user_sgpr_private_segment_buffer 1
		.amdhsa_user_sgpr_dispatch_ptr 0
		.amdhsa_user_sgpr_queue_ptr 0
		.amdhsa_user_sgpr_kernarg_segment_ptr 1
		.amdhsa_user_sgpr_dispatch_id 0
		.amdhsa_user_sgpr_flat_scratch_init 0
		.amdhsa_user_sgpr_private_segment_size 0
		.amdhsa_uses_dynamic_stack 0
		.amdhsa_system_sgpr_private_segment_wavefront_offset 0
		.amdhsa_system_sgpr_workgroup_id_x 1
		.amdhsa_system_sgpr_workgroup_id_y 0
		.amdhsa_system_sgpr_workgroup_id_z 0
		.amdhsa_system_sgpr_workgroup_info 0
		.amdhsa_system_vgpr_workitem_id 0
		.amdhsa_next_free_vgpr 1
		.amdhsa_next_free_sgpr 0
		.amdhsa_reserve_vcc 0
		.amdhsa_reserve_flat_scratch 0
		.amdhsa_float_round_mode_32 0
		.amdhsa_float_round_mode_16_64 0
		.amdhsa_float_denorm_mode_32 3
		.amdhsa_float_denorm_mode_16_64 3
		.amdhsa_dx10_clamp 1
		.amdhsa_ieee_mode 1
		.amdhsa_fp16_overflow 0
		.amdhsa_exception_fp_ieee_invalid_op 0
		.amdhsa_exception_fp_denorm_src 0
		.amdhsa_exception_fp_ieee_div_zero 0
		.amdhsa_exception_fp_ieee_overflow 0
		.amdhsa_exception_fp_ieee_underflow 0
		.amdhsa_exception_fp_ieee_inexact 0
		.amdhsa_exception_int_div_zero 0
	.end_amdhsa_kernel
	.section	.text._ZN7rocprim17ROCPRIM_400000_NS6detail17trampoline_kernelINS0_14default_configENS1_27lower_bound_config_selectorIxlEEZNS1_14transform_implILb0ES3_S5_N6thrust23THRUST_200600_302600_NS6detail15normal_iteratorINS8_7pointerIxNS8_11hip_rocprim5par_tENS8_11use_defaultESE_EEEENSA_INSB_IlSD_SE_SE_EEEEZNS1_13binary_searchIS3_S5_NSA_INS8_10device_ptrIxEEEESG_SI_NS1_21lower_bound_search_opENS9_16wrapped_functionINS8_6system6detail7generic6detail18binary_search_lessEbEEEE10hipError_tPvRmT1_T2_T3_mmT4_T5_P12ihipStream_tbEUlRKxE_EESV_SZ_S10_mS11_S14_bEUlT_E_NS1_11comp_targetILNS1_3genE3ELNS1_11target_archE908ELNS1_3gpuE7ELNS1_3repE0EEENS1_30default_config_static_selectorELNS0_4arch9wavefront6targetE1EEEvSY_,"axG",@progbits,_ZN7rocprim17ROCPRIM_400000_NS6detail17trampoline_kernelINS0_14default_configENS1_27lower_bound_config_selectorIxlEEZNS1_14transform_implILb0ES3_S5_N6thrust23THRUST_200600_302600_NS6detail15normal_iteratorINS8_7pointerIxNS8_11hip_rocprim5par_tENS8_11use_defaultESE_EEEENSA_INSB_IlSD_SE_SE_EEEEZNS1_13binary_searchIS3_S5_NSA_INS8_10device_ptrIxEEEESG_SI_NS1_21lower_bound_search_opENS9_16wrapped_functionINS8_6system6detail7generic6detail18binary_search_lessEbEEEE10hipError_tPvRmT1_T2_T3_mmT4_T5_P12ihipStream_tbEUlRKxE_EESV_SZ_S10_mS11_S14_bEUlT_E_NS1_11comp_targetILNS1_3genE3ELNS1_11target_archE908ELNS1_3gpuE7ELNS1_3repE0EEENS1_30default_config_static_selectorELNS0_4arch9wavefront6targetE1EEEvSY_,comdat
.Lfunc_end388:
	.size	_ZN7rocprim17ROCPRIM_400000_NS6detail17trampoline_kernelINS0_14default_configENS1_27lower_bound_config_selectorIxlEEZNS1_14transform_implILb0ES3_S5_N6thrust23THRUST_200600_302600_NS6detail15normal_iteratorINS8_7pointerIxNS8_11hip_rocprim5par_tENS8_11use_defaultESE_EEEENSA_INSB_IlSD_SE_SE_EEEEZNS1_13binary_searchIS3_S5_NSA_INS8_10device_ptrIxEEEESG_SI_NS1_21lower_bound_search_opENS9_16wrapped_functionINS8_6system6detail7generic6detail18binary_search_lessEbEEEE10hipError_tPvRmT1_T2_T3_mmT4_T5_P12ihipStream_tbEUlRKxE_EESV_SZ_S10_mS11_S14_bEUlT_E_NS1_11comp_targetILNS1_3genE3ELNS1_11target_archE908ELNS1_3gpuE7ELNS1_3repE0EEENS1_30default_config_static_selectorELNS0_4arch9wavefront6targetE1EEEvSY_, .Lfunc_end388-_ZN7rocprim17ROCPRIM_400000_NS6detail17trampoline_kernelINS0_14default_configENS1_27lower_bound_config_selectorIxlEEZNS1_14transform_implILb0ES3_S5_N6thrust23THRUST_200600_302600_NS6detail15normal_iteratorINS8_7pointerIxNS8_11hip_rocprim5par_tENS8_11use_defaultESE_EEEENSA_INSB_IlSD_SE_SE_EEEEZNS1_13binary_searchIS3_S5_NSA_INS8_10device_ptrIxEEEESG_SI_NS1_21lower_bound_search_opENS9_16wrapped_functionINS8_6system6detail7generic6detail18binary_search_lessEbEEEE10hipError_tPvRmT1_T2_T3_mmT4_T5_P12ihipStream_tbEUlRKxE_EESV_SZ_S10_mS11_S14_bEUlT_E_NS1_11comp_targetILNS1_3genE3ELNS1_11target_archE908ELNS1_3gpuE7ELNS1_3repE0EEENS1_30default_config_static_selectorELNS0_4arch9wavefront6targetE1EEEvSY_
                                        ; -- End function
	.set _ZN7rocprim17ROCPRIM_400000_NS6detail17trampoline_kernelINS0_14default_configENS1_27lower_bound_config_selectorIxlEEZNS1_14transform_implILb0ES3_S5_N6thrust23THRUST_200600_302600_NS6detail15normal_iteratorINS8_7pointerIxNS8_11hip_rocprim5par_tENS8_11use_defaultESE_EEEENSA_INSB_IlSD_SE_SE_EEEEZNS1_13binary_searchIS3_S5_NSA_INS8_10device_ptrIxEEEESG_SI_NS1_21lower_bound_search_opENS9_16wrapped_functionINS8_6system6detail7generic6detail18binary_search_lessEbEEEE10hipError_tPvRmT1_T2_T3_mmT4_T5_P12ihipStream_tbEUlRKxE_EESV_SZ_S10_mS11_S14_bEUlT_E_NS1_11comp_targetILNS1_3genE3ELNS1_11target_archE908ELNS1_3gpuE7ELNS1_3repE0EEENS1_30default_config_static_selectorELNS0_4arch9wavefront6targetE1EEEvSY_.num_vgpr, 0
	.set _ZN7rocprim17ROCPRIM_400000_NS6detail17trampoline_kernelINS0_14default_configENS1_27lower_bound_config_selectorIxlEEZNS1_14transform_implILb0ES3_S5_N6thrust23THRUST_200600_302600_NS6detail15normal_iteratorINS8_7pointerIxNS8_11hip_rocprim5par_tENS8_11use_defaultESE_EEEENSA_INSB_IlSD_SE_SE_EEEEZNS1_13binary_searchIS3_S5_NSA_INS8_10device_ptrIxEEEESG_SI_NS1_21lower_bound_search_opENS9_16wrapped_functionINS8_6system6detail7generic6detail18binary_search_lessEbEEEE10hipError_tPvRmT1_T2_T3_mmT4_T5_P12ihipStream_tbEUlRKxE_EESV_SZ_S10_mS11_S14_bEUlT_E_NS1_11comp_targetILNS1_3genE3ELNS1_11target_archE908ELNS1_3gpuE7ELNS1_3repE0EEENS1_30default_config_static_selectorELNS0_4arch9wavefront6targetE1EEEvSY_.num_agpr, 0
	.set _ZN7rocprim17ROCPRIM_400000_NS6detail17trampoline_kernelINS0_14default_configENS1_27lower_bound_config_selectorIxlEEZNS1_14transform_implILb0ES3_S5_N6thrust23THRUST_200600_302600_NS6detail15normal_iteratorINS8_7pointerIxNS8_11hip_rocprim5par_tENS8_11use_defaultESE_EEEENSA_INSB_IlSD_SE_SE_EEEEZNS1_13binary_searchIS3_S5_NSA_INS8_10device_ptrIxEEEESG_SI_NS1_21lower_bound_search_opENS9_16wrapped_functionINS8_6system6detail7generic6detail18binary_search_lessEbEEEE10hipError_tPvRmT1_T2_T3_mmT4_T5_P12ihipStream_tbEUlRKxE_EESV_SZ_S10_mS11_S14_bEUlT_E_NS1_11comp_targetILNS1_3genE3ELNS1_11target_archE908ELNS1_3gpuE7ELNS1_3repE0EEENS1_30default_config_static_selectorELNS0_4arch9wavefront6targetE1EEEvSY_.numbered_sgpr, 0
	.set _ZN7rocprim17ROCPRIM_400000_NS6detail17trampoline_kernelINS0_14default_configENS1_27lower_bound_config_selectorIxlEEZNS1_14transform_implILb0ES3_S5_N6thrust23THRUST_200600_302600_NS6detail15normal_iteratorINS8_7pointerIxNS8_11hip_rocprim5par_tENS8_11use_defaultESE_EEEENSA_INSB_IlSD_SE_SE_EEEEZNS1_13binary_searchIS3_S5_NSA_INS8_10device_ptrIxEEEESG_SI_NS1_21lower_bound_search_opENS9_16wrapped_functionINS8_6system6detail7generic6detail18binary_search_lessEbEEEE10hipError_tPvRmT1_T2_T3_mmT4_T5_P12ihipStream_tbEUlRKxE_EESV_SZ_S10_mS11_S14_bEUlT_E_NS1_11comp_targetILNS1_3genE3ELNS1_11target_archE908ELNS1_3gpuE7ELNS1_3repE0EEENS1_30default_config_static_selectorELNS0_4arch9wavefront6targetE1EEEvSY_.num_named_barrier, 0
	.set _ZN7rocprim17ROCPRIM_400000_NS6detail17trampoline_kernelINS0_14default_configENS1_27lower_bound_config_selectorIxlEEZNS1_14transform_implILb0ES3_S5_N6thrust23THRUST_200600_302600_NS6detail15normal_iteratorINS8_7pointerIxNS8_11hip_rocprim5par_tENS8_11use_defaultESE_EEEENSA_INSB_IlSD_SE_SE_EEEEZNS1_13binary_searchIS3_S5_NSA_INS8_10device_ptrIxEEEESG_SI_NS1_21lower_bound_search_opENS9_16wrapped_functionINS8_6system6detail7generic6detail18binary_search_lessEbEEEE10hipError_tPvRmT1_T2_T3_mmT4_T5_P12ihipStream_tbEUlRKxE_EESV_SZ_S10_mS11_S14_bEUlT_E_NS1_11comp_targetILNS1_3genE3ELNS1_11target_archE908ELNS1_3gpuE7ELNS1_3repE0EEENS1_30default_config_static_selectorELNS0_4arch9wavefront6targetE1EEEvSY_.private_seg_size, 0
	.set _ZN7rocprim17ROCPRIM_400000_NS6detail17trampoline_kernelINS0_14default_configENS1_27lower_bound_config_selectorIxlEEZNS1_14transform_implILb0ES3_S5_N6thrust23THRUST_200600_302600_NS6detail15normal_iteratorINS8_7pointerIxNS8_11hip_rocprim5par_tENS8_11use_defaultESE_EEEENSA_INSB_IlSD_SE_SE_EEEEZNS1_13binary_searchIS3_S5_NSA_INS8_10device_ptrIxEEEESG_SI_NS1_21lower_bound_search_opENS9_16wrapped_functionINS8_6system6detail7generic6detail18binary_search_lessEbEEEE10hipError_tPvRmT1_T2_T3_mmT4_T5_P12ihipStream_tbEUlRKxE_EESV_SZ_S10_mS11_S14_bEUlT_E_NS1_11comp_targetILNS1_3genE3ELNS1_11target_archE908ELNS1_3gpuE7ELNS1_3repE0EEENS1_30default_config_static_selectorELNS0_4arch9wavefront6targetE1EEEvSY_.uses_vcc, 0
	.set _ZN7rocprim17ROCPRIM_400000_NS6detail17trampoline_kernelINS0_14default_configENS1_27lower_bound_config_selectorIxlEEZNS1_14transform_implILb0ES3_S5_N6thrust23THRUST_200600_302600_NS6detail15normal_iteratorINS8_7pointerIxNS8_11hip_rocprim5par_tENS8_11use_defaultESE_EEEENSA_INSB_IlSD_SE_SE_EEEEZNS1_13binary_searchIS3_S5_NSA_INS8_10device_ptrIxEEEESG_SI_NS1_21lower_bound_search_opENS9_16wrapped_functionINS8_6system6detail7generic6detail18binary_search_lessEbEEEE10hipError_tPvRmT1_T2_T3_mmT4_T5_P12ihipStream_tbEUlRKxE_EESV_SZ_S10_mS11_S14_bEUlT_E_NS1_11comp_targetILNS1_3genE3ELNS1_11target_archE908ELNS1_3gpuE7ELNS1_3repE0EEENS1_30default_config_static_selectorELNS0_4arch9wavefront6targetE1EEEvSY_.uses_flat_scratch, 0
	.set _ZN7rocprim17ROCPRIM_400000_NS6detail17trampoline_kernelINS0_14default_configENS1_27lower_bound_config_selectorIxlEEZNS1_14transform_implILb0ES3_S5_N6thrust23THRUST_200600_302600_NS6detail15normal_iteratorINS8_7pointerIxNS8_11hip_rocprim5par_tENS8_11use_defaultESE_EEEENSA_INSB_IlSD_SE_SE_EEEEZNS1_13binary_searchIS3_S5_NSA_INS8_10device_ptrIxEEEESG_SI_NS1_21lower_bound_search_opENS9_16wrapped_functionINS8_6system6detail7generic6detail18binary_search_lessEbEEEE10hipError_tPvRmT1_T2_T3_mmT4_T5_P12ihipStream_tbEUlRKxE_EESV_SZ_S10_mS11_S14_bEUlT_E_NS1_11comp_targetILNS1_3genE3ELNS1_11target_archE908ELNS1_3gpuE7ELNS1_3repE0EEENS1_30default_config_static_selectorELNS0_4arch9wavefront6targetE1EEEvSY_.has_dyn_sized_stack, 0
	.set _ZN7rocprim17ROCPRIM_400000_NS6detail17trampoline_kernelINS0_14default_configENS1_27lower_bound_config_selectorIxlEEZNS1_14transform_implILb0ES3_S5_N6thrust23THRUST_200600_302600_NS6detail15normal_iteratorINS8_7pointerIxNS8_11hip_rocprim5par_tENS8_11use_defaultESE_EEEENSA_INSB_IlSD_SE_SE_EEEEZNS1_13binary_searchIS3_S5_NSA_INS8_10device_ptrIxEEEESG_SI_NS1_21lower_bound_search_opENS9_16wrapped_functionINS8_6system6detail7generic6detail18binary_search_lessEbEEEE10hipError_tPvRmT1_T2_T3_mmT4_T5_P12ihipStream_tbEUlRKxE_EESV_SZ_S10_mS11_S14_bEUlT_E_NS1_11comp_targetILNS1_3genE3ELNS1_11target_archE908ELNS1_3gpuE7ELNS1_3repE0EEENS1_30default_config_static_selectorELNS0_4arch9wavefront6targetE1EEEvSY_.has_recursion, 0
	.set _ZN7rocprim17ROCPRIM_400000_NS6detail17trampoline_kernelINS0_14default_configENS1_27lower_bound_config_selectorIxlEEZNS1_14transform_implILb0ES3_S5_N6thrust23THRUST_200600_302600_NS6detail15normal_iteratorINS8_7pointerIxNS8_11hip_rocprim5par_tENS8_11use_defaultESE_EEEENSA_INSB_IlSD_SE_SE_EEEEZNS1_13binary_searchIS3_S5_NSA_INS8_10device_ptrIxEEEESG_SI_NS1_21lower_bound_search_opENS9_16wrapped_functionINS8_6system6detail7generic6detail18binary_search_lessEbEEEE10hipError_tPvRmT1_T2_T3_mmT4_T5_P12ihipStream_tbEUlRKxE_EESV_SZ_S10_mS11_S14_bEUlT_E_NS1_11comp_targetILNS1_3genE3ELNS1_11target_archE908ELNS1_3gpuE7ELNS1_3repE0EEENS1_30default_config_static_selectorELNS0_4arch9wavefront6targetE1EEEvSY_.has_indirect_call, 0
	.section	.AMDGPU.csdata,"",@progbits
; Kernel info:
; codeLenInByte = 0
; TotalNumSgprs: 4
; NumVgprs: 0
; ScratchSize: 0
; MemoryBound: 0
; FloatMode: 240
; IeeeMode: 1
; LDSByteSize: 0 bytes/workgroup (compile time only)
; SGPRBlocks: 0
; VGPRBlocks: 0
; NumSGPRsForWavesPerEU: 4
; NumVGPRsForWavesPerEU: 1
; Occupancy: 10
; WaveLimiterHint : 0
; COMPUTE_PGM_RSRC2:SCRATCH_EN: 0
; COMPUTE_PGM_RSRC2:USER_SGPR: 6
; COMPUTE_PGM_RSRC2:TRAP_HANDLER: 0
; COMPUTE_PGM_RSRC2:TGID_X_EN: 1
; COMPUTE_PGM_RSRC2:TGID_Y_EN: 0
; COMPUTE_PGM_RSRC2:TGID_Z_EN: 0
; COMPUTE_PGM_RSRC2:TIDIG_COMP_CNT: 0
	.section	.text._ZN7rocprim17ROCPRIM_400000_NS6detail17trampoline_kernelINS0_14default_configENS1_27lower_bound_config_selectorIxlEEZNS1_14transform_implILb0ES3_S5_N6thrust23THRUST_200600_302600_NS6detail15normal_iteratorINS8_7pointerIxNS8_11hip_rocprim5par_tENS8_11use_defaultESE_EEEENSA_INSB_IlSD_SE_SE_EEEEZNS1_13binary_searchIS3_S5_NSA_INS8_10device_ptrIxEEEESG_SI_NS1_21lower_bound_search_opENS9_16wrapped_functionINS8_6system6detail7generic6detail18binary_search_lessEbEEEE10hipError_tPvRmT1_T2_T3_mmT4_T5_P12ihipStream_tbEUlRKxE_EESV_SZ_S10_mS11_S14_bEUlT_E_NS1_11comp_targetILNS1_3genE2ELNS1_11target_archE906ELNS1_3gpuE6ELNS1_3repE0EEENS1_30default_config_static_selectorELNS0_4arch9wavefront6targetE1EEEvSY_,"axG",@progbits,_ZN7rocprim17ROCPRIM_400000_NS6detail17trampoline_kernelINS0_14default_configENS1_27lower_bound_config_selectorIxlEEZNS1_14transform_implILb0ES3_S5_N6thrust23THRUST_200600_302600_NS6detail15normal_iteratorINS8_7pointerIxNS8_11hip_rocprim5par_tENS8_11use_defaultESE_EEEENSA_INSB_IlSD_SE_SE_EEEEZNS1_13binary_searchIS3_S5_NSA_INS8_10device_ptrIxEEEESG_SI_NS1_21lower_bound_search_opENS9_16wrapped_functionINS8_6system6detail7generic6detail18binary_search_lessEbEEEE10hipError_tPvRmT1_T2_T3_mmT4_T5_P12ihipStream_tbEUlRKxE_EESV_SZ_S10_mS11_S14_bEUlT_E_NS1_11comp_targetILNS1_3genE2ELNS1_11target_archE906ELNS1_3gpuE6ELNS1_3repE0EEENS1_30default_config_static_selectorELNS0_4arch9wavefront6targetE1EEEvSY_,comdat
	.protected	_ZN7rocprim17ROCPRIM_400000_NS6detail17trampoline_kernelINS0_14default_configENS1_27lower_bound_config_selectorIxlEEZNS1_14transform_implILb0ES3_S5_N6thrust23THRUST_200600_302600_NS6detail15normal_iteratorINS8_7pointerIxNS8_11hip_rocprim5par_tENS8_11use_defaultESE_EEEENSA_INSB_IlSD_SE_SE_EEEEZNS1_13binary_searchIS3_S5_NSA_INS8_10device_ptrIxEEEESG_SI_NS1_21lower_bound_search_opENS9_16wrapped_functionINS8_6system6detail7generic6detail18binary_search_lessEbEEEE10hipError_tPvRmT1_T2_T3_mmT4_T5_P12ihipStream_tbEUlRKxE_EESV_SZ_S10_mS11_S14_bEUlT_E_NS1_11comp_targetILNS1_3genE2ELNS1_11target_archE906ELNS1_3gpuE6ELNS1_3repE0EEENS1_30default_config_static_selectorELNS0_4arch9wavefront6targetE1EEEvSY_ ; -- Begin function _ZN7rocprim17ROCPRIM_400000_NS6detail17trampoline_kernelINS0_14default_configENS1_27lower_bound_config_selectorIxlEEZNS1_14transform_implILb0ES3_S5_N6thrust23THRUST_200600_302600_NS6detail15normal_iteratorINS8_7pointerIxNS8_11hip_rocprim5par_tENS8_11use_defaultESE_EEEENSA_INSB_IlSD_SE_SE_EEEEZNS1_13binary_searchIS3_S5_NSA_INS8_10device_ptrIxEEEESG_SI_NS1_21lower_bound_search_opENS9_16wrapped_functionINS8_6system6detail7generic6detail18binary_search_lessEbEEEE10hipError_tPvRmT1_T2_T3_mmT4_T5_P12ihipStream_tbEUlRKxE_EESV_SZ_S10_mS11_S14_bEUlT_E_NS1_11comp_targetILNS1_3genE2ELNS1_11target_archE906ELNS1_3gpuE6ELNS1_3repE0EEENS1_30default_config_static_selectorELNS0_4arch9wavefront6targetE1EEEvSY_
	.globl	_ZN7rocprim17ROCPRIM_400000_NS6detail17trampoline_kernelINS0_14default_configENS1_27lower_bound_config_selectorIxlEEZNS1_14transform_implILb0ES3_S5_N6thrust23THRUST_200600_302600_NS6detail15normal_iteratorINS8_7pointerIxNS8_11hip_rocprim5par_tENS8_11use_defaultESE_EEEENSA_INSB_IlSD_SE_SE_EEEEZNS1_13binary_searchIS3_S5_NSA_INS8_10device_ptrIxEEEESG_SI_NS1_21lower_bound_search_opENS9_16wrapped_functionINS8_6system6detail7generic6detail18binary_search_lessEbEEEE10hipError_tPvRmT1_T2_T3_mmT4_T5_P12ihipStream_tbEUlRKxE_EESV_SZ_S10_mS11_S14_bEUlT_E_NS1_11comp_targetILNS1_3genE2ELNS1_11target_archE906ELNS1_3gpuE6ELNS1_3repE0EEENS1_30default_config_static_selectorELNS0_4arch9wavefront6targetE1EEEvSY_
	.p2align	8
	.type	_ZN7rocprim17ROCPRIM_400000_NS6detail17trampoline_kernelINS0_14default_configENS1_27lower_bound_config_selectorIxlEEZNS1_14transform_implILb0ES3_S5_N6thrust23THRUST_200600_302600_NS6detail15normal_iteratorINS8_7pointerIxNS8_11hip_rocprim5par_tENS8_11use_defaultESE_EEEENSA_INSB_IlSD_SE_SE_EEEEZNS1_13binary_searchIS3_S5_NSA_INS8_10device_ptrIxEEEESG_SI_NS1_21lower_bound_search_opENS9_16wrapped_functionINS8_6system6detail7generic6detail18binary_search_lessEbEEEE10hipError_tPvRmT1_T2_T3_mmT4_T5_P12ihipStream_tbEUlRKxE_EESV_SZ_S10_mS11_S14_bEUlT_E_NS1_11comp_targetILNS1_3genE2ELNS1_11target_archE906ELNS1_3gpuE6ELNS1_3repE0EEENS1_30default_config_static_selectorELNS0_4arch9wavefront6targetE1EEEvSY_,@function
_ZN7rocprim17ROCPRIM_400000_NS6detail17trampoline_kernelINS0_14default_configENS1_27lower_bound_config_selectorIxlEEZNS1_14transform_implILb0ES3_S5_N6thrust23THRUST_200600_302600_NS6detail15normal_iteratorINS8_7pointerIxNS8_11hip_rocprim5par_tENS8_11use_defaultESE_EEEENSA_INSB_IlSD_SE_SE_EEEEZNS1_13binary_searchIS3_S5_NSA_INS8_10device_ptrIxEEEESG_SI_NS1_21lower_bound_search_opENS9_16wrapped_functionINS8_6system6detail7generic6detail18binary_search_lessEbEEEE10hipError_tPvRmT1_T2_T3_mmT4_T5_P12ihipStream_tbEUlRKxE_EESV_SZ_S10_mS11_S14_bEUlT_E_NS1_11comp_targetILNS1_3genE2ELNS1_11target_archE906ELNS1_3gpuE6ELNS1_3repE0EEENS1_30default_config_static_selectorELNS0_4arch9wavefront6targetE1EEEvSY_: ; @_ZN7rocprim17ROCPRIM_400000_NS6detail17trampoline_kernelINS0_14default_configENS1_27lower_bound_config_selectorIxlEEZNS1_14transform_implILb0ES3_S5_N6thrust23THRUST_200600_302600_NS6detail15normal_iteratorINS8_7pointerIxNS8_11hip_rocprim5par_tENS8_11use_defaultESE_EEEENSA_INSB_IlSD_SE_SE_EEEEZNS1_13binary_searchIS3_S5_NSA_INS8_10device_ptrIxEEEESG_SI_NS1_21lower_bound_search_opENS9_16wrapped_functionINS8_6system6detail7generic6detail18binary_search_lessEbEEEE10hipError_tPvRmT1_T2_T3_mmT4_T5_P12ihipStream_tbEUlRKxE_EESV_SZ_S10_mS11_S14_bEUlT_E_NS1_11comp_targetILNS1_3genE2ELNS1_11target_archE906ELNS1_3gpuE6ELNS1_3repE0EEENS1_30default_config_static_selectorELNS0_4arch9wavefront6targetE1EEEvSY_
; %bb.0:
	s_load_dwordx4 s[0:3], s[4:5], 0x0
	s_load_dwordx4 s[8:11], s[4:5], 0x18
	s_load_dwordx2 s[12:13], s[4:5], 0x28
	s_load_dword s16, s[4:5], 0x38
	s_waitcnt lgkmcnt(0)
	s_lshl_b64 s[14:15], s[2:3], 3
	s_add_u32 s2, s0, s14
	s_addc_u32 s3, s1, s15
	s_add_u32 s7, s8, s14
	s_addc_u32 s14, s9, s15
	s_lshl_b32 s8, s6, 8
	s_add_i32 s16, s16, -1
	s_mov_b32 s9, 0
	s_cmp_lg_u32 s6, s16
	s_mov_b64 s[0:1], -1
	s_cbranch_scc0 .LBB389_7
; %bb.1:
	s_cmp_eq_u64 s[12:13], 0
	s_mov_b64 s[0:1], 0
	s_cbranch_scc1 .LBB389_5
; %bb.2:
	s_lshl_b64 s[16:17], s[8:9], 3
	s_add_u32 s6, s2, s16
	s_addc_u32 s15, s3, s17
	v_lshlrev_b32_e32 v1, 3, v0
	v_mov_b32_e32 v2, s15
	v_add_co_u32_e32 v1, vcc, s6, v1
	v_addc_co_u32_e32 v2, vcc, 0, v2, vcc
	flat_load_dwordx2 v[3:4], v[1:2]
	v_mov_b32_e32 v1, 0
	v_mov_b32_e32 v5, s12
	;; [unrolled: 1-line block ×5, first 2 shown]
.LBB389_3:                              ; =>This Inner Loop Header: Depth=1
	v_sub_co_u32_e32 v8, vcc, v5, v1
	v_subb_co_u32_e32 v9, vcc, v6, v2, vcc
	v_lshrrev_b64 v[10:11], 1, v[8:9]
	v_lshrrev_b64 v[8:9], 6, v[8:9]
	v_add_co_u32_e32 v10, vcc, v10, v1
	v_addc_co_u32_e32 v11, vcc, v11, v2, vcc
	v_add_co_u32_e32 v8, vcc, v10, v8
	v_addc_co_u32_e32 v9, vcc, v11, v9, vcc
	v_lshlrev_b64 v[10:11], 3, v[8:9]
	v_add_co_u32_e32 v10, vcc, s10, v10
	v_addc_co_u32_e32 v11, vcc, v7, v11, vcc
	global_load_dwordx2 v[10:11], v[10:11], off
	v_add_co_u32_e32 v12, vcc, 1, v8
	v_addc_co_u32_e32 v13, vcc, 0, v9, vcc
	s_waitcnt vmcnt(0) lgkmcnt(0)
	v_cmp_lt_i64_e32 vcc, v[10:11], v[3:4]
	v_cndmask_b32_e32 v6, v9, v6, vcc
	v_cndmask_b32_e32 v5, v8, v5, vcc
	;; [unrolled: 1-line block ×4, first 2 shown]
	v_cmp_ge_u64_e32 vcc, v[1:2], v[5:6]
	s_or_b64 s[0:1], vcc, s[0:1]
	s_andn2_b64 exec, exec, s[0:1]
	s_cbranch_execnz .LBB389_3
; %bb.4:
	s_or_b64 exec, exec, s[0:1]
	s_branch .LBB389_6
.LBB389_5:
	v_mov_b32_e32 v1, 0
	v_mov_b32_e32 v2, 0
.LBB389_6:
	s_lshl_b64 s[0:1], s[8:9], 3
	s_add_u32 s0, s7, s0
	s_addc_u32 s1, s14, s1
	v_lshlrev_b32_e32 v3, 3, v0
	v_mov_b32_e32 v4, s1
	v_add_co_u32_e32 v3, vcc, s0, v3
	v_addc_co_u32_e32 v4, vcc, 0, v4, vcc
	s_mov_b64 s[0:1], 0
	flat_store_dwordx2 v[3:4], v[1:2]
.LBB389_7:
	s_and_b64 vcc, exec, s[0:1]
	s_cbranch_vccz .LBB389_16
; %bb.8:
	s_load_dword s0, s[4:5], 0x10
                                        ; implicit-def: $vgpr3_vgpr4
	s_waitcnt lgkmcnt(0)
	s_sub_i32 s4, s0, s8
	v_cmp_le_u32_e64 s[0:1], s4, v0
	v_cmp_gt_u32_e32 vcc, s4, v0
	s_and_saveexec_b64 s[4:5], vcc
	s_cbranch_execz .LBB389_10
; %bb.9:
	s_lshl_b64 s[16:17], s[8:9], 3
	s_add_u32 s2, s2, s16
	s_addc_u32 s3, s3, s17
	v_lshlrev_b32_e32 v1, 3, v0
	v_mov_b32_e32 v2, s3
	v_add_co_u32_e64 v1, s[2:3], s2, v1
	v_addc_co_u32_e64 v2, s[2:3], 0, v2, s[2:3]
	flat_load_dwordx2 v[3:4], v[1:2]
.LBB389_10:
	s_or_b64 exec, exec, s[4:5]
	s_cmp_lg_u64 s[12:13], 0
	s_cselect_b64 s[4:5], -1, 0
	s_xor_b64 s[0:1], s[0:1], -1
	v_mov_b32_e32 v1, 0
	s_mov_b64 s[2:3], 0
	v_mov_b32_e32 v2, 0
	s_and_b64 s[0:1], s[0:1], s[4:5]
	s_and_saveexec_b64 s[4:5], s[0:1]
	s_cbranch_execz .LBB389_14
; %bb.11:
	v_mov_b32_e32 v1, 0
	v_mov_b32_e32 v5, s12
	;; [unrolled: 1-line block ×5, first 2 shown]
.LBB389_12:                             ; =>This Inner Loop Header: Depth=1
	v_sub_co_u32_e64 v8, s[0:1], v5, v1
	v_subb_co_u32_e64 v9, s[0:1], v6, v2, s[0:1]
	v_lshrrev_b64 v[10:11], 1, v[8:9]
	v_lshrrev_b64 v[8:9], 6, v[8:9]
	v_add_co_u32_e64 v10, s[0:1], v10, v1
	v_addc_co_u32_e64 v11, s[0:1], v11, v2, s[0:1]
	v_add_co_u32_e64 v8, s[0:1], v10, v8
	v_addc_co_u32_e64 v9, s[0:1], v11, v9, s[0:1]
	v_lshlrev_b64 v[10:11], 3, v[8:9]
	v_add_co_u32_e64 v10, s[0:1], s10, v10
	v_addc_co_u32_e64 v11, s[0:1], v7, v11, s[0:1]
	global_load_dwordx2 v[10:11], v[10:11], off
	v_add_co_u32_e64 v12, s[0:1], 1, v8
	v_addc_co_u32_e64 v13, s[0:1], 0, v9, s[0:1]
	s_waitcnt vmcnt(0) lgkmcnt(0)
	v_cmp_lt_i64_e64 s[0:1], v[10:11], v[3:4]
	v_cndmask_b32_e64 v6, v9, v6, s[0:1]
	v_cndmask_b32_e64 v5, v8, v5, s[0:1]
	;; [unrolled: 1-line block ×4, first 2 shown]
	v_cmp_ge_u64_e64 s[0:1], v[1:2], v[5:6]
	s_or_b64 s[2:3], s[0:1], s[2:3]
	s_andn2_b64 exec, exec, s[2:3]
	s_cbranch_execnz .LBB389_12
; %bb.13:
	s_or_b64 exec, exec, s[2:3]
.LBB389_14:
	s_or_b64 exec, exec, s[4:5]
	s_and_saveexec_b64 s[0:1], vcc
	s_cbranch_execz .LBB389_16
; %bb.15:
	s_lshl_b64 s[0:1], s[8:9], 3
	s_add_u32 s0, s7, s0
	s_addc_u32 s1, s14, s1
	v_lshlrev_b32_e32 v0, 3, v0
	s_waitcnt vmcnt(0) lgkmcnt(0)
	v_mov_b32_e32 v4, s1
	v_add_co_u32_e32 v3, vcc, s0, v0
	v_addc_co_u32_e32 v4, vcc, 0, v4, vcc
	flat_store_dwordx2 v[3:4], v[1:2]
.LBB389_16:
	s_endpgm
	.section	.rodata,"a",@progbits
	.p2align	6, 0x0
	.amdhsa_kernel _ZN7rocprim17ROCPRIM_400000_NS6detail17trampoline_kernelINS0_14default_configENS1_27lower_bound_config_selectorIxlEEZNS1_14transform_implILb0ES3_S5_N6thrust23THRUST_200600_302600_NS6detail15normal_iteratorINS8_7pointerIxNS8_11hip_rocprim5par_tENS8_11use_defaultESE_EEEENSA_INSB_IlSD_SE_SE_EEEEZNS1_13binary_searchIS3_S5_NSA_INS8_10device_ptrIxEEEESG_SI_NS1_21lower_bound_search_opENS9_16wrapped_functionINS8_6system6detail7generic6detail18binary_search_lessEbEEEE10hipError_tPvRmT1_T2_T3_mmT4_T5_P12ihipStream_tbEUlRKxE_EESV_SZ_S10_mS11_S14_bEUlT_E_NS1_11comp_targetILNS1_3genE2ELNS1_11target_archE906ELNS1_3gpuE6ELNS1_3repE0EEENS1_30default_config_static_selectorELNS0_4arch9wavefront6targetE1EEEvSY_
		.amdhsa_group_segment_fixed_size 0
		.amdhsa_private_segment_fixed_size 0
		.amdhsa_kernarg_size 312
		.amdhsa_user_sgpr_count 6
		.amdhsa_user_sgpr_private_segment_buffer 1
		.amdhsa_user_sgpr_dispatch_ptr 0
		.amdhsa_user_sgpr_queue_ptr 0
		.amdhsa_user_sgpr_kernarg_segment_ptr 1
		.amdhsa_user_sgpr_dispatch_id 0
		.amdhsa_user_sgpr_flat_scratch_init 0
		.amdhsa_user_sgpr_private_segment_size 0
		.amdhsa_uses_dynamic_stack 0
		.amdhsa_system_sgpr_private_segment_wavefront_offset 0
		.amdhsa_system_sgpr_workgroup_id_x 1
		.amdhsa_system_sgpr_workgroup_id_y 0
		.amdhsa_system_sgpr_workgroup_id_z 0
		.amdhsa_system_sgpr_workgroup_info 0
		.amdhsa_system_vgpr_workitem_id 0
		.amdhsa_next_free_vgpr 14
		.amdhsa_next_free_sgpr 18
		.amdhsa_reserve_vcc 1
		.amdhsa_reserve_flat_scratch 0
		.amdhsa_float_round_mode_32 0
		.amdhsa_float_round_mode_16_64 0
		.amdhsa_float_denorm_mode_32 3
		.amdhsa_float_denorm_mode_16_64 3
		.amdhsa_dx10_clamp 1
		.amdhsa_ieee_mode 1
		.amdhsa_fp16_overflow 0
		.amdhsa_exception_fp_ieee_invalid_op 0
		.amdhsa_exception_fp_denorm_src 0
		.amdhsa_exception_fp_ieee_div_zero 0
		.amdhsa_exception_fp_ieee_overflow 0
		.amdhsa_exception_fp_ieee_underflow 0
		.amdhsa_exception_fp_ieee_inexact 0
		.amdhsa_exception_int_div_zero 0
	.end_amdhsa_kernel
	.section	.text._ZN7rocprim17ROCPRIM_400000_NS6detail17trampoline_kernelINS0_14default_configENS1_27lower_bound_config_selectorIxlEEZNS1_14transform_implILb0ES3_S5_N6thrust23THRUST_200600_302600_NS6detail15normal_iteratorINS8_7pointerIxNS8_11hip_rocprim5par_tENS8_11use_defaultESE_EEEENSA_INSB_IlSD_SE_SE_EEEEZNS1_13binary_searchIS3_S5_NSA_INS8_10device_ptrIxEEEESG_SI_NS1_21lower_bound_search_opENS9_16wrapped_functionINS8_6system6detail7generic6detail18binary_search_lessEbEEEE10hipError_tPvRmT1_T2_T3_mmT4_T5_P12ihipStream_tbEUlRKxE_EESV_SZ_S10_mS11_S14_bEUlT_E_NS1_11comp_targetILNS1_3genE2ELNS1_11target_archE906ELNS1_3gpuE6ELNS1_3repE0EEENS1_30default_config_static_selectorELNS0_4arch9wavefront6targetE1EEEvSY_,"axG",@progbits,_ZN7rocprim17ROCPRIM_400000_NS6detail17trampoline_kernelINS0_14default_configENS1_27lower_bound_config_selectorIxlEEZNS1_14transform_implILb0ES3_S5_N6thrust23THRUST_200600_302600_NS6detail15normal_iteratorINS8_7pointerIxNS8_11hip_rocprim5par_tENS8_11use_defaultESE_EEEENSA_INSB_IlSD_SE_SE_EEEEZNS1_13binary_searchIS3_S5_NSA_INS8_10device_ptrIxEEEESG_SI_NS1_21lower_bound_search_opENS9_16wrapped_functionINS8_6system6detail7generic6detail18binary_search_lessEbEEEE10hipError_tPvRmT1_T2_T3_mmT4_T5_P12ihipStream_tbEUlRKxE_EESV_SZ_S10_mS11_S14_bEUlT_E_NS1_11comp_targetILNS1_3genE2ELNS1_11target_archE906ELNS1_3gpuE6ELNS1_3repE0EEENS1_30default_config_static_selectorELNS0_4arch9wavefront6targetE1EEEvSY_,comdat
.Lfunc_end389:
	.size	_ZN7rocprim17ROCPRIM_400000_NS6detail17trampoline_kernelINS0_14default_configENS1_27lower_bound_config_selectorIxlEEZNS1_14transform_implILb0ES3_S5_N6thrust23THRUST_200600_302600_NS6detail15normal_iteratorINS8_7pointerIxNS8_11hip_rocprim5par_tENS8_11use_defaultESE_EEEENSA_INSB_IlSD_SE_SE_EEEEZNS1_13binary_searchIS3_S5_NSA_INS8_10device_ptrIxEEEESG_SI_NS1_21lower_bound_search_opENS9_16wrapped_functionINS8_6system6detail7generic6detail18binary_search_lessEbEEEE10hipError_tPvRmT1_T2_T3_mmT4_T5_P12ihipStream_tbEUlRKxE_EESV_SZ_S10_mS11_S14_bEUlT_E_NS1_11comp_targetILNS1_3genE2ELNS1_11target_archE906ELNS1_3gpuE6ELNS1_3repE0EEENS1_30default_config_static_selectorELNS0_4arch9wavefront6targetE1EEEvSY_, .Lfunc_end389-_ZN7rocprim17ROCPRIM_400000_NS6detail17trampoline_kernelINS0_14default_configENS1_27lower_bound_config_selectorIxlEEZNS1_14transform_implILb0ES3_S5_N6thrust23THRUST_200600_302600_NS6detail15normal_iteratorINS8_7pointerIxNS8_11hip_rocprim5par_tENS8_11use_defaultESE_EEEENSA_INSB_IlSD_SE_SE_EEEEZNS1_13binary_searchIS3_S5_NSA_INS8_10device_ptrIxEEEESG_SI_NS1_21lower_bound_search_opENS9_16wrapped_functionINS8_6system6detail7generic6detail18binary_search_lessEbEEEE10hipError_tPvRmT1_T2_T3_mmT4_T5_P12ihipStream_tbEUlRKxE_EESV_SZ_S10_mS11_S14_bEUlT_E_NS1_11comp_targetILNS1_3genE2ELNS1_11target_archE906ELNS1_3gpuE6ELNS1_3repE0EEENS1_30default_config_static_selectorELNS0_4arch9wavefront6targetE1EEEvSY_
                                        ; -- End function
	.set _ZN7rocprim17ROCPRIM_400000_NS6detail17trampoline_kernelINS0_14default_configENS1_27lower_bound_config_selectorIxlEEZNS1_14transform_implILb0ES3_S5_N6thrust23THRUST_200600_302600_NS6detail15normal_iteratorINS8_7pointerIxNS8_11hip_rocprim5par_tENS8_11use_defaultESE_EEEENSA_INSB_IlSD_SE_SE_EEEEZNS1_13binary_searchIS3_S5_NSA_INS8_10device_ptrIxEEEESG_SI_NS1_21lower_bound_search_opENS9_16wrapped_functionINS8_6system6detail7generic6detail18binary_search_lessEbEEEE10hipError_tPvRmT1_T2_T3_mmT4_T5_P12ihipStream_tbEUlRKxE_EESV_SZ_S10_mS11_S14_bEUlT_E_NS1_11comp_targetILNS1_3genE2ELNS1_11target_archE906ELNS1_3gpuE6ELNS1_3repE0EEENS1_30default_config_static_selectorELNS0_4arch9wavefront6targetE1EEEvSY_.num_vgpr, 14
	.set _ZN7rocprim17ROCPRIM_400000_NS6detail17trampoline_kernelINS0_14default_configENS1_27lower_bound_config_selectorIxlEEZNS1_14transform_implILb0ES3_S5_N6thrust23THRUST_200600_302600_NS6detail15normal_iteratorINS8_7pointerIxNS8_11hip_rocprim5par_tENS8_11use_defaultESE_EEEENSA_INSB_IlSD_SE_SE_EEEEZNS1_13binary_searchIS3_S5_NSA_INS8_10device_ptrIxEEEESG_SI_NS1_21lower_bound_search_opENS9_16wrapped_functionINS8_6system6detail7generic6detail18binary_search_lessEbEEEE10hipError_tPvRmT1_T2_T3_mmT4_T5_P12ihipStream_tbEUlRKxE_EESV_SZ_S10_mS11_S14_bEUlT_E_NS1_11comp_targetILNS1_3genE2ELNS1_11target_archE906ELNS1_3gpuE6ELNS1_3repE0EEENS1_30default_config_static_selectorELNS0_4arch9wavefront6targetE1EEEvSY_.num_agpr, 0
	.set _ZN7rocprim17ROCPRIM_400000_NS6detail17trampoline_kernelINS0_14default_configENS1_27lower_bound_config_selectorIxlEEZNS1_14transform_implILb0ES3_S5_N6thrust23THRUST_200600_302600_NS6detail15normal_iteratorINS8_7pointerIxNS8_11hip_rocprim5par_tENS8_11use_defaultESE_EEEENSA_INSB_IlSD_SE_SE_EEEEZNS1_13binary_searchIS3_S5_NSA_INS8_10device_ptrIxEEEESG_SI_NS1_21lower_bound_search_opENS9_16wrapped_functionINS8_6system6detail7generic6detail18binary_search_lessEbEEEE10hipError_tPvRmT1_T2_T3_mmT4_T5_P12ihipStream_tbEUlRKxE_EESV_SZ_S10_mS11_S14_bEUlT_E_NS1_11comp_targetILNS1_3genE2ELNS1_11target_archE906ELNS1_3gpuE6ELNS1_3repE0EEENS1_30default_config_static_selectorELNS0_4arch9wavefront6targetE1EEEvSY_.numbered_sgpr, 18
	.set _ZN7rocprim17ROCPRIM_400000_NS6detail17trampoline_kernelINS0_14default_configENS1_27lower_bound_config_selectorIxlEEZNS1_14transform_implILb0ES3_S5_N6thrust23THRUST_200600_302600_NS6detail15normal_iteratorINS8_7pointerIxNS8_11hip_rocprim5par_tENS8_11use_defaultESE_EEEENSA_INSB_IlSD_SE_SE_EEEEZNS1_13binary_searchIS3_S5_NSA_INS8_10device_ptrIxEEEESG_SI_NS1_21lower_bound_search_opENS9_16wrapped_functionINS8_6system6detail7generic6detail18binary_search_lessEbEEEE10hipError_tPvRmT1_T2_T3_mmT4_T5_P12ihipStream_tbEUlRKxE_EESV_SZ_S10_mS11_S14_bEUlT_E_NS1_11comp_targetILNS1_3genE2ELNS1_11target_archE906ELNS1_3gpuE6ELNS1_3repE0EEENS1_30default_config_static_selectorELNS0_4arch9wavefront6targetE1EEEvSY_.num_named_barrier, 0
	.set _ZN7rocprim17ROCPRIM_400000_NS6detail17trampoline_kernelINS0_14default_configENS1_27lower_bound_config_selectorIxlEEZNS1_14transform_implILb0ES3_S5_N6thrust23THRUST_200600_302600_NS6detail15normal_iteratorINS8_7pointerIxNS8_11hip_rocprim5par_tENS8_11use_defaultESE_EEEENSA_INSB_IlSD_SE_SE_EEEEZNS1_13binary_searchIS3_S5_NSA_INS8_10device_ptrIxEEEESG_SI_NS1_21lower_bound_search_opENS9_16wrapped_functionINS8_6system6detail7generic6detail18binary_search_lessEbEEEE10hipError_tPvRmT1_T2_T3_mmT4_T5_P12ihipStream_tbEUlRKxE_EESV_SZ_S10_mS11_S14_bEUlT_E_NS1_11comp_targetILNS1_3genE2ELNS1_11target_archE906ELNS1_3gpuE6ELNS1_3repE0EEENS1_30default_config_static_selectorELNS0_4arch9wavefront6targetE1EEEvSY_.private_seg_size, 0
	.set _ZN7rocprim17ROCPRIM_400000_NS6detail17trampoline_kernelINS0_14default_configENS1_27lower_bound_config_selectorIxlEEZNS1_14transform_implILb0ES3_S5_N6thrust23THRUST_200600_302600_NS6detail15normal_iteratorINS8_7pointerIxNS8_11hip_rocprim5par_tENS8_11use_defaultESE_EEEENSA_INSB_IlSD_SE_SE_EEEEZNS1_13binary_searchIS3_S5_NSA_INS8_10device_ptrIxEEEESG_SI_NS1_21lower_bound_search_opENS9_16wrapped_functionINS8_6system6detail7generic6detail18binary_search_lessEbEEEE10hipError_tPvRmT1_T2_T3_mmT4_T5_P12ihipStream_tbEUlRKxE_EESV_SZ_S10_mS11_S14_bEUlT_E_NS1_11comp_targetILNS1_3genE2ELNS1_11target_archE906ELNS1_3gpuE6ELNS1_3repE0EEENS1_30default_config_static_selectorELNS0_4arch9wavefront6targetE1EEEvSY_.uses_vcc, 1
	.set _ZN7rocprim17ROCPRIM_400000_NS6detail17trampoline_kernelINS0_14default_configENS1_27lower_bound_config_selectorIxlEEZNS1_14transform_implILb0ES3_S5_N6thrust23THRUST_200600_302600_NS6detail15normal_iteratorINS8_7pointerIxNS8_11hip_rocprim5par_tENS8_11use_defaultESE_EEEENSA_INSB_IlSD_SE_SE_EEEEZNS1_13binary_searchIS3_S5_NSA_INS8_10device_ptrIxEEEESG_SI_NS1_21lower_bound_search_opENS9_16wrapped_functionINS8_6system6detail7generic6detail18binary_search_lessEbEEEE10hipError_tPvRmT1_T2_T3_mmT4_T5_P12ihipStream_tbEUlRKxE_EESV_SZ_S10_mS11_S14_bEUlT_E_NS1_11comp_targetILNS1_3genE2ELNS1_11target_archE906ELNS1_3gpuE6ELNS1_3repE0EEENS1_30default_config_static_selectorELNS0_4arch9wavefront6targetE1EEEvSY_.uses_flat_scratch, 0
	.set _ZN7rocprim17ROCPRIM_400000_NS6detail17trampoline_kernelINS0_14default_configENS1_27lower_bound_config_selectorIxlEEZNS1_14transform_implILb0ES3_S5_N6thrust23THRUST_200600_302600_NS6detail15normal_iteratorINS8_7pointerIxNS8_11hip_rocprim5par_tENS8_11use_defaultESE_EEEENSA_INSB_IlSD_SE_SE_EEEEZNS1_13binary_searchIS3_S5_NSA_INS8_10device_ptrIxEEEESG_SI_NS1_21lower_bound_search_opENS9_16wrapped_functionINS8_6system6detail7generic6detail18binary_search_lessEbEEEE10hipError_tPvRmT1_T2_T3_mmT4_T5_P12ihipStream_tbEUlRKxE_EESV_SZ_S10_mS11_S14_bEUlT_E_NS1_11comp_targetILNS1_3genE2ELNS1_11target_archE906ELNS1_3gpuE6ELNS1_3repE0EEENS1_30default_config_static_selectorELNS0_4arch9wavefront6targetE1EEEvSY_.has_dyn_sized_stack, 0
	.set _ZN7rocprim17ROCPRIM_400000_NS6detail17trampoline_kernelINS0_14default_configENS1_27lower_bound_config_selectorIxlEEZNS1_14transform_implILb0ES3_S5_N6thrust23THRUST_200600_302600_NS6detail15normal_iteratorINS8_7pointerIxNS8_11hip_rocprim5par_tENS8_11use_defaultESE_EEEENSA_INSB_IlSD_SE_SE_EEEEZNS1_13binary_searchIS3_S5_NSA_INS8_10device_ptrIxEEEESG_SI_NS1_21lower_bound_search_opENS9_16wrapped_functionINS8_6system6detail7generic6detail18binary_search_lessEbEEEE10hipError_tPvRmT1_T2_T3_mmT4_T5_P12ihipStream_tbEUlRKxE_EESV_SZ_S10_mS11_S14_bEUlT_E_NS1_11comp_targetILNS1_3genE2ELNS1_11target_archE906ELNS1_3gpuE6ELNS1_3repE0EEENS1_30default_config_static_selectorELNS0_4arch9wavefront6targetE1EEEvSY_.has_recursion, 0
	.set _ZN7rocprim17ROCPRIM_400000_NS6detail17trampoline_kernelINS0_14default_configENS1_27lower_bound_config_selectorIxlEEZNS1_14transform_implILb0ES3_S5_N6thrust23THRUST_200600_302600_NS6detail15normal_iteratorINS8_7pointerIxNS8_11hip_rocprim5par_tENS8_11use_defaultESE_EEEENSA_INSB_IlSD_SE_SE_EEEEZNS1_13binary_searchIS3_S5_NSA_INS8_10device_ptrIxEEEESG_SI_NS1_21lower_bound_search_opENS9_16wrapped_functionINS8_6system6detail7generic6detail18binary_search_lessEbEEEE10hipError_tPvRmT1_T2_T3_mmT4_T5_P12ihipStream_tbEUlRKxE_EESV_SZ_S10_mS11_S14_bEUlT_E_NS1_11comp_targetILNS1_3genE2ELNS1_11target_archE906ELNS1_3gpuE6ELNS1_3repE0EEENS1_30default_config_static_selectorELNS0_4arch9wavefront6targetE1EEEvSY_.has_indirect_call, 0
	.section	.AMDGPU.csdata,"",@progbits
; Kernel info:
; codeLenInByte = 700
; TotalNumSgprs: 22
; NumVgprs: 14
; ScratchSize: 0
; MemoryBound: 0
; FloatMode: 240
; IeeeMode: 1
; LDSByteSize: 0 bytes/workgroup (compile time only)
; SGPRBlocks: 2
; VGPRBlocks: 3
; NumSGPRsForWavesPerEU: 22
; NumVGPRsForWavesPerEU: 14
; Occupancy: 10
; WaveLimiterHint : 0
; COMPUTE_PGM_RSRC2:SCRATCH_EN: 0
; COMPUTE_PGM_RSRC2:USER_SGPR: 6
; COMPUTE_PGM_RSRC2:TRAP_HANDLER: 0
; COMPUTE_PGM_RSRC2:TGID_X_EN: 1
; COMPUTE_PGM_RSRC2:TGID_Y_EN: 0
; COMPUTE_PGM_RSRC2:TGID_Z_EN: 0
; COMPUTE_PGM_RSRC2:TIDIG_COMP_CNT: 0
	.section	.text._ZN7rocprim17ROCPRIM_400000_NS6detail17trampoline_kernelINS0_14default_configENS1_27lower_bound_config_selectorIxlEEZNS1_14transform_implILb0ES3_S5_N6thrust23THRUST_200600_302600_NS6detail15normal_iteratorINS8_7pointerIxNS8_11hip_rocprim5par_tENS8_11use_defaultESE_EEEENSA_INSB_IlSD_SE_SE_EEEEZNS1_13binary_searchIS3_S5_NSA_INS8_10device_ptrIxEEEESG_SI_NS1_21lower_bound_search_opENS9_16wrapped_functionINS8_6system6detail7generic6detail18binary_search_lessEbEEEE10hipError_tPvRmT1_T2_T3_mmT4_T5_P12ihipStream_tbEUlRKxE_EESV_SZ_S10_mS11_S14_bEUlT_E_NS1_11comp_targetILNS1_3genE10ELNS1_11target_archE1201ELNS1_3gpuE5ELNS1_3repE0EEENS1_30default_config_static_selectorELNS0_4arch9wavefront6targetE1EEEvSY_,"axG",@progbits,_ZN7rocprim17ROCPRIM_400000_NS6detail17trampoline_kernelINS0_14default_configENS1_27lower_bound_config_selectorIxlEEZNS1_14transform_implILb0ES3_S5_N6thrust23THRUST_200600_302600_NS6detail15normal_iteratorINS8_7pointerIxNS8_11hip_rocprim5par_tENS8_11use_defaultESE_EEEENSA_INSB_IlSD_SE_SE_EEEEZNS1_13binary_searchIS3_S5_NSA_INS8_10device_ptrIxEEEESG_SI_NS1_21lower_bound_search_opENS9_16wrapped_functionINS8_6system6detail7generic6detail18binary_search_lessEbEEEE10hipError_tPvRmT1_T2_T3_mmT4_T5_P12ihipStream_tbEUlRKxE_EESV_SZ_S10_mS11_S14_bEUlT_E_NS1_11comp_targetILNS1_3genE10ELNS1_11target_archE1201ELNS1_3gpuE5ELNS1_3repE0EEENS1_30default_config_static_selectorELNS0_4arch9wavefront6targetE1EEEvSY_,comdat
	.protected	_ZN7rocprim17ROCPRIM_400000_NS6detail17trampoline_kernelINS0_14default_configENS1_27lower_bound_config_selectorIxlEEZNS1_14transform_implILb0ES3_S5_N6thrust23THRUST_200600_302600_NS6detail15normal_iteratorINS8_7pointerIxNS8_11hip_rocprim5par_tENS8_11use_defaultESE_EEEENSA_INSB_IlSD_SE_SE_EEEEZNS1_13binary_searchIS3_S5_NSA_INS8_10device_ptrIxEEEESG_SI_NS1_21lower_bound_search_opENS9_16wrapped_functionINS8_6system6detail7generic6detail18binary_search_lessEbEEEE10hipError_tPvRmT1_T2_T3_mmT4_T5_P12ihipStream_tbEUlRKxE_EESV_SZ_S10_mS11_S14_bEUlT_E_NS1_11comp_targetILNS1_3genE10ELNS1_11target_archE1201ELNS1_3gpuE5ELNS1_3repE0EEENS1_30default_config_static_selectorELNS0_4arch9wavefront6targetE1EEEvSY_ ; -- Begin function _ZN7rocprim17ROCPRIM_400000_NS6detail17trampoline_kernelINS0_14default_configENS1_27lower_bound_config_selectorIxlEEZNS1_14transform_implILb0ES3_S5_N6thrust23THRUST_200600_302600_NS6detail15normal_iteratorINS8_7pointerIxNS8_11hip_rocprim5par_tENS8_11use_defaultESE_EEEENSA_INSB_IlSD_SE_SE_EEEEZNS1_13binary_searchIS3_S5_NSA_INS8_10device_ptrIxEEEESG_SI_NS1_21lower_bound_search_opENS9_16wrapped_functionINS8_6system6detail7generic6detail18binary_search_lessEbEEEE10hipError_tPvRmT1_T2_T3_mmT4_T5_P12ihipStream_tbEUlRKxE_EESV_SZ_S10_mS11_S14_bEUlT_E_NS1_11comp_targetILNS1_3genE10ELNS1_11target_archE1201ELNS1_3gpuE5ELNS1_3repE0EEENS1_30default_config_static_selectorELNS0_4arch9wavefront6targetE1EEEvSY_
	.globl	_ZN7rocprim17ROCPRIM_400000_NS6detail17trampoline_kernelINS0_14default_configENS1_27lower_bound_config_selectorIxlEEZNS1_14transform_implILb0ES3_S5_N6thrust23THRUST_200600_302600_NS6detail15normal_iteratorINS8_7pointerIxNS8_11hip_rocprim5par_tENS8_11use_defaultESE_EEEENSA_INSB_IlSD_SE_SE_EEEEZNS1_13binary_searchIS3_S5_NSA_INS8_10device_ptrIxEEEESG_SI_NS1_21lower_bound_search_opENS9_16wrapped_functionINS8_6system6detail7generic6detail18binary_search_lessEbEEEE10hipError_tPvRmT1_T2_T3_mmT4_T5_P12ihipStream_tbEUlRKxE_EESV_SZ_S10_mS11_S14_bEUlT_E_NS1_11comp_targetILNS1_3genE10ELNS1_11target_archE1201ELNS1_3gpuE5ELNS1_3repE0EEENS1_30default_config_static_selectorELNS0_4arch9wavefront6targetE1EEEvSY_
	.p2align	8
	.type	_ZN7rocprim17ROCPRIM_400000_NS6detail17trampoline_kernelINS0_14default_configENS1_27lower_bound_config_selectorIxlEEZNS1_14transform_implILb0ES3_S5_N6thrust23THRUST_200600_302600_NS6detail15normal_iteratorINS8_7pointerIxNS8_11hip_rocprim5par_tENS8_11use_defaultESE_EEEENSA_INSB_IlSD_SE_SE_EEEEZNS1_13binary_searchIS3_S5_NSA_INS8_10device_ptrIxEEEESG_SI_NS1_21lower_bound_search_opENS9_16wrapped_functionINS8_6system6detail7generic6detail18binary_search_lessEbEEEE10hipError_tPvRmT1_T2_T3_mmT4_T5_P12ihipStream_tbEUlRKxE_EESV_SZ_S10_mS11_S14_bEUlT_E_NS1_11comp_targetILNS1_3genE10ELNS1_11target_archE1201ELNS1_3gpuE5ELNS1_3repE0EEENS1_30default_config_static_selectorELNS0_4arch9wavefront6targetE1EEEvSY_,@function
_ZN7rocprim17ROCPRIM_400000_NS6detail17trampoline_kernelINS0_14default_configENS1_27lower_bound_config_selectorIxlEEZNS1_14transform_implILb0ES3_S5_N6thrust23THRUST_200600_302600_NS6detail15normal_iteratorINS8_7pointerIxNS8_11hip_rocprim5par_tENS8_11use_defaultESE_EEEENSA_INSB_IlSD_SE_SE_EEEEZNS1_13binary_searchIS3_S5_NSA_INS8_10device_ptrIxEEEESG_SI_NS1_21lower_bound_search_opENS9_16wrapped_functionINS8_6system6detail7generic6detail18binary_search_lessEbEEEE10hipError_tPvRmT1_T2_T3_mmT4_T5_P12ihipStream_tbEUlRKxE_EESV_SZ_S10_mS11_S14_bEUlT_E_NS1_11comp_targetILNS1_3genE10ELNS1_11target_archE1201ELNS1_3gpuE5ELNS1_3repE0EEENS1_30default_config_static_selectorELNS0_4arch9wavefront6targetE1EEEvSY_: ; @_ZN7rocprim17ROCPRIM_400000_NS6detail17trampoline_kernelINS0_14default_configENS1_27lower_bound_config_selectorIxlEEZNS1_14transform_implILb0ES3_S5_N6thrust23THRUST_200600_302600_NS6detail15normal_iteratorINS8_7pointerIxNS8_11hip_rocprim5par_tENS8_11use_defaultESE_EEEENSA_INSB_IlSD_SE_SE_EEEEZNS1_13binary_searchIS3_S5_NSA_INS8_10device_ptrIxEEEESG_SI_NS1_21lower_bound_search_opENS9_16wrapped_functionINS8_6system6detail7generic6detail18binary_search_lessEbEEEE10hipError_tPvRmT1_T2_T3_mmT4_T5_P12ihipStream_tbEUlRKxE_EESV_SZ_S10_mS11_S14_bEUlT_E_NS1_11comp_targetILNS1_3genE10ELNS1_11target_archE1201ELNS1_3gpuE5ELNS1_3repE0EEENS1_30default_config_static_selectorELNS0_4arch9wavefront6targetE1EEEvSY_
; %bb.0:
	.section	.rodata,"a",@progbits
	.p2align	6, 0x0
	.amdhsa_kernel _ZN7rocprim17ROCPRIM_400000_NS6detail17trampoline_kernelINS0_14default_configENS1_27lower_bound_config_selectorIxlEEZNS1_14transform_implILb0ES3_S5_N6thrust23THRUST_200600_302600_NS6detail15normal_iteratorINS8_7pointerIxNS8_11hip_rocprim5par_tENS8_11use_defaultESE_EEEENSA_INSB_IlSD_SE_SE_EEEEZNS1_13binary_searchIS3_S5_NSA_INS8_10device_ptrIxEEEESG_SI_NS1_21lower_bound_search_opENS9_16wrapped_functionINS8_6system6detail7generic6detail18binary_search_lessEbEEEE10hipError_tPvRmT1_T2_T3_mmT4_T5_P12ihipStream_tbEUlRKxE_EESV_SZ_S10_mS11_S14_bEUlT_E_NS1_11comp_targetILNS1_3genE10ELNS1_11target_archE1201ELNS1_3gpuE5ELNS1_3repE0EEENS1_30default_config_static_selectorELNS0_4arch9wavefront6targetE1EEEvSY_
		.amdhsa_group_segment_fixed_size 0
		.amdhsa_private_segment_fixed_size 0
		.amdhsa_kernarg_size 56
		.amdhsa_user_sgpr_count 6
		.amdhsa_user_sgpr_private_segment_buffer 1
		.amdhsa_user_sgpr_dispatch_ptr 0
		.amdhsa_user_sgpr_queue_ptr 0
		.amdhsa_user_sgpr_kernarg_segment_ptr 1
		.amdhsa_user_sgpr_dispatch_id 0
		.amdhsa_user_sgpr_flat_scratch_init 0
		.amdhsa_user_sgpr_private_segment_size 0
		.amdhsa_uses_dynamic_stack 0
		.amdhsa_system_sgpr_private_segment_wavefront_offset 0
		.amdhsa_system_sgpr_workgroup_id_x 1
		.amdhsa_system_sgpr_workgroup_id_y 0
		.amdhsa_system_sgpr_workgroup_id_z 0
		.amdhsa_system_sgpr_workgroup_info 0
		.amdhsa_system_vgpr_workitem_id 0
		.amdhsa_next_free_vgpr 1
		.amdhsa_next_free_sgpr 0
		.amdhsa_reserve_vcc 0
		.amdhsa_reserve_flat_scratch 0
		.amdhsa_float_round_mode_32 0
		.amdhsa_float_round_mode_16_64 0
		.amdhsa_float_denorm_mode_32 3
		.amdhsa_float_denorm_mode_16_64 3
		.amdhsa_dx10_clamp 1
		.amdhsa_ieee_mode 1
		.amdhsa_fp16_overflow 0
		.amdhsa_exception_fp_ieee_invalid_op 0
		.amdhsa_exception_fp_denorm_src 0
		.amdhsa_exception_fp_ieee_div_zero 0
		.amdhsa_exception_fp_ieee_overflow 0
		.amdhsa_exception_fp_ieee_underflow 0
		.amdhsa_exception_fp_ieee_inexact 0
		.amdhsa_exception_int_div_zero 0
	.end_amdhsa_kernel
	.section	.text._ZN7rocprim17ROCPRIM_400000_NS6detail17trampoline_kernelINS0_14default_configENS1_27lower_bound_config_selectorIxlEEZNS1_14transform_implILb0ES3_S5_N6thrust23THRUST_200600_302600_NS6detail15normal_iteratorINS8_7pointerIxNS8_11hip_rocprim5par_tENS8_11use_defaultESE_EEEENSA_INSB_IlSD_SE_SE_EEEEZNS1_13binary_searchIS3_S5_NSA_INS8_10device_ptrIxEEEESG_SI_NS1_21lower_bound_search_opENS9_16wrapped_functionINS8_6system6detail7generic6detail18binary_search_lessEbEEEE10hipError_tPvRmT1_T2_T3_mmT4_T5_P12ihipStream_tbEUlRKxE_EESV_SZ_S10_mS11_S14_bEUlT_E_NS1_11comp_targetILNS1_3genE10ELNS1_11target_archE1201ELNS1_3gpuE5ELNS1_3repE0EEENS1_30default_config_static_selectorELNS0_4arch9wavefront6targetE1EEEvSY_,"axG",@progbits,_ZN7rocprim17ROCPRIM_400000_NS6detail17trampoline_kernelINS0_14default_configENS1_27lower_bound_config_selectorIxlEEZNS1_14transform_implILb0ES3_S5_N6thrust23THRUST_200600_302600_NS6detail15normal_iteratorINS8_7pointerIxNS8_11hip_rocprim5par_tENS8_11use_defaultESE_EEEENSA_INSB_IlSD_SE_SE_EEEEZNS1_13binary_searchIS3_S5_NSA_INS8_10device_ptrIxEEEESG_SI_NS1_21lower_bound_search_opENS9_16wrapped_functionINS8_6system6detail7generic6detail18binary_search_lessEbEEEE10hipError_tPvRmT1_T2_T3_mmT4_T5_P12ihipStream_tbEUlRKxE_EESV_SZ_S10_mS11_S14_bEUlT_E_NS1_11comp_targetILNS1_3genE10ELNS1_11target_archE1201ELNS1_3gpuE5ELNS1_3repE0EEENS1_30default_config_static_selectorELNS0_4arch9wavefront6targetE1EEEvSY_,comdat
.Lfunc_end390:
	.size	_ZN7rocprim17ROCPRIM_400000_NS6detail17trampoline_kernelINS0_14default_configENS1_27lower_bound_config_selectorIxlEEZNS1_14transform_implILb0ES3_S5_N6thrust23THRUST_200600_302600_NS6detail15normal_iteratorINS8_7pointerIxNS8_11hip_rocprim5par_tENS8_11use_defaultESE_EEEENSA_INSB_IlSD_SE_SE_EEEEZNS1_13binary_searchIS3_S5_NSA_INS8_10device_ptrIxEEEESG_SI_NS1_21lower_bound_search_opENS9_16wrapped_functionINS8_6system6detail7generic6detail18binary_search_lessEbEEEE10hipError_tPvRmT1_T2_T3_mmT4_T5_P12ihipStream_tbEUlRKxE_EESV_SZ_S10_mS11_S14_bEUlT_E_NS1_11comp_targetILNS1_3genE10ELNS1_11target_archE1201ELNS1_3gpuE5ELNS1_3repE0EEENS1_30default_config_static_selectorELNS0_4arch9wavefront6targetE1EEEvSY_, .Lfunc_end390-_ZN7rocprim17ROCPRIM_400000_NS6detail17trampoline_kernelINS0_14default_configENS1_27lower_bound_config_selectorIxlEEZNS1_14transform_implILb0ES3_S5_N6thrust23THRUST_200600_302600_NS6detail15normal_iteratorINS8_7pointerIxNS8_11hip_rocprim5par_tENS8_11use_defaultESE_EEEENSA_INSB_IlSD_SE_SE_EEEEZNS1_13binary_searchIS3_S5_NSA_INS8_10device_ptrIxEEEESG_SI_NS1_21lower_bound_search_opENS9_16wrapped_functionINS8_6system6detail7generic6detail18binary_search_lessEbEEEE10hipError_tPvRmT1_T2_T3_mmT4_T5_P12ihipStream_tbEUlRKxE_EESV_SZ_S10_mS11_S14_bEUlT_E_NS1_11comp_targetILNS1_3genE10ELNS1_11target_archE1201ELNS1_3gpuE5ELNS1_3repE0EEENS1_30default_config_static_selectorELNS0_4arch9wavefront6targetE1EEEvSY_
                                        ; -- End function
	.set _ZN7rocprim17ROCPRIM_400000_NS6detail17trampoline_kernelINS0_14default_configENS1_27lower_bound_config_selectorIxlEEZNS1_14transform_implILb0ES3_S5_N6thrust23THRUST_200600_302600_NS6detail15normal_iteratorINS8_7pointerIxNS8_11hip_rocprim5par_tENS8_11use_defaultESE_EEEENSA_INSB_IlSD_SE_SE_EEEEZNS1_13binary_searchIS3_S5_NSA_INS8_10device_ptrIxEEEESG_SI_NS1_21lower_bound_search_opENS9_16wrapped_functionINS8_6system6detail7generic6detail18binary_search_lessEbEEEE10hipError_tPvRmT1_T2_T3_mmT4_T5_P12ihipStream_tbEUlRKxE_EESV_SZ_S10_mS11_S14_bEUlT_E_NS1_11comp_targetILNS1_3genE10ELNS1_11target_archE1201ELNS1_3gpuE5ELNS1_3repE0EEENS1_30default_config_static_selectorELNS0_4arch9wavefront6targetE1EEEvSY_.num_vgpr, 0
	.set _ZN7rocprim17ROCPRIM_400000_NS6detail17trampoline_kernelINS0_14default_configENS1_27lower_bound_config_selectorIxlEEZNS1_14transform_implILb0ES3_S5_N6thrust23THRUST_200600_302600_NS6detail15normal_iteratorINS8_7pointerIxNS8_11hip_rocprim5par_tENS8_11use_defaultESE_EEEENSA_INSB_IlSD_SE_SE_EEEEZNS1_13binary_searchIS3_S5_NSA_INS8_10device_ptrIxEEEESG_SI_NS1_21lower_bound_search_opENS9_16wrapped_functionINS8_6system6detail7generic6detail18binary_search_lessEbEEEE10hipError_tPvRmT1_T2_T3_mmT4_T5_P12ihipStream_tbEUlRKxE_EESV_SZ_S10_mS11_S14_bEUlT_E_NS1_11comp_targetILNS1_3genE10ELNS1_11target_archE1201ELNS1_3gpuE5ELNS1_3repE0EEENS1_30default_config_static_selectorELNS0_4arch9wavefront6targetE1EEEvSY_.num_agpr, 0
	.set _ZN7rocprim17ROCPRIM_400000_NS6detail17trampoline_kernelINS0_14default_configENS1_27lower_bound_config_selectorIxlEEZNS1_14transform_implILb0ES3_S5_N6thrust23THRUST_200600_302600_NS6detail15normal_iteratorINS8_7pointerIxNS8_11hip_rocprim5par_tENS8_11use_defaultESE_EEEENSA_INSB_IlSD_SE_SE_EEEEZNS1_13binary_searchIS3_S5_NSA_INS8_10device_ptrIxEEEESG_SI_NS1_21lower_bound_search_opENS9_16wrapped_functionINS8_6system6detail7generic6detail18binary_search_lessEbEEEE10hipError_tPvRmT1_T2_T3_mmT4_T5_P12ihipStream_tbEUlRKxE_EESV_SZ_S10_mS11_S14_bEUlT_E_NS1_11comp_targetILNS1_3genE10ELNS1_11target_archE1201ELNS1_3gpuE5ELNS1_3repE0EEENS1_30default_config_static_selectorELNS0_4arch9wavefront6targetE1EEEvSY_.numbered_sgpr, 0
	.set _ZN7rocprim17ROCPRIM_400000_NS6detail17trampoline_kernelINS0_14default_configENS1_27lower_bound_config_selectorIxlEEZNS1_14transform_implILb0ES3_S5_N6thrust23THRUST_200600_302600_NS6detail15normal_iteratorINS8_7pointerIxNS8_11hip_rocprim5par_tENS8_11use_defaultESE_EEEENSA_INSB_IlSD_SE_SE_EEEEZNS1_13binary_searchIS3_S5_NSA_INS8_10device_ptrIxEEEESG_SI_NS1_21lower_bound_search_opENS9_16wrapped_functionINS8_6system6detail7generic6detail18binary_search_lessEbEEEE10hipError_tPvRmT1_T2_T3_mmT4_T5_P12ihipStream_tbEUlRKxE_EESV_SZ_S10_mS11_S14_bEUlT_E_NS1_11comp_targetILNS1_3genE10ELNS1_11target_archE1201ELNS1_3gpuE5ELNS1_3repE0EEENS1_30default_config_static_selectorELNS0_4arch9wavefront6targetE1EEEvSY_.num_named_barrier, 0
	.set _ZN7rocprim17ROCPRIM_400000_NS6detail17trampoline_kernelINS0_14default_configENS1_27lower_bound_config_selectorIxlEEZNS1_14transform_implILb0ES3_S5_N6thrust23THRUST_200600_302600_NS6detail15normal_iteratorINS8_7pointerIxNS8_11hip_rocprim5par_tENS8_11use_defaultESE_EEEENSA_INSB_IlSD_SE_SE_EEEEZNS1_13binary_searchIS3_S5_NSA_INS8_10device_ptrIxEEEESG_SI_NS1_21lower_bound_search_opENS9_16wrapped_functionINS8_6system6detail7generic6detail18binary_search_lessEbEEEE10hipError_tPvRmT1_T2_T3_mmT4_T5_P12ihipStream_tbEUlRKxE_EESV_SZ_S10_mS11_S14_bEUlT_E_NS1_11comp_targetILNS1_3genE10ELNS1_11target_archE1201ELNS1_3gpuE5ELNS1_3repE0EEENS1_30default_config_static_selectorELNS0_4arch9wavefront6targetE1EEEvSY_.private_seg_size, 0
	.set _ZN7rocprim17ROCPRIM_400000_NS6detail17trampoline_kernelINS0_14default_configENS1_27lower_bound_config_selectorIxlEEZNS1_14transform_implILb0ES3_S5_N6thrust23THRUST_200600_302600_NS6detail15normal_iteratorINS8_7pointerIxNS8_11hip_rocprim5par_tENS8_11use_defaultESE_EEEENSA_INSB_IlSD_SE_SE_EEEEZNS1_13binary_searchIS3_S5_NSA_INS8_10device_ptrIxEEEESG_SI_NS1_21lower_bound_search_opENS9_16wrapped_functionINS8_6system6detail7generic6detail18binary_search_lessEbEEEE10hipError_tPvRmT1_T2_T3_mmT4_T5_P12ihipStream_tbEUlRKxE_EESV_SZ_S10_mS11_S14_bEUlT_E_NS1_11comp_targetILNS1_3genE10ELNS1_11target_archE1201ELNS1_3gpuE5ELNS1_3repE0EEENS1_30default_config_static_selectorELNS0_4arch9wavefront6targetE1EEEvSY_.uses_vcc, 0
	.set _ZN7rocprim17ROCPRIM_400000_NS6detail17trampoline_kernelINS0_14default_configENS1_27lower_bound_config_selectorIxlEEZNS1_14transform_implILb0ES3_S5_N6thrust23THRUST_200600_302600_NS6detail15normal_iteratorINS8_7pointerIxNS8_11hip_rocprim5par_tENS8_11use_defaultESE_EEEENSA_INSB_IlSD_SE_SE_EEEEZNS1_13binary_searchIS3_S5_NSA_INS8_10device_ptrIxEEEESG_SI_NS1_21lower_bound_search_opENS9_16wrapped_functionINS8_6system6detail7generic6detail18binary_search_lessEbEEEE10hipError_tPvRmT1_T2_T3_mmT4_T5_P12ihipStream_tbEUlRKxE_EESV_SZ_S10_mS11_S14_bEUlT_E_NS1_11comp_targetILNS1_3genE10ELNS1_11target_archE1201ELNS1_3gpuE5ELNS1_3repE0EEENS1_30default_config_static_selectorELNS0_4arch9wavefront6targetE1EEEvSY_.uses_flat_scratch, 0
	.set _ZN7rocprim17ROCPRIM_400000_NS6detail17trampoline_kernelINS0_14default_configENS1_27lower_bound_config_selectorIxlEEZNS1_14transform_implILb0ES3_S5_N6thrust23THRUST_200600_302600_NS6detail15normal_iteratorINS8_7pointerIxNS8_11hip_rocprim5par_tENS8_11use_defaultESE_EEEENSA_INSB_IlSD_SE_SE_EEEEZNS1_13binary_searchIS3_S5_NSA_INS8_10device_ptrIxEEEESG_SI_NS1_21lower_bound_search_opENS9_16wrapped_functionINS8_6system6detail7generic6detail18binary_search_lessEbEEEE10hipError_tPvRmT1_T2_T3_mmT4_T5_P12ihipStream_tbEUlRKxE_EESV_SZ_S10_mS11_S14_bEUlT_E_NS1_11comp_targetILNS1_3genE10ELNS1_11target_archE1201ELNS1_3gpuE5ELNS1_3repE0EEENS1_30default_config_static_selectorELNS0_4arch9wavefront6targetE1EEEvSY_.has_dyn_sized_stack, 0
	.set _ZN7rocprim17ROCPRIM_400000_NS6detail17trampoline_kernelINS0_14default_configENS1_27lower_bound_config_selectorIxlEEZNS1_14transform_implILb0ES3_S5_N6thrust23THRUST_200600_302600_NS6detail15normal_iteratorINS8_7pointerIxNS8_11hip_rocprim5par_tENS8_11use_defaultESE_EEEENSA_INSB_IlSD_SE_SE_EEEEZNS1_13binary_searchIS3_S5_NSA_INS8_10device_ptrIxEEEESG_SI_NS1_21lower_bound_search_opENS9_16wrapped_functionINS8_6system6detail7generic6detail18binary_search_lessEbEEEE10hipError_tPvRmT1_T2_T3_mmT4_T5_P12ihipStream_tbEUlRKxE_EESV_SZ_S10_mS11_S14_bEUlT_E_NS1_11comp_targetILNS1_3genE10ELNS1_11target_archE1201ELNS1_3gpuE5ELNS1_3repE0EEENS1_30default_config_static_selectorELNS0_4arch9wavefront6targetE1EEEvSY_.has_recursion, 0
	.set _ZN7rocprim17ROCPRIM_400000_NS6detail17trampoline_kernelINS0_14default_configENS1_27lower_bound_config_selectorIxlEEZNS1_14transform_implILb0ES3_S5_N6thrust23THRUST_200600_302600_NS6detail15normal_iteratorINS8_7pointerIxNS8_11hip_rocprim5par_tENS8_11use_defaultESE_EEEENSA_INSB_IlSD_SE_SE_EEEEZNS1_13binary_searchIS3_S5_NSA_INS8_10device_ptrIxEEEESG_SI_NS1_21lower_bound_search_opENS9_16wrapped_functionINS8_6system6detail7generic6detail18binary_search_lessEbEEEE10hipError_tPvRmT1_T2_T3_mmT4_T5_P12ihipStream_tbEUlRKxE_EESV_SZ_S10_mS11_S14_bEUlT_E_NS1_11comp_targetILNS1_3genE10ELNS1_11target_archE1201ELNS1_3gpuE5ELNS1_3repE0EEENS1_30default_config_static_selectorELNS0_4arch9wavefront6targetE1EEEvSY_.has_indirect_call, 0
	.section	.AMDGPU.csdata,"",@progbits
; Kernel info:
; codeLenInByte = 0
; TotalNumSgprs: 4
; NumVgprs: 0
; ScratchSize: 0
; MemoryBound: 0
; FloatMode: 240
; IeeeMode: 1
; LDSByteSize: 0 bytes/workgroup (compile time only)
; SGPRBlocks: 0
; VGPRBlocks: 0
; NumSGPRsForWavesPerEU: 4
; NumVGPRsForWavesPerEU: 1
; Occupancy: 10
; WaveLimiterHint : 0
; COMPUTE_PGM_RSRC2:SCRATCH_EN: 0
; COMPUTE_PGM_RSRC2:USER_SGPR: 6
; COMPUTE_PGM_RSRC2:TRAP_HANDLER: 0
; COMPUTE_PGM_RSRC2:TGID_X_EN: 1
; COMPUTE_PGM_RSRC2:TGID_Y_EN: 0
; COMPUTE_PGM_RSRC2:TGID_Z_EN: 0
; COMPUTE_PGM_RSRC2:TIDIG_COMP_CNT: 0
	.section	.text._ZN7rocprim17ROCPRIM_400000_NS6detail17trampoline_kernelINS0_14default_configENS1_27lower_bound_config_selectorIxlEEZNS1_14transform_implILb0ES3_S5_N6thrust23THRUST_200600_302600_NS6detail15normal_iteratorINS8_7pointerIxNS8_11hip_rocprim5par_tENS8_11use_defaultESE_EEEENSA_INSB_IlSD_SE_SE_EEEEZNS1_13binary_searchIS3_S5_NSA_INS8_10device_ptrIxEEEESG_SI_NS1_21lower_bound_search_opENS9_16wrapped_functionINS8_6system6detail7generic6detail18binary_search_lessEbEEEE10hipError_tPvRmT1_T2_T3_mmT4_T5_P12ihipStream_tbEUlRKxE_EESV_SZ_S10_mS11_S14_bEUlT_E_NS1_11comp_targetILNS1_3genE10ELNS1_11target_archE1200ELNS1_3gpuE4ELNS1_3repE0EEENS1_30default_config_static_selectorELNS0_4arch9wavefront6targetE1EEEvSY_,"axG",@progbits,_ZN7rocprim17ROCPRIM_400000_NS6detail17trampoline_kernelINS0_14default_configENS1_27lower_bound_config_selectorIxlEEZNS1_14transform_implILb0ES3_S5_N6thrust23THRUST_200600_302600_NS6detail15normal_iteratorINS8_7pointerIxNS8_11hip_rocprim5par_tENS8_11use_defaultESE_EEEENSA_INSB_IlSD_SE_SE_EEEEZNS1_13binary_searchIS3_S5_NSA_INS8_10device_ptrIxEEEESG_SI_NS1_21lower_bound_search_opENS9_16wrapped_functionINS8_6system6detail7generic6detail18binary_search_lessEbEEEE10hipError_tPvRmT1_T2_T3_mmT4_T5_P12ihipStream_tbEUlRKxE_EESV_SZ_S10_mS11_S14_bEUlT_E_NS1_11comp_targetILNS1_3genE10ELNS1_11target_archE1200ELNS1_3gpuE4ELNS1_3repE0EEENS1_30default_config_static_selectorELNS0_4arch9wavefront6targetE1EEEvSY_,comdat
	.protected	_ZN7rocprim17ROCPRIM_400000_NS6detail17trampoline_kernelINS0_14default_configENS1_27lower_bound_config_selectorIxlEEZNS1_14transform_implILb0ES3_S5_N6thrust23THRUST_200600_302600_NS6detail15normal_iteratorINS8_7pointerIxNS8_11hip_rocprim5par_tENS8_11use_defaultESE_EEEENSA_INSB_IlSD_SE_SE_EEEEZNS1_13binary_searchIS3_S5_NSA_INS8_10device_ptrIxEEEESG_SI_NS1_21lower_bound_search_opENS9_16wrapped_functionINS8_6system6detail7generic6detail18binary_search_lessEbEEEE10hipError_tPvRmT1_T2_T3_mmT4_T5_P12ihipStream_tbEUlRKxE_EESV_SZ_S10_mS11_S14_bEUlT_E_NS1_11comp_targetILNS1_3genE10ELNS1_11target_archE1200ELNS1_3gpuE4ELNS1_3repE0EEENS1_30default_config_static_selectorELNS0_4arch9wavefront6targetE1EEEvSY_ ; -- Begin function _ZN7rocprim17ROCPRIM_400000_NS6detail17trampoline_kernelINS0_14default_configENS1_27lower_bound_config_selectorIxlEEZNS1_14transform_implILb0ES3_S5_N6thrust23THRUST_200600_302600_NS6detail15normal_iteratorINS8_7pointerIxNS8_11hip_rocprim5par_tENS8_11use_defaultESE_EEEENSA_INSB_IlSD_SE_SE_EEEEZNS1_13binary_searchIS3_S5_NSA_INS8_10device_ptrIxEEEESG_SI_NS1_21lower_bound_search_opENS9_16wrapped_functionINS8_6system6detail7generic6detail18binary_search_lessEbEEEE10hipError_tPvRmT1_T2_T3_mmT4_T5_P12ihipStream_tbEUlRKxE_EESV_SZ_S10_mS11_S14_bEUlT_E_NS1_11comp_targetILNS1_3genE10ELNS1_11target_archE1200ELNS1_3gpuE4ELNS1_3repE0EEENS1_30default_config_static_selectorELNS0_4arch9wavefront6targetE1EEEvSY_
	.globl	_ZN7rocprim17ROCPRIM_400000_NS6detail17trampoline_kernelINS0_14default_configENS1_27lower_bound_config_selectorIxlEEZNS1_14transform_implILb0ES3_S5_N6thrust23THRUST_200600_302600_NS6detail15normal_iteratorINS8_7pointerIxNS8_11hip_rocprim5par_tENS8_11use_defaultESE_EEEENSA_INSB_IlSD_SE_SE_EEEEZNS1_13binary_searchIS3_S5_NSA_INS8_10device_ptrIxEEEESG_SI_NS1_21lower_bound_search_opENS9_16wrapped_functionINS8_6system6detail7generic6detail18binary_search_lessEbEEEE10hipError_tPvRmT1_T2_T3_mmT4_T5_P12ihipStream_tbEUlRKxE_EESV_SZ_S10_mS11_S14_bEUlT_E_NS1_11comp_targetILNS1_3genE10ELNS1_11target_archE1200ELNS1_3gpuE4ELNS1_3repE0EEENS1_30default_config_static_selectorELNS0_4arch9wavefront6targetE1EEEvSY_
	.p2align	8
	.type	_ZN7rocprim17ROCPRIM_400000_NS6detail17trampoline_kernelINS0_14default_configENS1_27lower_bound_config_selectorIxlEEZNS1_14transform_implILb0ES3_S5_N6thrust23THRUST_200600_302600_NS6detail15normal_iteratorINS8_7pointerIxNS8_11hip_rocprim5par_tENS8_11use_defaultESE_EEEENSA_INSB_IlSD_SE_SE_EEEEZNS1_13binary_searchIS3_S5_NSA_INS8_10device_ptrIxEEEESG_SI_NS1_21lower_bound_search_opENS9_16wrapped_functionINS8_6system6detail7generic6detail18binary_search_lessEbEEEE10hipError_tPvRmT1_T2_T3_mmT4_T5_P12ihipStream_tbEUlRKxE_EESV_SZ_S10_mS11_S14_bEUlT_E_NS1_11comp_targetILNS1_3genE10ELNS1_11target_archE1200ELNS1_3gpuE4ELNS1_3repE0EEENS1_30default_config_static_selectorELNS0_4arch9wavefront6targetE1EEEvSY_,@function
_ZN7rocprim17ROCPRIM_400000_NS6detail17trampoline_kernelINS0_14default_configENS1_27lower_bound_config_selectorIxlEEZNS1_14transform_implILb0ES3_S5_N6thrust23THRUST_200600_302600_NS6detail15normal_iteratorINS8_7pointerIxNS8_11hip_rocprim5par_tENS8_11use_defaultESE_EEEENSA_INSB_IlSD_SE_SE_EEEEZNS1_13binary_searchIS3_S5_NSA_INS8_10device_ptrIxEEEESG_SI_NS1_21lower_bound_search_opENS9_16wrapped_functionINS8_6system6detail7generic6detail18binary_search_lessEbEEEE10hipError_tPvRmT1_T2_T3_mmT4_T5_P12ihipStream_tbEUlRKxE_EESV_SZ_S10_mS11_S14_bEUlT_E_NS1_11comp_targetILNS1_3genE10ELNS1_11target_archE1200ELNS1_3gpuE4ELNS1_3repE0EEENS1_30default_config_static_selectorELNS0_4arch9wavefront6targetE1EEEvSY_: ; @_ZN7rocprim17ROCPRIM_400000_NS6detail17trampoline_kernelINS0_14default_configENS1_27lower_bound_config_selectorIxlEEZNS1_14transform_implILb0ES3_S5_N6thrust23THRUST_200600_302600_NS6detail15normal_iteratorINS8_7pointerIxNS8_11hip_rocprim5par_tENS8_11use_defaultESE_EEEENSA_INSB_IlSD_SE_SE_EEEEZNS1_13binary_searchIS3_S5_NSA_INS8_10device_ptrIxEEEESG_SI_NS1_21lower_bound_search_opENS9_16wrapped_functionINS8_6system6detail7generic6detail18binary_search_lessEbEEEE10hipError_tPvRmT1_T2_T3_mmT4_T5_P12ihipStream_tbEUlRKxE_EESV_SZ_S10_mS11_S14_bEUlT_E_NS1_11comp_targetILNS1_3genE10ELNS1_11target_archE1200ELNS1_3gpuE4ELNS1_3repE0EEENS1_30default_config_static_selectorELNS0_4arch9wavefront6targetE1EEEvSY_
; %bb.0:
	.section	.rodata,"a",@progbits
	.p2align	6, 0x0
	.amdhsa_kernel _ZN7rocprim17ROCPRIM_400000_NS6detail17trampoline_kernelINS0_14default_configENS1_27lower_bound_config_selectorIxlEEZNS1_14transform_implILb0ES3_S5_N6thrust23THRUST_200600_302600_NS6detail15normal_iteratorINS8_7pointerIxNS8_11hip_rocprim5par_tENS8_11use_defaultESE_EEEENSA_INSB_IlSD_SE_SE_EEEEZNS1_13binary_searchIS3_S5_NSA_INS8_10device_ptrIxEEEESG_SI_NS1_21lower_bound_search_opENS9_16wrapped_functionINS8_6system6detail7generic6detail18binary_search_lessEbEEEE10hipError_tPvRmT1_T2_T3_mmT4_T5_P12ihipStream_tbEUlRKxE_EESV_SZ_S10_mS11_S14_bEUlT_E_NS1_11comp_targetILNS1_3genE10ELNS1_11target_archE1200ELNS1_3gpuE4ELNS1_3repE0EEENS1_30default_config_static_selectorELNS0_4arch9wavefront6targetE1EEEvSY_
		.amdhsa_group_segment_fixed_size 0
		.amdhsa_private_segment_fixed_size 0
		.amdhsa_kernarg_size 56
		.amdhsa_user_sgpr_count 6
		.amdhsa_user_sgpr_private_segment_buffer 1
		.amdhsa_user_sgpr_dispatch_ptr 0
		.amdhsa_user_sgpr_queue_ptr 0
		.amdhsa_user_sgpr_kernarg_segment_ptr 1
		.amdhsa_user_sgpr_dispatch_id 0
		.amdhsa_user_sgpr_flat_scratch_init 0
		.amdhsa_user_sgpr_private_segment_size 0
		.amdhsa_uses_dynamic_stack 0
		.amdhsa_system_sgpr_private_segment_wavefront_offset 0
		.amdhsa_system_sgpr_workgroup_id_x 1
		.amdhsa_system_sgpr_workgroup_id_y 0
		.amdhsa_system_sgpr_workgroup_id_z 0
		.amdhsa_system_sgpr_workgroup_info 0
		.amdhsa_system_vgpr_workitem_id 0
		.amdhsa_next_free_vgpr 1
		.amdhsa_next_free_sgpr 0
		.amdhsa_reserve_vcc 0
		.amdhsa_reserve_flat_scratch 0
		.amdhsa_float_round_mode_32 0
		.amdhsa_float_round_mode_16_64 0
		.amdhsa_float_denorm_mode_32 3
		.amdhsa_float_denorm_mode_16_64 3
		.amdhsa_dx10_clamp 1
		.amdhsa_ieee_mode 1
		.amdhsa_fp16_overflow 0
		.amdhsa_exception_fp_ieee_invalid_op 0
		.amdhsa_exception_fp_denorm_src 0
		.amdhsa_exception_fp_ieee_div_zero 0
		.amdhsa_exception_fp_ieee_overflow 0
		.amdhsa_exception_fp_ieee_underflow 0
		.amdhsa_exception_fp_ieee_inexact 0
		.amdhsa_exception_int_div_zero 0
	.end_amdhsa_kernel
	.section	.text._ZN7rocprim17ROCPRIM_400000_NS6detail17trampoline_kernelINS0_14default_configENS1_27lower_bound_config_selectorIxlEEZNS1_14transform_implILb0ES3_S5_N6thrust23THRUST_200600_302600_NS6detail15normal_iteratorINS8_7pointerIxNS8_11hip_rocprim5par_tENS8_11use_defaultESE_EEEENSA_INSB_IlSD_SE_SE_EEEEZNS1_13binary_searchIS3_S5_NSA_INS8_10device_ptrIxEEEESG_SI_NS1_21lower_bound_search_opENS9_16wrapped_functionINS8_6system6detail7generic6detail18binary_search_lessEbEEEE10hipError_tPvRmT1_T2_T3_mmT4_T5_P12ihipStream_tbEUlRKxE_EESV_SZ_S10_mS11_S14_bEUlT_E_NS1_11comp_targetILNS1_3genE10ELNS1_11target_archE1200ELNS1_3gpuE4ELNS1_3repE0EEENS1_30default_config_static_selectorELNS0_4arch9wavefront6targetE1EEEvSY_,"axG",@progbits,_ZN7rocprim17ROCPRIM_400000_NS6detail17trampoline_kernelINS0_14default_configENS1_27lower_bound_config_selectorIxlEEZNS1_14transform_implILb0ES3_S5_N6thrust23THRUST_200600_302600_NS6detail15normal_iteratorINS8_7pointerIxNS8_11hip_rocprim5par_tENS8_11use_defaultESE_EEEENSA_INSB_IlSD_SE_SE_EEEEZNS1_13binary_searchIS3_S5_NSA_INS8_10device_ptrIxEEEESG_SI_NS1_21lower_bound_search_opENS9_16wrapped_functionINS8_6system6detail7generic6detail18binary_search_lessEbEEEE10hipError_tPvRmT1_T2_T3_mmT4_T5_P12ihipStream_tbEUlRKxE_EESV_SZ_S10_mS11_S14_bEUlT_E_NS1_11comp_targetILNS1_3genE10ELNS1_11target_archE1200ELNS1_3gpuE4ELNS1_3repE0EEENS1_30default_config_static_selectorELNS0_4arch9wavefront6targetE1EEEvSY_,comdat
.Lfunc_end391:
	.size	_ZN7rocprim17ROCPRIM_400000_NS6detail17trampoline_kernelINS0_14default_configENS1_27lower_bound_config_selectorIxlEEZNS1_14transform_implILb0ES3_S5_N6thrust23THRUST_200600_302600_NS6detail15normal_iteratorINS8_7pointerIxNS8_11hip_rocprim5par_tENS8_11use_defaultESE_EEEENSA_INSB_IlSD_SE_SE_EEEEZNS1_13binary_searchIS3_S5_NSA_INS8_10device_ptrIxEEEESG_SI_NS1_21lower_bound_search_opENS9_16wrapped_functionINS8_6system6detail7generic6detail18binary_search_lessEbEEEE10hipError_tPvRmT1_T2_T3_mmT4_T5_P12ihipStream_tbEUlRKxE_EESV_SZ_S10_mS11_S14_bEUlT_E_NS1_11comp_targetILNS1_3genE10ELNS1_11target_archE1200ELNS1_3gpuE4ELNS1_3repE0EEENS1_30default_config_static_selectorELNS0_4arch9wavefront6targetE1EEEvSY_, .Lfunc_end391-_ZN7rocprim17ROCPRIM_400000_NS6detail17trampoline_kernelINS0_14default_configENS1_27lower_bound_config_selectorIxlEEZNS1_14transform_implILb0ES3_S5_N6thrust23THRUST_200600_302600_NS6detail15normal_iteratorINS8_7pointerIxNS8_11hip_rocprim5par_tENS8_11use_defaultESE_EEEENSA_INSB_IlSD_SE_SE_EEEEZNS1_13binary_searchIS3_S5_NSA_INS8_10device_ptrIxEEEESG_SI_NS1_21lower_bound_search_opENS9_16wrapped_functionINS8_6system6detail7generic6detail18binary_search_lessEbEEEE10hipError_tPvRmT1_T2_T3_mmT4_T5_P12ihipStream_tbEUlRKxE_EESV_SZ_S10_mS11_S14_bEUlT_E_NS1_11comp_targetILNS1_3genE10ELNS1_11target_archE1200ELNS1_3gpuE4ELNS1_3repE0EEENS1_30default_config_static_selectorELNS0_4arch9wavefront6targetE1EEEvSY_
                                        ; -- End function
	.set _ZN7rocprim17ROCPRIM_400000_NS6detail17trampoline_kernelINS0_14default_configENS1_27lower_bound_config_selectorIxlEEZNS1_14transform_implILb0ES3_S5_N6thrust23THRUST_200600_302600_NS6detail15normal_iteratorINS8_7pointerIxNS8_11hip_rocprim5par_tENS8_11use_defaultESE_EEEENSA_INSB_IlSD_SE_SE_EEEEZNS1_13binary_searchIS3_S5_NSA_INS8_10device_ptrIxEEEESG_SI_NS1_21lower_bound_search_opENS9_16wrapped_functionINS8_6system6detail7generic6detail18binary_search_lessEbEEEE10hipError_tPvRmT1_T2_T3_mmT4_T5_P12ihipStream_tbEUlRKxE_EESV_SZ_S10_mS11_S14_bEUlT_E_NS1_11comp_targetILNS1_3genE10ELNS1_11target_archE1200ELNS1_3gpuE4ELNS1_3repE0EEENS1_30default_config_static_selectorELNS0_4arch9wavefront6targetE1EEEvSY_.num_vgpr, 0
	.set _ZN7rocprim17ROCPRIM_400000_NS6detail17trampoline_kernelINS0_14default_configENS1_27lower_bound_config_selectorIxlEEZNS1_14transform_implILb0ES3_S5_N6thrust23THRUST_200600_302600_NS6detail15normal_iteratorINS8_7pointerIxNS8_11hip_rocprim5par_tENS8_11use_defaultESE_EEEENSA_INSB_IlSD_SE_SE_EEEEZNS1_13binary_searchIS3_S5_NSA_INS8_10device_ptrIxEEEESG_SI_NS1_21lower_bound_search_opENS9_16wrapped_functionINS8_6system6detail7generic6detail18binary_search_lessEbEEEE10hipError_tPvRmT1_T2_T3_mmT4_T5_P12ihipStream_tbEUlRKxE_EESV_SZ_S10_mS11_S14_bEUlT_E_NS1_11comp_targetILNS1_3genE10ELNS1_11target_archE1200ELNS1_3gpuE4ELNS1_3repE0EEENS1_30default_config_static_selectorELNS0_4arch9wavefront6targetE1EEEvSY_.num_agpr, 0
	.set _ZN7rocprim17ROCPRIM_400000_NS6detail17trampoline_kernelINS0_14default_configENS1_27lower_bound_config_selectorIxlEEZNS1_14transform_implILb0ES3_S5_N6thrust23THRUST_200600_302600_NS6detail15normal_iteratorINS8_7pointerIxNS8_11hip_rocprim5par_tENS8_11use_defaultESE_EEEENSA_INSB_IlSD_SE_SE_EEEEZNS1_13binary_searchIS3_S5_NSA_INS8_10device_ptrIxEEEESG_SI_NS1_21lower_bound_search_opENS9_16wrapped_functionINS8_6system6detail7generic6detail18binary_search_lessEbEEEE10hipError_tPvRmT1_T2_T3_mmT4_T5_P12ihipStream_tbEUlRKxE_EESV_SZ_S10_mS11_S14_bEUlT_E_NS1_11comp_targetILNS1_3genE10ELNS1_11target_archE1200ELNS1_3gpuE4ELNS1_3repE0EEENS1_30default_config_static_selectorELNS0_4arch9wavefront6targetE1EEEvSY_.numbered_sgpr, 0
	.set _ZN7rocprim17ROCPRIM_400000_NS6detail17trampoline_kernelINS0_14default_configENS1_27lower_bound_config_selectorIxlEEZNS1_14transform_implILb0ES3_S5_N6thrust23THRUST_200600_302600_NS6detail15normal_iteratorINS8_7pointerIxNS8_11hip_rocprim5par_tENS8_11use_defaultESE_EEEENSA_INSB_IlSD_SE_SE_EEEEZNS1_13binary_searchIS3_S5_NSA_INS8_10device_ptrIxEEEESG_SI_NS1_21lower_bound_search_opENS9_16wrapped_functionINS8_6system6detail7generic6detail18binary_search_lessEbEEEE10hipError_tPvRmT1_T2_T3_mmT4_T5_P12ihipStream_tbEUlRKxE_EESV_SZ_S10_mS11_S14_bEUlT_E_NS1_11comp_targetILNS1_3genE10ELNS1_11target_archE1200ELNS1_3gpuE4ELNS1_3repE0EEENS1_30default_config_static_selectorELNS0_4arch9wavefront6targetE1EEEvSY_.num_named_barrier, 0
	.set _ZN7rocprim17ROCPRIM_400000_NS6detail17trampoline_kernelINS0_14default_configENS1_27lower_bound_config_selectorIxlEEZNS1_14transform_implILb0ES3_S5_N6thrust23THRUST_200600_302600_NS6detail15normal_iteratorINS8_7pointerIxNS8_11hip_rocprim5par_tENS8_11use_defaultESE_EEEENSA_INSB_IlSD_SE_SE_EEEEZNS1_13binary_searchIS3_S5_NSA_INS8_10device_ptrIxEEEESG_SI_NS1_21lower_bound_search_opENS9_16wrapped_functionINS8_6system6detail7generic6detail18binary_search_lessEbEEEE10hipError_tPvRmT1_T2_T3_mmT4_T5_P12ihipStream_tbEUlRKxE_EESV_SZ_S10_mS11_S14_bEUlT_E_NS1_11comp_targetILNS1_3genE10ELNS1_11target_archE1200ELNS1_3gpuE4ELNS1_3repE0EEENS1_30default_config_static_selectorELNS0_4arch9wavefront6targetE1EEEvSY_.private_seg_size, 0
	.set _ZN7rocprim17ROCPRIM_400000_NS6detail17trampoline_kernelINS0_14default_configENS1_27lower_bound_config_selectorIxlEEZNS1_14transform_implILb0ES3_S5_N6thrust23THRUST_200600_302600_NS6detail15normal_iteratorINS8_7pointerIxNS8_11hip_rocprim5par_tENS8_11use_defaultESE_EEEENSA_INSB_IlSD_SE_SE_EEEEZNS1_13binary_searchIS3_S5_NSA_INS8_10device_ptrIxEEEESG_SI_NS1_21lower_bound_search_opENS9_16wrapped_functionINS8_6system6detail7generic6detail18binary_search_lessEbEEEE10hipError_tPvRmT1_T2_T3_mmT4_T5_P12ihipStream_tbEUlRKxE_EESV_SZ_S10_mS11_S14_bEUlT_E_NS1_11comp_targetILNS1_3genE10ELNS1_11target_archE1200ELNS1_3gpuE4ELNS1_3repE0EEENS1_30default_config_static_selectorELNS0_4arch9wavefront6targetE1EEEvSY_.uses_vcc, 0
	.set _ZN7rocprim17ROCPRIM_400000_NS6detail17trampoline_kernelINS0_14default_configENS1_27lower_bound_config_selectorIxlEEZNS1_14transform_implILb0ES3_S5_N6thrust23THRUST_200600_302600_NS6detail15normal_iteratorINS8_7pointerIxNS8_11hip_rocprim5par_tENS8_11use_defaultESE_EEEENSA_INSB_IlSD_SE_SE_EEEEZNS1_13binary_searchIS3_S5_NSA_INS8_10device_ptrIxEEEESG_SI_NS1_21lower_bound_search_opENS9_16wrapped_functionINS8_6system6detail7generic6detail18binary_search_lessEbEEEE10hipError_tPvRmT1_T2_T3_mmT4_T5_P12ihipStream_tbEUlRKxE_EESV_SZ_S10_mS11_S14_bEUlT_E_NS1_11comp_targetILNS1_3genE10ELNS1_11target_archE1200ELNS1_3gpuE4ELNS1_3repE0EEENS1_30default_config_static_selectorELNS0_4arch9wavefront6targetE1EEEvSY_.uses_flat_scratch, 0
	.set _ZN7rocprim17ROCPRIM_400000_NS6detail17trampoline_kernelINS0_14default_configENS1_27lower_bound_config_selectorIxlEEZNS1_14transform_implILb0ES3_S5_N6thrust23THRUST_200600_302600_NS6detail15normal_iteratorINS8_7pointerIxNS8_11hip_rocprim5par_tENS8_11use_defaultESE_EEEENSA_INSB_IlSD_SE_SE_EEEEZNS1_13binary_searchIS3_S5_NSA_INS8_10device_ptrIxEEEESG_SI_NS1_21lower_bound_search_opENS9_16wrapped_functionINS8_6system6detail7generic6detail18binary_search_lessEbEEEE10hipError_tPvRmT1_T2_T3_mmT4_T5_P12ihipStream_tbEUlRKxE_EESV_SZ_S10_mS11_S14_bEUlT_E_NS1_11comp_targetILNS1_3genE10ELNS1_11target_archE1200ELNS1_3gpuE4ELNS1_3repE0EEENS1_30default_config_static_selectorELNS0_4arch9wavefront6targetE1EEEvSY_.has_dyn_sized_stack, 0
	.set _ZN7rocprim17ROCPRIM_400000_NS6detail17trampoline_kernelINS0_14default_configENS1_27lower_bound_config_selectorIxlEEZNS1_14transform_implILb0ES3_S5_N6thrust23THRUST_200600_302600_NS6detail15normal_iteratorINS8_7pointerIxNS8_11hip_rocprim5par_tENS8_11use_defaultESE_EEEENSA_INSB_IlSD_SE_SE_EEEEZNS1_13binary_searchIS3_S5_NSA_INS8_10device_ptrIxEEEESG_SI_NS1_21lower_bound_search_opENS9_16wrapped_functionINS8_6system6detail7generic6detail18binary_search_lessEbEEEE10hipError_tPvRmT1_T2_T3_mmT4_T5_P12ihipStream_tbEUlRKxE_EESV_SZ_S10_mS11_S14_bEUlT_E_NS1_11comp_targetILNS1_3genE10ELNS1_11target_archE1200ELNS1_3gpuE4ELNS1_3repE0EEENS1_30default_config_static_selectorELNS0_4arch9wavefront6targetE1EEEvSY_.has_recursion, 0
	.set _ZN7rocprim17ROCPRIM_400000_NS6detail17trampoline_kernelINS0_14default_configENS1_27lower_bound_config_selectorIxlEEZNS1_14transform_implILb0ES3_S5_N6thrust23THRUST_200600_302600_NS6detail15normal_iteratorINS8_7pointerIxNS8_11hip_rocprim5par_tENS8_11use_defaultESE_EEEENSA_INSB_IlSD_SE_SE_EEEEZNS1_13binary_searchIS3_S5_NSA_INS8_10device_ptrIxEEEESG_SI_NS1_21lower_bound_search_opENS9_16wrapped_functionINS8_6system6detail7generic6detail18binary_search_lessEbEEEE10hipError_tPvRmT1_T2_T3_mmT4_T5_P12ihipStream_tbEUlRKxE_EESV_SZ_S10_mS11_S14_bEUlT_E_NS1_11comp_targetILNS1_3genE10ELNS1_11target_archE1200ELNS1_3gpuE4ELNS1_3repE0EEENS1_30default_config_static_selectorELNS0_4arch9wavefront6targetE1EEEvSY_.has_indirect_call, 0
	.section	.AMDGPU.csdata,"",@progbits
; Kernel info:
; codeLenInByte = 0
; TotalNumSgprs: 4
; NumVgprs: 0
; ScratchSize: 0
; MemoryBound: 0
; FloatMode: 240
; IeeeMode: 1
; LDSByteSize: 0 bytes/workgroup (compile time only)
; SGPRBlocks: 0
; VGPRBlocks: 0
; NumSGPRsForWavesPerEU: 4
; NumVGPRsForWavesPerEU: 1
; Occupancy: 10
; WaveLimiterHint : 0
; COMPUTE_PGM_RSRC2:SCRATCH_EN: 0
; COMPUTE_PGM_RSRC2:USER_SGPR: 6
; COMPUTE_PGM_RSRC2:TRAP_HANDLER: 0
; COMPUTE_PGM_RSRC2:TGID_X_EN: 1
; COMPUTE_PGM_RSRC2:TGID_Y_EN: 0
; COMPUTE_PGM_RSRC2:TGID_Z_EN: 0
; COMPUTE_PGM_RSRC2:TIDIG_COMP_CNT: 0
	.section	.text._ZN7rocprim17ROCPRIM_400000_NS6detail17trampoline_kernelINS0_14default_configENS1_27lower_bound_config_selectorIxlEEZNS1_14transform_implILb0ES3_S5_N6thrust23THRUST_200600_302600_NS6detail15normal_iteratorINS8_7pointerIxNS8_11hip_rocprim5par_tENS8_11use_defaultESE_EEEENSA_INSB_IlSD_SE_SE_EEEEZNS1_13binary_searchIS3_S5_NSA_INS8_10device_ptrIxEEEESG_SI_NS1_21lower_bound_search_opENS9_16wrapped_functionINS8_6system6detail7generic6detail18binary_search_lessEbEEEE10hipError_tPvRmT1_T2_T3_mmT4_T5_P12ihipStream_tbEUlRKxE_EESV_SZ_S10_mS11_S14_bEUlT_E_NS1_11comp_targetILNS1_3genE9ELNS1_11target_archE1100ELNS1_3gpuE3ELNS1_3repE0EEENS1_30default_config_static_selectorELNS0_4arch9wavefront6targetE1EEEvSY_,"axG",@progbits,_ZN7rocprim17ROCPRIM_400000_NS6detail17trampoline_kernelINS0_14default_configENS1_27lower_bound_config_selectorIxlEEZNS1_14transform_implILb0ES3_S5_N6thrust23THRUST_200600_302600_NS6detail15normal_iteratorINS8_7pointerIxNS8_11hip_rocprim5par_tENS8_11use_defaultESE_EEEENSA_INSB_IlSD_SE_SE_EEEEZNS1_13binary_searchIS3_S5_NSA_INS8_10device_ptrIxEEEESG_SI_NS1_21lower_bound_search_opENS9_16wrapped_functionINS8_6system6detail7generic6detail18binary_search_lessEbEEEE10hipError_tPvRmT1_T2_T3_mmT4_T5_P12ihipStream_tbEUlRKxE_EESV_SZ_S10_mS11_S14_bEUlT_E_NS1_11comp_targetILNS1_3genE9ELNS1_11target_archE1100ELNS1_3gpuE3ELNS1_3repE0EEENS1_30default_config_static_selectorELNS0_4arch9wavefront6targetE1EEEvSY_,comdat
	.protected	_ZN7rocprim17ROCPRIM_400000_NS6detail17trampoline_kernelINS0_14default_configENS1_27lower_bound_config_selectorIxlEEZNS1_14transform_implILb0ES3_S5_N6thrust23THRUST_200600_302600_NS6detail15normal_iteratorINS8_7pointerIxNS8_11hip_rocprim5par_tENS8_11use_defaultESE_EEEENSA_INSB_IlSD_SE_SE_EEEEZNS1_13binary_searchIS3_S5_NSA_INS8_10device_ptrIxEEEESG_SI_NS1_21lower_bound_search_opENS9_16wrapped_functionINS8_6system6detail7generic6detail18binary_search_lessEbEEEE10hipError_tPvRmT1_T2_T3_mmT4_T5_P12ihipStream_tbEUlRKxE_EESV_SZ_S10_mS11_S14_bEUlT_E_NS1_11comp_targetILNS1_3genE9ELNS1_11target_archE1100ELNS1_3gpuE3ELNS1_3repE0EEENS1_30default_config_static_selectorELNS0_4arch9wavefront6targetE1EEEvSY_ ; -- Begin function _ZN7rocprim17ROCPRIM_400000_NS6detail17trampoline_kernelINS0_14default_configENS1_27lower_bound_config_selectorIxlEEZNS1_14transform_implILb0ES3_S5_N6thrust23THRUST_200600_302600_NS6detail15normal_iteratorINS8_7pointerIxNS8_11hip_rocprim5par_tENS8_11use_defaultESE_EEEENSA_INSB_IlSD_SE_SE_EEEEZNS1_13binary_searchIS3_S5_NSA_INS8_10device_ptrIxEEEESG_SI_NS1_21lower_bound_search_opENS9_16wrapped_functionINS8_6system6detail7generic6detail18binary_search_lessEbEEEE10hipError_tPvRmT1_T2_T3_mmT4_T5_P12ihipStream_tbEUlRKxE_EESV_SZ_S10_mS11_S14_bEUlT_E_NS1_11comp_targetILNS1_3genE9ELNS1_11target_archE1100ELNS1_3gpuE3ELNS1_3repE0EEENS1_30default_config_static_selectorELNS0_4arch9wavefront6targetE1EEEvSY_
	.globl	_ZN7rocprim17ROCPRIM_400000_NS6detail17trampoline_kernelINS0_14default_configENS1_27lower_bound_config_selectorIxlEEZNS1_14transform_implILb0ES3_S5_N6thrust23THRUST_200600_302600_NS6detail15normal_iteratorINS8_7pointerIxNS8_11hip_rocprim5par_tENS8_11use_defaultESE_EEEENSA_INSB_IlSD_SE_SE_EEEEZNS1_13binary_searchIS3_S5_NSA_INS8_10device_ptrIxEEEESG_SI_NS1_21lower_bound_search_opENS9_16wrapped_functionINS8_6system6detail7generic6detail18binary_search_lessEbEEEE10hipError_tPvRmT1_T2_T3_mmT4_T5_P12ihipStream_tbEUlRKxE_EESV_SZ_S10_mS11_S14_bEUlT_E_NS1_11comp_targetILNS1_3genE9ELNS1_11target_archE1100ELNS1_3gpuE3ELNS1_3repE0EEENS1_30default_config_static_selectorELNS0_4arch9wavefront6targetE1EEEvSY_
	.p2align	8
	.type	_ZN7rocprim17ROCPRIM_400000_NS6detail17trampoline_kernelINS0_14default_configENS1_27lower_bound_config_selectorIxlEEZNS1_14transform_implILb0ES3_S5_N6thrust23THRUST_200600_302600_NS6detail15normal_iteratorINS8_7pointerIxNS8_11hip_rocprim5par_tENS8_11use_defaultESE_EEEENSA_INSB_IlSD_SE_SE_EEEEZNS1_13binary_searchIS3_S5_NSA_INS8_10device_ptrIxEEEESG_SI_NS1_21lower_bound_search_opENS9_16wrapped_functionINS8_6system6detail7generic6detail18binary_search_lessEbEEEE10hipError_tPvRmT1_T2_T3_mmT4_T5_P12ihipStream_tbEUlRKxE_EESV_SZ_S10_mS11_S14_bEUlT_E_NS1_11comp_targetILNS1_3genE9ELNS1_11target_archE1100ELNS1_3gpuE3ELNS1_3repE0EEENS1_30default_config_static_selectorELNS0_4arch9wavefront6targetE1EEEvSY_,@function
_ZN7rocprim17ROCPRIM_400000_NS6detail17trampoline_kernelINS0_14default_configENS1_27lower_bound_config_selectorIxlEEZNS1_14transform_implILb0ES3_S5_N6thrust23THRUST_200600_302600_NS6detail15normal_iteratorINS8_7pointerIxNS8_11hip_rocprim5par_tENS8_11use_defaultESE_EEEENSA_INSB_IlSD_SE_SE_EEEEZNS1_13binary_searchIS3_S5_NSA_INS8_10device_ptrIxEEEESG_SI_NS1_21lower_bound_search_opENS9_16wrapped_functionINS8_6system6detail7generic6detail18binary_search_lessEbEEEE10hipError_tPvRmT1_T2_T3_mmT4_T5_P12ihipStream_tbEUlRKxE_EESV_SZ_S10_mS11_S14_bEUlT_E_NS1_11comp_targetILNS1_3genE9ELNS1_11target_archE1100ELNS1_3gpuE3ELNS1_3repE0EEENS1_30default_config_static_selectorELNS0_4arch9wavefront6targetE1EEEvSY_: ; @_ZN7rocprim17ROCPRIM_400000_NS6detail17trampoline_kernelINS0_14default_configENS1_27lower_bound_config_selectorIxlEEZNS1_14transform_implILb0ES3_S5_N6thrust23THRUST_200600_302600_NS6detail15normal_iteratorINS8_7pointerIxNS8_11hip_rocprim5par_tENS8_11use_defaultESE_EEEENSA_INSB_IlSD_SE_SE_EEEEZNS1_13binary_searchIS3_S5_NSA_INS8_10device_ptrIxEEEESG_SI_NS1_21lower_bound_search_opENS9_16wrapped_functionINS8_6system6detail7generic6detail18binary_search_lessEbEEEE10hipError_tPvRmT1_T2_T3_mmT4_T5_P12ihipStream_tbEUlRKxE_EESV_SZ_S10_mS11_S14_bEUlT_E_NS1_11comp_targetILNS1_3genE9ELNS1_11target_archE1100ELNS1_3gpuE3ELNS1_3repE0EEENS1_30default_config_static_selectorELNS0_4arch9wavefront6targetE1EEEvSY_
; %bb.0:
	.section	.rodata,"a",@progbits
	.p2align	6, 0x0
	.amdhsa_kernel _ZN7rocprim17ROCPRIM_400000_NS6detail17trampoline_kernelINS0_14default_configENS1_27lower_bound_config_selectorIxlEEZNS1_14transform_implILb0ES3_S5_N6thrust23THRUST_200600_302600_NS6detail15normal_iteratorINS8_7pointerIxNS8_11hip_rocprim5par_tENS8_11use_defaultESE_EEEENSA_INSB_IlSD_SE_SE_EEEEZNS1_13binary_searchIS3_S5_NSA_INS8_10device_ptrIxEEEESG_SI_NS1_21lower_bound_search_opENS9_16wrapped_functionINS8_6system6detail7generic6detail18binary_search_lessEbEEEE10hipError_tPvRmT1_T2_T3_mmT4_T5_P12ihipStream_tbEUlRKxE_EESV_SZ_S10_mS11_S14_bEUlT_E_NS1_11comp_targetILNS1_3genE9ELNS1_11target_archE1100ELNS1_3gpuE3ELNS1_3repE0EEENS1_30default_config_static_selectorELNS0_4arch9wavefront6targetE1EEEvSY_
		.amdhsa_group_segment_fixed_size 0
		.amdhsa_private_segment_fixed_size 0
		.amdhsa_kernarg_size 56
		.amdhsa_user_sgpr_count 6
		.amdhsa_user_sgpr_private_segment_buffer 1
		.amdhsa_user_sgpr_dispatch_ptr 0
		.amdhsa_user_sgpr_queue_ptr 0
		.amdhsa_user_sgpr_kernarg_segment_ptr 1
		.amdhsa_user_sgpr_dispatch_id 0
		.amdhsa_user_sgpr_flat_scratch_init 0
		.amdhsa_user_sgpr_private_segment_size 0
		.amdhsa_uses_dynamic_stack 0
		.amdhsa_system_sgpr_private_segment_wavefront_offset 0
		.amdhsa_system_sgpr_workgroup_id_x 1
		.amdhsa_system_sgpr_workgroup_id_y 0
		.amdhsa_system_sgpr_workgroup_id_z 0
		.amdhsa_system_sgpr_workgroup_info 0
		.amdhsa_system_vgpr_workitem_id 0
		.amdhsa_next_free_vgpr 1
		.amdhsa_next_free_sgpr 0
		.amdhsa_reserve_vcc 0
		.amdhsa_reserve_flat_scratch 0
		.amdhsa_float_round_mode_32 0
		.amdhsa_float_round_mode_16_64 0
		.amdhsa_float_denorm_mode_32 3
		.amdhsa_float_denorm_mode_16_64 3
		.amdhsa_dx10_clamp 1
		.amdhsa_ieee_mode 1
		.amdhsa_fp16_overflow 0
		.amdhsa_exception_fp_ieee_invalid_op 0
		.amdhsa_exception_fp_denorm_src 0
		.amdhsa_exception_fp_ieee_div_zero 0
		.amdhsa_exception_fp_ieee_overflow 0
		.amdhsa_exception_fp_ieee_underflow 0
		.amdhsa_exception_fp_ieee_inexact 0
		.amdhsa_exception_int_div_zero 0
	.end_amdhsa_kernel
	.section	.text._ZN7rocprim17ROCPRIM_400000_NS6detail17trampoline_kernelINS0_14default_configENS1_27lower_bound_config_selectorIxlEEZNS1_14transform_implILb0ES3_S5_N6thrust23THRUST_200600_302600_NS6detail15normal_iteratorINS8_7pointerIxNS8_11hip_rocprim5par_tENS8_11use_defaultESE_EEEENSA_INSB_IlSD_SE_SE_EEEEZNS1_13binary_searchIS3_S5_NSA_INS8_10device_ptrIxEEEESG_SI_NS1_21lower_bound_search_opENS9_16wrapped_functionINS8_6system6detail7generic6detail18binary_search_lessEbEEEE10hipError_tPvRmT1_T2_T3_mmT4_T5_P12ihipStream_tbEUlRKxE_EESV_SZ_S10_mS11_S14_bEUlT_E_NS1_11comp_targetILNS1_3genE9ELNS1_11target_archE1100ELNS1_3gpuE3ELNS1_3repE0EEENS1_30default_config_static_selectorELNS0_4arch9wavefront6targetE1EEEvSY_,"axG",@progbits,_ZN7rocprim17ROCPRIM_400000_NS6detail17trampoline_kernelINS0_14default_configENS1_27lower_bound_config_selectorIxlEEZNS1_14transform_implILb0ES3_S5_N6thrust23THRUST_200600_302600_NS6detail15normal_iteratorINS8_7pointerIxNS8_11hip_rocprim5par_tENS8_11use_defaultESE_EEEENSA_INSB_IlSD_SE_SE_EEEEZNS1_13binary_searchIS3_S5_NSA_INS8_10device_ptrIxEEEESG_SI_NS1_21lower_bound_search_opENS9_16wrapped_functionINS8_6system6detail7generic6detail18binary_search_lessEbEEEE10hipError_tPvRmT1_T2_T3_mmT4_T5_P12ihipStream_tbEUlRKxE_EESV_SZ_S10_mS11_S14_bEUlT_E_NS1_11comp_targetILNS1_3genE9ELNS1_11target_archE1100ELNS1_3gpuE3ELNS1_3repE0EEENS1_30default_config_static_selectorELNS0_4arch9wavefront6targetE1EEEvSY_,comdat
.Lfunc_end392:
	.size	_ZN7rocprim17ROCPRIM_400000_NS6detail17trampoline_kernelINS0_14default_configENS1_27lower_bound_config_selectorIxlEEZNS1_14transform_implILb0ES3_S5_N6thrust23THRUST_200600_302600_NS6detail15normal_iteratorINS8_7pointerIxNS8_11hip_rocprim5par_tENS8_11use_defaultESE_EEEENSA_INSB_IlSD_SE_SE_EEEEZNS1_13binary_searchIS3_S5_NSA_INS8_10device_ptrIxEEEESG_SI_NS1_21lower_bound_search_opENS9_16wrapped_functionINS8_6system6detail7generic6detail18binary_search_lessEbEEEE10hipError_tPvRmT1_T2_T3_mmT4_T5_P12ihipStream_tbEUlRKxE_EESV_SZ_S10_mS11_S14_bEUlT_E_NS1_11comp_targetILNS1_3genE9ELNS1_11target_archE1100ELNS1_3gpuE3ELNS1_3repE0EEENS1_30default_config_static_selectorELNS0_4arch9wavefront6targetE1EEEvSY_, .Lfunc_end392-_ZN7rocprim17ROCPRIM_400000_NS6detail17trampoline_kernelINS0_14default_configENS1_27lower_bound_config_selectorIxlEEZNS1_14transform_implILb0ES3_S5_N6thrust23THRUST_200600_302600_NS6detail15normal_iteratorINS8_7pointerIxNS8_11hip_rocprim5par_tENS8_11use_defaultESE_EEEENSA_INSB_IlSD_SE_SE_EEEEZNS1_13binary_searchIS3_S5_NSA_INS8_10device_ptrIxEEEESG_SI_NS1_21lower_bound_search_opENS9_16wrapped_functionINS8_6system6detail7generic6detail18binary_search_lessEbEEEE10hipError_tPvRmT1_T2_T3_mmT4_T5_P12ihipStream_tbEUlRKxE_EESV_SZ_S10_mS11_S14_bEUlT_E_NS1_11comp_targetILNS1_3genE9ELNS1_11target_archE1100ELNS1_3gpuE3ELNS1_3repE0EEENS1_30default_config_static_selectorELNS0_4arch9wavefront6targetE1EEEvSY_
                                        ; -- End function
	.set _ZN7rocprim17ROCPRIM_400000_NS6detail17trampoline_kernelINS0_14default_configENS1_27lower_bound_config_selectorIxlEEZNS1_14transform_implILb0ES3_S5_N6thrust23THRUST_200600_302600_NS6detail15normal_iteratorINS8_7pointerIxNS8_11hip_rocprim5par_tENS8_11use_defaultESE_EEEENSA_INSB_IlSD_SE_SE_EEEEZNS1_13binary_searchIS3_S5_NSA_INS8_10device_ptrIxEEEESG_SI_NS1_21lower_bound_search_opENS9_16wrapped_functionINS8_6system6detail7generic6detail18binary_search_lessEbEEEE10hipError_tPvRmT1_T2_T3_mmT4_T5_P12ihipStream_tbEUlRKxE_EESV_SZ_S10_mS11_S14_bEUlT_E_NS1_11comp_targetILNS1_3genE9ELNS1_11target_archE1100ELNS1_3gpuE3ELNS1_3repE0EEENS1_30default_config_static_selectorELNS0_4arch9wavefront6targetE1EEEvSY_.num_vgpr, 0
	.set _ZN7rocprim17ROCPRIM_400000_NS6detail17trampoline_kernelINS0_14default_configENS1_27lower_bound_config_selectorIxlEEZNS1_14transform_implILb0ES3_S5_N6thrust23THRUST_200600_302600_NS6detail15normal_iteratorINS8_7pointerIxNS8_11hip_rocprim5par_tENS8_11use_defaultESE_EEEENSA_INSB_IlSD_SE_SE_EEEEZNS1_13binary_searchIS3_S5_NSA_INS8_10device_ptrIxEEEESG_SI_NS1_21lower_bound_search_opENS9_16wrapped_functionINS8_6system6detail7generic6detail18binary_search_lessEbEEEE10hipError_tPvRmT1_T2_T3_mmT4_T5_P12ihipStream_tbEUlRKxE_EESV_SZ_S10_mS11_S14_bEUlT_E_NS1_11comp_targetILNS1_3genE9ELNS1_11target_archE1100ELNS1_3gpuE3ELNS1_3repE0EEENS1_30default_config_static_selectorELNS0_4arch9wavefront6targetE1EEEvSY_.num_agpr, 0
	.set _ZN7rocprim17ROCPRIM_400000_NS6detail17trampoline_kernelINS0_14default_configENS1_27lower_bound_config_selectorIxlEEZNS1_14transform_implILb0ES3_S5_N6thrust23THRUST_200600_302600_NS6detail15normal_iteratorINS8_7pointerIxNS8_11hip_rocprim5par_tENS8_11use_defaultESE_EEEENSA_INSB_IlSD_SE_SE_EEEEZNS1_13binary_searchIS3_S5_NSA_INS8_10device_ptrIxEEEESG_SI_NS1_21lower_bound_search_opENS9_16wrapped_functionINS8_6system6detail7generic6detail18binary_search_lessEbEEEE10hipError_tPvRmT1_T2_T3_mmT4_T5_P12ihipStream_tbEUlRKxE_EESV_SZ_S10_mS11_S14_bEUlT_E_NS1_11comp_targetILNS1_3genE9ELNS1_11target_archE1100ELNS1_3gpuE3ELNS1_3repE0EEENS1_30default_config_static_selectorELNS0_4arch9wavefront6targetE1EEEvSY_.numbered_sgpr, 0
	.set _ZN7rocprim17ROCPRIM_400000_NS6detail17trampoline_kernelINS0_14default_configENS1_27lower_bound_config_selectorIxlEEZNS1_14transform_implILb0ES3_S5_N6thrust23THRUST_200600_302600_NS6detail15normal_iteratorINS8_7pointerIxNS8_11hip_rocprim5par_tENS8_11use_defaultESE_EEEENSA_INSB_IlSD_SE_SE_EEEEZNS1_13binary_searchIS3_S5_NSA_INS8_10device_ptrIxEEEESG_SI_NS1_21lower_bound_search_opENS9_16wrapped_functionINS8_6system6detail7generic6detail18binary_search_lessEbEEEE10hipError_tPvRmT1_T2_T3_mmT4_T5_P12ihipStream_tbEUlRKxE_EESV_SZ_S10_mS11_S14_bEUlT_E_NS1_11comp_targetILNS1_3genE9ELNS1_11target_archE1100ELNS1_3gpuE3ELNS1_3repE0EEENS1_30default_config_static_selectorELNS0_4arch9wavefront6targetE1EEEvSY_.num_named_barrier, 0
	.set _ZN7rocprim17ROCPRIM_400000_NS6detail17trampoline_kernelINS0_14default_configENS1_27lower_bound_config_selectorIxlEEZNS1_14transform_implILb0ES3_S5_N6thrust23THRUST_200600_302600_NS6detail15normal_iteratorINS8_7pointerIxNS8_11hip_rocprim5par_tENS8_11use_defaultESE_EEEENSA_INSB_IlSD_SE_SE_EEEEZNS1_13binary_searchIS3_S5_NSA_INS8_10device_ptrIxEEEESG_SI_NS1_21lower_bound_search_opENS9_16wrapped_functionINS8_6system6detail7generic6detail18binary_search_lessEbEEEE10hipError_tPvRmT1_T2_T3_mmT4_T5_P12ihipStream_tbEUlRKxE_EESV_SZ_S10_mS11_S14_bEUlT_E_NS1_11comp_targetILNS1_3genE9ELNS1_11target_archE1100ELNS1_3gpuE3ELNS1_3repE0EEENS1_30default_config_static_selectorELNS0_4arch9wavefront6targetE1EEEvSY_.private_seg_size, 0
	.set _ZN7rocprim17ROCPRIM_400000_NS6detail17trampoline_kernelINS0_14default_configENS1_27lower_bound_config_selectorIxlEEZNS1_14transform_implILb0ES3_S5_N6thrust23THRUST_200600_302600_NS6detail15normal_iteratorINS8_7pointerIxNS8_11hip_rocprim5par_tENS8_11use_defaultESE_EEEENSA_INSB_IlSD_SE_SE_EEEEZNS1_13binary_searchIS3_S5_NSA_INS8_10device_ptrIxEEEESG_SI_NS1_21lower_bound_search_opENS9_16wrapped_functionINS8_6system6detail7generic6detail18binary_search_lessEbEEEE10hipError_tPvRmT1_T2_T3_mmT4_T5_P12ihipStream_tbEUlRKxE_EESV_SZ_S10_mS11_S14_bEUlT_E_NS1_11comp_targetILNS1_3genE9ELNS1_11target_archE1100ELNS1_3gpuE3ELNS1_3repE0EEENS1_30default_config_static_selectorELNS0_4arch9wavefront6targetE1EEEvSY_.uses_vcc, 0
	.set _ZN7rocprim17ROCPRIM_400000_NS6detail17trampoline_kernelINS0_14default_configENS1_27lower_bound_config_selectorIxlEEZNS1_14transform_implILb0ES3_S5_N6thrust23THRUST_200600_302600_NS6detail15normal_iteratorINS8_7pointerIxNS8_11hip_rocprim5par_tENS8_11use_defaultESE_EEEENSA_INSB_IlSD_SE_SE_EEEEZNS1_13binary_searchIS3_S5_NSA_INS8_10device_ptrIxEEEESG_SI_NS1_21lower_bound_search_opENS9_16wrapped_functionINS8_6system6detail7generic6detail18binary_search_lessEbEEEE10hipError_tPvRmT1_T2_T3_mmT4_T5_P12ihipStream_tbEUlRKxE_EESV_SZ_S10_mS11_S14_bEUlT_E_NS1_11comp_targetILNS1_3genE9ELNS1_11target_archE1100ELNS1_3gpuE3ELNS1_3repE0EEENS1_30default_config_static_selectorELNS0_4arch9wavefront6targetE1EEEvSY_.uses_flat_scratch, 0
	.set _ZN7rocprim17ROCPRIM_400000_NS6detail17trampoline_kernelINS0_14default_configENS1_27lower_bound_config_selectorIxlEEZNS1_14transform_implILb0ES3_S5_N6thrust23THRUST_200600_302600_NS6detail15normal_iteratorINS8_7pointerIxNS8_11hip_rocprim5par_tENS8_11use_defaultESE_EEEENSA_INSB_IlSD_SE_SE_EEEEZNS1_13binary_searchIS3_S5_NSA_INS8_10device_ptrIxEEEESG_SI_NS1_21lower_bound_search_opENS9_16wrapped_functionINS8_6system6detail7generic6detail18binary_search_lessEbEEEE10hipError_tPvRmT1_T2_T3_mmT4_T5_P12ihipStream_tbEUlRKxE_EESV_SZ_S10_mS11_S14_bEUlT_E_NS1_11comp_targetILNS1_3genE9ELNS1_11target_archE1100ELNS1_3gpuE3ELNS1_3repE0EEENS1_30default_config_static_selectorELNS0_4arch9wavefront6targetE1EEEvSY_.has_dyn_sized_stack, 0
	.set _ZN7rocprim17ROCPRIM_400000_NS6detail17trampoline_kernelINS0_14default_configENS1_27lower_bound_config_selectorIxlEEZNS1_14transform_implILb0ES3_S5_N6thrust23THRUST_200600_302600_NS6detail15normal_iteratorINS8_7pointerIxNS8_11hip_rocprim5par_tENS8_11use_defaultESE_EEEENSA_INSB_IlSD_SE_SE_EEEEZNS1_13binary_searchIS3_S5_NSA_INS8_10device_ptrIxEEEESG_SI_NS1_21lower_bound_search_opENS9_16wrapped_functionINS8_6system6detail7generic6detail18binary_search_lessEbEEEE10hipError_tPvRmT1_T2_T3_mmT4_T5_P12ihipStream_tbEUlRKxE_EESV_SZ_S10_mS11_S14_bEUlT_E_NS1_11comp_targetILNS1_3genE9ELNS1_11target_archE1100ELNS1_3gpuE3ELNS1_3repE0EEENS1_30default_config_static_selectorELNS0_4arch9wavefront6targetE1EEEvSY_.has_recursion, 0
	.set _ZN7rocprim17ROCPRIM_400000_NS6detail17trampoline_kernelINS0_14default_configENS1_27lower_bound_config_selectorIxlEEZNS1_14transform_implILb0ES3_S5_N6thrust23THRUST_200600_302600_NS6detail15normal_iteratorINS8_7pointerIxNS8_11hip_rocprim5par_tENS8_11use_defaultESE_EEEENSA_INSB_IlSD_SE_SE_EEEEZNS1_13binary_searchIS3_S5_NSA_INS8_10device_ptrIxEEEESG_SI_NS1_21lower_bound_search_opENS9_16wrapped_functionINS8_6system6detail7generic6detail18binary_search_lessEbEEEE10hipError_tPvRmT1_T2_T3_mmT4_T5_P12ihipStream_tbEUlRKxE_EESV_SZ_S10_mS11_S14_bEUlT_E_NS1_11comp_targetILNS1_3genE9ELNS1_11target_archE1100ELNS1_3gpuE3ELNS1_3repE0EEENS1_30default_config_static_selectorELNS0_4arch9wavefront6targetE1EEEvSY_.has_indirect_call, 0
	.section	.AMDGPU.csdata,"",@progbits
; Kernel info:
; codeLenInByte = 0
; TotalNumSgprs: 4
; NumVgprs: 0
; ScratchSize: 0
; MemoryBound: 0
; FloatMode: 240
; IeeeMode: 1
; LDSByteSize: 0 bytes/workgroup (compile time only)
; SGPRBlocks: 0
; VGPRBlocks: 0
; NumSGPRsForWavesPerEU: 4
; NumVGPRsForWavesPerEU: 1
; Occupancy: 10
; WaveLimiterHint : 0
; COMPUTE_PGM_RSRC2:SCRATCH_EN: 0
; COMPUTE_PGM_RSRC2:USER_SGPR: 6
; COMPUTE_PGM_RSRC2:TRAP_HANDLER: 0
; COMPUTE_PGM_RSRC2:TGID_X_EN: 1
; COMPUTE_PGM_RSRC2:TGID_Y_EN: 0
; COMPUTE_PGM_RSRC2:TGID_Z_EN: 0
; COMPUTE_PGM_RSRC2:TIDIG_COMP_CNT: 0
	.section	.text._ZN7rocprim17ROCPRIM_400000_NS6detail17trampoline_kernelINS0_14default_configENS1_27lower_bound_config_selectorIxlEEZNS1_14transform_implILb0ES3_S5_N6thrust23THRUST_200600_302600_NS6detail15normal_iteratorINS8_7pointerIxNS8_11hip_rocprim5par_tENS8_11use_defaultESE_EEEENSA_INSB_IlSD_SE_SE_EEEEZNS1_13binary_searchIS3_S5_NSA_INS8_10device_ptrIxEEEESG_SI_NS1_21lower_bound_search_opENS9_16wrapped_functionINS8_6system6detail7generic6detail18binary_search_lessEbEEEE10hipError_tPvRmT1_T2_T3_mmT4_T5_P12ihipStream_tbEUlRKxE_EESV_SZ_S10_mS11_S14_bEUlT_E_NS1_11comp_targetILNS1_3genE8ELNS1_11target_archE1030ELNS1_3gpuE2ELNS1_3repE0EEENS1_30default_config_static_selectorELNS0_4arch9wavefront6targetE1EEEvSY_,"axG",@progbits,_ZN7rocprim17ROCPRIM_400000_NS6detail17trampoline_kernelINS0_14default_configENS1_27lower_bound_config_selectorIxlEEZNS1_14transform_implILb0ES3_S5_N6thrust23THRUST_200600_302600_NS6detail15normal_iteratorINS8_7pointerIxNS8_11hip_rocprim5par_tENS8_11use_defaultESE_EEEENSA_INSB_IlSD_SE_SE_EEEEZNS1_13binary_searchIS3_S5_NSA_INS8_10device_ptrIxEEEESG_SI_NS1_21lower_bound_search_opENS9_16wrapped_functionINS8_6system6detail7generic6detail18binary_search_lessEbEEEE10hipError_tPvRmT1_T2_T3_mmT4_T5_P12ihipStream_tbEUlRKxE_EESV_SZ_S10_mS11_S14_bEUlT_E_NS1_11comp_targetILNS1_3genE8ELNS1_11target_archE1030ELNS1_3gpuE2ELNS1_3repE0EEENS1_30default_config_static_selectorELNS0_4arch9wavefront6targetE1EEEvSY_,comdat
	.protected	_ZN7rocprim17ROCPRIM_400000_NS6detail17trampoline_kernelINS0_14default_configENS1_27lower_bound_config_selectorIxlEEZNS1_14transform_implILb0ES3_S5_N6thrust23THRUST_200600_302600_NS6detail15normal_iteratorINS8_7pointerIxNS8_11hip_rocprim5par_tENS8_11use_defaultESE_EEEENSA_INSB_IlSD_SE_SE_EEEEZNS1_13binary_searchIS3_S5_NSA_INS8_10device_ptrIxEEEESG_SI_NS1_21lower_bound_search_opENS9_16wrapped_functionINS8_6system6detail7generic6detail18binary_search_lessEbEEEE10hipError_tPvRmT1_T2_T3_mmT4_T5_P12ihipStream_tbEUlRKxE_EESV_SZ_S10_mS11_S14_bEUlT_E_NS1_11comp_targetILNS1_3genE8ELNS1_11target_archE1030ELNS1_3gpuE2ELNS1_3repE0EEENS1_30default_config_static_selectorELNS0_4arch9wavefront6targetE1EEEvSY_ ; -- Begin function _ZN7rocprim17ROCPRIM_400000_NS6detail17trampoline_kernelINS0_14default_configENS1_27lower_bound_config_selectorIxlEEZNS1_14transform_implILb0ES3_S5_N6thrust23THRUST_200600_302600_NS6detail15normal_iteratorINS8_7pointerIxNS8_11hip_rocprim5par_tENS8_11use_defaultESE_EEEENSA_INSB_IlSD_SE_SE_EEEEZNS1_13binary_searchIS3_S5_NSA_INS8_10device_ptrIxEEEESG_SI_NS1_21lower_bound_search_opENS9_16wrapped_functionINS8_6system6detail7generic6detail18binary_search_lessEbEEEE10hipError_tPvRmT1_T2_T3_mmT4_T5_P12ihipStream_tbEUlRKxE_EESV_SZ_S10_mS11_S14_bEUlT_E_NS1_11comp_targetILNS1_3genE8ELNS1_11target_archE1030ELNS1_3gpuE2ELNS1_3repE0EEENS1_30default_config_static_selectorELNS0_4arch9wavefront6targetE1EEEvSY_
	.globl	_ZN7rocprim17ROCPRIM_400000_NS6detail17trampoline_kernelINS0_14default_configENS1_27lower_bound_config_selectorIxlEEZNS1_14transform_implILb0ES3_S5_N6thrust23THRUST_200600_302600_NS6detail15normal_iteratorINS8_7pointerIxNS8_11hip_rocprim5par_tENS8_11use_defaultESE_EEEENSA_INSB_IlSD_SE_SE_EEEEZNS1_13binary_searchIS3_S5_NSA_INS8_10device_ptrIxEEEESG_SI_NS1_21lower_bound_search_opENS9_16wrapped_functionINS8_6system6detail7generic6detail18binary_search_lessEbEEEE10hipError_tPvRmT1_T2_T3_mmT4_T5_P12ihipStream_tbEUlRKxE_EESV_SZ_S10_mS11_S14_bEUlT_E_NS1_11comp_targetILNS1_3genE8ELNS1_11target_archE1030ELNS1_3gpuE2ELNS1_3repE0EEENS1_30default_config_static_selectorELNS0_4arch9wavefront6targetE1EEEvSY_
	.p2align	8
	.type	_ZN7rocprim17ROCPRIM_400000_NS6detail17trampoline_kernelINS0_14default_configENS1_27lower_bound_config_selectorIxlEEZNS1_14transform_implILb0ES3_S5_N6thrust23THRUST_200600_302600_NS6detail15normal_iteratorINS8_7pointerIxNS8_11hip_rocprim5par_tENS8_11use_defaultESE_EEEENSA_INSB_IlSD_SE_SE_EEEEZNS1_13binary_searchIS3_S5_NSA_INS8_10device_ptrIxEEEESG_SI_NS1_21lower_bound_search_opENS9_16wrapped_functionINS8_6system6detail7generic6detail18binary_search_lessEbEEEE10hipError_tPvRmT1_T2_T3_mmT4_T5_P12ihipStream_tbEUlRKxE_EESV_SZ_S10_mS11_S14_bEUlT_E_NS1_11comp_targetILNS1_3genE8ELNS1_11target_archE1030ELNS1_3gpuE2ELNS1_3repE0EEENS1_30default_config_static_selectorELNS0_4arch9wavefront6targetE1EEEvSY_,@function
_ZN7rocprim17ROCPRIM_400000_NS6detail17trampoline_kernelINS0_14default_configENS1_27lower_bound_config_selectorIxlEEZNS1_14transform_implILb0ES3_S5_N6thrust23THRUST_200600_302600_NS6detail15normal_iteratorINS8_7pointerIxNS8_11hip_rocprim5par_tENS8_11use_defaultESE_EEEENSA_INSB_IlSD_SE_SE_EEEEZNS1_13binary_searchIS3_S5_NSA_INS8_10device_ptrIxEEEESG_SI_NS1_21lower_bound_search_opENS9_16wrapped_functionINS8_6system6detail7generic6detail18binary_search_lessEbEEEE10hipError_tPvRmT1_T2_T3_mmT4_T5_P12ihipStream_tbEUlRKxE_EESV_SZ_S10_mS11_S14_bEUlT_E_NS1_11comp_targetILNS1_3genE8ELNS1_11target_archE1030ELNS1_3gpuE2ELNS1_3repE0EEENS1_30default_config_static_selectorELNS0_4arch9wavefront6targetE1EEEvSY_: ; @_ZN7rocprim17ROCPRIM_400000_NS6detail17trampoline_kernelINS0_14default_configENS1_27lower_bound_config_selectorIxlEEZNS1_14transform_implILb0ES3_S5_N6thrust23THRUST_200600_302600_NS6detail15normal_iteratorINS8_7pointerIxNS8_11hip_rocprim5par_tENS8_11use_defaultESE_EEEENSA_INSB_IlSD_SE_SE_EEEEZNS1_13binary_searchIS3_S5_NSA_INS8_10device_ptrIxEEEESG_SI_NS1_21lower_bound_search_opENS9_16wrapped_functionINS8_6system6detail7generic6detail18binary_search_lessEbEEEE10hipError_tPvRmT1_T2_T3_mmT4_T5_P12ihipStream_tbEUlRKxE_EESV_SZ_S10_mS11_S14_bEUlT_E_NS1_11comp_targetILNS1_3genE8ELNS1_11target_archE1030ELNS1_3gpuE2ELNS1_3repE0EEENS1_30default_config_static_selectorELNS0_4arch9wavefront6targetE1EEEvSY_
; %bb.0:
	.section	.rodata,"a",@progbits
	.p2align	6, 0x0
	.amdhsa_kernel _ZN7rocprim17ROCPRIM_400000_NS6detail17trampoline_kernelINS0_14default_configENS1_27lower_bound_config_selectorIxlEEZNS1_14transform_implILb0ES3_S5_N6thrust23THRUST_200600_302600_NS6detail15normal_iteratorINS8_7pointerIxNS8_11hip_rocprim5par_tENS8_11use_defaultESE_EEEENSA_INSB_IlSD_SE_SE_EEEEZNS1_13binary_searchIS3_S5_NSA_INS8_10device_ptrIxEEEESG_SI_NS1_21lower_bound_search_opENS9_16wrapped_functionINS8_6system6detail7generic6detail18binary_search_lessEbEEEE10hipError_tPvRmT1_T2_T3_mmT4_T5_P12ihipStream_tbEUlRKxE_EESV_SZ_S10_mS11_S14_bEUlT_E_NS1_11comp_targetILNS1_3genE8ELNS1_11target_archE1030ELNS1_3gpuE2ELNS1_3repE0EEENS1_30default_config_static_selectorELNS0_4arch9wavefront6targetE1EEEvSY_
		.amdhsa_group_segment_fixed_size 0
		.amdhsa_private_segment_fixed_size 0
		.amdhsa_kernarg_size 56
		.amdhsa_user_sgpr_count 6
		.amdhsa_user_sgpr_private_segment_buffer 1
		.amdhsa_user_sgpr_dispatch_ptr 0
		.amdhsa_user_sgpr_queue_ptr 0
		.amdhsa_user_sgpr_kernarg_segment_ptr 1
		.amdhsa_user_sgpr_dispatch_id 0
		.amdhsa_user_sgpr_flat_scratch_init 0
		.amdhsa_user_sgpr_private_segment_size 0
		.amdhsa_uses_dynamic_stack 0
		.amdhsa_system_sgpr_private_segment_wavefront_offset 0
		.amdhsa_system_sgpr_workgroup_id_x 1
		.amdhsa_system_sgpr_workgroup_id_y 0
		.amdhsa_system_sgpr_workgroup_id_z 0
		.amdhsa_system_sgpr_workgroup_info 0
		.amdhsa_system_vgpr_workitem_id 0
		.amdhsa_next_free_vgpr 1
		.amdhsa_next_free_sgpr 0
		.amdhsa_reserve_vcc 0
		.amdhsa_reserve_flat_scratch 0
		.amdhsa_float_round_mode_32 0
		.amdhsa_float_round_mode_16_64 0
		.amdhsa_float_denorm_mode_32 3
		.amdhsa_float_denorm_mode_16_64 3
		.amdhsa_dx10_clamp 1
		.amdhsa_ieee_mode 1
		.amdhsa_fp16_overflow 0
		.amdhsa_exception_fp_ieee_invalid_op 0
		.amdhsa_exception_fp_denorm_src 0
		.amdhsa_exception_fp_ieee_div_zero 0
		.amdhsa_exception_fp_ieee_overflow 0
		.amdhsa_exception_fp_ieee_underflow 0
		.amdhsa_exception_fp_ieee_inexact 0
		.amdhsa_exception_int_div_zero 0
	.end_amdhsa_kernel
	.section	.text._ZN7rocprim17ROCPRIM_400000_NS6detail17trampoline_kernelINS0_14default_configENS1_27lower_bound_config_selectorIxlEEZNS1_14transform_implILb0ES3_S5_N6thrust23THRUST_200600_302600_NS6detail15normal_iteratorINS8_7pointerIxNS8_11hip_rocprim5par_tENS8_11use_defaultESE_EEEENSA_INSB_IlSD_SE_SE_EEEEZNS1_13binary_searchIS3_S5_NSA_INS8_10device_ptrIxEEEESG_SI_NS1_21lower_bound_search_opENS9_16wrapped_functionINS8_6system6detail7generic6detail18binary_search_lessEbEEEE10hipError_tPvRmT1_T2_T3_mmT4_T5_P12ihipStream_tbEUlRKxE_EESV_SZ_S10_mS11_S14_bEUlT_E_NS1_11comp_targetILNS1_3genE8ELNS1_11target_archE1030ELNS1_3gpuE2ELNS1_3repE0EEENS1_30default_config_static_selectorELNS0_4arch9wavefront6targetE1EEEvSY_,"axG",@progbits,_ZN7rocprim17ROCPRIM_400000_NS6detail17trampoline_kernelINS0_14default_configENS1_27lower_bound_config_selectorIxlEEZNS1_14transform_implILb0ES3_S5_N6thrust23THRUST_200600_302600_NS6detail15normal_iteratorINS8_7pointerIxNS8_11hip_rocprim5par_tENS8_11use_defaultESE_EEEENSA_INSB_IlSD_SE_SE_EEEEZNS1_13binary_searchIS3_S5_NSA_INS8_10device_ptrIxEEEESG_SI_NS1_21lower_bound_search_opENS9_16wrapped_functionINS8_6system6detail7generic6detail18binary_search_lessEbEEEE10hipError_tPvRmT1_T2_T3_mmT4_T5_P12ihipStream_tbEUlRKxE_EESV_SZ_S10_mS11_S14_bEUlT_E_NS1_11comp_targetILNS1_3genE8ELNS1_11target_archE1030ELNS1_3gpuE2ELNS1_3repE0EEENS1_30default_config_static_selectorELNS0_4arch9wavefront6targetE1EEEvSY_,comdat
.Lfunc_end393:
	.size	_ZN7rocprim17ROCPRIM_400000_NS6detail17trampoline_kernelINS0_14default_configENS1_27lower_bound_config_selectorIxlEEZNS1_14transform_implILb0ES3_S5_N6thrust23THRUST_200600_302600_NS6detail15normal_iteratorINS8_7pointerIxNS8_11hip_rocprim5par_tENS8_11use_defaultESE_EEEENSA_INSB_IlSD_SE_SE_EEEEZNS1_13binary_searchIS3_S5_NSA_INS8_10device_ptrIxEEEESG_SI_NS1_21lower_bound_search_opENS9_16wrapped_functionINS8_6system6detail7generic6detail18binary_search_lessEbEEEE10hipError_tPvRmT1_T2_T3_mmT4_T5_P12ihipStream_tbEUlRKxE_EESV_SZ_S10_mS11_S14_bEUlT_E_NS1_11comp_targetILNS1_3genE8ELNS1_11target_archE1030ELNS1_3gpuE2ELNS1_3repE0EEENS1_30default_config_static_selectorELNS0_4arch9wavefront6targetE1EEEvSY_, .Lfunc_end393-_ZN7rocprim17ROCPRIM_400000_NS6detail17trampoline_kernelINS0_14default_configENS1_27lower_bound_config_selectorIxlEEZNS1_14transform_implILb0ES3_S5_N6thrust23THRUST_200600_302600_NS6detail15normal_iteratorINS8_7pointerIxNS8_11hip_rocprim5par_tENS8_11use_defaultESE_EEEENSA_INSB_IlSD_SE_SE_EEEEZNS1_13binary_searchIS3_S5_NSA_INS8_10device_ptrIxEEEESG_SI_NS1_21lower_bound_search_opENS9_16wrapped_functionINS8_6system6detail7generic6detail18binary_search_lessEbEEEE10hipError_tPvRmT1_T2_T3_mmT4_T5_P12ihipStream_tbEUlRKxE_EESV_SZ_S10_mS11_S14_bEUlT_E_NS1_11comp_targetILNS1_3genE8ELNS1_11target_archE1030ELNS1_3gpuE2ELNS1_3repE0EEENS1_30default_config_static_selectorELNS0_4arch9wavefront6targetE1EEEvSY_
                                        ; -- End function
	.set _ZN7rocprim17ROCPRIM_400000_NS6detail17trampoline_kernelINS0_14default_configENS1_27lower_bound_config_selectorIxlEEZNS1_14transform_implILb0ES3_S5_N6thrust23THRUST_200600_302600_NS6detail15normal_iteratorINS8_7pointerIxNS8_11hip_rocprim5par_tENS8_11use_defaultESE_EEEENSA_INSB_IlSD_SE_SE_EEEEZNS1_13binary_searchIS3_S5_NSA_INS8_10device_ptrIxEEEESG_SI_NS1_21lower_bound_search_opENS9_16wrapped_functionINS8_6system6detail7generic6detail18binary_search_lessEbEEEE10hipError_tPvRmT1_T2_T3_mmT4_T5_P12ihipStream_tbEUlRKxE_EESV_SZ_S10_mS11_S14_bEUlT_E_NS1_11comp_targetILNS1_3genE8ELNS1_11target_archE1030ELNS1_3gpuE2ELNS1_3repE0EEENS1_30default_config_static_selectorELNS0_4arch9wavefront6targetE1EEEvSY_.num_vgpr, 0
	.set _ZN7rocprim17ROCPRIM_400000_NS6detail17trampoline_kernelINS0_14default_configENS1_27lower_bound_config_selectorIxlEEZNS1_14transform_implILb0ES3_S5_N6thrust23THRUST_200600_302600_NS6detail15normal_iteratorINS8_7pointerIxNS8_11hip_rocprim5par_tENS8_11use_defaultESE_EEEENSA_INSB_IlSD_SE_SE_EEEEZNS1_13binary_searchIS3_S5_NSA_INS8_10device_ptrIxEEEESG_SI_NS1_21lower_bound_search_opENS9_16wrapped_functionINS8_6system6detail7generic6detail18binary_search_lessEbEEEE10hipError_tPvRmT1_T2_T3_mmT4_T5_P12ihipStream_tbEUlRKxE_EESV_SZ_S10_mS11_S14_bEUlT_E_NS1_11comp_targetILNS1_3genE8ELNS1_11target_archE1030ELNS1_3gpuE2ELNS1_3repE0EEENS1_30default_config_static_selectorELNS0_4arch9wavefront6targetE1EEEvSY_.num_agpr, 0
	.set _ZN7rocprim17ROCPRIM_400000_NS6detail17trampoline_kernelINS0_14default_configENS1_27lower_bound_config_selectorIxlEEZNS1_14transform_implILb0ES3_S5_N6thrust23THRUST_200600_302600_NS6detail15normal_iteratorINS8_7pointerIxNS8_11hip_rocprim5par_tENS8_11use_defaultESE_EEEENSA_INSB_IlSD_SE_SE_EEEEZNS1_13binary_searchIS3_S5_NSA_INS8_10device_ptrIxEEEESG_SI_NS1_21lower_bound_search_opENS9_16wrapped_functionINS8_6system6detail7generic6detail18binary_search_lessEbEEEE10hipError_tPvRmT1_T2_T3_mmT4_T5_P12ihipStream_tbEUlRKxE_EESV_SZ_S10_mS11_S14_bEUlT_E_NS1_11comp_targetILNS1_3genE8ELNS1_11target_archE1030ELNS1_3gpuE2ELNS1_3repE0EEENS1_30default_config_static_selectorELNS0_4arch9wavefront6targetE1EEEvSY_.numbered_sgpr, 0
	.set _ZN7rocprim17ROCPRIM_400000_NS6detail17trampoline_kernelINS0_14default_configENS1_27lower_bound_config_selectorIxlEEZNS1_14transform_implILb0ES3_S5_N6thrust23THRUST_200600_302600_NS6detail15normal_iteratorINS8_7pointerIxNS8_11hip_rocprim5par_tENS8_11use_defaultESE_EEEENSA_INSB_IlSD_SE_SE_EEEEZNS1_13binary_searchIS3_S5_NSA_INS8_10device_ptrIxEEEESG_SI_NS1_21lower_bound_search_opENS9_16wrapped_functionINS8_6system6detail7generic6detail18binary_search_lessEbEEEE10hipError_tPvRmT1_T2_T3_mmT4_T5_P12ihipStream_tbEUlRKxE_EESV_SZ_S10_mS11_S14_bEUlT_E_NS1_11comp_targetILNS1_3genE8ELNS1_11target_archE1030ELNS1_3gpuE2ELNS1_3repE0EEENS1_30default_config_static_selectorELNS0_4arch9wavefront6targetE1EEEvSY_.num_named_barrier, 0
	.set _ZN7rocprim17ROCPRIM_400000_NS6detail17trampoline_kernelINS0_14default_configENS1_27lower_bound_config_selectorIxlEEZNS1_14transform_implILb0ES3_S5_N6thrust23THRUST_200600_302600_NS6detail15normal_iteratorINS8_7pointerIxNS8_11hip_rocprim5par_tENS8_11use_defaultESE_EEEENSA_INSB_IlSD_SE_SE_EEEEZNS1_13binary_searchIS3_S5_NSA_INS8_10device_ptrIxEEEESG_SI_NS1_21lower_bound_search_opENS9_16wrapped_functionINS8_6system6detail7generic6detail18binary_search_lessEbEEEE10hipError_tPvRmT1_T2_T3_mmT4_T5_P12ihipStream_tbEUlRKxE_EESV_SZ_S10_mS11_S14_bEUlT_E_NS1_11comp_targetILNS1_3genE8ELNS1_11target_archE1030ELNS1_3gpuE2ELNS1_3repE0EEENS1_30default_config_static_selectorELNS0_4arch9wavefront6targetE1EEEvSY_.private_seg_size, 0
	.set _ZN7rocprim17ROCPRIM_400000_NS6detail17trampoline_kernelINS0_14default_configENS1_27lower_bound_config_selectorIxlEEZNS1_14transform_implILb0ES3_S5_N6thrust23THRUST_200600_302600_NS6detail15normal_iteratorINS8_7pointerIxNS8_11hip_rocprim5par_tENS8_11use_defaultESE_EEEENSA_INSB_IlSD_SE_SE_EEEEZNS1_13binary_searchIS3_S5_NSA_INS8_10device_ptrIxEEEESG_SI_NS1_21lower_bound_search_opENS9_16wrapped_functionINS8_6system6detail7generic6detail18binary_search_lessEbEEEE10hipError_tPvRmT1_T2_T3_mmT4_T5_P12ihipStream_tbEUlRKxE_EESV_SZ_S10_mS11_S14_bEUlT_E_NS1_11comp_targetILNS1_3genE8ELNS1_11target_archE1030ELNS1_3gpuE2ELNS1_3repE0EEENS1_30default_config_static_selectorELNS0_4arch9wavefront6targetE1EEEvSY_.uses_vcc, 0
	.set _ZN7rocprim17ROCPRIM_400000_NS6detail17trampoline_kernelINS0_14default_configENS1_27lower_bound_config_selectorIxlEEZNS1_14transform_implILb0ES3_S5_N6thrust23THRUST_200600_302600_NS6detail15normal_iteratorINS8_7pointerIxNS8_11hip_rocprim5par_tENS8_11use_defaultESE_EEEENSA_INSB_IlSD_SE_SE_EEEEZNS1_13binary_searchIS3_S5_NSA_INS8_10device_ptrIxEEEESG_SI_NS1_21lower_bound_search_opENS9_16wrapped_functionINS8_6system6detail7generic6detail18binary_search_lessEbEEEE10hipError_tPvRmT1_T2_T3_mmT4_T5_P12ihipStream_tbEUlRKxE_EESV_SZ_S10_mS11_S14_bEUlT_E_NS1_11comp_targetILNS1_3genE8ELNS1_11target_archE1030ELNS1_3gpuE2ELNS1_3repE0EEENS1_30default_config_static_selectorELNS0_4arch9wavefront6targetE1EEEvSY_.uses_flat_scratch, 0
	.set _ZN7rocprim17ROCPRIM_400000_NS6detail17trampoline_kernelINS0_14default_configENS1_27lower_bound_config_selectorIxlEEZNS1_14transform_implILb0ES3_S5_N6thrust23THRUST_200600_302600_NS6detail15normal_iteratorINS8_7pointerIxNS8_11hip_rocprim5par_tENS8_11use_defaultESE_EEEENSA_INSB_IlSD_SE_SE_EEEEZNS1_13binary_searchIS3_S5_NSA_INS8_10device_ptrIxEEEESG_SI_NS1_21lower_bound_search_opENS9_16wrapped_functionINS8_6system6detail7generic6detail18binary_search_lessEbEEEE10hipError_tPvRmT1_T2_T3_mmT4_T5_P12ihipStream_tbEUlRKxE_EESV_SZ_S10_mS11_S14_bEUlT_E_NS1_11comp_targetILNS1_3genE8ELNS1_11target_archE1030ELNS1_3gpuE2ELNS1_3repE0EEENS1_30default_config_static_selectorELNS0_4arch9wavefront6targetE1EEEvSY_.has_dyn_sized_stack, 0
	.set _ZN7rocprim17ROCPRIM_400000_NS6detail17trampoline_kernelINS0_14default_configENS1_27lower_bound_config_selectorIxlEEZNS1_14transform_implILb0ES3_S5_N6thrust23THRUST_200600_302600_NS6detail15normal_iteratorINS8_7pointerIxNS8_11hip_rocprim5par_tENS8_11use_defaultESE_EEEENSA_INSB_IlSD_SE_SE_EEEEZNS1_13binary_searchIS3_S5_NSA_INS8_10device_ptrIxEEEESG_SI_NS1_21lower_bound_search_opENS9_16wrapped_functionINS8_6system6detail7generic6detail18binary_search_lessEbEEEE10hipError_tPvRmT1_T2_T3_mmT4_T5_P12ihipStream_tbEUlRKxE_EESV_SZ_S10_mS11_S14_bEUlT_E_NS1_11comp_targetILNS1_3genE8ELNS1_11target_archE1030ELNS1_3gpuE2ELNS1_3repE0EEENS1_30default_config_static_selectorELNS0_4arch9wavefront6targetE1EEEvSY_.has_recursion, 0
	.set _ZN7rocprim17ROCPRIM_400000_NS6detail17trampoline_kernelINS0_14default_configENS1_27lower_bound_config_selectorIxlEEZNS1_14transform_implILb0ES3_S5_N6thrust23THRUST_200600_302600_NS6detail15normal_iteratorINS8_7pointerIxNS8_11hip_rocprim5par_tENS8_11use_defaultESE_EEEENSA_INSB_IlSD_SE_SE_EEEEZNS1_13binary_searchIS3_S5_NSA_INS8_10device_ptrIxEEEESG_SI_NS1_21lower_bound_search_opENS9_16wrapped_functionINS8_6system6detail7generic6detail18binary_search_lessEbEEEE10hipError_tPvRmT1_T2_T3_mmT4_T5_P12ihipStream_tbEUlRKxE_EESV_SZ_S10_mS11_S14_bEUlT_E_NS1_11comp_targetILNS1_3genE8ELNS1_11target_archE1030ELNS1_3gpuE2ELNS1_3repE0EEENS1_30default_config_static_selectorELNS0_4arch9wavefront6targetE1EEEvSY_.has_indirect_call, 0
	.section	.AMDGPU.csdata,"",@progbits
; Kernel info:
; codeLenInByte = 0
; TotalNumSgprs: 4
; NumVgprs: 0
; ScratchSize: 0
; MemoryBound: 0
; FloatMode: 240
; IeeeMode: 1
; LDSByteSize: 0 bytes/workgroup (compile time only)
; SGPRBlocks: 0
; VGPRBlocks: 0
; NumSGPRsForWavesPerEU: 4
; NumVGPRsForWavesPerEU: 1
; Occupancy: 10
; WaveLimiterHint : 0
; COMPUTE_PGM_RSRC2:SCRATCH_EN: 0
; COMPUTE_PGM_RSRC2:USER_SGPR: 6
; COMPUTE_PGM_RSRC2:TRAP_HANDLER: 0
; COMPUTE_PGM_RSRC2:TGID_X_EN: 1
; COMPUTE_PGM_RSRC2:TGID_Y_EN: 0
; COMPUTE_PGM_RSRC2:TGID_Z_EN: 0
; COMPUTE_PGM_RSRC2:TIDIG_COMP_CNT: 0
	.section	.text._ZN7rocprim17ROCPRIM_400000_NS6detail17trampoline_kernelINS0_14default_configENS1_27lower_bound_config_selectorIilEEZNS1_14transform_implILb0ES3_S5_N6thrust23THRUST_200600_302600_NS6detail15normal_iteratorINS8_7pointerIiNS8_11hip_rocprim12par_nosync_tENS8_11use_defaultESE_EEEENSA_INSB_IlSD_SE_SE_EEEEZNS1_13binary_searchIS3_S5_NSA_INS8_10device_ptrIiEEEESG_SI_NS1_21lower_bound_search_opENS9_16wrapped_functionINS8_6system6detail7generic6detail18binary_search_lessEbEEEE10hipError_tPvRmT1_T2_T3_mmT4_T5_P12ihipStream_tbEUlRKiE_EESV_SZ_S10_mS11_S14_bEUlT_E_NS1_11comp_targetILNS1_3genE0ELNS1_11target_archE4294967295ELNS1_3gpuE0ELNS1_3repE0EEENS1_30default_config_static_selectorELNS0_4arch9wavefront6targetE1EEEvSY_,"axG",@progbits,_ZN7rocprim17ROCPRIM_400000_NS6detail17trampoline_kernelINS0_14default_configENS1_27lower_bound_config_selectorIilEEZNS1_14transform_implILb0ES3_S5_N6thrust23THRUST_200600_302600_NS6detail15normal_iteratorINS8_7pointerIiNS8_11hip_rocprim12par_nosync_tENS8_11use_defaultESE_EEEENSA_INSB_IlSD_SE_SE_EEEEZNS1_13binary_searchIS3_S5_NSA_INS8_10device_ptrIiEEEESG_SI_NS1_21lower_bound_search_opENS9_16wrapped_functionINS8_6system6detail7generic6detail18binary_search_lessEbEEEE10hipError_tPvRmT1_T2_T3_mmT4_T5_P12ihipStream_tbEUlRKiE_EESV_SZ_S10_mS11_S14_bEUlT_E_NS1_11comp_targetILNS1_3genE0ELNS1_11target_archE4294967295ELNS1_3gpuE0ELNS1_3repE0EEENS1_30default_config_static_selectorELNS0_4arch9wavefront6targetE1EEEvSY_,comdat
	.protected	_ZN7rocprim17ROCPRIM_400000_NS6detail17trampoline_kernelINS0_14default_configENS1_27lower_bound_config_selectorIilEEZNS1_14transform_implILb0ES3_S5_N6thrust23THRUST_200600_302600_NS6detail15normal_iteratorINS8_7pointerIiNS8_11hip_rocprim12par_nosync_tENS8_11use_defaultESE_EEEENSA_INSB_IlSD_SE_SE_EEEEZNS1_13binary_searchIS3_S5_NSA_INS8_10device_ptrIiEEEESG_SI_NS1_21lower_bound_search_opENS9_16wrapped_functionINS8_6system6detail7generic6detail18binary_search_lessEbEEEE10hipError_tPvRmT1_T2_T3_mmT4_T5_P12ihipStream_tbEUlRKiE_EESV_SZ_S10_mS11_S14_bEUlT_E_NS1_11comp_targetILNS1_3genE0ELNS1_11target_archE4294967295ELNS1_3gpuE0ELNS1_3repE0EEENS1_30default_config_static_selectorELNS0_4arch9wavefront6targetE1EEEvSY_ ; -- Begin function _ZN7rocprim17ROCPRIM_400000_NS6detail17trampoline_kernelINS0_14default_configENS1_27lower_bound_config_selectorIilEEZNS1_14transform_implILb0ES3_S5_N6thrust23THRUST_200600_302600_NS6detail15normal_iteratorINS8_7pointerIiNS8_11hip_rocprim12par_nosync_tENS8_11use_defaultESE_EEEENSA_INSB_IlSD_SE_SE_EEEEZNS1_13binary_searchIS3_S5_NSA_INS8_10device_ptrIiEEEESG_SI_NS1_21lower_bound_search_opENS9_16wrapped_functionINS8_6system6detail7generic6detail18binary_search_lessEbEEEE10hipError_tPvRmT1_T2_T3_mmT4_T5_P12ihipStream_tbEUlRKiE_EESV_SZ_S10_mS11_S14_bEUlT_E_NS1_11comp_targetILNS1_3genE0ELNS1_11target_archE4294967295ELNS1_3gpuE0ELNS1_3repE0EEENS1_30default_config_static_selectorELNS0_4arch9wavefront6targetE1EEEvSY_
	.globl	_ZN7rocprim17ROCPRIM_400000_NS6detail17trampoline_kernelINS0_14default_configENS1_27lower_bound_config_selectorIilEEZNS1_14transform_implILb0ES3_S5_N6thrust23THRUST_200600_302600_NS6detail15normal_iteratorINS8_7pointerIiNS8_11hip_rocprim12par_nosync_tENS8_11use_defaultESE_EEEENSA_INSB_IlSD_SE_SE_EEEEZNS1_13binary_searchIS3_S5_NSA_INS8_10device_ptrIiEEEESG_SI_NS1_21lower_bound_search_opENS9_16wrapped_functionINS8_6system6detail7generic6detail18binary_search_lessEbEEEE10hipError_tPvRmT1_T2_T3_mmT4_T5_P12ihipStream_tbEUlRKiE_EESV_SZ_S10_mS11_S14_bEUlT_E_NS1_11comp_targetILNS1_3genE0ELNS1_11target_archE4294967295ELNS1_3gpuE0ELNS1_3repE0EEENS1_30default_config_static_selectorELNS0_4arch9wavefront6targetE1EEEvSY_
	.p2align	8
	.type	_ZN7rocprim17ROCPRIM_400000_NS6detail17trampoline_kernelINS0_14default_configENS1_27lower_bound_config_selectorIilEEZNS1_14transform_implILb0ES3_S5_N6thrust23THRUST_200600_302600_NS6detail15normal_iteratorINS8_7pointerIiNS8_11hip_rocprim12par_nosync_tENS8_11use_defaultESE_EEEENSA_INSB_IlSD_SE_SE_EEEEZNS1_13binary_searchIS3_S5_NSA_INS8_10device_ptrIiEEEESG_SI_NS1_21lower_bound_search_opENS9_16wrapped_functionINS8_6system6detail7generic6detail18binary_search_lessEbEEEE10hipError_tPvRmT1_T2_T3_mmT4_T5_P12ihipStream_tbEUlRKiE_EESV_SZ_S10_mS11_S14_bEUlT_E_NS1_11comp_targetILNS1_3genE0ELNS1_11target_archE4294967295ELNS1_3gpuE0ELNS1_3repE0EEENS1_30default_config_static_selectorELNS0_4arch9wavefront6targetE1EEEvSY_,@function
_ZN7rocprim17ROCPRIM_400000_NS6detail17trampoline_kernelINS0_14default_configENS1_27lower_bound_config_selectorIilEEZNS1_14transform_implILb0ES3_S5_N6thrust23THRUST_200600_302600_NS6detail15normal_iteratorINS8_7pointerIiNS8_11hip_rocprim12par_nosync_tENS8_11use_defaultESE_EEEENSA_INSB_IlSD_SE_SE_EEEEZNS1_13binary_searchIS3_S5_NSA_INS8_10device_ptrIiEEEESG_SI_NS1_21lower_bound_search_opENS9_16wrapped_functionINS8_6system6detail7generic6detail18binary_search_lessEbEEEE10hipError_tPvRmT1_T2_T3_mmT4_T5_P12ihipStream_tbEUlRKiE_EESV_SZ_S10_mS11_S14_bEUlT_E_NS1_11comp_targetILNS1_3genE0ELNS1_11target_archE4294967295ELNS1_3gpuE0ELNS1_3repE0EEENS1_30default_config_static_selectorELNS0_4arch9wavefront6targetE1EEEvSY_: ; @_ZN7rocprim17ROCPRIM_400000_NS6detail17trampoline_kernelINS0_14default_configENS1_27lower_bound_config_selectorIilEEZNS1_14transform_implILb0ES3_S5_N6thrust23THRUST_200600_302600_NS6detail15normal_iteratorINS8_7pointerIiNS8_11hip_rocprim12par_nosync_tENS8_11use_defaultESE_EEEENSA_INSB_IlSD_SE_SE_EEEEZNS1_13binary_searchIS3_S5_NSA_INS8_10device_ptrIiEEEESG_SI_NS1_21lower_bound_search_opENS9_16wrapped_functionINS8_6system6detail7generic6detail18binary_search_lessEbEEEE10hipError_tPvRmT1_T2_T3_mmT4_T5_P12ihipStream_tbEUlRKiE_EESV_SZ_S10_mS11_S14_bEUlT_E_NS1_11comp_targetILNS1_3genE0ELNS1_11target_archE4294967295ELNS1_3gpuE0ELNS1_3repE0EEENS1_30default_config_static_selectorELNS0_4arch9wavefront6targetE1EEEvSY_
; %bb.0:
	.section	.rodata,"a",@progbits
	.p2align	6, 0x0
	.amdhsa_kernel _ZN7rocprim17ROCPRIM_400000_NS6detail17trampoline_kernelINS0_14default_configENS1_27lower_bound_config_selectorIilEEZNS1_14transform_implILb0ES3_S5_N6thrust23THRUST_200600_302600_NS6detail15normal_iteratorINS8_7pointerIiNS8_11hip_rocprim12par_nosync_tENS8_11use_defaultESE_EEEENSA_INSB_IlSD_SE_SE_EEEEZNS1_13binary_searchIS3_S5_NSA_INS8_10device_ptrIiEEEESG_SI_NS1_21lower_bound_search_opENS9_16wrapped_functionINS8_6system6detail7generic6detail18binary_search_lessEbEEEE10hipError_tPvRmT1_T2_T3_mmT4_T5_P12ihipStream_tbEUlRKiE_EESV_SZ_S10_mS11_S14_bEUlT_E_NS1_11comp_targetILNS1_3genE0ELNS1_11target_archE4294967295ELNS1_3gpuE0ELNS1_3repE0EEENS1_30default_config_static_selectorELNS0_4arch9wavefront6targetE1EEEvSY_
		.amdhsa_group_segment_fixed_size 0
		.amdhsa_private_segment_fixed_size 0
		.amdhsa_kernarg_size 56
		.amdhsa_user_sgpr_count 6
		.amdhsa_user_sgpr_private_segment_buffer 1
		.amdhsa_user_sgpr_dispatch_ptr 0
		.amdhsa_user_sgpr_queue_ptr 0
		.amdhsa_user_sgpr_kernarg_segment_ptr 1
		.amdhsa_user_sgpr_dispatch_id 0
		.amdhsa_user_sgpr_flat_scratch_init 0
		.amdhsa_user_sgpr_private_segment_size 0
		.amdhsa_uses_dynamic_stack 0
		.amdhsa_system_sgpr_private_segment_wavefront_offset 0
		.amdhsa_system_sgpr_workgroup_id_x 1
		.amdhsa_system_sgpr_workgroup_id_y 0
		.amdhsa_system_sgpr_workgroup_id_z 0
		.amdhsa_system_sgpr_workgroup_info 0
		.amdhsa_system_vgpr_workitem_id 0
		.amdhsa_next_free_vgpr 1
		.amdhsa_next_free_sgpr 0
		.amdhsa_reserve_vcc 0
		.amdhsa_reserve_flat_scratch 0
		.amdhsa_float_round_mode_32 0
		.amdhsa_float_round_mode_16_64 0
		.amdhsa_float_denorm_mode_32 3
		.amdhsa_float_denorm_mode_16_64 3
		.amdhsa_dx10_clamp 1
		.amdhsa_ieee_mode 1
		.amdhsa_fp16_overflow 0
		.amdhsa_exception_fp_ieee_invalid_op 0
		.amdhsa_exception_fp_denorm_src 0
		.amdhsa_exception_fp_ieee_div_zero 0
		.amdhsa_exception_fp_ieee_overflow 0
		.amdhsa_exception_fp_ieee_underflow 0
		.amdhsa_exception_fp_ieee_inexact 0
		.amdhsa_exception_int_div_zero 0
	.end_amdhsa_kernel
	.section	.text._ZN7rocprim17ROCPRIM_400000_NS6detail17trampoline_kernelINS0_14default_configENS1_27lower_bound_config_selectorIilEEZNS1_14transform_implILb0ES3_S5_N6thrust23THRUST_200600_302600_NS6detail15normal_iteratorINS8_7pointerIiNS8_11hip_rocprim12par_nosync_tENS8_11use_defaultESE_EEEENSA_INSB_IlSD_SE_SE_EEEEZNS1_13binary_searchIS3_S5_NSA_INS8_10device_ptrIiEEEESG_SI_NS1_21lower_bound_search_opENS9_16wrapped_functionINS8_6system6detail7generic6detail18binary_search_lessEbEEEE10hipError_tPvRmT1_T2_T3_mmT4_T5_P12ihipStream_tbEUlRKiE_EESV_SZ_S10_mS11_S14_bEUlT_E_NS1_11comp_targetILNS1_3genE0ELNS1_11target_archE4294967295ELNS1_3gpuE0ELNS1_3repE0EEENS1_30default_config_static_selectorELNS0_4arch9wavefront6targetE1EEEvSY_,"axG",@progbits,_ZN7rocprim17ROCPRIM_400000_NS6detail17trampoline_kernelINS0_14default_configENS1_27lower_bound_config_selectorIilEEZNS1_14transform_implILb0ES3_S5_N6thrust23THRUST_200600_302600_NS6detail15normal_iteratorINS8_7pointerIiNS8_11hip_rocprim12par_nosync_tENS8_11use_defaultESE_EEEENSA_INSB_IlSD_SE_SE_EEEEZNS1_13binary_searchIS3_S5_NSA_INS8_10device_ptrIiEEEESG_SI_NS1_21lower_bound_search_opENS9_16wrapped_functionINS8_6system6detail7generic6detail18binary_search_lessEbEEEE10hipError_tPvRmT1_T2_T3_mmT4_T5_P12ihipStream_tbEUlRKiE_EESV_SZ_S10_mS11_S14_bEUlT_E_NS1_11comp_targetILNS1_3genE0ELNS1_11target_archE4294967295ELNS1_3gpuE0ELNS1_3repE0EEENS1_30default_config_static_selectorELNS0_4arch9wavefront6targetE1EEEvSY_,comdat
.Lfunc_end394:
	.size	_ZN7rocprim17ROCPRIM_400000_NS6detail17trampoline_kernelINS0_14default_configENS1_27lower_bound_config_selectorIilEEZNS1_14transform_implILb0ES3_S5_N6thrust23THRUST_200600_302600_NS6detail15normal_iteratorINS8_7pointerIiNS8_11hip_rocprim12par_nosync_tENS8_11use_defaultESE_EEEENSA_INSB_IlSD_SE_SE_EEEEZNS1_13binary_searchIS3_S5_NSA_INS8_10device_ptrIiEEEESG_SI_NS1_21lower_bound_search_opENS9_16wrapped_functionINS8_6system6detail7generic6detail18binary_search_lessEbEEEE10hipError_tPvRmT1_T2_T3_mmT4_T5_P12ihipStream_tbEUlRKiE_EESV_SZ_S10_mS11_S14_bEUlT_E_NS1_11comp_targetILNS1_3genE0ELNS1_11target_archE4294967295ELNS1_3gpuE0ELNS1_3repE0EEENS1_30default_config_static_selectorELNS0_4arch9wavefront6targetE1EEEvSY_, .Lfunc_end394-_ZN7rocprim17ROCPRIM_400000_NS6detail17trampoline_kernelINS0_14default_configENS1_27lower_bound_config_selectorIilEEZNS1_14transform_implILb0ES3_S5_N6thrust23THRUST_200600_302600_NS6detail15normal_iteratorINS8_7pointerIiNS8_11hip_rocprim12par_nosync_tENS8_11use_defaultESE_EEEENSA_INSB_IlSD_SE_SE_EEEEZNS1_13binary_searchIS3_S5_NSA_INS8_10device_ptrIiEEEESG_SI_NS1_21lower_bound_search_opENS9_16wrapped_functionINS8_6system6detail7generic6detail18binary_search_lessEbEEEE10hipError_tPvRmT1_T2_T3_mmT4_T5_P12ihipStream_tbEUlRKiE_EESV_SZ_S10_mS11_S14_bEUlT_E_NS1_11comp_targetILNS1_3genE0ELNS1_11target_archE4294967295ELNS1_3gpuE0ELNS1_3repE0EEENS1_30default_config_static_selectorELNS0_4arch9wavefront6targetE1EEEvSY_
                                        ; -- End function
	.set _ZN7rocprim17ROCPRIM_400000_NS6detail17trampoline_kernelINS0_14default_configENS1_27lower_bound_config_selectorIilEEZNS1_14transform_implILb0ES3_S5_N6thrust23THRUST_200600_302600_NS6detail15normal_iteratorINS8_7pointerIiNS8_11hip_rocprim12par_nosync_tENS8_11use_defaultESE_EEEENSA_INSB_IlSD_SE_SE_EEEEZNS1_13binary_searchIS3_S5_NSA_INS8_10device_ptrIiEEEESG_SI_NS1_21lower_bound_search_opENS9_16wrapped_functionINS8_6system6detail7generic6detail18binary_search_lessEbEEEE10hipError_tPvRmT1_T2_T3_mmT4_T5_P12ihipStream_tbEUlRKiE_EESV_SZ_S10_mS11_S14_bEUlT_E_NS1_11comp_targetILNS1_3genE0ELNS1_11target_archE4294967295ELNS1_3gpuE0ELNS1_3repE0EEENS1_30default_config_static_selectorELNS0_4arch9wavefront6targetE1EEEvSY_.num_vgpr, 0
	.set _ZN7rocprim17ROCPRIM_400000_NS6detail17trampoline_kernelINS0_14default_configENS1_27lower_bound_config_selectorIilEEZNS1_14transform_implILb0ES3_S5_N6thrust23THRUST_200600_302600_NS6detail15normal_iteratorINS8_7pointerIiNS8_11hip_rocprim12par_nosync_tENS8_11use_defaultESE_EEEENSA_INSB_IlSD_SE_SE_EEEEZNS1_13binary_searchIS3_S5_NSA_INS8_10device_ptrIiEEEESG_SI_NS1_21lower_bound_search_opENS9_16wrapped_functionINS8_6system6detail7generic6detail18binary_search_lessEbEEEE10hipError_tPvRmT1_T2_T3_mmT4_T5_P12ihipStream_tbEUlRKiE_EESV_SZ_S10_mS11_S14_bEUlT_E_NS1_11comp_targetILNS1_3genE0ELNS1_11target_archE4294967295ELNS1_3gpuE0ELNS1_3repE0EEENS1_30default_config_static_selectorELNS0_4arch9wavefront6targetE1EEEvSY_.num_agpr, 0
	.set _ZN7rocprim17ROCPRIM_400000_NS6detail17trampoline_kernelINS0_14default_configENS1_27lower_bound_config_selectorIilEEZNS1_14transform_implILb0ES3_S5_N6thrust23THRUST_200600_302600_NS6detail15normal_iteratorINS8_7pointerIiNS8_11hip_rocprim12par_nosync_tENS8_11use_defaultESE_EEEENSA_INSB_IlSD_SE_SE_EEEEZNS1_13binary_searchIS3_S5_NSA_INS8_10device_ptrIiEEEESG_SI_NS1_21lower_bound_search_opENS9_16wrapped_functionINS8_6system6detail7generic6detail18binary_search_lessEbEEEE10hipError_tPvRmT1_T2_T3_mmT4_T5_P12ihipStream_tbEUlRKiE_EESV_SZ_S10_mS11_S14_bEUlT_E_NS1_11comp_targetILNS1_3genE0ELNS1_11target_archE4294967295ELNS1_3gpuE0ELNS1_3repE0EEENS1_30default_config_static_selectorELNS0_4arch9wavefront6targetE1EEEvSY_.numbered_sgpr, 0
	.set _ZN7rocprim17ROCPRIM_400000_NS6detail17trampoline_kernelINS0_14default_configENS1_27lower_bound_config_selectorIilEEZNS1_14transform_implILb0ES3_S5_N6thrust23THRUST_200600_302600_NS6detail15normal_iteratorINS8_7pointerIiNS8_11hip_rocprim12par_nosync_tENS8_11use_defaultESE_EEEENSA_INSB_IlSD_SE_SE_EEEEZNS1_13binary_searchIS3_S5_NSA_INS8_10device_ptrIiEEEESG_SI_NS1_21lower_bound_search_opENS9_16wrapped_functionINS8_6system6detail7generic6detail18binary_search_lessEbEEEE10hipError_tPvRmT1_T2_T3_mmT4_T5_P12ihipStream_tbEUlRKiE_EESV_SZ_S10_mS11_S14_bEUlT_E_NS1_11comp_targetILNS1_3genE0ELNS1_11target_archE4294967295ELNS1_3gpuE0ELNS1_3repE0EEENS1_30default_config_static_selectorELNS0_4arch9wavefront6targetE1EEEvSY_.num_named_barrier, 0
	.set _ZN7rocprim17ROCPRIM_400000_NS6detail17trampoline_kernelINS0_14default_configENS1_27lower_bound_config_selectorIilEEZNS1_14transform_implILb0ES3_S5_N6thrust23THRUST_200600_302600_NS6detail15normal_iteratorINS8_7pointerIiNS8_11hip_rocprim12par_nosync_tENS8_11use_defaultESE_EEEENSA_INSB_IlSD_SE_SE_EEEEZNS1_13binary_searchIS3_S5_NSA_INS8_10device_ptrIiEEEESG_SI_NS1_21lower_bound_search_opENS9_16wrapped_functionINS8_6system6detail7generic6detail18binary_search_lessEbEEEE10hipError_tPvRmT1_T2_T3_mmT4_T5_P12ihipStream_tbEUlRKiE_EESV_SZ_S10_mS11_S14_bEUlT_E_NS1_11comp_targetILNS1_3genE0ELNS1_11target_archE4294967295ELNS1_3gpuE0ELNS1_3repE0EEENS1_30default_config_static_selectorELNS0_4arch9wavefront6targetE1EEEvSY_.private_seg_size, 0
	.set _ZN7rocprim17ROCPRIM_400000_NS6detail17trampoline_kernelINS0_14default_configENS1_27lower_bound_config_selectorIilEEZNS1_14transform_implILb0ES3_S5_N6thrust23THRUST_200600_302600_NS6detail15normal_iteratorINS8_7pointerIiNS8_11hip_rocprim12par_nosync_tENS8_11use_defaultESE_EEEENSA_INSB_IlSD_SE_SE_EEEEZNS1_13binary_searchIS3_S5_NSA_INS8_10device_ptrIiEEEESG_SI_NS1_21lower_bound_search_opENS9_16wrapped_functionINS8_6system6detail7generic6detail18binary_search_lessEbEEEE10hipError_tPvRmT1_T2_T3_mmT4_T5_P12ihipStream_tbEUlRKiE_EESV_SZ_S10_mS11_S14_bEUlT_E_NS1_11comp_targetILNS1_3genE0ELNS1_11target_archE4294967295ELNS1_3gpuE0ELNS1_3repE0EEENS1_30default_config_static_selectorELNS0_4arch9wavefront6targetE1EEEvSY_.uses_vcc, 0
	.set _ZN7rocprim17ROCPRIM_400000_NS6detail17trampoline_kernelINS0_14default_configENS1_27lower_bound_config_selectorIilEEZNS1_14transform_implILb0ES3_S5_N6thrust23THRUST_200600_302600_NS6detail15normal_iteratorINS8_7pointerIiNS8_11hip_rocprim12par_nosync_tENS8_11use_defaultESE_EEEENSA_INSB_IlSD_SE_SE_EEEEZNS1_13binary_searchIS3_S5_NSA_INS8_10device_ptrIiEEEESG_SI_NS1_21lower_bound_search_opENS9_16wrapped_functionINS8_6system6detail7generic6detail18binary_search_lessEbEEEE10hipError_tPvRmT1_T2_T3_mmT4_T5_P12ihipStream_tbEUlRKiE_EESV_SZ_S10_mS11_S14_bEUlT_E_NS1_11comp_targetILNS1_3genE0ELNS1_11target_archE4294967295ELNS1_3gpuE0ELNS1_3repE0EEENS1_30default_config_static_selectorELNS0_4arch9wavefront6targetE1EEEvSY_.uses_flat_scratch, 0
	.set _ZN7rocprim17ROCPRIM_400000_NS6detail17trampoline_kernelINS0_14default_configENS1_27lower_bound_config_selectorIilEEZNS1_14transform_implILb0ES3_S5_N6thrust23THRUST_200600_302600_NS6detail15normal_iteratorINS8_7pointerIiNS8_11hip_rocprim12par_nosync_tENS8_11use_defaultESE_EEEENSA_INSB_IlSD_SE_SE_EEEEZNS1_13binary_searchIS3_S5_NSA_INS8_10device_ptrIiEEEESG_SI_NS1_21lower_bound_search_opENS9_16wrapped_functionINS8_6system6detail7generic6detail18binary_search_lessEbEEEE10hipError_tPvRmT1_T2_T3_mmT4_T5_P12ihipStream_tbEUlRKiE_EESV_SZ_S10_mS11_S14_bEUlT_E_NS1_11comp_targetILNS1_3genE0ELNS1_11target_archE4294967295ELNS1_3gpuE0ELNS1_3repE0EEENS1_30default_config_static_selectorELNS0_4arch9wavefront6targetE1EEEvSY_.has_dyn_sized_stack, 0
	.set _ZN7rocprim17ROCPRIM_400000_NS6detail17trampoline_kernelINS0_14default_configENS1_27lower_bound_config_selectorIilEEZNS1_14transform_implILb0ES3_S5_N6thrust23THRUST_200600_302600_NS6detail15normal_iteratorINS8_7pointerIiNS8_11hip_rocprim12par_nosync_tENS8_11use_defaultESE_EEEENSA_INSB_IlSD_SE_SE_EEEEZNS1_13binary_searchIS3_S5_NSA_INS8_10device_ptrIiEEEESG_SI_NS1_21lower_bound_search_opENS9_16wrapped_functionINS8_6system6detail7generic6detail18binary_search_lessEbEEEE10hipError_tPvRmT1_T2_T3_mmT4_T5_P12ihipStream_tbEUlRKiE_EESV_SZ_S10_mS11_S14_bEUlT_E_NS1_11comp_targetILNS1_3genE0ELNS1_11target_archE4294967295ELNS1_3gpuE0ELNS1_3repE0EEENS1_30default_config_static_selectorELNS0_4arch9wavefront6targetE1EEEvSY_.has_recursion, 0
	.set _ZN7rocprim17ROCPRIM_400000_NS6detail17trampoline_kernelINS0_14default_configENS1_27lower_bound_config_selectorIilEEZNS1_14transform_implILb0ES3_S5_N6thrust23THRUST_200600_302600_NS6detail15normal_iteratorINS8_7pointerIiNS8_11hip_rocprim12par_nosync_tENS8_11use_defaultESE_EEEENSA_INSB_IlSD_SE_SE_EEEEZNS1_13binary_searchIS3_S5_NSA_INS8_10device_ptrIiEEEESG_SI_NS1_21lower_bound_search_opENS9_16wrapped_functionINS8_6system6detail7generic6detail18binary_search_lessEbEEEE10hipError_tPvRmT1_T2_T3_mmT4_T5_P12ihipStream_tbEUlRKiE_EESV_SZ_S10_mS11_S14_bEUlT_E_NS1_11comp_targetILNS1_3genE0ELNS1_11target_archE4294967295ELNS1_3gpuE0ELNS1_3repE0EEENS1_30default_config_static_selectorELNS0_4arch9wavefront6targetE1EEEvSY_.has_indirect_call, 0
	.section	.AMDGPU.csdata,"",@progbits
; Kernel info:
; codeLenInByte = 0
; TotalNumSgprs: 4
; NumVgprs: 0
; ScratchSize: 0
; MemoryBound: 0
; FloatMode: 240
; IeeeMode: 1
; LDSByteSize: 0 bytes/workgroup (compile time only)
; SGPRBlocks: 0
; VGPRBlocks: 0
; NumSGPRsForWavesPerEU: 4
; NumVGPRsForWavesPerEU: 1
; Occupancy: 10
; WaveLimiterHint : 0
; COMPUTE_PGM_RSRC2:SCRATCH_EN: 0
; COMPUTE_PGM_RSRC2:USER_SGPR: 6
; COMPUTE_PGM_RSRC2:TRAP_HANDLER: 0
; COMPUTE_PGM_RSRC2:TGID_X_EN: 1
; COMPUTE_PGM_RSRC2:TGID_Y_EN: 0
; COMPUTE_PGM_RSRC2:TGID_Z_EN: 0
; COMPUTE_PGM_RSRC2:TIDIG_COMP_CNT: 0
	.section	.text._ZN7rocprim17ROCPRIM_400000_NS6detail17trampoline_kernelINS0_14default_configENS1_27lower_bound_config_selectorIilEEZNS1_14transform_implILb0ES3_S5_N6thrust23THRUST_200600_302600_NS6detail15normal_iteratorINS8_7pointerIiNS8_11hip_rocprim12par_nosync_tENS8_11use_defaultESE_EEEENSA_INSB_IlSD_SE_SE_EEEEZNS1_13binary_searchIS3_S5_NSA_INS8_10device_ptrIiEEEESG_SI_NS1_21lower_bound_search_opENS9_16wrapped_functionINS8_6system6detail7generic6detail18binary_search_lessEbEEEE10hipError_tPvRmT1_T2_T3_mmT4_T5_P12ihipStream_tbEUlRKiE_EESV_SZ_S10_mS11_S14_bEUlT_E_NS1_11comp_targetILNS1_3genE5ELNS1_11target_archE942ELNS1_3gpuE9ELNS1_3repE0EEENS1_30default_config_static_selectorELNS0_4arch9wavefront6targetE1EEEvSY_,"axG",@progbits,_ZN7rocprim17ROCPRIM_400000_NS6detail17trampoline_kernelINS0_14default_configENS1_27lower_bound_config_selectorIilEEZNS1_14transform_implILb0ES3_S5_N6thrust23THRUST_200600_302600_NS6detail15normal_iteratorINS8_7pointerIiNS8_11hip_rocprim12par_nosync_tENS8_11use_defaultESE_EEEENSA_INSB_IlSD_SE_SE_EEEEZNS1_13binary_searchIS3_S5_NSA_INS8_10device_ptrIiEEEESG_SI_NS1_21lower_bound_search_opENS9_16wrapped_functionINS8_6system6detail7generic6detail18binary_search_lessEbEEEE10hipError_tPvRmT1_T2_T3_mmT4_T5_P12ihipStream_tbEUlRKiE_EESV_SZ_S10_mS11_S14_bEUlT_E_NS1_11comp_targetILNS1_3genE5ELNS1_11target_archE942ELNS1_3gpuE9ELNS1_3repE0EEENS1_30default_config_static_selectorELNS0_4arch9wavefront6targetE1EEEvSY_,comdat
	.protected	_ZN7rocprim17ROCPRIM_400000_NS6detail17trampoline_kernelINS0_14default_configENS1_27lower_bound_config_selectorIilEEZNS1_14transform_implILb0ES3_S5_N6thrust23THRUST_200600_302600_NS6detail15normal_iteratorINS8_7pointerIiNS8_11hip_rocprim12par_nosync_tENS8_11use_defaultESE_EEEENSA_INSB_IlSD_SE_SE_EEEEZNS1_13binary_searchIS3_S5_NSA_INS8_10device_ptrIiEEEESG_SI_NS1_21lower_bound_search_opENS9_16wrapped_functionINS8_6system6detail7generic6detail18binary_search_lessEbEEEE10hipError_tPvRmT1_T2_T3_mmT4_T5_P12ihipStream_tbEUlRKiE_EESV_SZ_S10_mS11_S14_bEUlT_E_NS1_11comp_targetILNS1_3genE5ELNS1_11target_archE942ELNS1_3gpuE9ELNS1_3repE0EEENS1_30default_config_static_selectorELNS0_4arch9wavefront6targetE1EEEvSY_ ; -- Begin function _ZN7rocprim17ROCPRIM_400000_NS6detail17trampoline_kernelINS0_14default_configENS1_27lower_bound_config_selectorIilEEZNS1_14transform_implILb0ES3_S5_N6thrust23THRUST_200600_302600_NS6detail15normal_iteratorINS8_7pointerIiNS8_11hip_rocprim12par_nosync_tENS8_11use_defaultESE_EEEENSA_INSB_IlSD_SE_SE_EEEEZNS1_13binary_searchIS3_S5_NSA_INS8_10device_ptrIiEEEESG_SI_NS1_21lower_bound_search_opENS9_16wrapped_functionINS8_6system6detail7generic6detail18binary_search_lessEbEEEE10hipError_tPvRmT1_T2_T3_mmT4_T5_P12ihipStream_tbEUlRKiE_EESV_SZ_S10_mS11_S14_bEUlT_E_NS1_11comp_targetILNS1_3genE5ELNS1_11target_archE942ELNS1_3gpuE9ELNS1_3repE0EEENS1_30default_config_static_selectorELNS0_4arch9wavefront6targetE1EEEvSY_
	.globl	_ZN7rocprim17ROCPRIM_400000_NS6detail17trampoline_kernelINS0_14default_configENS1_27lower_bound_config_selectorIilEEZNS1_14transform_implILb0ES3_S5_N6thrust23THRUST_200600_302600_NS6detail15normal_iteratorINS8_7pointerIiNS8_11hip_rocprim12par_nosync_tENS8_11use_defaultESE_EEEENSA_INSB_IlSD_SE_SE_EEEEZNS1_13binary_searchIS3_S5_NSA_INS8_10device_ptrIiEEEESG_SI_NS1_21lower_bound_search_opENS9_16wrapped_functionINS8_6system6detail7generic6detail18binary_search_lessEbEEEE10hipError_tPvRmT1_T2_T3_mmT4_T5_P12ihipStream_tbEUlRKiE_EESV_SZ_S10_mS11_S14_bEUlT_E_NS1_11comp_targetILNS1_3genE5ELNS1_11target_archE942ELNS1_3gpuE9ELNS1_3repE0EEENS1_30default_config_static_selectorELNS0_4arch9wavefront6targetE1EEEvSY_
	.p2align	8
	.type	_ZN7rocprim17ROCPRIM_400000_NS6detail17trampoline_kernelINS0_14default_configENS1_27lower_bound_config_selectorIilEEZNS1_14transform_implILb0ES3_S5_N6thrust23THRUST_200600_302600_NS6detail15normal_iteratorINS8_7pointerIiNS8_11hip_rocprim12par_nosync_tENS8_11use_defaultESE_EEEENSA_INSB_IlSD_SE_SE_EEEEZNS1_13binary_searchIS3_S5_NSA_INS8_10device_ptrIiEEEESG_SI_NS1_21lower_bound_search_opENS9_16wrapped_functionINS8_6system6detail7generic6detail18binary_search_lessEbEEEE10hipError_tPvRmT1_T2_T3_mmT4_T5_P12ihipStream_tbEUlRKiE_EESV_SZ_S10_mS11_S14_bEUlT_E_NS1_11comp_targetILNS1_3genE5ELNS1_11target_archE942ELNS1_3gpuE9ELNS1_3repE0EEENS1_30default_config_static_selectorELNS0_4arch9wavefront6targetE1EEEvSY_,@function
_ZN7rocprim17ROCPRIM_400000_NS6detail17trampoline_kernelINS0_14default_configENS1_27lower_bound_config_selectorIilEEZNS1_14transform_implILb0ES3_S5_N6thrust23THRUST_200600_302600_NS6detail15normal_iteratorINS8_7pointerIiNS8_11hip_rocprim12par_nosync_tENS8_11use_defaultESE_EEEENSA_INSB_IlSD_SE_SE_EEEEZNS1_13binary_searchIS3_S5_NSA_INS8_10device_ptrIiEEEESG_SI_NS1_21lower_bound_search_opENS9_16wrapped_functionINS8_6system6detail7generic6detail18binary_search_lessEbEEEE10hipError_tPvRmT1_T2_T3_mmT4_T5_P12ihipStream_tbEUlRKiE_EESV_SZ_S10_mS11_S14_bEUlT_E_NS1_11comp_targetILNS1_3genE5ELNS1_11target_archE942ELNS1_3gpuE9ELNS1_3repE0EEENS1_30default_config_static_selectorELNS0_4arch9wavefront6targetE1EEEvSY_: ; @_ZN7rocprim17ROCPRIM_400000_NS6detail17trampoline_kernelINS0_14default_configENS1_27lower_bound_config_selectorIilEEZNS1_14transform_implILb0ES3_S5_N6thrust23THRUST_200600_302600_NS6detail15normal_iteratorINS8_7pointerIiNS8_11hip_rocprim12par_nosync_tENS8_11use_defaultESE_EEEENSA_INSB_IlSD_SE_SE_EEEEZNS1_13binary_searchIS3_S5_NSA_INS8_10device_ptrIiEEEESG_SI_NS1_21lower_bound_search_opENS9_16wrapped_functionINS8_6system6detail7generic6detail18binary_search_lessEbEEEE10hipError_tPvRmT1_T2_T3_mmT4_T5_P12ihipStream_tbEUlRKiE_EESV_SZ_S10_mS11_S14_bEUlT_E_NS1_11comp_targetILNS1_3genE5ELNS1_11target_archE942ELNS1_3gpuE9ELNS1_3repE0EEENS1_30default_config_static_selectorELNS0_4arch9wavefront6targetE1EEEvSY_
; %bb.0:
	.section	.rodata,"a",@progbits
	.p2align	6, 0x0
	.amdhsa_kernel _ZN7rocprim17ROCPRIM_400000_NS6detail17trampoline_kernelINS0_14default_configENS1_27lower_bound_config_selectorIilEEZNS1_14transform_implILb0ES3_S5_N6thrust23THRUST_200600_302600_NS6detail15normal_iteratorINS8_7pointerIiNS8_11hip_rocprim12par_nosync_tENS8_11use_defaultESE_EEEENSA_INSB_IlSD_SE_SE_EEEEZNS1_13binary_searchIS3_S5_NSA_INS8_10device_ptrIiEEEESG_SI_NS1_21lower_bound_search_opENS9_16wrapped_functionINS8_6system6detail7generic6detail18binary_search_lessEbEEEE10hipError_tPvRmT1_T2_T3_mmT4_T5_P12ihipStream_tbEUlRKiE_EESV_SZ_S10_mS11_S14_bEUlT_E_NS1_11comp_targetILNS1_3genE5ELNS1_11target_archE942ELNS1_3gpuE9ELNS1_3repE0EEENS1_30default_config_static_selectorELNS0_4arch9wavefront6targetE1EEEvSY_
		.amdhsa_group_segment_fixed_size 0
		.amdhsa_private_segment_fixed_size 0
		.amdhsa_kernarg_size 56
		.amdhsa_user_sgpr_count 6
		.amdhsa_user_sgpr_private_segment_buffer 1
		.amdhsa_user_sgpr_dispatch_ptr 0
		.amdhsa_user_sgpr_queue_ptr 0
		.amdhsa_user_sgpr_kernarg_segment_ptr 1
		.amdhsa_user_sgpr_dispatch_id 0
		.amdhsa_user_sgpr_flat_scratch_init 0
		.amdhsa_user_sgpr_private_segment_size 0
		.amdhsa_uses_dynamic_stack 0
		.amdhsa_system_sgpr_private_segment_wavefront_offset 0
		.amdhsa_system_sgpr_workgroup_id_x 1
		.amdhsa_system_sgpr_workgroup_id_y 0
		.amdhsa_system_sgpr_workgroup_id_z 0
		.amdhsa_system_sgpr_workgroup_info 0
		.amdhsa_system_vgpr_workitem_id 0
		.amdhsa_next_free_vgpr 1
		.amdhsa_next_free_sgpr 0
		.amdhsa_reserve_vcc 0
		.amdhsa_reserve_flat_scratch 0
		.amdhsa_float_round_mode_32 0
		.amdhsa_float_round_mode_16_64 0
		.amdhsa_float_denorm_mode_32 3
		.amdhsa_float_denorm_mode_16_64 3
		.amdhsa_dx10_clamp 1
		.amdhsa_ieee_mode 1
		.amdhsa_fp16_overflow 0
		.amdhsa_exception_fp_ieee_invalid_op 0
		.amdhsa_exception_fp_denorm_src 0
		.amdhsa_exception_fp_ieee_div_zero 0
		.amdhsa_exception_fp_ieee_overflow 0
		.amdhsa_exception_fp_ieee_underflow 0
		.amdhsa_exception_fp_ieee_inexact 0
		.amdhsa_exception_int_div_zero 0
	.end_amdhsa_kernel
	.section	.text._ZN7rocprim17ROCPRIM_400000_NS6detail17trampoline_kernelINS0_14default_configENS1_27lower_bound_config_selectorIilEEZNS1_14transform_implILb0ES3_S5_N6thrust23THRUST_200600_302600_NS6detail15normal_iteratorINS8_7pointerIiNS8_11hip_rocprim12par_nosync_tENS8_11use_defaultESE_EEEENSA_INSB_IlSD_SE_SE_EEEEZNS1_13binary_searchIS3_S5_NSA_INS8_10device_ptrIiEEEESG_SI_NS1_21lower_bound_search_opENS9_16wrapped_functionINS8_6system6detail7generic6detail18binary_search_lessEbEEEE10hipError_tPvRmT1_T2_T3_mmT4_T5_P12ihipStream_tbEUlRKiE_EESV_SZ_S10_mS11_S14_bEUlT_E_NS1_11comp_targetILNS1_3genE5ELNS1_11target_archE942ELNS1_3gpuE9ELNS1_3repE0EEENS1_30default_config_static_selectorELNS0_4arch9wavefront6targetE1EEEvSY_,"axG",@progbits,_ZN7rocprim17ROCPRIM_400000_NS6detail17trampoline_kernelINS0_14default_configENS1_27lower_bound_config_selectorIilEEZNS1_14transform_implILb0ES3_S5_N6thrust23THRUST_200600_302600_NS6detail15normal_iteratorINS8_7pointerIiNS8_11hip_rocprim12par_nosync_tENS8_11use_defaultESE_EEEENSA_INSB_IlSD_SE_SE_EEEEZNS1_13binary_searchIS3_S5_NSA_INS8_10device_ptrIiEEEESG_SI_NS1_21lower_bound_search_opENS9_16wrapped_functionINS8_6system6detail7generic6detail18binary_search_lessEbEEEE10hipError_tPvRmT1_T2_T3_mmT4_T5_P12ihipStream_tbEUlRKiE_EESV_SZ_S10_mS11_S14_bEUlT_E_NS1_11comp_targetILNS1_3genE5ELNS1_11target_archE942ELNS1_3gpuE9ELNS1_3repE0EEENS1_30default_config_static_selectorELNS0_4arch9wavefront6targetE1EEEvSY_,comdat
.Lfunc_end395:
	.size	_ZN7rocprim17ROCPRIM_400000_NS6detail17trampoline_kernelINS0_14default_configENS1_27lower_bound_config_selectorIilEEZNS1_14transform_implILb0ES3_S5_N6thrust23THRUST_200600_302600_NS6detail15normal_iteratorINS8_7pointerIiNS8_11hip_rocprim12par_nosync_tENS8_11use_defaultESE_EEEENSA_INSB_IlSD_SE_SE_EEEEZNS1_13binary_searchIS3_S5_NSA_INS8_10device_ptrIiEEEESG_SI_NS1_21lower_bound_search_opENS9_16wrapped_functionINS8_6system6detail7generic6detail18binary_search_lessEbEEEE10hipError_tPvRmT1_T2_T3_mmT4_T5_P12ihipStream_tbEUlRKiE_EESV_SZ_S10_mS11_S14_bEUlT_E_NS1_11comp_targetILNS1_3genE5ELNS1_11target_archE942ELNS1_3gpuE9ELNS1_3repE0EEENS1_30default_config_static_selectorELNS0_4arch9wavefront6targetE1EEEvSY_, .Lfunc_end395-_ZN7rocprim17ROCPRIM_400000_NS6detail17trampoline_kernelINS0_14default_configENS1_27lower_bound_config_selectorIilEEZNS1_14transform_implILb0ES3_S5_N6thrust23THRUST_200600_302600_NS6detail15normal_iteratorINS8_7pointerIiNS8_11hip_rocprim12par_nosync_tENS8_11use_defaultESE_EEEENSA_INSB_IlSD_SE_SE_EEEEZNS1_13binary_searchIS3_S5_NSA_INS8_10device_ptrIiEEEESG_SI_NS1_21lower_bound_search_opENS9_16wrapped_functionINS8_6system6detail7generic6detail18binary_search_lessEbEEEE10hipError_tPvRmT1_T2_T3_mmT4_T5_P12ihipStream_tbEUlRKiE_EESV_SZ_S10_mS11_S14_bEUlT_E_NS1_11comp_targetILNS1_3genE5ELNS1_11target_archE942ELNS1_3gpuE9ELNS1_3repE0EEENS1_30default_config_static_selectorELNS0_4arch9wavefront6targetE1EEEvSY_
                                        ; -- End function
	.set _ZN7rocprim17ROCPRIM_400000_NS6detail17trampoline_kernelINS0_14default_configENS1_27lower_bound_config_selectorIilEEZNS1_14transform_implILb0ES3_S5_N6thrust23THRUST_200600_302600_NS6detail15normal_iteratorINS8_7pointerIiNS8_11hip_rocprim12par_nosync_tENS8_11use_defaultESE_EEEENSA_INSB_IlSD_SE_SE_EEEEZNS1_13binary_searchIS3_S5_NSA_INS8_10device_ptrIiEEEESG_SI_NS1_21lower_bound_search_opENS9_16wrapped_functionINS8_6system6detail7generic6detail18binary_search_lessEbEEEE10hipError_tPvRmT1_T2_T3_mmT4_T5_P12ihipStream_tbEUlRKiE_EESV_SZ_S10_mS11_S14_bEUlT_E_NS1_11comp_targetILNS1_3genE5ELNS1_11target_archE942ELNS1_3gpuE9ELNS1_3repE0EEENS1_30default_config_static_selectorELNS0_4arch9wavefront6targetE1EEEvSY_.num_vgpr, 0
	.set _ZN7rocprim17ROCPRIM_400000_NS6detail17trampoline_kernelINS0_14default_configENS1_27lower_bound_config_selectorIilEEZNS1_14transform_implILb0ES3_S5_N6thrust23THRUST_200600_302600_NS6detail15normal_iteratorINS8_7pointerIiNS8_11hip_rocprim12par_nosync_tENS8_11use_defaultESE_EEEENSA_INSB_IlSD_SE_SE_EEEEZNS1_13binary_searchIS3_S5_NSA_INS8_10device_ptrIiEEEESG_SI_NS1_21lower_bound_search_opENS9_16wrapped_functionINS8_6system6detail7generic6detail18binary_search_lessEbEEEE10hipError_tPvRmT1_T2_T3_mmT4_T5_P12ihipStream_tbEUlRKiE_EESV_SZ_S10_mS11_S14_bEUlT_E_NS1_11comp_targetILNS1_3genE5ELNS1_11target_archE942ELNS1_3gpuE9ELNS1_3repE0EEENS1_30default_config_static_selectorELNS0_4arch9wavefront6targetE1EEEvSY_.num_agpr, 0
	.set _ZN7rocprim17ROCPRIM_400000_NS6detail17trampoline_kernelINS0_14default_configENS1_27lower_bound_config_selectorIilEEZNS1_14transform_implILb0ES3_S5_N6thrust23THRUST_200600_302600_NS6detail15normal_iteratorINS8_7pointerIiNS8_11hip_rocprim12par_nosync_tENS8_11use_defaultESE_EEEENSA_INSB_IlSD_SE_SE_EEEEZNS1_13binary_searchIS3_S5_NSA_INS8_10device_ptrIiEEEESG_SI_NS1_21lower_bound_search_opENS9_16wrapped_functionINS8_6system6detail7generic6detail18binary_search_lessEbEEEE10hipError_tPvRmT1_T2_T3_mmT4_T5_P12ihipStream_tbEUlRKiE_EESV_SZ_S10_mS11_S14_bEUlT_E_NS1_11comp_targetILNS1_3genE5ELNS1_11target_archE942ELNS1_3gpuE9ELNS1_3repE0EEENS1_30default_config_static_selectorELNS0_4arch9wavefront6targetE1EEEvSY_.numbered_sgpr, 0
	.set _ZN7rocprim17ROCPRIM_400000_NS6detail17trampoline_kernelINS0_14default_configENS1_27lower_bound_config_selectorIilEEZNS1_14transform_implILb0ES3_S5_N6thrust23THRUST_200600_302600_NS6detail15normal_iteratorINS8_7pointerIiNS8_11hip_rocprim12par_nosync_tENS8_11use_defaultESE_EEEENSA_INSB_IlSD_SE_SE_EEEEZNS1_13binary_searchIS3_S5_NSA_INS8_10device_ptrIiEEEESG_SI_NS1_21lower_bound_search_opENS9_16wrapped_functionINS8_6system6detail7generic6detail18binary_search_lessEbEEEE10hipError_tPvRmT1_T2_T3_mmT4_T5_P12ihipStream_tbEUlRKiE_EESV_SZ_S10_mS11_S14_bEUlT_E_NS1_11comp_targetILNS1_3genE5ELNS1_11target_archE942ELNS1_3gpuE9ELNS1_3repE0EEENS1_30default_config_static_selectorELNS0_4arch9wavefront6targetE1EEEvSY_.num_named_barrier, 0
	.set _ZN7rocprim17ROCPRIM_400000_NS6detail17trampoline_kernelINS0_14default_configENS1_27lower_bound_config_selectorIilEEZNS1_14transform_implILb0ES3_S5_N6thrust23THRUST_200600_302600_NS6detail15normal_iteratorINS8_7pointerIiNS8_11hip_rocprim12par_nosync_tENS8_11use_defaultESE_EEEENSA_INSB_IlSD_SE_SE_EEEEZNS1_13binary_searchIS3_S5_NSA_INS8_10device_ptrIiEEEESG_SI_NS1_21lower_bound_search_opENS9_16wrapped_functionINS8_6system6detail7generic6detail18binary_search_lessEbEEEE10hipError_tPvRmT1_T2_T3_mmT4_T5_P12ihipStream_tbEUlRKiE_EESV_SZ_S10_mS11_S14_bEUlT_E_NS1_11comp_targetILNS1_3genE5ELNS1_11target_archE942ELNS1_3gpuE9ELNS1_3repE0EEENS1_30default_config_static_selectorELNS0_4arch9wavefront6targetE1EEEvSY_.private_seg_size, 0
	.set _ZN7rocprim17ROCPRIM_400000_NS6detail17trampoline_kernelINS0_14default_configENS1_27lower_bound_config_selectorIilEEZNS1_14transform_implILb0ES3_S5_N6thrust23THRUST_200600_302600_NS6detail15normal_iteratorINS8_7pointerIiNS8_11hip_rocprim12par_nosync_tENS8_11use_defaultESE_EEEENSA_INSB_IlSD_SE_SE_EEEEZNS1_13binary_searchIS3_S5_NSA_INS8_10device_ptrIiEEEESG_SI_NS1_21lower_bound_search_opENS9_16wrapped_functionINS8_6system6detail7generic6detail18binary_search_lessEbEEEE10hipError_tPvRmT1_T2_T3_mmT4_T5_P12ihipStream_tbEUlRKiE_EESV_SZ_S10_mS11_S14_bEUlT_E_NS1_11comp_targetILNS1_3genE5ELNS1_11target_archE942ELNS1_3gpuE9ELNS1_3repE0EEENS1_30default_config_static_selectorELNS0_4arch9wavefront6targetE1EEEvSY_.uses_vcc, 0
	.set _ZN7rocprim17ROCPRIM_400000_NS6detail17trampoline_kernelINS0_14default_configENS1_27lower_bound_config_selectorIilEEZNS1_14transform_implILb0ES3_S5_N6thrust23THRUST_200600_302600_NS6detail15normal_iteratorINS8_7pointerIiNS8_11hip_rocprim12par_nosync_tENS8_11use_defaultESE_EEEENSA_INSB_IlSD_SE_SE_EEEEZNS1_13binary_searchIS3_S5_NSA_INS8_10device_ptrIiEEEESG_SI_NS1_21lower_bound_search_opENS9_16wrapped_functionINS8_6system6detail7generic6detail18binary_search_lessEbEEEE10hipError_tPvRmT1_T2_T3_mmT4_T5_P12ihipStream_tbEUlRKiE_EESV_SZ_S10_mS11_S14_bEUlT_E_NS1_11comp_targetILNS1_3genE5ELNS1_11target_archE942ELNS1_3gpuE9ELNS1_3repE0EEENS1_30default_config_static_selectorELNS0_4arch9wavefront6targetE1EEEvSY_.uses_flat_scratch, 0
	.set _ZN7rocprim17ROCPRIM_400000_NS6detail17trampoline_kernelINS0_14default_configENS1_27lower_bound_config_selectorIilEEZNS1_14transform_implILb0ES3_S5_N6thrust23THRUST_200600_302600_NS6detail15normal_iteratorINS8_7pointerIiNS8_11hip_rocprim12par_nosync_tENS8_11use_defaultESE_EEEENSA_INSB_IlSD_SE_SE_EEEEZNS1_13binary_searchIS3_S5_NSA_INS8_10device_ptrIiEEEESG_SI_NS1_21lower_bound_search_opENS9_16wrapped_functionINS8_6system6detail7generic6detail18binary_search_lessEbEEEE10hipError_tPvRmT1_T2_T3_mmT4_T5_P12ihipStream_tbEUlRKiE_EESV_SZ_S10_mS11_S14_bEUlT_E_NS1_11comp_targetILNS1_3genE5ELNS1_11target_archE942ELNS1_3gpuE9ELNS1_3repE0EEENS1_30default_config_static_selectorELNS0_4arch9wavefront6targetE1EEEvSY_.has_dyn_sized_stack, 0
	.set _ZN7rocprim17ROCPRIM_400000_NS6detail17trampoline_kernelINS0_14default_configENS1_27lower_bound_config_selectorIilEEZNS1_14transform_implILb0ES3_S5_N6thrust23THRUST_200600_302600_NS6detail15normal_iteratorINS8_7pointerIiNS8_11hip_rocprim12par_nosync_tENS8_11use_defaultESE_EEEENSA_INSB_IlSD_SE_SE_EEEEZNS1_13binary_searchIS3_S5_NSA_INS8_10device_ptrIiEEEESG_SI_NS1_21lower_bound_search_opENS9_16wrapped_functionINS8_6system6detail7generic6detail18binary_search_lessEbEEEE10hipError_tPvRmT1_T2_T3_mmT4_T5_P12ihipStream_tbEUlRKiE_EESV_SZ_S10_mS11_S14_bEUlT_E_NS1_11comp_targetILNS1_3genE5ELNS1_11target_archE942ELNS1_3gpuE9ELNS1_3repE0EEENS1_30default_config_static_selectorELNS0_4arch9wavefront6targetE1EEEvSY_.has_recursion, 0
	.set _ZN7rocprim17ROCPRIM_400000_NS6detail17trampoline_kernelINS0_14default_configENS1_27lower_bound_config_selectorIilEEZNS1_14transform_implILb0ES3_S5_N6thrust23THRUST_200600_302600_NS6detail15normal_iteratorINS8_7pointerIiNS8_11hip_rocprim12par_nosync_tENS8_11use_defaultESE_EEEENSA_INSB_IlSD_SE_SE_EEEEZNS1_13binary_searchIS3_S5_NSA_INS8_10device_ptrIiEEEESG_SI_NS1_21lower_bound_search_opENS9_16wrapped_functionINS8_6system6detail7generic6detail18binary_search_lessEbEEEE10hipError_tPvRmT1_T2_T3_mmT4_T5_P12ihipStream_tbEUlRKiE_EESV_SZ_S10_mS11_S14_bEUlT_E_NS1_11comp_targetILNS1_3genE5ELNS1_11target_archE942ELNS1_3gpuE9ELNS1_3repE0EEENS1_30default_config_static_selectorELNS0_4arch9wavefront6targetE1EEEvSY_.has_indirect_call, 0
	.section	.AMDGPU.csdata,"",@progbits
; Kernel info:
; codeLenInByte = 0
; TotalNumSgprs: 4
; NumVgprs: 0
; ScratchSize: 0
; MemoryBound: 0
; FloatMode: 240
; IeeeMode: 1
; LDSByteSize: 0 bytes/workgroup (compile time only)
; SGPRBlocks: 0
; VGPRBlocks: 0
; NumSGPRsForWavesPerEU: 4
; NumVGPRsForWavesPerEU: 1
; Occupancy: 10
; WaveLimiterHint : 0
; COMPUTE_PGM_RSRC2:SCRATCH_EN: 0
; COMPUTE_PGM_RSRC2:USER_SGPR: 6
; COMPUTE_PGM_RSRC2:TRAP_HANDLER: 0
; COMPUTE_PGM_RSRC2:TGID_X_EN: 1
; COMPUTE_PGM_RSRC2:TGID_Y_EN: 0
; COMPUTE_PGM_RSRC2:TGID_Z_EN: 0
; COMPUTE_PGM_RSRC2:TIDIG_COMP_CNT: 0
	.section	.text._ZN7rocprim17ROCPRIM_400000_NS6detail17trampoline_kernelINS0_14default_configENS1_27lower_bound_config_selectorIilEEZNS1_14transform_implILb0ES3_S5_N6thrust23THRUST_200600_302600_NS6detail15normal_iteratorINS8_7pointerIiNS8_11hip_rocprim12par_nosync_tENS8_11use_defaultESE_EEEENSA_INSB_IlSD_SE_SE_EEEEZNS1_13binary_searchIS3_S5_NSA_INS8_10device_ptrIiEEEESG_SI_NS1_21lower_bound_search_opENS9_16wrapped_functionINS8_6system6detail7generic6detail18binary_search_lessEbEEEE10hipError_tPvRmT1_T2_T3_mmT4_T5_P12ihipStream_tbEUlRKiE_EESV_SZ_S10_mS11_S14_bEUlT_E_NS1_11comp_targetILNS1_3genE4ELNS1_11target_archE910ELNS1_3gpuE8ELNS1_3repE0EEENS1_30default_config_static_selectorELNS0_4arch9wavefront6targetE1EEEvSY_,"axG",@progbits,_ZN7rocprim17ROCPRIM_400000_NS6detail17trampoline_kernelINS0_14default_configENS1_27lower_bound_config_selectorIilEEZNS1_14transform_implILb0ES3_S5_N6thrust23THRUST_200600_302600_NS6detail15normal_iteratorINS8_7pointerIiNS8_11hip_rocprim12par_nosync_tENS8_11use_defaultESE_EEEENSA_INSB_IlSD_SE_SE_EEEEZNS1_13binary_searchIS3_S5_NSA_INS8_10device_ptrIiEEEESG_SI_NS1_21lower_bound_search_opENS9_16wrapped_functionINS8_6system6detail7generic6detail18binary_search_lessEbEEEE10hipError_tPvRmT1_T2_T3_mmT4_T5_P12ihipStream_tbEUlRKiE_EESV_SZ_S10_mS11_S14_bEUlT_E_NS1_11comp_targetILNS1_3genE4ELNS1_11target_archE910ELNS1_3gpuE8ELNS1_3repE0EEENS1_30default_config_static_selectorELNS0_4arch9wavefront6targetE1EEEvSY_,comdat
	.protected	_ZN7rocprim17ROCPRIM_400000_NS6detail17trampoline_kernelINS0_14default_configENS1_27lower_bound_config_selectorIilEEZNS1_14transform_implILb0ES3_S5_N6thrust23THRUST_200600_302600_NS6detail15normal_iteratorINS8_7pointerIiNS8_11hip_rocprim12par_nosync_tENS8_11use_defaultESE_EEEENSA_INSB_IlSD_SE_SE_EEEEZNS1_13binary_searchIS3_S5_NSA_INS8_10device_ptrIiEEEESG_SI_NS1_21lower_bound_search_opENS9_16wrapped_functionINS8_6system6detail7generic6detail18binary_search_lessEbEEEE10hipError_tPvRmT1_T2_T3_mmT4_T5_P12ihipStream_tbEUlRKiE_EESV_SZ_S10_mS11_S14_bEUlT_E_NS1_11comp_targetILNS1_3genE4ELNS1_11target_archE910ELNS1_3gpuE8ELNS1_3repE0EEENS1_30default_config_static_selectorELNS0_4arch9wavefront6targetE1EEEvSY_ ; -- Begin function _ZN7rocprim17ROCPRIM_400000_NS6detail17trampoline_kernelINS0_14default_configENS1_27lower_bound_config_selectorIilEEZNS1_14transform_implILb0ES3_S5_N6thrust23THRUST_200600_302600_NS6detail15normal_iteratorINS8_7pointerIiNS8_11hip_rocprim12par_nosync_tENS8_11use_defaultESE_EEEENSA_INSB_IlSD_SE_SE_EEEEZNS1_13binary_searchIS3_S5_NSA_INS8_10device_ptrIiEEEESG_SI_NS1_21lower_bound_search_opENS9_16wrapped_functionINS8_6system6detail7generic6detail18binary_search_lessEbEEEE10hipError_tPvRmT1_T2_T3_mmT4_T5_P12ihipStream_tbEUlRKiE_EESV_SZ_S10_mS11_S14_bEUlT_E_NS1_11comp_targetILNS1_3genE4ELNS1_11target_archE910ELNS1_3gpuE8ELNS1_3repE0EEENS1_30default_config_static_selectorELNS0_4arch9wavefront6targetE1EEEvSY_
	.globl	_ZN7rocprim17ROCPRIM_400000_NS6detail17trampoline_kernelINS0_14default_configENS1_27lower_bound_config_selectorIilEEZNS1_14transform_implILb0ES3_S5_N6thrust23THRUST_200600_302600_NS6detail15normal_iteratorINS8_7pointerIiNS8_11hip_rocprim12par_nosync_tENS8_11use_defaultESE_EEEENSA_INSB_IlSD_SE_SE_EEEEZNS1_13binary_searchIS3_S5_NSA_INS8_10device_ptrIiEEEESG_SI_NS1_21lower_bound_search_opENS9_16wrapped_functionINS8_6system6detail7generic6detail18binary_search_lessEbEEEE10hipError_tPvRmT1_T2_T3_mmT4_T5_P12ihipStream_tbEUlRKiE_EESV_SZ_S10_mS11_S14_bEUlT_E_NS1_11comp_targetILNS1_3genE4ELNS1_11target_archE910ELNS1_3gpuE8ELNS1_3repE0EEENS1_30default_config_static_selectorELNS0_4arch9wavefront6targetE1EEEvSY_
	.p2align	8
	.type	_ZN7rocprim17ROCPRIM_400000_NS6detail17trampoline_kernelINS0_14default_configENS1_27lower_bound_config_selectorIilEEZNS1_14transform_implILb0ES3_S5_N6thrust23THRUST_200600_302600_NS6detail15normal_iteratorINS8_7pointerIiNS8_11hip_rocprim12par_nosync_tENS8_11use_defaultESE_EEEENSA_INSB_IlSD_SE_SE_EEEEZNS1_13binary_searchIS3_S5_NSA_INS8_10device_ptrIiEEEESG_SI_NS1_21lower_bound_search_opENS9_16wrapped_functionINS8_6system6detail7generic6detail18binary_search_lessEbEEEE10hipError_tPvRmT1_T2_T3_mmT4_T5_P12ihipStream_tbEUlRKiE_EESV_SZ_S10_mS11_S14_bEUlT_E_NS1_11comp_targetILNS1_3genE4ELNS1_11target_archE910ELNS1_3gpuE8ELNS1_3repE0EEENS1_30default_config_static_selectorELNS0_4arch9wavefront6targetE1EEEvSY_,@function
_ZN7rocprim17ROCPRIM_400000_NS6detail17trampoline_kernelINS0_14default_configENS1_27lower_bound_config_selectorIilEEZNS1_14transform_implILb0ES3_S5_N6thrust23THRUST_200600_302600_NS6detail15normal_iteratorINS8_7pointerIiNS8_11hip_rocprim12par_nosync_tENS8_11use_defaultESE_EEEENSA_INSB_IlSD_SE_SE_EEEEZNS1_13binary_searchIS3_S5_NSA_INS8_10device_ptrIiEEEESG_SI_NS1_21lower_bound_search_opENS9_16wrapped_functionINS8_6system6detail7generic6detail18binary_search_lessEbEEEE10hipError_tPvRmT1_T2_T3_mmT4_T5_P12ihipStream_tbEUlRKiE_EESV_SZ_S10_mS11_S14_bEUlT_E_NS1_11comp_targetILNS1_3genE4ELNS1_11target_archE910ELNS1_3gpuE8ELNS1_3repE0EEENS1_30default_config_static_selectorELNS0_4arch9wavefront6targetE1EEEvSY_: ; @_ZN7rocprim17ROCPRIM_400000_NS6detail17trampoline_kernelINS0_14default_configENS1_27lower_bound_config_selectorIilEEZNS1_14transform_implILb0ES3_S5_N6thrust23THRUST_200600_302600_NS6detail15normal_iteratorINS8_7pointerIiNS8_11hip_rocprim12par_nosync_tENS8_11use_defaultESE_EEEENSA_INSB_IlSD_SE_SE_EEEEZNS1_13binary_searchIS3_S5_NSA_INS8_10device_ptrIiEEEESG_SI_NS1_21lower_bound_search_opENS9_16wrapped_functionINS8_6system6detail7generic6detail18binary_search_lessEbEEEE10hipError_tPvRmT1_T2_T3_mmT4_T5_P12ihipStream_tbEUlRKiE_EESV_SZ_S10_mS11_S14_bEUlT_E_NS1_11comp_targetILNS1_3genE4ELNS1_11target_archE910ELNS1_3gpuE8ELNS1_3repE0EEENS1_30default_config_static_selectorELNS0_4arch9wavefront6targetE1EEEvSY_
; %bb.0:
	.section	.rodata,"a",@progbits
	.p2align	6, 0x0
	.amdhsa_kernel _ZN7rocprim17ROCPRIM_400000_NS6detail17trampoline_kernelINS0_14default_configENS1_27lower_bound_config_selectorIilEEZNS1_14transform_implILb0ES3_S5_N6thrust23THRUST_200600_302600_NS6detail15normal_iteratorINS8_7pointerIiNS8_11hip_rocprim12par_nosync_tENS8_11use_defaultESE_EEEENSA_INSB_IlSD_SE_SE_EEEEZNS1_13binary_searchIS3_S5_NSA_INS8_10device_ptrIiEEEESG_SI_NS1_21lower_bound_search_opENS9_16wrapped_functionINS8_6system6detail7generic6detail18binary_search_lessEbEEEE10hipError_tPvRmT1_T2_T3_mmT4_T5_P12ihipStream_tbEUlRKiE_EESV_SZ_S10_mS11_S14_bEUlT_E_NS1_11comp_targetILNS1_3genE4ELNS1_11target_archE910ELNS1_3gpuE8ELNS1_3repE0EEENS1_30default_config_static_selectorELNS0_4arch9wavefront6targetE1EEEvSY_
		.amdhsa_group_segment_fixed_size 0
		.amdhsa_private_segment_fixed_size 0
		.amdhsa_kernarg_size 56
		.amdhsa_user_sgpr_count 6
		.amdhsa_user_sgpr_private_segment_buffer 1
		.amdhsa_user_sgpr_dispatch_ptr 0
		.amdhsa_user_sgpr_queue_ptr 0
		.amdhsa_user_sgpr_kernarg_segment_ptr 1
		.amdhsa_user_sgpr_dispatch_id 0
		.amdhsa_user_sgpr_flat_scratch_init 0
		.amdhsa_user_sgpr_private_segment_size 0
		.amdhsa_uses_dynamic_stack 0
		.amdhsa_system_sgpr_private_segment_wavefront_offset 0
		.amdhsa_system_sgpr_workgroup_id_x 1
		.amdhsa_system_sgpr_workgroup_id_y 0
		.amdhsa_system_sgpr_workgroup_id_z 0
		.amdhsa_system_sgpr_workgroup_info 0
		.amdhsa_system_vgpr_workitem_id 0
		.amdhsa_next_free_vgpr 1
		.amdhsa_next_free_sgpr 0
		.amdhsa_reserve_vcc 0
		.amdhsa_reserve_flat_scratch 0
		.amdhsa_float_round_mode_32 0
		.amdhsa_float_round_mode_16_64 0
		.amdhsa_float_denorm_mode_32 3
		.amdhsa_float_denorm_mode_16_64 3
		.amdhsa_dx10_clamp 1
		.amdhsa_ieee_mode 1
		.amdhsa_fp16_overflow 0
		.amdhsa_exception_fp_ieee_invalid_op 0
		.amdhsa_exception_fp_denorm_src 0
		.amdhsa_exception_fp_ieee_div_zero 0
		.amdhsa_exception_fp_ieee_overflow 0
		.amdhsa_exception_fp_ieee_underflow 0
		.amdhsa_exception_fp_ieee_inexact 0
		.amdhsa_exception_int_div_zero 0
	.end_amdhsa_kernel
	.section	.text._ZN7rocprim17ROCPRIM_400000_NS6detail17trampoline_kernelINS0_14default_configENS1_27lower_bound_config_selectorIilEEZNS1_14transform_implILb0ES3_S5_N6thrust23THRUST_200600_302600_NS6detail15normal_iteratorINS8_7pointerIiNS8_11hip_rocprim12par_nosync_tENS8_11use_defaultESE_EEEENSA_INSB_IlSD_SE_SE_EEEEZNS1_13binary_searchIS3_S5_NSA_INS8_10device_ptrIiEEEESG_SI_NS1_21lower_bound_search_opENS9_16wrapped_functionINS8_6system6detail7generic6detail18binary_search_lessEbEEEE10hipError_tPvRmT1_T2_T3_mmT4_T5_P12ihipStream_tbEUlRKiE_EESV_SZ_S10_mS11_S14_bEUlT_E_NS1_11comp_targetILNS1_3genE4ELNS1_11target_archE910ELNS1_3gpuE8ELNS1_3repE0EEENS1_30default_config_static_selectorELNS0_4arch9wavefront6targetE1EEEvSY_,"axG",@progbits,_ZN7rocprim17ROCPRIM_400000_NS6detail17trampoline_kernelINS0_14default_configENS1_27lower_bound_config_selectorIilEEZNS1_14transform_implILb0ES3_S5_N6thrust23THRUST_200600_302600_NS6detail15normal_iteratorINS8_7pointerIiNS8_11hip_rocprim12par_nosync_tENS8_11use_defaultESE_EEEENSA_INSB_IlSD_SE_SE_EEEEZNS1_13binary_searchIS3_S5_NSA_INS8_10device_ptrIiEEEESG_SI_NS1_21lower_bound_search_opENS9_16wrapped_functionINS8_6system6detail7generic6detail18binary_search_lessEbEEEE10hipError_tPvRmT1_T2_T3_mmT4_T5_P12ihipStream_tbEUlRKiE_EESV_SZ_S10_mS11_S14_bEUlT_E_NS1_11comp_targetILNS1_3genE4ELNS1_11target_archE910ELNS1_3gpuE8ELNS1_3repE0EEENS1_30default_config_static_selectorELNS0_4arch9wavefront6targetE1EEEvSY_,comdat
.Lfunc_end396:
	.size	_ZN7rocprim17ROCPRIM_400000_NS6detail17trampoline_kernelINS0_14default_configENS1_27lower_bound_config_selectorIilEEZNS1_14transform_implILb0ES3_S5_N6thrust23THRUST_200600_302600_NS6detail15normal_iteratorINS8_7pointerIiNS8_11hip_rocprim12par_nosync_tENS8_11use_defaultESE_EEEENSA_INSB_IlSD_SE_SE_EEEEZNS1_13binary_searchIS3_S5_NSA_INS8_10device_ptrIiEEEESG_SI_NS1_21lower_bound_search_opENS9_16wrapped_functionINS8_6system6detail7generic6detail18binary_search_lessEbEEEE10hipError_tPvRmT1_T2_T3_mmT4_T5_P12ihipStream_tbEUlRKiE_EESV_SZ_S10_mS11_S14_bEUlT_E_NS1_11comp_targetILNS1_3genE4ELNS1_11target_archE910ELNS1_3gpuE8ELNS1_3repE0EEENS1_30default_config_static_selectorELNS0_4arch9wavefront6targetE1EEEvSY_, .Lfunc_end396-_ZN7rocprim17ROCPRIM_400000_NS6detail17trampoline_kernelINS0_14default_configENS1_27lower_bound_config_selectorIilEEZNS1_14transform_implILb0ES3_S5_N6thrust23THRUST_200600_302600_NS6detail15normal_iteratorINS8_7pointerIiNS8_11hip_rocprim12par_nosync_tENS8_11use_defaultESE_EEEENSA_INSB_IlSD_SE_SE_EEEEZNS1_13binary_searchIS3_S5_NSA_INS8_10device_ptrIiEEEESG_SI_NS1_21lower_bound_search_opENS9_16wrapped_functionINS8_6system6detail7generic6detail18binary_search_lessEbEEEE10hipError_tPvRmT1_T2_T3_mmT4_T5_P12ihipStream_tbEUlRKiE_EESV_SZ_S10_mS11_S14_bEUlT_E_NS1_11comp_targetILNS1_3genE4ELNS1_11target_archE910ELNS1_3gpuE8ELNS1_3repE0EEENS1_30default_config_static_selectorELNS0_4arch9wavefront6targetE1EEEvSY_
                                        ; -- End function
	.set _ZN7rocprim17ROCPRIM_400000_NS6detail17trampoline_kernelINS0_14default_configENS1_27lower_bound_config_selectorIilEEZNS1_14transform_implILb0ES3_S5_N6thrust23THRUST_200600_302600_NS6detail15normal_iteratorINS8_7pointerIiNS8_11hip_rocprim12par_nosync_tENS8_11use_defaultESE_EEEENSA_INSB_IlSD_SE_SE_EEEEZNS1_13binary_searchIS3_S5_NSA_INS8_10device_ptrIiEEEESG_SI_NS1_21lower_bound_search_opENS9_16wrapped_functionINS8_6system6detail7generic6detail18binary_search_lessEbEEEE10hipError_tPvRmT1_T2_T3_mmT4_T5_P12ihipStream_tbEUlRKiE_EESV_SZ_S10_mS11_S14_bEUlT_E_NS1_11comp_targetILNS1_3genE4ELNS1_11target_archE910ELNS1_3gpuE8ELNS1_3repE0EEENS1_30default_config_static_selectorELNS0_4arch9wavefront6targetE1EEEvSY_.num_vgpr, 0
	.set _ZN7rocprim17ROCPRIM_400000_NS6detail17trampoline_kernelINS0_14default_configENS1_27lower_bound_config_selectorIilEEZNS1_14transform_implILb0ES3_S5_N6thrust23THRUST_200600_302600_NS6detail15normal_iteratorINS8_7pointerIiNS8_11hip_rocprim12par_nosync_tENS8_11use_defaultESE_EEEENSA_INSB_IlSD_SE_SE_EEEEZNS1_13binary_searchIS3_S5_NSA_INS8_10device_ptrIiEEEESG_SI_NS1_21lower_bound_search_opENS9_16wrapped_functionINS8_6system6detail7generic6detail18binary_search_lessEbEEEE10hipError_tPvRmT1_T2_T3_mmT4_T5_P12ihipStream_tbEUlRKiE_EESV_SZ_S10_mS11_S14_bEUlT_E_NS1_11comp_targetILNS1_3genE4ELNS1_11target_archE910ELNS1_3gpuE8ELNS1_3repE0EEENS1_30default_config_static_selectorELNS0_4arch9wavefront6targetE1EEEvSY_.num_agpr, 0
	.set _ZN7rocprim17ROCPRIM_400000_NS6detail17trampoline_kernelINS0_14default_configENS1_27lower_bound_config_selectorIilEEZNS1_14transform_implILb0ES3_S5_N6thrust23THRUST_200600_302600_NS6detail15normal_iteratorINS8_7pointerIiNS8_11hip_rocprim12par_nosync_tENS8_11use_defaultESE_EEEENSA_INSB_IlSD_SE_SE_EEEEZNS1_13binary_searchIS3_S5_NSA_INS8_10device_ptrIiEEEESG_SI_NS1_21lower_bound_search_opENS9_16wrapped_functionINS8_6system6detail7generic6detail18binary_search_lessEbEEEE10hipError_tPvRmT1_T2_T3_mmT4_T5_P12ihipStream_tbEUlRKiE_EESV_SZ_S10_mS11_S14_bEUlT_E_NS1_11comp_targetILNS1_3genE4ELNS1_11target_archE910ELNS1_3gpuE8ELNS1_3repE0EEENS1_30default_config_static_selectorELNS0_4arch9wavefront6targetE1EEEvSY_.numbered_sgpr, 0
	.set _ZN7rocprim17ROCPRIM_400000_NS6detail17trampoline_kernelINS0_14default_configENS1_27lower_bound_config_selectorIilEEZNS1_14transform_implILb0ES3_S5_N6thrust23THRUST_200600_302600_NS6detail15normal_iteratorINS8_7pointerIiNS8_11hip_rocprim12par_nosync_tENS8_11use_defaultESE_EEEENSA_INSB_IlSD_SE_SE_EEEEZNS1_13binary_searchIS3_S5_NSA_INS8_10device_ptrIiEEEESG_SI_NS1_21lower_bound_search_opENS9_16wrapped_functionINS8_6system6detail7generic6detail18binary_search_lessEbEEEE10hipError_tPvRmT1_T2_T3_mmT4_T5_P12ihipStream_tbEUlRKiE_EESV_SZ_S10_mS11_S14_bEUlT_E_NS1_11comp_targetILNS1_3genE4ELNS1_11target_archE910ELNS1_3gpuE8ELNS1_3repE0EEENS1_30default_config_static_selectorELNS0_4arch9wavefront6targetE1EEEvSY_.num_named_barrier, 0
	.set _ZN7rocprim17ROCPRIM_400000_NS6detail17trampoline_kernelINS0_14default_configENS1_27lower_bound_config_selectorIilEEZNS1_14transform_implILb0ES3_S5_N6thrust23THRUST_200600_302600_NS6detail15normal_iteratorINS8_7pointerIiNS8_11hip_rocprim12par_nosync_tENS8_11use_defaultESE_EEEENSA_INSB_IlSD_SE_SE_EEEEZNS1_13binary_searchIS3_S5_NSA_INS8_10device_ptrIiEEEESG_SI_NS1_21lower_bound_search_opENS9_16wrapped_functionINS8_6system6detail7generic6detail18binary_search_lessEbEEEE10hipError_tPvRmT1_T2_T3_mmT4_T5_P12ihipStream_tbEUlRKiE_EESV_SZ_S10_mS11_S14_bEUlT_E_NS1_11comp_targetILNS1_3genE4ELNS1_11target_archE910ELNS1_3gpuE8ELNS1_3repE0EEENS1_30default_config_static_selectorELNS0_4arch9wavefront6targetE1EEEvSY_.private_seg_size, 0
	.set _ZN7rocprim17ROCPRIM_400000_NS6detail17trampoline_kernelINS0_14default_configENS1_27lower_bound_config_selectorIilEEZNS1_14transform_implILb0ES3_S5_N6thrust23THRUST_200600_302600_NS6detail15normal_iteratorINS8_7pointerIiNS8_11hip_rocprim12par_nosync_tENS8_11use_defaultESE_EEEENSA_INSB_IlSD_SE_SE_EEEEZNS1_13binary_searchIS3_S5_NSA_INS8_10device_ptrIiEEEESG_SI_NS1_21lower_bound_search_opENS9_16wrapped_functionINS8_6system6detail7generic6detail18binary_search_lessEbEEEE10hipError_tPvRmT1_T2_T3_mmT4_T5_P12ihipStream_tbEUlRKiE_EESV_SZ_S10_mS11_S14_bEUlT_E_NS1_11comp_targetILNS1_3genE4ELNS1_11target_archE910ELNS1_3gpuE8ELNS1_3repE0EEENS1_30default_config_static_selectorELNS0_4arch9wavefront6targetE1EEEvSY_.uses_vcc, 0
	.set _ZN7rocprim17ROCPRIM_400000_NS6detail17trampoline_kernelINS0_14default_configENS1_27lower_bound_config_selectorIilEEZNS1_14transform_implILb0ES3_S5_N6thrust23THRUST_200600_302600_NS6detail15normal_iteratorINS8_7pointerIiNS8_11hip_rocprim12par_nosync_tENS8_11use_defaultESE_EEEENSA_INSB_IlSD_SE_SE_EEEEZNS1_13binary_searchIS3_S5_NSA_INS8_10device_ptrIiEEEESG_SI_NS1_21lower_bound_search_opENS9_16wrapped_functionINS8_6system6detail7generic6detail18binary_search_lessEbEEEE10hipError_tPvRmT1_T2_T3_mmT4_T5_P12ihipStream_tbEUlRKiE_EESV_SZ_S10_mS11_S14_bEUlT_E_NS1_11comp_targetILNS1_3genE4ELNS1_11target_archE910ELNS1_3gpuE8ELNS1_3repE0EEENS1_30default_config_static_selectorELNS0_4arch9wavefront6targetE1EEEvSY_.uses_flat_scratch, 0
	.set _ZN7rocprim17ROCPRIM_400000_NS6detail17trampoline_kernelINS0_14default_configENS1_27lower_bound_config_selectorIilEEZNS1_14transform_implILb0ES3_S5_N6thrust23THRUST_200600_302600_NS6detail15normal_iteratorINS8_7pointerIiNS8_11hip_rocprim12par_nosync_tENS8_11use_defaultESE_EEEENSA_INSB_IlSD_SE_SE_EEEEZNS1_13binary_searchIS3_S5_NSA_INS8_10device_ptrIiEEEESG_SI_NS1_21lower_bound_search_opENS9_16wrapped_functionINS8_6system6detail7generic6detail18binary_search_lessEbEEEE10hipError_tPvRmT1_T2_T3_mmT4_T5_P12ihipStream_tbEUlRKiE_EESV_SZ_S10_mS11_S14_bEUlT_E_NS1_11comp_targetILNS1_3genE4ELNS1_11target_archE910ELNS1_3gpuE8ELNS1_3repE0EEENS1_30default_config_static_selectorELNS0_4arch9wavefront6targetE1EEEvSY_.has_dyn_sized_stack, 0
	.set _ZN7rocprim17ROCPRIM_400000_NS6detail17trampoline_kernelINS0_14default_configENS1_27lower_bound_config_selectorIilEEZNS1_14transform_implILb0ES3_S5_N6thrust23THRUST_200600_302600_NS6detail15normal_iteratorINS8_7pointerIiNS8_11hip_rocprim12par_nosync_tENS8_11use_defaultESE_EEEENSA_INSB_IlSD_SE_SE_EEEEZNS1_13binary_searchIS3_S5_NSA_INS8_10device_ptrIiEEEESG_SI_NS1_21lower_bound_search_opENS9_16wrapped_functionINS8_6system6detail7generic6detail18binary_search_lessEbEEEE10hipError_tPvRmT1_T2_T3_mmT4_T5_P12ihipStream_tbEUlRKiE_EESV_SZ_S10_mS11_S14_bEUlT_E_NS1_11comp_targetILNS1_3genE4ELNS1_11target_archE910ELNS1_3gpuE8ELNS1_3repE0EEENS1_30default_config_static_selectorELNS0_4arch9wavefront6targetE1EEEvSY_.has_recursion, 0
	.set _ZN7rocprim17ROCPRIM_400000_NS6detail17trampoline_kernelINS0_14default_configENS1_27lower_bound_config_selectorIilEEZNS1_14transform_implILb0ES3_S5_N6thrust23THRUST_200600_302600_NS6detail15normal_iteratorINS8_7pointerIiNS8_11hip_rocprim12par_nosync_tENS8_11use_defaultESE_EEEENSA_INSB_IlSD_SE_SE_EEEEZNS1_13binary_searchIS3_S5_NSA_INS8_10device_ptrIiEEEESG_SI_NS1_21lower_bound_search_opENS9_16wrapped_functionINS8_6system6detail7generic6detail18binary_search_lessEbEEEE10hipError_tPvRmT1_T2_T3_mmT4_T5_P12ihipStream_tbEUlRKiE_EESV_SZ_S10_mS11_S14_bEUlT_E_NS1_11comp_targetILNS1_3genE4ELNS1_11target_archE910ELNS1_3gpuE8ELNS1_3repE0EEENS1_30default_config_static_selectorELNS0_4arch9wavefront6targetE1EEEvSY_.has_indirect_call, 0
	.section	.AMDGPU.csdata,"",@progbits
; Kernel info:
; codeLenInByte = 0
; TotalNumSgprs: 4
; NumVgprs: 0
; ScratchSize: 0
; MemoryBound: 0
; FloatMode: 240
; IeeeMode: 1
; LDSByteSize: 0 bytes/workgroup (compile time only)
; SGPRBlocks: 0
; VGPRBlocks: 0
; NumSGPRsForWavesPerEU: 4
; NumVGPRsForWavesPerEU: 1
; Occupancy: 10
; WaveLimiterHint : 0
; COMPUTE_PGM_RSRC2:SCRATCH_EN: 0
; COMPUTE_PGM_RSRC2:USER_SGPR: 6
; COMPUTE_PGM_RSRC2:TRAP_HANDLER: 0
; COMPUTE_PGM_RSRC2:TGID_X_EN: 1
; COMPUTE_PGM_RSRC2:TGID_Y_EN: 0
; COMPUTE_PGM_RSRC2:TGID_Z_EN: 0
; COMPUTE_PGM_RSRC2:TIDIG_COMP_CNT: 0
	.section	.text._ZN7rocprim17ROCPRIM_400000_NS6detail17trampoline_kernelINS0_14default_configENS1_27lower_bound_config_selectorIilEEZNS1_14transform_implILb0ES3_S5_N6thrust23THRUST_200600_302600_NS6detail15normal_iteratorINS8_7pointerIiNS8_11hip_rocprim12par_nosync_tENS8_11use_defaultESE_EEEENSA_INSB_IlSD_SE_SE_EEEEZNS1_13binary_searchIS3_S5_NSA_INS8_10device_ptrIiEEEESG_SI_NS1_21lower_bound_search_opENS9_16wrapped_functionINS8_6system6detail7generic6detail18binary_search_lessEbEEEE10hipError_tPvRmT1_T2_T3_mmT4_T5_P12ihipStream_tbEUlRKiE_EESV_SZ_S10_mS11_S14_bEUlT_E_NS1_11comp_targetILNS1_3genE3ELNS1_11target_archE908ELNS1_3gpuE7ELNS1_3repE0EEENS1_30default_config_static_selectorELNS0_4arch9wavefront6targetE1EEEvSY_,"axG",@progbits,_ZN7rocprim17ROCPRIM_400000_NS6detail17trampoline_kernelINS0_14default_configENS1_27lower_bound_config_selectorIilEEZNS1_14transform_implILb0ES3_S5_N6thrust23THRUST_200600_302600_NS6detail15normal_iteratorINS8_7pointerIiNS8_11hip_rocprim12par_nosync_tENS8_11use_defaultESE_EEEENSA_INSB_IlSD_SE_SE_EEEEZNS1_13binary_searchIS3_S5_NSA_INS8_10device_ptrIiEEEESG_SI_NS1_21lower_bound_search_opENS9_16wrapped_functionINS8_6system6detail7generic6detail18binary_search_lessEbEEEE10hipError_tPvRmT1_T2_T3_mmT4_T5_P12ihipStream_tbEUlRKiE_EESV_SZ_S10_mS11_S14_bEUlT_E_NS1_11comp_targetILNS1_3genE3ELNS1_11target_archE908ELNS1_3gpuE7ELNS1_3repE0EEENS1_30default_config_static_selectorELNS0_4arch9wavefront6targetE1EEEvSY_,comdat
	.protected	_ZN7rocprim17ROCPRIM_400000_NS6detail17trampoline_kernelINS0_14default_configENS1_27lower_bound_config_selectorIilEEZNS1_14transform_implILb0ES3_S5_N6thrust23THRUST_200600_302600_NS6detail15normal_iteratorINS8_7pointerIiNS8_11hip_rocprim12par_nosync_tENS8_11use_defaultESE_EEEENSA_INSB_IlSD_SE_SE_EEEEZNS1_13binary_searchIS3_S5_NSA_INS8_10device_ptrIiEEEESG_SI_NS1_21lower_bound_search_opENS9_16wrapped_functionINS8_6system6detail7generic6detail18binary_search_lessEbEEEE10hipError_tPvRmT1_T2_T3_mmT4_T5_P12ihipStream_tbEUlRKiE_EESV_SZ_S10_mS11_S14_bEUlT_E_NS1_11comp_targetILNS1_3genE3ELNS1_11target_archE908ELNS1_3gpuE7ELNS1_3repE0EEENS1_30default_config_static_selectorELNS0_4arch9wavefront6targetE1EEEvSY_ ; -- Begin function _ZN7rocprim17ROCPRIM_400000_NS6detail17trampoline_kernelINS0_14default_configENS1_27lower_bound_config_selectorIilEEZNS1_14transform_implILb0ES3_S5_N6thrust23THRUST_200600_302600_NS6detail15normal_iteratorINS8_7pointerIiNS8_11hip_rocprim12par_nosync_tENS8_11use_defaultESE_EEEENSA_INSB_IlSD_SE_SE_EEEEZNS1_13binary_searchIS3_S5_NSA_INS8_10device_ptrIiEEEESG_SI_NS1_21lower_bound_search_opENS9_16wrapped_functionINS8_6system6detail7generic6detail18binary_search_lessEbEEEE10hipError_tPvRmT1_T2_T3_mmT4_T5_P12ihipStream_tbEUlRKiE_EESV_SZ_S10_mS11_S14_bEUlT_E_NS1_11comp_targetILNS1_3genE3ELNS1_11target_archE908ELNS1_3gpuE7ELNS1_3repE0EEENS1_30default_config_static_selectorELNS0_4arch9wavefront6targetE1EEEvSY_
	.globl	_ZN7rocprim17ROCPRIM_400000_NS6detail17trampoline_kernelINS0_14default_configENS1_27lower_bound_config_selectorIilEEZNS1_14transform_implILb0ES3_S5_N6thrust23THRUST_200600_302600_NS6detail15normal_iteratorINS8_7pointerIiNS8_11hip_rocprim12par_nosync_tENS8_11use_defaultESE_EEEENSA_INSB_IlSD_SE_SE_EEEEZNS1_13binary_searchIS3_S5_NSA_INS8_10device_ptrIiEEEESG_SI_NS1_21lower_bound_search_opENS9_16wrapped_functionINS8_6system6detail7generic6detail18binary_search_lessEbEEEE10hipError_tPvRmT1_T2_T3_mmT4_T5_P12ihipStream_tbEUlRKiE_EESV_SZ_S10_mS11_S14_bEUlT_E_NS1_11comp_targetILNS1_3genE3ELNS1_11target_archE908ELNS1_3gpuE7ELNS1_3repE0EEENS1_30default_config_static_selectorELNS0_4arch9wavefront6targetE1EEEvSY_
	.p2align	8
	.type	_ZN7rocprim17ROCPRIM_400000_NS6detail17trampoline_kernelINS0_14default_configENS1_27lower_bound_config_selectorIilEEZNS1_14transform_implILb0ES3_S5_N6thrust23THRUST_200600_302600_NS6detail15normal_iteratorINS8_7pointerIiNS8_11hip_rocprim12par_nosync_tENS8_11use_defaultESE_EEEENSA_INSB_IlSD_SE_SE_EEEEZNS1_13binary_searchIS3_S5_NSA_INS8_10device_ptrIiEEEESG_SI_NS1_21lower_bound_search_opENS9_16wrapped_functionINS8_6system6detail7generic6detail18binary_search_lessEbEEEE10hipError_tPvRmT1_T2_T3_mmT4_T5_P12ihipStream_tbEUlRKiE_EESV_SZ_S10_mS11_S14_bEUlT_E_NS1_11comp_targetILNS1_3genE3ELNS1_11target_archE908ELNS1_3gpuE7ELNS1_3repE0EEENS1_30default_config_static_selectorELNS0_4arch9wavefront6targetE1EEEvSY_,@function
_ZN7rocprim17ROCPRIM_400000_NS6detail17trampoline_kernelINS0_14default_configENS1_27lower_bound_config_selectorIilEEZNS1_14transform_implILb0ES3_S5_N6thrust23THRUST_200600_302600_NS6detail15normal_iteratorINS8_7pointerIiNS8_11hip_rocprim12par_nosync_tENS8_11use_defaultESE_EEEENSA_INSB_IlSD_SE_SE_EEEEZNS1_13binary_searchIS3_S5_NSA_INS8_10device_ptrIiEEEESG_SI_NS1_21lower_bound_search_opENS9_16wrapped_functionINS8_6system6detail7generic6detail18binary_search_lessEbEEEE10hipError_tPvRmT1_T2_T3_mmT4_T5_P12ihipStream_tbEUlRKiE_EESV_SZ_S10_mS11_S14_bEUlT_E_NS1_11comp_targetILNS1_3genE3ELNS1_11target_archE908ELNS1_3gpuE7ELNS1_3repE0EEENS1_30default_config_static_selectorELNS0_4arch9wavefront6targetE1EEEvSY_: ; @_ZN7rocprim17ROCPRIM_400000_NS6detail17trampoline_kernelINS0_14default_configENS1_27lower_bound_config_selectorIilEEZNS1_14transform_implILb0ES3_S5_N6thrust23THRUST_200600_302600_NS6detail15normal_iteratorINS8_7pointerIiNS8_11hip_rocprim12par_nosync_tENS8_11use_defaultESE_EEEENSA_INSB_IlSD_SE_SE_EEEEZNS1_13binary_searchIS3_S5_NSA_INS8_10device_ptrIiEEEESG_SI_NS1_21lower_bound_search_opENS9_16wrapped_functionINS8_6system6detail7generic6detail18binary_search_lessEbEEEE10hipError_tPvRmT1_T2_T3_mmT4_T5_P12ihipStream_tbEUlRKiE_EESV_SZ_S10_mS11_S14_bEUlT_E_NS1_11comp_targetILNS1_3genE3ELNS1_11target_archE908ELNS1_3gpuE7ELNS1_3repE0EEENS1_30default_config_static_selectorELNS0_4arch9wavefront6targetE1EEEvSY_
; %bb.0:
	.section	.rodata,"a",@progbits
	.p2align	6, 0x0
	.amdhsa_kernel _ZN7rocprim17ROCPRIM_400000_NS6detail17trampoline_kernelINS0_14default_configENS1_27lower_bound_config_selectorIilEEZNS1_14transform_implILb0ES3_S5_N6thrust23THRUST_200600_302600_NS6detail15normal_iteratorINS8_7pointerIiNS8_11hip_rocprim12par_nosync_tENS8_11use_defaultESE_EEEENSA_INSB_IlSD_SE_SE_EEEEZNS1_13binary_searchIS3_S5_NSA_INS8_10device_ptrIiEEEESG_SI_NS1_21lower_bound_search_opENS9_16wrapped_functionINS8_6system6detail7generic6detail18binary_search_lessEbEEEE10hipError_tPvRmT1_T2_T3_mmT4_T5_P12ihipStream_tbEUlRKiE_EESV_SZ_S10_mS11_S14_bEUlT_E_NS1_11comp_targetILNS1_3genE3ELNS1_11target_archE908ELNS1_3gpuE7ELNS1_3repE0EEENS1_30default_config_static_selectorELNS0_4arch9wavefront6targetE1EEEvSY_
		.amdhsa_group_segment_fixed_size 0
		.amdhsa_private_segment_fixed_size 0
		.amdhsa_kernarg_size 56
		.amdhsa_user_sgpr_count 6
		.amdhsa_user_sgpr_private_segment_buffer 1
		.amdhsa_user_sgpr_dispatch_ptr 0
		.amdhsa_user_sgpr_queue_ptr 0
		.amdhsa_user_sgpr_kernarg_segment_ptr 1
		.amdhsa_user_sgpr_dispatch_id 0
		.amdhsa_user_sgpr_flat_scratch_init 0
		.amdhsa_user_sgpr_private_segment_size 0
		.amdhsa_uses_dynamic_stack 0
		.amdhsa_system_sgpr_private_segment_wavefront_offset 0
		.amdhsa_system_sgpr_workgroup_id_x 1
		.amdhsa_system_sgpr_workgroup_id_y 0
		.amdhsa_system_sgpr_workgroup_id_z 0
		.amdhsa_system_sgpr_workgroup_info 0
		.amdhsa_system_vgpr_workitem_id 0
		.amdhsa_next_free_vgpr 1
		.amdhsa_next_free_sgpr 0
		.amdhsa_reserve_vcc 0
		.amdhsa_reserve_flat_scratch 0
		.amdhsa_float_round_mode_32 0
		.amdhsa_float_round_mode_16_64 0
		.amdhsa_float_denorm_mode_32 3
		.amdhsa_float_denorm_mode_16_64 3
		.amdhsa_dx10_clamp 1
		.amdhsa_ieee_mode 1
		.amdhsa_fp16_overflow 0
		.amdhsa_exception_fp_ieee_invalid_op 0
		.amdhsa_exception_fp_denorm_src 0
		.amdhsa_exception_fp_ieee_div_zero 0
		.amdhsa_exception_fp_ieee_overflow 0
		.amdhsa_exception_fp_ieee_underflow 0
		.amdhsa_exception_fp_ieee_inexact 0
		.amdhsa_exception_int_div_zero 0
	.end_amdhsa_kernel
	.section	.text._ZN7rocprim17ROCPRIM_400000_NS6detail17trampoline_kernelINS0_14default_configENS1_27lower_bound_config_selectorIilEEZNS1_14transform_implILb0ES3_S5_N6thrust23THRUST_200600_302600_NS6detail15normal_iteratorINS8_7pointerIiNS8_11hip_rocprim12par_nosync_tENS8_11use_defaultESE_EEEENSA_INSB_IlSD_SE_SE_EEEEZNS1_13binary_searchIS3_S5_NSA_INS8_10device_ptrIiEEEESG_SI_NS1_21lower_bound_search_opENS9_16wrapped_functionINS8_6system6detail7generic6detail18binary_search_lessEbEEEE10hipError_tPvRmT1_T2_T3_mmT4_T5_P12ihipStream_tbEUlRKiE_EESV_SZ_S10_mS11_S14_bEUlT_E_NS1_11comp_targetILNS1_3genE3ELNS1_11target_archE908ELNS1_3gpuE7ELNS1_3repE0EEENS1_30default_config_static_selectorELNS0_4arch9wavefront6targetE1EEEvSY_,"axG",@progbits,_ZN7rocprim17ROCPRIM_400000_NS6detail17trampoline_kernelINS0_14default_configENS1_27lower_bound_config_selectorIilEEZNS1_14transform_implILb0ES3_S5_N6thrust23THRUST_200600_302600_NS6detail15normal_iteratorINS8_7pointerIiNS8_11hip_rocprim12par_nosync_tENS8_11use_defaultESE_EEEENSA_INSB_IlSD_SE_SE_EEEEZNS1_13binary_searchIS3_S5_NSA_INS8_10device_ptrIiEEEESG_SI_NS1_21lower_bound_search_opENS9_16wrapped_functionINS8_6system6detail7generic6detail18binary_search_lessEbEEEE10hipError_tPvRmT1_T2_T3_mmT4_T5_P12ihipStream_tbEUlRKiE_EESV_SZ_S10_mS11_S14_bEUlT_E_NS1_11comp_targetILNS1_3genE3ELNS1_11target_archE908ELNS1_3gpuE7ELNS1_3repE0EEENS1_30default_config_static_selectorELNS0_4arch9wavefront6targetE1EEEvSY_,comdat
.Lfunc_end397:
	.size	_ZN7rocprim17ROCPRIM_400000_NS6detail17trampoline_kernelINS0_14default_configENS1_27lower_bound_config_selectorIilEEZNS1_14transform_implILb0ES3_S5_N6thrust23THRUST_200600_302600_NS6detail15normal_iteratorINS8_7pointerIiNS8_11hip_rocprim12par_nosync_tENS8_11use_defaultESE_EEEENSA_INSB_IlSD_SE_SE_EEEEZNS1_13binary_searchIS3_S5_NSA_INS8_10device_ptrIiEEEESG_SI_NS1_21lower_bound_search_opENS9_16wrapped_functionINS8_6system6detail7generic6detail18binary_search_lessEbEEEE10hipError_tPvRmT1_T2_T3_mmT4_T5_P12ihipStream_tbEUlRKiE_EESV_SZ_S10_mS11_S14_bEUlT_E_NS1_11comp_targetILNS1_3genE3ELNS1_11target_archE908ELNS1_3gpuE7ELNS1_3repE0EEENS1_30default_config_static_selectorELNS0_4arch9wavefront6targetE1EEEvSY_, .Lfunc_end397-_ZN7rocprim17ROCPRIM_400000_NS6detail17trampoline_kernelINS0_14default_configENS1_27lower_bound_config_selectorIilEEZNS1_14transform_implILb0ES3_S5_N6thrust23THRUST_200600_302600_NS6detail15normal_iteratorINS8_7pointerIiNS8_11hip_rocprim12par_nosync_tENS8_11use_defaultESE_EEEENSA_INSB_IlSD_SE_SE_EEEEZNS1_13binary_searchIS3_S5_NSA_INS8_10device_ptrIiEEEESG_SI_NS1_21lower_bound_search_opENS9_16wrapped_functionINS8_6system6detail7generic6detail18binary_search_lessEbEEEE10hipError_tPvRmT1_T2_T3_mmT4_T5_P12ihipStream_tbEUlRKiE_EESV_SZ_S10_mS11_S14_bEUlT_E_NS1_11comp_targetILNS1_3genE3ELNS1_11target_archE908ELNS1_3gpuE7ELNS1_3repE0EEENS1_30default_config_static_selectorELNS0_4arch9wavefront6targetE1EEEvSY_
                                        ; -- End function
	.set _ZN7rocprim17ROCPRIM_400000_NS6detail17trampoline_kernelINS0_14default_configENS1_27lower_bound_config_selectorIilEEZNS1_14transform_implILb0ES3_S5_N6thrust23THRUST_200600_302600_NS6detail15normal_iteratorINS8_7pointerIiNS8_11hip_rocprim12par_nosync_tENS8_11use_defaultESE_EEEENSA_INSB_IlSD_SE_SE_EEEEZNS1_13binary_searchIS3_S5_NSA_INS8_10device_ptrIiEEEESG_SI_NS1_21lower_bound_search_opENS9_16wrapped_functionINS8_6system6detail7generic6detail18binary_search_lessEbEEEE10hipError_tPvRmT1_T2_T3_mmT4_T5_P12ihipStream_tbEUlRKiE_EESV_SZ_S10_mS11_S14_bEUlT_E_NS1_11comp_targetILNS1_3genE3ELNS1_11target_archE908ELNS1_3gpuE7ELNS1_3repE0EEENS1_30default_config_static_selectorELNS0_4arch9wavefront6targetE1EEEvSY_.num_vgpr, 0
	.set _ZN7rocprim17ROCPRIM_400000_NS6detail17trampoline_kernelINS0_14default_configENS1_27lower_bound_config_selectorIilEEZNS1_14transform_implILb0ES3_S5_N6thrust23THRUST_200600_302600_NS6detail15normal_iteratorINS8_7pointerIiNS8_11hip_rocprim12par_nosync_tENS8_11use_defaultESE_EEEENSA_INSB_IlSD_SE_SE_EEEEZNS1_13binary_searchIS3_S5_NSA_INS8_10device_ptrIiEEEESG_SI_NS1_21lower_bound_search_opENS9_16wrapped_functionINS8_6system6detail7generic6detail18binary_search_lessEbEEEE10hipError_tPvRmT1_T2_T3_mmT4_T5_P12ihipStream_tbEUlRKiE_EESV_SZ_S10_mS11_S14_bEUlT_E_NS1_11comp_targetILNS1_3genE3ELNS1_11target_archE908ELNS1_3gpuE7ELNS1_3repE0EEENS1_30default_config_static_selectorELNS0_4arch9wavefront6targetE1EEEvSY_.num_agpr, 0
	.set _ZN7rocprim17ROCPRIM_400000_NS6detail17trampoline_kernelINS0_14default_configENS1_27lower_bound_config_selectorIilEEZNS1_14transform_implILb0ES3_S5_N6thrust23THRUST_200600_302600_NS6detail15normal_iteratorINS8_7pointerIiNS8_11hip_rocprim12par_nosync_tENS8_11use_defaultESE_EEEENSA_INSB_IlSD_SE_SE_EEEEZNS1_13binary_searchIS3_S5_NSA_INS8_10device_ptrIiEEEESG_SI_NS1_21lower_bound_search_opENS9_16wrapped_functionINS8_6system6detail7generic6detail18binary_search_lessEbEEEE10hipError_tPvRmT1_T2_T3_mmT4_T5_P12ihipStream_tbEUlRKiE_EESV_SZ_S10_mS11_S14_bEUlT_E_NS1_11comp_targetILNS1_3genE3ELNS1_11target_archE908ELNS1_3gpuE7ELNS1_3repE0EEENS1_30default_config_static_selectorELNS0_4arch9wavefront6targetE1EEEvSY_.numbered_sgpr, 0
	.set _ZN7rocprim17ROCPRIM_400000_NS6detail17trampoline_kernelINS0_14default_configENS1_27lower_bound_config_selectorIilEEZNS1_14transform_implILb0ES3_S5_N6thrust23THRUST_200600_302600_NS6detail15normal_iteratorINS8_7pointerIiNS8_11hip_rocprim12par_nosync_tENS8_11use_defaultESE_EEEENSA_INSB_IlSD_SE_SE_EEEEZNS1_13binary_searchIS3_S5_NSA_INS8_10device_ptrIiEEEESG_SI_NS1_21lower_bound_search_opENS9_16wrapped_functionINS8_6system6detail7generic6detail18binary_search_lessEbEEEE10hipError_tPvRmT1_T2_T3_mmT4_T5_P12ihipStream_tbEUlRKiE_EESV_SZ_S10_mS11_S14_bEUlT_E_NS1_11comp_targetILNS1_3genE3ELNS1_11target_archE908ELNS1_3gpuE7ELNS1_3repE0EEENS1_30default_config_static_selectorELNS0_4arch9wavefront6targetE1EEEvSY_.num_named_barrier, 0
	.set _ZN7rocprim17ROCPRIM_400000_NS6detail17trampoline_kernelINS0_14default_configENS1_27lower_bound_config_selectorIilEEZNS1_14transform_implILb0ES3_S5_N6thrust23THRUST_200600_302600_NS6detail15normal_iteratorINS8_7pointerIiNS8_11hip_rocprim12par_nosync_tENS8_11use_defaultESE_EEEENSA_INSB_IlSD_SE_SE_EEEEZNS1_13binary_searchIS3_S5_NSA_INS8_10device_ptrIiEEEESG_SI_NS1_21lower_bound_search_opENS9_16wrapped_functionINS8_6system6detail7generic6detail18binary_search_lessEbEEEE10hipError_tPvRmT1_T2_T3_mmT4_T5_P12ihipStream_tbEUlRKiE_EESV_SZ_S10_mS11_S14_bEUlT_E_NS1_11comp_targetILNS1_3genE3ELNS1_11target_archE908ELNS1_3gpuE7ELNS1_3repE0EEENS1_30default_config_static_selectorELNS0_4arch9wavefront6targetE1EEEvSY_.private_seg_size, 0
	.set _ZN7rocprim17ROCPRIM_400000_NS6detail17trampoline_kernelINS0_14default_configENS1_27lower_bound_config_selectorIilEEZNS1_14transform_implILb0ES3_S5_N6thrust23THRUST_200600_302600_NS6detail15normal_iteratorINS8_7pointerIiNS8_11hip_rocprim12par_nosync_tENS8_11use_defaultESE_EEEENSA_INSB_IlSD_SE_SE_EEEEZNS1_13binary_searchIS3_S5_NSA_INS8_10device_ptrIiEEEESG_SI_NS1_21lower_bound_search_opENS9_16wrapped_functionINS8_6system6detail7generic6detail18binary_search_lessEbEEEE10hipError_tPvRmT1_T2_T3_mmT4_T5_P12ihipStream_tbEUlRKiE_EESV_SZ_S10_mS11_S14_bEUlT_E_NS1_11comp_targetILNS1_3genE3ELNS1_11target_archE908ELNS1_3gpuE7ELNS1_3repE0EEENS1_30default_config_static_selectorELNS0_4arch9wavefront6targetE1EEEvSY_.uses_vcc, 0
	.set _ZN7rocprim17ROCPRIM_400000_NS6detail17trampoline_kernelINS0_14default_configENS1_27lower_bound_config_selectorIilEEZNS1_14transform_implILb0ES3_S5_N6thrust23THRUST_200600_302600_NS6detail15normal_iteratorINS8_7pointerIiNS8_11hip_rocprim12par_nosync_tENS8_11use_defaultESE_EEEENSA_INSB_IlSD_SE_SE_EEEEZNS1_13binary_searchIS3_S5_NSA_INS8_10device_ptrIiEEEESG_SI_NS1_21lower_bound_search_opENS9_16wrapped_functionINS8_6system6detail7generic6detail18binary_search_lessEbEEEE10hipError_tPvRmT1_T2_T3_mmT4_T5_P12ihipStream_tbEUlRKiE_EESV_SZ_S10_mS11_S14_bEUlT_E_NS1_11comp_targetILNS1_3genE3ELNS1_11target_archE908ELNS1_3gpuE7ELNS1_3repE0EEENS1_30default_config_static_selectorELNS0_4arch9wavefront6targetE1EEEvSY_.uses_flat_scratch, 0
	.set _ZN7rocprim17ROCPRIM_400000_NS6detail17trampoline_kernelINS0_14default_configENS1_27lower_bound_config_selectorIilEEZNS1_14transform_implILb0ES3_S5_N6thrust23THRUST_200600_302600_NS6detail15normal_iteratorINS8_7pointerIiNS8_11hip_rocprim12par_nosync_tENS8_11use_defaultESE_EEEENSA_INSB_IlSD_SE_SE_EEEEZNS1_13binary_searchIS3_S5_NSA_INS8_10device_ptrIiEEEESG_SI_NS1_21lower_bound_search_opENS9_16wrapped_functionINS8_6system6detail7generic6detail18binary_search_lessEbEEEE10hipError_tPvRmT1_T2_T3_mmT4_T5_P12ihipStream_tbEUlRKiE_EESV_SZ_S10_mS11_S14_bEUlT_E_NS1_11comp_targetILNS1_3genE3ELNS1_11target_archE908ELNS1_3gpuE7ELNS1_3repE0EEENS1_30default_config_static_selectorELNS0_4arch9wavefront6targetE1EEEvSY_.has_dyn_sized_stack, 0
	.set _ZN7rocprim17ROCPRIM_400000_NS6detail17trampoline_kernelINS0_14default_configENS1_27lower_bound_config_selectorIilEEZNS1_14transform_implILb0ES3_S5_N6thrust23THRUST_200600_302600_NS6detail15normal_iteratorINS8_7pointerIiNS8_11hip_rocprim12par_nosync_tENS8_11use_defaultESE_EEEENSA_INSB_IlSD_SE_SE_EEEEZNS1_13binary_searchIS3_S5_NSA_INS8_10device_ptrIiEEEESG_SI_NS1_21lower_bound_search_opENS9_16wrapped_functionINS8_6system6detail7generic6detail18binary_search_lessEbEEEE10hipError_tPvRmT1_T2_T3_mmT4_T5_P12ihipStream_tbEUlRKiE_EESV_SZ_S10_mS11_S14_bEUlT_E_NS1_11comp_targetILNS1_3genE3ELNS1_11target_archE908ELNS1_3gpuE7ELNS1_3repE0EEENS1_30default_config_static_selectorELNS0_4arch9wavefront6targetE1EEEvSY_.has_recursion, 0
	.set _ZN7rocprim17ROCPRIM_400000_NS6detail17trampoline_kernelINS0_14default_configENS1_27lower_bound_config_selectorIilEEZNS1_14transform_implILb0ES3_S5_N6thrust23THRUST_200600_302600_NS6detail15normal_iteratorINS8_7pointerIiNS8_11hip_rocprim12par_nosync_tENS8_11use_defaultESE_EEEENSA_INSB_IlSD_SE_SE_EEEEZNS1_13binary_searchIS3_S5_NSA_INS8_10device_ptrIiEEEESG_SI_NS1_21lower_bound_search_opENS9_16wrapped_functionINS8_6system6detail7generic6detail18binary_search_lessEbEEEE10hipError_tPvRmT1_T2_T3_mmT4_T5_P12ihipStream_tbEUlRKiE_EESV_SZ_S10_mS11_S14_bEUlT_E_NS1_11comp_targetILNS1_3genE3ELNS1_11target_archE908ELNS1_3gpuE7ELNS1_3repE0EEENS1_30default_config_static_selectorELNS0_4arch9wavefront6targetE1EEEvSY_.has_indirect_call, 0
	.section	.AMDGPU.csdata,"",@progbits
; Kernel info:
; codeLenInByte = 0
; TotalNumSgprs: 4
; NumVgprs: 0
; ScratchSize: 0
; MemoryBound: 0
; FloatMode: 240
; IeeeMode: 1
; LDSByteSize: 0 bytes/workgroup (compile time only)
; SGPRBlocks: 0
; VGPRBlocks: 0
; NumSGPRsForWavesPerEU: 4
; NumVGPRsForWavesPerEU: 1
; Occupancy: 10
; WaveLimiterHint : 0
; COMPUTE_PGM_RSRC2:SCRATCH_EN: 0
; COMPUTE_PGM_RSRC2:USER_SGPR: 6
; COMPUTE_PGM_RSRC2:TRAP_HANDLER: 0
; COMPUTE_PGM_RSRC2:TGID_X_EN: 1
; COMPUTE_PGM_RSRC2:TGID_Y_EN: 0
; COMPUTE_PGM_RSRC2:TGID_Z_EN: 0
; COMPUTE_PGM_RSRC2:TIDIG_COMP_CNT: 0
	.section	.text._ZN7rocprim17ROCPRIM_400000_NS6detail17trampoline_kernelINS0_14default_configENS1_27lower_bound_config_selectorIilEEZNS1_14transform_implILb0ES3_S5_N6thrust23THRUST_200600_302600_NS6detail15normal_iteratorINS8_7pointerIiNS8_11hip_rocprim12par_nosync_tENS8_11use_defaultESE_EEEENSA_INSB_IlSD_SE_SE_EEEEZNS1_13binary_searchIS3_S5_NSA_INS8_10device_ptrIiEEEESG_SI_NS1_21lower_bound_search_opENS9_16wrapped_functionINS8_6system6detail7generic6detail18binary_search_lessEbEEEE10hipError_tPvRmT1_T2_T3_mmT4_T5_P12ihipStream_tbEUlRKiE_EESV_SZ_S10_mS11_S14_bEUlT_E_NS1_11comp_targetILNS1_3genE2ELNS1_11target_archE906ELNS1_3gpuE6ELNS1_3repE0EEENS1_30default_config_static_selectorELNS0_4arch9wavefront6targetE1EEEvSY_,"axG",@progbits,_ZN7rocprim17ROCPRIM_400000_NS6detail17trampoline_kernelINS0_14default_configENS1_27lower_bound_config_selectorIilEEZNS1_14transform_implILb0ES3_S5_N6thrust23THRUST_200600_302600_NS6detail15normal_iteratorINS8_7pointerIiNS8_11hip_rocprim12par_nosync_tENS8_11use_defaultESE_EEEENSA_INSB_IlSD_SE_SE_EEEEZNS1_13binary_searchIS3_S5_NSA_INS8_10device_ptrIiEEEESG_SI_NS1_21lower_bound_search_opENS9_16wrapped_functionINS8_6system6detail7generic6detail18binary_search_lessEbEEEE10hipError_tPvRmT1_T2_T3_mmT4_T5_P12ihipStream_tbEUlRKiE_EESV_SZ_S10_mS11_S14_bEUlT_E_NS1_11comp_targetILNS1_3genE2ELNS1_11target_archE906ELNS1_3gpuE6ELNS1_3repE0EEENS1_30default_config_static_selectorELNS0_4arch9wavefront6targetE1EEEvSY_,comdat
	.protected	_ZN7rocprim17ROCPRIM_400000_NS6detail17trampoline_kernelINS0_14default_configENS1_27lower_bound_config_selectorIilEEZNS1_14transform_implILb0ES3_S5_N6thrust23THRUST_200600_302600_NS6detail15normal_iteratorINS8_7pointerIiNS8_11hip_rocprim12par_nosync_tENS8_11use_defaultESE_EEEENSA_INSB_IlSD_SE_SE_EEEEZNS1_13binary_searchIS3_S5_NSA_INS8_10device_ptrIiEEEESG_SI_NS1_21lower_bound_search_opENS9_16wrapped_functionINS8_6system6detail7generic6detail18binary_search_lessEbEEEE10hipError_tPvRmT1_T2_T3_mmT4_T5_P12ihipStream_tbEUlRKiE_EESV_SZ_S10_mS11_S14_bEUlT_E_NS1_11comp_targetILNS1_3genE2ELNS1_11target_archE906ELNS1_3gpuE6ELNS1_3repE0EEENS1_30default_config_static_selectorELNS0_4arch9wavefront6targetE1EEEvSY_ ; -- Begin function _ZN7rocprim17ROCPRIM_400000_NS6detail17trampoline_kernelINS0_14default_configENS1_27lower_bound_config_selectorIilEEZNS1_14transform_implILb0ES3_S5_N6thrust23THRUST_200600_302600_NS6detail15normal_iteratorINS8_7pointerIiNS8_11hip_rocprim12par_nosync_tENS8_11use_defaultESE_EEEENSA_INSB_IlSD_SE_SE_EEEEZNS1_13binary_searchIS3_S5_NSA_INS8_10device_ptrIiEEEESG_SI_NS1_21lower_bound_search_opENS9_16wrapped_functionINS8_6system6detail7generic6detail18binary_search_lessEbEEEE10hipError_tPvRmT1_T2_T3_mmT4_T5_P12ihipStream_tbEUlRKiE_EESV_SZ_S10_mS11_S14_bEUlT_E_NS1_11comp_targetILNS1_3genE2ELNS1_11target_archE906ELNS1_3gpuE6ELNS1_3repE0EEENS1_30default_config_static_selectorELNS0_4arch9wavefront6targetE1EEEvSY_
	.globl	_ZN7rocprim17ROCPRIM_400000_NS6detail17trampoline_kernelINS0_14default_configENS1_27lower_bound_config_selectorIilEEZNS1_14transform_implILb0ES3_S5_N6thrust23THRUST_200600_302600_NS6detail15normal_iteratorINS8_7pointerIiNS8_11hip_rocprim12par_nosync_tENS8_11use_defaultESE_EEEENSA_INSB_IlSD_SE_SE_EEEEZNS1_13binary_searchIS3_S5_NSA_INS8_10device_ptrIiEEEESG_SI_NS1_21lower_bound_search_opENS9_16wrapped_functionINS8_6system6detail7generic6detail18binary_search_lessEbEEEE10hipError_tPvRmT1_T2_T3_mmT4_T5_P12ihipStream_tbEUlRKiE_EESV_SZ_S10_mS11_S14_bEUlT_E_NS1_11comp_targetILNS1_3genE2ELNS1_11target_archE906ELNS1_3gpuE6ELNS1_3repE0EEENS1_30default_config_static_selectorELNS0_4arch9wavefront6targetE1EEEvSY_
	.p2align	8
	.type	_ZN7rocprim17ROCPRIM_400000_NS6detail17trampoline_kernelINS0_14default_configENS1_27lower_bound_config_selectorIilEEZNS1_14transform_implILb0ES3_S5_N6thrust23THRUST_200600_302600_NS6detail15normal_iteratorINS8_7pointerIiNS8_11hip_rocprim12par_nosync_tENS8_11use_defaultESE_EEEENSA_INSB_IlSD_SE_SE_EEEEZNS1_13binary_searchIS3_S5_NSA_INS8_10device_ptrIiEEEESG_SI_NS1_21lower_bound_search_opENS9_16wrapped_functionINS8_6system6detail7generic6detail18binary_search_lessEbEEEE10hipError_tPvRmT1_T2_T3_mmT4_T5_P12ihipStream_tbEUlRKiE_EESV_SZ_S10_mS11_S14_bEUlT_E_NS1_11comp_targetILNS1_3genE2ELNS1_11target_archE906ELNS1_3gpuE6ELNS1_3repE0EEENS1_30default_config_static_selectorELNS0_4arch9wavefront6targetE1EEEvSY_,@function
_ZN7rocprim17ROCPRIM_400000_NS6detail17trampoline_kernelINS0_14default_configENS1_27lower_bound_config_selectorIilEEZNS1_14transform_implILb0ES3_S5_N6thrust23THRUST_200600_302600_NS6detail15normal_iteratorINS8_7pointerIiNS8_11hip_rocprim12par_nosync_tENS8_11use_defaultESE_EEEENSA_INSB_IlSD_SE_SE_EEEEZNS1_13binary_searchIS3_S5_NSA_INS8_10device_ptrIiEEEESG_SI_NS1_21lower_bound_search_opENS9_16wrapped_functionINS8_6system6detail7generic6detail18binary_search_lessEbEEEE10hipError_tPvRmT1_T2_T3_mmT4_T5_P12ihipStream_tbEUlRKiE_EESV_SZ_S10_mS11_S14_bEUlT_E_NS1_11comp_targetILNS1_3genE2ELNS1_11target_archE906ELNS1_3gpuE6ELNS1_3repE0EEENS1_30default_config_static_selectorELNS0_4arch9wavefront6targetE1EEEvSY_: ; @_ZN7rocprim17ROCPRIM_400000_NS6detail17trampoline_kernelINS0_14default_configENS1_27lower_bound_config_selectorIilEEZNS1_14transform_implILb0ES3_S5_N6thrust23THRUST_200600_302600_NS6detail15normal_iteratorINS8_7pointerIiNS8_11hip_rocprim12par_nosync_tENS8_11use_defaultESE_EEEENSA_INSB_IlSD_SE_SE_EEEEZNS1_13binary_searchIS3_S5_NSA_INS8_10device_ptrIiEEEESG_SI_NS1_21lower_bound_search_opENS9_16wrapped_functionINS8_6system6detail7generic6detail18binary_search_lessEbEEEE10hipError_tPvRmT1_T2_T3_mmT4_T5_P12ihipStream_tbEUlRKiE_EESV_SZ_S10_mS11_S14_bEUlT_E_NS1_11comp_targetILNS1_3genE2ELNS1_11target_archE906ELNS1_3gpuE6ELNS1_3repE0EEENS1_30default_config_static_selectorELNS0_4arch9wavefront6targetE1EEEvSY_
; %bb.0:
	s_load_dwordx4 s[16:19], s[4:5], 0x0
	s_load_dwordx4 s[8:11], s[4:5], 0x18
	s_load_dwordx2 s[12:13], s[4:5], 0x28
	s_load_dword s15, s[4:5], 0x38
	s_waitcnt lgkmcnt(0)
	s_lshl_b64 s[0:1], s[18:19], 2
	s_add_u32 s2, s16, s0
	s_addc_u32 s3, s17, s1
	s_lshl_b64 s[0:1], s[18:19], 3
	s_add_u32 s7, s8, s0
	s_addc_u32 s14, s9, s1
	s_lshl_b32 s8, s6, 8
	s_add_i32 s15, s15, -1
	s_mov_b32 s9, 0
	s_cmp_lg_u32 s6, s15
	s_mov_b64 s[0:1], -1
	s_cbranch_scc0 .LBB398_7
; %bb.1:
	s_cmp_eq_u64 s[12:13], 0
	s_mov_b64 s[0:1], 0
	s_cbranch_scc1 .LBB398_5
; %bb.2:
	s_lshl_b64 s[16:17], s[8:9], 2
	s_add_u32 s6, s2, s16
	s_addc_u32 s15, s3, s17
	v_lshlrev_b32_e32 v1, 2, v0
	v_mov_b32_e32 v2, s15
	v_add_co_u32_e32 v1, vcc, s6, v1
	v_addc_co_u32_e32 v2, vcc, 0, v2, vcc
	flat_load_dword v5, v[1:2]
	v_mov_b32_e32 v1, 0
	v_mov_b32_e32 v3, s12
	;; [unrolled: 1-line block ×5, first 2 shown]
.LBB398_3:                              ; =>This Inner Loop Header: Depth=1
	v_sub_co_u32_e32 v7, vcc, v3, v1
	v_subb_co_u32_e32 v8, vcc, v4, v2, vcc
	v_lshrrev_b64 v[9:10], 1, v[7:8]
	v_lshrrev_b64 v[7:8], 6, v[7:8]
	v_add_co_u32_e32 v9, vcc, v9, v1
	v_addc_co_u32_e32 v10, vcc, v10, v2, vcc
	v_add_co_u32_e32 v7, vcc, v9, v7
	v_addc_co_u32_e32 v8, vcc, v10, v8, vcc
	v_lshlrev_b64 v[9:10], 2, v[7:8]
	v_add_co_u32_e32 v9, vcc, s10, v9
	v_addc_co_u32_e32 v10, vcc, v6, v10, vcc
	global_load_dword v9, v[9:10], off
	v_add_co_u32_e32 v10, vcc, 1, v7
	v_addc_co_u32_e32 v11, vcc, 0, v8, vcc
	s_waitcnt vmcnt(0) lgkmcnt(0)
	v_cmp_lt_i32_e32 vcc, v9, v5
	v_cndmask_b32_e32 v4, v8, v4, vcc
	v_cndmask_b32_e32 v3, v7, v3, vcc
	;; [unrolled: 1-line block ×4, first 2 shown]
	v_cmp_ge_u64_e32 vcc, v[1:2], v[3:4]
	s_or_b64 s[0:1], vcc, s[0:1]
	s_andn2_b64 exec, exec, s[0:1]
	s_cbranch_execnz .LBB398_3
; %bb.4:
	s_or_b64 exec, exec, s[0:1]
	s_branch .LBB398_6
.LBB398_5:
	v_mov_b32_e32 v1, 0
	v_mov_b32_e32 v2, 0
.LBB398_6:
	s_lshl_b64 s[0:1], s[8:9], 3
	s_add_u32 s0, s7, s0
	s_addc_u32 s1, s14, s1
	v_lshlrev_b32_e32 v3, 3, v0
	v_mov_b32_e32 v4, s1
	v_add_co_u32_e32 v3, vcc, s0, v3
	v_addc_co_u32_e32 v4, vcc, 0, v4, vcc
	s_mov_b64 s[0:1], 0
	flat_store_dwordx2 v[3:4], v[1:2]
.LBB398_7:
	s_and_b64 vcc, exec, s[0:1]
	s_cbranch_vccz .LBB398_16
; %bb.8:
	s_load_dword s0, s[4:5], 0x10
                                        ; implicit-def: $vgpr5
	s_waitcnt lgkmcnt(0)
	s_sub_i32 s4, s0, s8
	v_cmp_le_u32_e64 s[0:1], s4, v0
	v_cmp_gt_u32_e32 vcc, s4, v0
	s_and_saveexec_b64 s[4:5], vcc
	s_cbranch_execz .LBB398_10
; %bb.9:
	s_lshl_b64 s[16:17], s[8:9], 2
	s_add_u32 s2, s2, s16
	s_addc_u32 s3, s3, s17
	v_lshlrev_b32_e32 v1, 2, v0
	v_mov_b32_e32 v2, s3
	v_add_co_u32_e64 v1, s[2:3], s2, v1
	v_addc_co_u32_e64 v2, s[2:3], 0, v2, s[2:3]
	flat_load_dword v5, v[1:2]
.LBB398_10:
	s_or_b64 exec, exec, s[4:5]
	s_cmp_lg_u64 s[12:13], 0
	s_cselect_b64 s[4:5], -1, 0
	s_xor_b64 s[0:1], s[0:1], -1
	v_mov_b32_e32 v1, 0
	s_mov_b64 s[2:3], 0
	v_mov_b32_e32 v2, 0
	s_and_b64 s[0:1], s[0:1], s[4:5]
	s_and_saveexec_b64 s[4:5], s[0:1]
	s_cbranch_execz .LBB398_14
; %bb.11:
	v_mov_b32_e32 v1, 0
	v_mov_b32_e32 v3, s12
	;; [unrolled: 1-line block ×5, first 2 shown]
.LBB398_12:                             ; =>This Inner Loop Header: Depth=1
	v_sub_co_u32_e64 v7, s[0:1], v3, v1
	v_subb_co_u32_e64 v8, s[0:1], v4, v2, s[0:1]
	v_lshrrev_b64 v[9:10], 1, v[7:8]
	v_lshrrev_b64 v[7:8], 6, v[7:8]
	v_add_co_u32_e64 v9, s[0:1], v9, v1
	v_addc_co_u32_e64 v10, s[0:1], v10, v2, s[0:1]
	v_add_co_u32_e64 v7, s[0:1], v9, v7
	v_addc_co_u32_e64 v8, s[0:1], v10, v8, s[0:1]
	v_lshlrev_b64 v[9:10], 2, v[7:8]
	v_add_co_u32_e64 v9, s[0:1], s10, v9
	v_addc_co_u32_e64 v10, s[0:1], v6, v10, s[0:1]
	global_load_dword v9, v[9:10], off
	v_add_co_u32_e64 v10, s[0:1], 1, v7
	v_addc_co_u32_e64 v11, s[0:1], 0, v8, s[0:1]
	s_waitcnt vmcnt(0) lgkmcnt(0)
	v_cmp_lt_i32_e64 s[0:1], v9, v5
	v_cndmask_b32_e64 v4, v8, v4, s[0:1]
	v_cndmask_b32_e64 v3, v7, v3, s[0:1]
	;; [unrolled: 1-line block ×4, first 2 shown]
	v_cmp_ge_u64_e64 s[0:1], v[1:2], v[3:4]
	s_or_b64 s[2:3], s[0:1], s[2:3]
	s_andn2_b64 exec, exec, s[2:3]
	s_cbranch_execnz .LBB398_12
; %bb.13:
	s_or_b64 exec, exec, s[2:3]
.LBB398_14:
	s_or_b64 exec, exec, s[4:5]
	s_and_saveexec_b64 s[0:1], vcc
	s_cbranch_execz .LBB398_16
; %bb.15:
	s_lshl_b64 s[0:1], s[8:9], 3
	s_add_u32 s0, s7, s0
	s_addc_u32 s1, s14, s1
	v_lshlrev_b32_e32 v0, 3, v0
	v_mov_b32_e32 v4, s1
	v_add_co_u32_e32 v3, vcc, s0, v0
	v_addc_co_u32_e32 v4, vcc, 0, v4, vcc
	flat_store_dwordx2 v[3:4], v[1:2]
.LBB398_16:
	s_endpgm
	.section	.rodata,"a",@progbits
	.p2align	6, 0x0
	.amdhsa_kernel _ZN7rocprim17ROCPRIM_400000_NS6detail17trampoline_kernelINS0_14default_configENS1_27lower_bound_config_selectorIilEEZNS1_14transform_implILb0ES3_S5_N6thrust23THRUST_200600_302600_NS6detail15normal_iteratorINS8_7pointerIiNS8_11hip_rocprim12par_nosync_tENS8_11use_defaultESE_EEEENSA_INSB_IlSD_SE_SE_EEEEZNS1_13binary_searchIS3_S5_NSA_INS8_10device_ptrIiEEEESG_SI_NS1_21lower_bound_search_opENS9_16wrapped_functionINS8_6system6detail7generic6detail18binary_search_lessEbEEEE10hipError_tPvRmT1_T2_T3_mmT4_T5_P12ihipStream_tbEUlRKiE_EESV_SZ_S10_mS11_S14_bEUlT_E_NS1_11comp_targetILNS1_3genE2ELNS1_11target_archE906ELNS1_3gpuE6ELNS1_3repE0EEENS1_30default_config_static_selectorELNS0_4arch9wavefront6targetE1EEEvSY_
		.amdhsa_group_segment_fixed_size 0
		.amdhsa_private_segment_fixed_size 0
		.amdhsa_kernarg_size 312
		.amdhsa_user_sgpr_count 6
		.amdhsa_user_sgpr_private_segment_buffer 1
		.amdhsa_user_sgpr_dispatch_ptr 0
		.amdhsa_user_sgpr_queue_ptr 0
		.amdhsa_user_sgpr_kernarg_segment_ptr 1
		.amdhsa_user_sgpr_dispatch_id 0
		.amdhsa_user_sgpr_flat_scratch_init 0
		.amdhsa_user_sgpr_private_segment_size 0
		.amdhsa_uses_dynamic_stack 0
		.amdhsa_system_sgpr_private_segment_wavefront_offset 0
		.amdhsa_system_sgpr_workgroup_id_x 1
		.amdhsa_system_sgpr_workgroup_id_y 0
		.amdhsa_system_sgpr_workgroup_id_z 0
		.amdhsa_system_sgpr_workgroup_info 0
		.amdhsa_system_vgpr_workitem_id 0
		.amdhsa_next_free_vgpr 12
		.amdhsa_next_free_sgpr 20
		.amdhsa_reserve_vcc 1
		.amdhsa_reserve_flat_scratch 0
		.amdhsa_float_round_mode_32 0
		.amdhsa_float_round_mode_16_64 0
		.amdhsa_float_denorm_mode_32 3
		.amdhsa_float_denorm_mode_16_64 3
		.amdhsa_dx10_clamp 1
		.amdhsa_ieee_mode 1
		.amdhsa_fp16_overflow 0
		.amdhsa_exception_fp_ieee_invalid_op 0
		.amdhsa_exception_fp_denorm_src 0
		.amdhsa_exception_fp_ieee_div_zero 0
		.amdhsa_exception_fp_ieee_overflow 0
		.amdhsa_exception_fp_ieee_underflow 0
		.amdhsa_exception_fp_ieee_inexact 0
		.amdhsa_exception_int_div_zero 0
	.end_amdhsa_kernel
	.section	.text._ZN7rocprim17ROCPRIM_400000_NS6detail17trampoline_kernelINS0_14default_configENS1_27lower_bound_config_selectorIilEEZNS1_14transform_implILb0ES3_S5_N6thrust23THRUST_200600_302600_NS6detail15normal_iteratorINS8_7pointerIiNS8_11hip_rocprim12par_nosync_tENS8_11use_defaultESE_EEEENSA_INSB_IlSD_SE_SE_EEEEZNS1_13binary_searchIS3_S5_NSA_INS8_10device_ptrIiEEEESG_SI_NS1_21lower_bound_search_opENS9_16wrapped_functionINS8_6system6detail7generic6detail18binary_search_lessEbEEEE10hipError_tPvRmT1_T2_T3_mmT4_T5_P12ihipStream_tbEUlRKiE_EESV_SZ_S10_mS11_S14_bEUlT_E_NS1_11comp_targetILNS1_3genE2ELNS1_11target_archE906ELNS1_3gpuE6ELNS1_3repE0EEENS1_30default_config_static_selectorELNS0_4arch9wavefront6targetE1EEEvSY_,"axG",@progbits,_ZN7rocprim17ROCPRIM_400000_NS6detail17trampoline_kernelINS0_14default_configENS1_27lower_bound_config_selectorIilEEZNS1_14transform_implILb0ES3_S5_N6thrust23THRUST_200600_302600_NS6detail15normal_iteratorINS8_7pointerIiNS8_11hip_rocprim12par_nosync_tENS8_11use_defaultESE_EEEENSA_INSB_IlSD_SE_SE_EEEEZNS1_13binary_searchIS3_S5_NSA_INS8_10device_ptrIiEEEESG_SI_NS1_21lower_bound_search_opENS9_16wrapped_functionINS8_6system6detail7generic6detail18binary_search_lessEbEEEE10hipError_tPvRmT1_T2_T3_mmT4_T5_P12ihipStream_tbEUlRKiE_EESV_SZ_S10_mS11_S14_bEUlT_E_NS1_11comp_targetILNS1_3genE2ELNS1_11target_archE906ELNS1_3gpuE6ELNS1_3repE0EEENS1_30default_config_static_selectorELNS0_4arch9wavefront6targetE1EEEvSY_,comdat
.Lfunc_end398:
	.size	_ZN7rocprim17ROCPRIM_400000_NS6detail17trampoline_kernelINS0_14default_configENS1_27lower_bound_config_selectorIilEEZNS1_14transform_implILb0ES3_S5_N6thrust23THRUST_200600_302600_NS6detail15normal_iteratorINS8_7pointerIiNS8_11hip_rocprim12par_nosync_tENS8_11use_defaultESE_EEEENSA_INSB_IlSD_SE_SE_EEEEZNS1_13binary_searchIS3_S5_NSA_INS8_10device_ptrIiEEEESG_SI_NS1_21lower_bound_search_opENS9_16wrapped_functionINS8_6system6detail7generic6detail18binary_search_lessEbEEEE10hipError_tPvRmT1_T2_T3_mmT4_T5_P12ihipStream_tbEUlRKiE_EESV_SZ_S10_mS11_S14_bEUlT_E_NS1_11comp_targetILNS1_3genE2ELNS1_11target_archE906ELNS1_3gpuE6ELNS1_3repE0EEENS1_30default_config_static_selectorELNS0_4arch9wavefront6targetE1EEEvSY_, .Lfunc_end398-_ZN7rocprim17ROCPRIM_400000_NS6detail17trampoline_kernelINS0_14default_configENS1_27lower_bound_config_selectorIilEEZNS1_14transform_implILb0ES3_S5_N6thrust23THRUST_200600_302600_NS6detail15normal_iteratorINS8_7pointerIiNS8_11hip_rocprim12par_nosync_tENS8_11use_defaultESE_EEEENSA_INSB_IlSD_SE_SE_EEEEZNS1_13binary_searchIS3_S5_NSA_INS8_10device_ptrIiEEEESG_SI_NS1_21lower_bound_search_opENS9_16wrapped_functionINS8_6system6detail7generic6detail18binary_search_lessEbEEEE10hipError_tPvRmT1_T2_T3_mmT4_T5_P12ihipStream_tbEUlRKiE_EESV_SZ_S10_mS11_S14_bEUlT_E_NS1_11comp_targetILNS1_3genE2ELNS1_11target_archE906ELNS1_3gpuE6ELNS1_3repE0EEENS1_30default_config_static_selectorELNS0_4arch9wavefront6targetE1EEEvSY_
                                        ; -- End function
	.set _ZN7rocprim17ROCPRIM_400000_NS6detail17trampoline_kernelINS0_14default_configENS1_27lower_bound_config_selectorIilEEZNS1_14transform_implILb0ES3_S5_N6thrust23THRUST_200600_302600_NS6detail15normal_iteratorINS8_7pointerIiNS8_11hip_rocprim12par_nosync_tENS8_11use_defaultESE_EEEENSA_INSB_IlSD_SE_SE_EEEEZNS1_13binary_searchIS3_S5_NSA_INS8_10device_ptrIiEEEESG_SI_NS1_21lower_bound_search_opENS9_16wrapped_functionINS8_6system6detail7generic6detail18binary_search_lessEbEEEE10hipError_tPvRmT1_T2_T3_mmT4_T5_P12ihipStream_tbEUlRKiE_EESV_SZ_S10_mS11_S14_bEUlT_E_NS1_11comp_targetILNS1_3genE2ELNS1_11target_archE906ELNS1_3gpuE6ELNS1_3repE0EEENS1_30default_config_static_selectorELNS0_4arch9wavefront6targetE1EEEvSY_.num_vgpr, 12
	.set _ZN7rocprim17ROCPRIM_400000_NS6detail17trampoline_kernelINS0_14default_configENS1_27lower_bound_config_selectorIilEEZNS1_14transform_implILb0ES3_S5_N6thrust23THRUST_200600_302600_NS6detail15normal_iteratorINS8_7pointerIiNS8_11hip_rocprim12par_nosync_tENS8_11use_defaultESE_EEEENSA_INSB_IlSD_SE_SE_EEEEZNS1_13binary_searchIS3_S5_NSA_INS8_10device_ptrIiEEEESG_SI_NS1_21lower_bound_search_opENS9_16wrapped_functionINS8_6system6detail7generic6detail18binary_search_lessEbEEEE10hipError_tPvRmT1_T2_T3_mmT4_T5_P12ihipStream_tbEUlRKiE_EESV_SZ_S10_mS11_S14_bEUlT_E_NS1_11comp_targetILNS1_3genE2ELNS1_11target_archE906ELNS1_3gpuE6ELNS1_3repE0EEENS1_30default_config_static_selectorELNS0_4arch9wavefront6targetE1EEEvSY_.num_agpr, 0
	.set _ZN7rocprim17ROCPRIM_400000_NS6detail17trampoline_kernelINS0_14default_configENS1_27lower_bound_config_selectorIilEEZNS1_14transform_implILb0ES3_S5_N6thrust23THRUST_200600_302600_NS6detail15normal_iteratorINS8_7pointerIiNS8_11hip_rocprim12par_nosync_tENS8_11use_defaultESE_EEEENSA_INSB_IlSD_SE_SE_EEEEZNS1_13binary_searchIS3_S5_NSA_INS8_10device_ptrIiEEEESG_SI_NS1_21lower_bound_search_opENS9_16wrapped_functionINS8_6system6detail7generic6detail18binary_search_lessEbEEEE10hipError_tPvRmT1_T2_T3_mmT4_T5_P12ihipStream_tbEUlRKiE_EESV_SZ_S10_mS11_S14_bEUlT_E_NS1_11comp_targetILNS1_3genE2ELNS1_11target_archE906ELNS1_3gpuE6ELNS1_3repE0EEENS1_30default_config_static_selectorELNS0_4arch9wavefront6targetE1EEEvSY_.numbered_sgpr, 20
	.set _ZN7rocprim17ROCPRIM_400000_NS6detail17trampoline_kernelINS0_14default_configENS1_27lower_bound_config_selectorIilEEZNS1_14transform_implILb0ES3_S5_N6thrust23THRUST_200600_302600_NS6detail15normal_iteratorINS8_7pointerIiNS8_11hip_rocprim12par_nosync_tENS8_11use_defaultESE_EEEENSA_INSB_IlSD_SE_SE_EEEEZNS1_13binary_searchIS3_S5_NSA_INS8_10device_ptrIiEEEESG_SI_NS1_21lower_bound_search_opENS9_16wrapped_functionINS8_6system6detail7generic6detail18binary_search_lessEbEEEE10hipError_tPvRmT1_T2_T3_mmT4_T5_P12ihipStream_tbEUlRKiE_EESV_SZ_S10_mS11_S14_bEUlT_E_NS1_11comp_targetILNS1_3genE2ELNS1_11target_archE906ELNS1_3gpuE6ELNS1_3repE0EEENS1_30default_config_static_selectorELNS0_4arch9wavefront6targetE1EEEvSY_.num_named_barrier, 0
	.set _ZN7rocprim17ROCPRIM_400000_NS6detail17trampoline_kernelINS0_14default_configENS1_27lower_bound_config_selectorIilEEZNS1_14transform_implILb0ES3_S5_N6thrust23THRUST_200600_302600_NS6detail15normal_iteratorINS8_7pointerIiNS8_11hip_rocprim12par_nosync_tENS8_11use_defaultESE_EEEENSA_INSB_IlSD_SE_SE_EEEEZNS1_13binary_searchIS3_S5_NSA_INS8_10device_ptrIiEEEESG_SI_NS1_21lower_bound_search_opENS9_16wrapped_functionINS8_6system6detail7generic6detail18binary_search_lessEbEEEE10hipError_tPvRmT1_T2_T3_mmT4_T5_P12ihipStream_tbEUlRKiE_EESV_SZ_S10_mS11_S14_bEUlT_E_NS1_11comp_targetILNS1_3genE2ELNS1_11target_archE906ELNS1_3gpuE6ELNS1_3repE0EEENS1_30default_config_static_selectorELNS0_4arch9wavefront6targetE1EEEvSY_.private_seg_size, 0
	.set _ZN7rocprim17ROCPRIM_400000_NS6detail17trampoline_kernelINS0_14default_configENS1_27lower_bound_config_selectorIilEEZNS1_14transform_implILb0ES3_S5_N6thrust23THRUST_200600_302600_NS6detail15normal_iteratorINS8_7pointerIiNS8_11hip_rocprim12par_nosync_tENS8_11use_defaultESE_EEEENSA_INSB_IlSD_SE_SE_EEEEZNS1_13binary_searchIS3_S5_NSA_INS8_10device_ptrIiEEEESG_SI_NS1_21lower_bound_search_opENS9_16wrapped_functionINS8_6system6detail7generic6detail18binary_search_lessEbEEEE10hipError_tPvRmT1_T2_T3_mmT4_T5_P12ihipStream_tbEUlRKiE_EESV_SZ_S10_mS11_S14_bEUlT_E_NS1_11comp_targetILNS1_3genE2ELNS1_11target_archE906ELNS1_3gpuE6ELNS1_3repE0EEENS1_30default_config_static_selectorELNS0_4arch9wavefront6targetE1EEEvSY_.uses_vcc, 1
	.set _ZN7rocprim17ROCPRIM_400000_NS6detail17trampoline_kernelINS0_14default_configENS1_27lower_bound_config_selectorIilEEZNS1_14transform_implILb0ES3_S5_N6thrust23THRUST_200600_302600_NS6detail15normal_iteratorINS8_7pointerIiNS8_11hip_rocprim12par_nosync_tENS8_11use_defaultESE_EEEENSA_INSB_IlSD_SE_SE_EEEEZNS1_13binary_searchIS3_S5_NSA_INS8_10device_ptrIiEEEESG_SI_NS1_21lower_bound_search_opENS9_16wrapped_functionINS8_6system6detail7generic6detail18binary_search_lessEbEEEE10hipError_tPvRmT1_T2_T3_mmT4_T5_P12ihipStream_tbEUlRKiE_EESV_SZ_S10_mS11_S14_bEUlT_E_NS1_11comp_targetILNS1_3genE2ELNS1_11target_archE906ELNS1_3gpuE6ELNS1_3repE0EEENS1_30default_config_static_selectorELNS0_4arch9wavefront6targetE1EEEvSY_.uses_flat_scratch, 0
	.set _ZN7rocprim17ROCPRIM_400000_NS6detail17trampoline_kernelINS0_14default_configENS1_27lower_bound_config_selectorIilEEZNS1_14transform_implILb0ES3_S5_N6thrust23THRUST_200600_302600_NS6detail15normal_iteratorINS8_7pointerIiNS8_11hip_rocprim12par_nosync_tENS8_11use_defaultESE_EEEENSA_INSB_IlSD_SE_SE_EEEEZNS1_13binary_searchIS3_S5_NSA_INS8_10device_ptrIiEEEESG_SI_NS1_21lower_bound_search_opENS9_16wrapped_functionINS8_6system6detail7generic6detail18binary_search_lessEbEEEE10hipError_tPvRmT1_T2_T3_mmT4_T5_P12ihipStream_tbEUlRKiE_EESV_SZ_S10_mS11_S14_bEUlT_E_NS1_11comp_targetILNS1_3genE2ELNS1_11target_archE906ELNS1_3gpuE6ELNS1_3repE0EEENS1_30default_config_static_selectorELNS0_4arch9wavefront6targetE1EEEvSY_.has_dyn_sized_stack, 0
	.set _ZN7rocprim17ROCPRIM_400000_NS6detail17trampoline_kernelINS0_14default_configENS1_27lower_bound_config_selectorIilEEZNS1_14transform_implILb0ES3_S5_N6thrust23THRUST_200600_302600_NS6detail15normal_iteratorINS8_7pointerIiNS8_11hip_rocprim12par_nosync_tENS8_11use_defaultESE_EEEENSA_INSB_IlSD_SE_SE_EEEEZNS1_13binary_searchIS3_S5_NSA_INS8_10device_ptrIiEEEESG_SI_NS1_21lower_bound_search_opENS9_16wrapped_functionINS8_6system6detail7generic6detail18binary_search_lessEbEEEE10hipError_tPvRmT1_T2_T3_mmT4_T5_P12ihipStream_tbEUlRKiE_EESV_SZ_S10_mS11_S14_bEUlT_E_NS1_11comp_targetILNS1_3genE2ELNS1_11target_archE906ELNS1_3gpuE6ELNS1_3repE0EEENS1_30default_config_static_selectorELNS0_4arch9wavefront6targetE1EEEvSY_.has_recursion, 0
	.set _ZN7rocprim17ROCPRIM_400000_NS6detail17trampoline_kernelINS0_14default_configENS1_27lower_bound_config_selectorIilEEZNS1_14transform_implILb0ES3_S5_N6thrust23THRUST_200600_302600_NS6detail15normal_iteratorINS8_7pointerIiNS8_11hip_rocprim12par_nosync_tENS8_11use_defaultESE_EEEENSA_INSB_IlSD_SE_SE_EEEEZNS1_13binary_searchIS3_S5_NSA_INS8_10device_ptrIiEEEESG_SI_NS1_21lower_bound_search_opENS9_16wrapped_functionINS8_6system6detail7generic6detail18binary_search_lessEbEEEE10hipError_tPvRmT1_T2_T3_mmT4_T5_P12ihipStream_tbEUlRKiE_EESV_SZ_S10_mS11_S14_bEUlT_E_NS1_11comp_targetILNS1_3genE2ELNS1_11target_archE906ELNS1_3gpuE6ELNS1_3repE0EEENS1_30default_config_static_selectorELNS0_4arch9wavefront6targetE1EEEvSY_.has_indirect_call, 0
	.section	.AMDGPU.csdata,"",@progbits
; Kernel info:
; codeLenInByte = 700
; TotalNumSgprs: 24
; NumVgprs: 12
; ScratchSize: 0
; MemoryBound: 0
; FloatMode: 240
; IeeeMode: 1
; LDSByteSize: 0 bytes/workgroup (compile time only)
; SGPRBlocks: 2
; VGPRBlocks: 2
; NumSGPRsForWavesPerEU: 24
; NumVGPRsForWavesPerEU: 12
; Occupancy: 10
; WaveLimiterHint : 0
; COMPUTE_PGM_RSRC2:SCRATCH_EN: 0
; COMPUTE_PGM_RSRC2:USER_SGPR: 6
; COMPUTE_PGM_RSRC2:TRAP_HANDLER: 0
; COMPUTE_PGM_RSRC2:TGID_X_EN: 1
; COMPUTE_PGM_RSRC2:TGID_Y_EN: 0
; COMPUTE_PGM_RSRC2:TGID_Z_EN: 0
; COMPUTE_PGM_RSRC2:TIDIG_COMP_CNT: 0
	.section	.text._ZN7rocprim17ROCPRIM_400000_NS6detail17trampoline_kernelINS0_14default_configENS1_27lower_bound_config_selectorIilEEZNS1_14transform_implILb0ES3_S5_N6thrust23THRUST_200600_302600_NS6detail15normal_iteratorINS8_7pointerIiNS8_11hip_rocprim12par_nosync_tENS8_11use_defaultESE_EEEENSA_INSB_IlSD_SE_SE_EEEEZNS1_13binary_searchIS3_S5_NSA_INS8_10device_ptrIiEEEESG_SI_NS1_21lower_bound_search_opENS9_16wrapped_functionINS8_6system6detail7generic6detail18binary_search_lessEbEEEE10hipError_tPvRmT1_T2_T3_mmT4_T5_P12ihipStream_tbEUlRKiE_EESV_SZ_S10_mS11_S14_bEUlT_E_NS1_11comp_targetILNS1_3genE10ELNS1_11target_archE1201ELNS1_3gpuE5ELNS1_3repE0EEENS1_30default_config_static_selectorELNS0_4arch9wavefront6targetE1EEEvSY_,"axG",@progbits,_ZN7rocprim17ROCPRIM_400000_NS6detail17trampoline_kernelINS0_14default_configENS1_27lower_bound_config_selectorIilEEZNS1_14transform_implILb0ES3_S5_N6thrust23THRUST_200600_302600_NS6detail15normal_iteratorINS8_7pointerIiNS8_11hip_rocprim12par_nosync_tENS8_11use_defaultESE_EEEENSA_INSB_IlSD_SE_SE_EEEEZNS1_13binary_searchIS3_S5_NSA_INS8_10device_ptrIiEEEESG_SI_NS1_21lower_bound_search_opENS9_16wrapped_functionINS8_6system6detail7generic6detail18binary_search_lessEbEEEE10hipError_tPvRmT1_T2_T3_mmT4_T5_P12ihipStream_tbEUlRKiE_EESV_SZ_S10_mS11_S14_bEUlT_E_NS1_11comp_targetILNS1_3genE10ELNS1_11target_archE1201ELNS1_3gpuE5ELNS1_3repE0EEENS1_30default_config_static_selectorELNS0_4arch9wavefront6targetE1EEEvSY_,comdat
	.protected	_ZN7rocprim17ROCPRIM_400000_NS6detail17trampoline_kernelINS0_14default_configENS1_27lower_bound_config_selectorIilEEZNS1_14transform_implILb0ES3_S5_N6thrust23THRUST_200600_302600_NS6detail15normal_iteratorINS8_7pointerIiNS8_11hip_rocprim12par_nosync_tENS8_11use_defaultESE_EEEENSA_INSB_IlSD_SE_SE_EEEEZNS1_13binary_searchIS3_S5_NSA_INS8_10device_ptrIiEEEESG_SI_NS1_21lower_bound_search_opENS9_16wrapped_functionINS8_6system6detail7generic6detail18binary_search_lessEbEEEE10hipError_tPvRmT1_T2_T3_mmT4_T5_P12ihipStream_tbEUlRKiE_EESV_SZ_S10_mS11_S14_bEUlT_E_NS1_11comp_targetILNS1_3genE10ELNS1_11target_archE1201ELNS1_3gpuE5ELNS1_3repE0EEENS1_30default_config_static_selectorELNS0_4arch9wavefront6targetE1EEEvSY_ ; -- Begin function _ZN7rocprim17ROCPRIM_400000_NS6detail17trampoline_kernelINS0_14default_configENS1_27lower_bound_config_selectorIilEEZNS1_14transform_implILb0ES3_S5_N6thrust23THRUST_200600_302600_NS6detail15normal_iteratorINS8_7pointerIiNS8_11hip_rocprim12par_nosync_tENS8_11use_defaultESE_EEEENSA_INSB_IlSD_SE_SE_EEEEZNS1_13binary_searchIS3_S5_NSA_INS8_10device_ptrIiEEEESG_SI_NS1_21lower_bound_search_opENS9_16wrapped_functionINS8_6system6detail7generic6detail18binary_search_lessEbEEEE10hipError_tPvRmT1_T2_T3_mmT4_T5_P12ihipStream_tbEUlRKiE_EESV_SZ_S10_mS11_S14_bEUlT_E_NS1_11comp_targetILNS1_3genE10ELNS1_11target_archE1201ELNS1_3gpuE5ELNS1_3repE0EEENS1_30default_config_static_selectorELNS0_4arch9wavefront6targetE1EEEvSY_
	.globl	_ZN7rocprim17ROCPRIM_400000_NS6detail17trampoline_kernelINS0_14default_configENS1_27lower_bound_config_selectorIilEEZNS1_14transform_implILb0ES3_S5_N6thrust23THRUST_200600_302600_NS6detail15normal_iteratorINS8_7pointerIiNS8_11hip_rocprim12par_nosync_tENS8_11use_defaultESE_EEEENSA_INSB_IlSD_SE_SE_EEEEZNS1_13binary_searchIS3_S5_NSA_INS8_10device_ptrIiEEEESG_SI_NS1_21lower_bound_search_opENS9_16wrapped_functionINS8_6system6detail7generic6detail18binary_search_lessEbEEEE10hipError_tPvRmT1_T2_T3_mmT4_T5_P12ihipStream_tbEUlRKiE_EESV_SZ_S10_mS11_S14_bEUlT_E_NS1_11comp_targetILNS1_3genE10ELNS1_11target_archE1201ELNS1_3gpuE5ELNS1_3repE0EEENS1_30default_config_static_selectorELNS0_4arch9wavefront6targetE1EEEvSY_
	.p2align	8
	.type	_ZN7rocprim17ROCPRIM_400000_NS6detail17trampoline_kernelINS0_14default_configENS1_27lower_bound_config_selectorIilEEZNS1_14transform_implILb0ES3_S5_N6thrust23THRUST_200600_302600_NS6detail15normal_iteratorINS8_7pointerIiNS8_11hip_rocprim12par_nosync_tENS8_11use_defaultESE_EEEENSA_INSB_IlSD_SE_SE_EEEEZNS1_13binary_searchIS3_S5_NSA_INS8_10device_ptrIiEEEESG_SI_NS1_21lower_bound_search_opENS9_16wrapped_functionINS8_6system6detail7generic6detail18binary_search_lessEbEEEE10hipError_tPvRmT1_T2_T3_mmT4_T5_P12ihipStream_tbEUlRKiE_EESV_SZ_S10_mS11_S14_bEUlT_E_NS1_11comp_targetILNS1_3genE10ELNS1_11target_archE1201ELNS1_3gpuE5ELNS1_3repE0EEENS1_30default_config_static_selectorELNS0_4arch9wavefront6targetE1EEEvSY_,@function
_ZN7rocprim17ROCPRIM_400000_NS6detail17trampoline_kernelINS0_14default_configENS1_27lower_bound_config_selectorIilEEZNS1_14transform_implILb0ES3_S5_N6thrust23THRUST_200600_302600_NS6detail15normal_iteratorINS8_7pointerIiNS8_11hip_rocprim12par_nosync_tENS8_11use_defaultESE_EEEENSA_INSB_IlSD_SE_SE_EEEEZNS1_13binary_searchIS3_S5_NSA_INS8_10device_ptrIiEEEESG_SI_NS1_21lower_bound_search_opENS9_16wrapped_functionINS8_6system6detail7generic6detail18binary_search_lessEbEEEE10hipError_tPvRmT1_T2_T3_mmT4_T5_P12ihipStream_tbEUlRKiE_EESV_SZ_S10_mS11_S14_bEUlT_E_NS1_11comp_targetILNS1_3genE10ELNS1_11target_archE1201ELNS1_3gpuE5ELNS1_3repE0EEENS1_30default_config_static_selectorELNS0_4arch9wavefront6targetE1EEEvSY_: ; @_ZN7rocprim17ROCPRIM_400000_NS6detail17trampoline_kernelINS0_14default_configENS1_27lower_bound_config_selectorIilEEZNS1_14transform_implILb0ES3_S5_N6thrust23THRUST_200600_302600_NS6detail15normal_iteratorINS8_7pointerIiNS8_11hip_rocprim12par_nosync_tENS8_11use_defaultESE_EEEENSA_INSB_IlSD_SE_SE_EEEEZNS1_13binary_searchIS3_S5_NSA_INS8_10device_ptrIiEEEESG_SI_NS1_21lower_bound_search_opENS9_16wrapped_functionINS8_6system6detail7generic6detail18binary_search_lessEbEEEE10hipError_tPvRmT1_T2_T3_mmT4_T5_P12ihipStream_tbEUlRKiE_EESV_SZ_S10_mS11_S14_bEUlT_E_NS1_11comp_targetILNS1_3genE10ELNS1_11target_archE1201ELNS1_3gpuE5ELNS1_3repE0EEENS1_30default_config_static_selectorELNS0_4arch9wavefront6targetE1EEEvSY_
; %bb.0:
	.section	.rodata,"a",@progbits
	.p2align	6, 0x0
	.amdhsa_kernel _ZN7rocprim17ROCPRIM_400000_NS6detail17trampoline_kernelINS0_14default_configENS1_27lower_bound_config_selectorIilEEZNS1_14transform_implILb0ES3_S5_N6thrust23THRUST_200600_302600_NS6detail15normal_iteratorINS8_7pointerIiNS8_11hip_rocprim12par_nosync_tENS8_11use_defaultESE_EEEENSA_INSB_IlSD_SE_SE_EEEEZNS1_13binary_searchIS3_S5_NSA_INS8_10device_ptrIiEEEESG_SI_NS1_21lower_bound_search_opENS9_16wrapped_functionINS8_6system6detail7generic6detail18binary_search_lessEbEEEE10hipError_tPvRmT1_T2_T3_mmT4_T5_P12ihipStream_tbEUlRKiE_EESV_SZ_S10_mS11_S14_bEUlT_E_NS1_11comp_targetILNS1_3genE10ELNS1_11target_archE1201ELNS1_3gpuE5ELNS1_3repE0EEENS1_30default_config_static_selectorELNS0_4arch9wavefront6targetE1EEEvSY_
		.amdhsa_group_segment_fixed_size 0
		.amdhsa_private_segment_fixed_size 0
		.amdhsa_kernarg_size 56
		.amdhsa_user_sgpr_count 6
		.amdhsa_user_sgpr_private_segment_buffer 1
		.amdhsa_user_sgpr_dispatch_ptr 0
		.amdhsa_user_sgpr_queue_ptr 0
		.amdhsa_user_sgpr_kernarg_segment_ptr 1
		.amdhsa_user_sgpr_dispatch_id 0
		.amdhsa_user_sgpr_flat_scratch_init 0
		.amdhsa_user_sgpr_private_segment_size 0
		.amdhsa_uses_dynamic_stack 0
		.amdhsa_system_sgpr_private_segment_wavefront_offset 0
		.amdhsa_system_sgpr_workgroup_id_x 1
		.amdhsa_system_sgpr_workgroup_id_y 0
		.amdhsa_system_sgpr_workgroup_id_z 0
		.amdhsa_system_sgpr_workgroup_info 0
		.amdhsa_system_vgpr_workitem_id 0
		.amdhsa_next_free_vgpr 1
		.amdhsa_next_free_sgpr 0
		.amdhsa_reserve_vcc 0
		.amdhsa_reserve_flat_scratch 0
		.amdhsa_float_round_mode_32 0
		.amdhsa_float_round_mode_16_64 0
		.amdhsa_float_denorm_mode_32 3
		.amdhsa_float_denorm_mode_16_64 3
		.amdhsa_dx10_clamp 1
		.amdhsa_ieee_mode 1
		.amdhsa_fp16_overflow 0
		.amdhsa_exception_fp_ieee_invalid_op 0
		.amdhsa_exception_fp_denorm_src 0
		.amdhsa_exception_fp_ieee_div_zero 0
		.amdhsa_exception_fp_ieee_overflow 0
		.amdhsa_exception_fp_ieee_underflow 0
		.amdhsa_exception_fp_ieee_inexact 0
		.amdhsa_exception_int_div_zero 0
	.end_amdhsa_kernel
	.section	.text._ZN7rocprim17ROCPRIM_400000_NS6detail17trampoline_kernelINS0_14default_configENS1_27lower_bound_config_selectorIilEEZNS1_14transform_implILb0ES3_S5_N6thrust23THRUST_200600_302600_NS6detail15normal_iteratorINS8_7pointerIiNS8_11hip_rocprim12par_nosync_tENS8_11use_defaultESE_EEEENSA_INSB_IlSD_SE_SE_EEEEZNS1_13binary_searchIS3_S5_NSA_INS8_10device_ptrIiEEEESG_SI_NS1_21lower_bound_search_opENS9_16wrapped_functionINS8_6system6detail7generic6detail18binary_search_lessEbEEEE10hipError_tPvRmT1_T2_T3_mmT4_T5_P12ihipStream_tbEUlRKiE_EESV_SZ_S10_mS11_S14_bEUlT_E_NS1_11comp_targetILNS1_3genE10ELNS1_11target_archE1201ELNS1_3gpuE5ELNS1_3repE0EEENS1_30default_config_static_selectorELNS0_4arch9wavefront6targetE1EEEvSY_,"axG",@progbits,_ZN7rocprim17ROCPRIM_400000_NS6detail17trampoline_kernelINS0_14default_configENS1_27lower_bound_config_selectorIilEEZNS1_14transform_implILb0ES3_S5_N6thrust23THRUST_200600_302600_NS6detail15normal_iteratorINS8_7pointerIiNS8_11hip_rocprim12par_nosync_tENS8_11use_defaultESE_EEEENSA_INSB_IlSD_SE_SE_EEEEZNS1_13binary_searchIS3_S5_NSA_INS8_10device_ptrIiEEEESG_SI_NS1_21lower_bound_search_opENS9_16wrapped_functionINS8_6system6detail7generic6detail18binary_search_lessEbEEEE10hipError_tPvRmT1_T2_T3_mmT4_T5_P12ihipStream_tbEUlRKiE_EESV_SZ_S10_mS11_S14_bEUlT_E_NS1_11comp_targetILNS1_3genE10ELNS1_11target_archE1201ELNS1_3gpuE5ELNS1_3repE0EEENS1_30default_config_static_selectorELNS0_4arch9wavefront6targetE1EEEvSY_,comdat
.Lfunc_end399:
	.size	_ZN7rocprim17ROCPRIM_400000_NS6detail17trampoline_kernelINS0_14default_configENS1_27lower_bound_config_selectorIilEEZNS1_14transform_implILb0ES3_S5_N6thrust23THRUST_200600_302600_NS6detail15normal_iteratorINS8_7pointerIiNS8_11hip_rocprim12par_nosync_tENS8_11use_defaultESE_EEEENSA_INSB_IlSD_SE_SE_EEEEZNS1_13binary_searchIS3_S5_NSA_INS8_10device_ptrIiEEEESG_SI_NS1_21lower_bound_search_opENS9_16wrapped_functionINS8_6system6detail7generic6detail18binary_search_lessEbEEEE10hipError_tPvRmT1_T2_T3_mmT4_T5_P12ihipStream_tbEUlRKiE_EESV_SZ_S10_mS11_S14_bEUlT_E_NS1_11comp_targetILNS1_3genE10ELNS1_11target_archE1201ELNS1_3gpuE5ELNS1_3repE0EEENS1_30default_config_static_selectorELNS0_4arch9wavefront6targetE1EEEvSY_, .Lfunc_end399-_ZN7rocprim17ROCPRIM_400000_NS6detail17trampoline_kernelINS0_14default_configENS1_27lower_bound_config_selectorIilEEZNS1_14transform_implILb0ES3_S5_N6thrust23THRUST_200600_302600_NS6detail15normal_iteratorINS8_7pointerIiNS8_11hip_rocprim12par_nosync_tENS8_11use_defaultESE_EEEENSA_INSB_IlSD_SE_SE_EEEEZNS1_13binary_searchIS3_S5_NSA_INS8_10device_ptrIiEEEESG_SI_NS1_21lower_bound_search_opENS9_16wrapped_functionINS8_6system6detail7generic6detail18binary_search_lessEbEEEE10hipError_tPvRmT1_T2_T3_mmT4_T5_P12ihipStream_tbEUlRKiE_EESV_SZ_S10_mS11_S14_bEUlT_E_NS1_11comp_targetILNS1_3genE10ELNS1_11target_archE1201ELNS1_3gpuE5ELNS1_3repE0EEENS1_30default_config_static_selectorELNS0_4arch9wavefront6targetE1EEEvSY_
                                        ; -- End function
	.set _ZN7rocprim17ROCPRIM_400000_NS6detail17trampoline_kernelINS0_14default_configENS1_27lower_bound_config_selectorIilEEZNS1_14transform_implILb0ES3_S5_N6thrust23THRUST_200600_302600_NS6detail15normal_iteratorINS8_7pointerIiNS8_11hip_rocprim12par_nosync_tENS8_11use_defaultESE_EEEENSA_INSB_IlSD_SE_SE_EEEEZNS1_13binary_searchIS3_S5_NSA_INS8_10device_ptrIiEEEESG_SI_NS1_21lower_bound_search_opENS9_16wrapped_functionINS8_6system6detail7generic6detail18binary_search_lessEbEEEE10hipError_tPvRmT1_T2_T3_mmT4_T5_P12ihipStream_tbEUlRKiE_EESV_SZ_S10_mS11_S14_bEUlT_E_NS1_11comp_targetILNS1_3genE10ELNS1_11target_archE1201ELNS1_3gpuE5ELNS1_3repE0EEENS1_30default_config_static_selectorELNS0_4arch9wavefront6targetE1EEEvSY_.num_vgpr, 0
	.set _ZN7rocprim17ROCPRIM_400000_NS6detail17trampoline_kernelINS0_14default_configENS1_27lower_bound_config_selectorIilEEZNS1_14transform_implILb0ES3_S5_N6thrust23THRUST_200600_302600_NS6detail15normal_iteratorINS8_7pointerIiNS8_11hip_rocprim12par_nosync_tENS8_11use_defaultESE_EEEENSA_INSB_IlSD_SE_SE_EEEEZNS1_13binary_searchIS3_S5_NSA_INS8_10device_ptrIiEEEESG_SI_NS1_21lower_bound_search_opENS9_16wrapped_functionINS8_6system6detail7generic6detail18binary_search_lessEbEEEE10hipError_tPvRmT1_T2_T3_mmT4_T5_P12ihipStream_tbEUlRKiE_EESV_SZ_S10_mS11_S14_bEUlT_E_NS1_11comp_targetILNS1_3genE10ELNS1_11target_archE1201ELNS1_3gpuE5ELNS1_3repE0EEENS1_30default_config_static_selectorELNS0_4arch9wavefront6targetE1EEEvSY_.num_agpr, 0
	.set _ZN7rocprim17ROCPRIM_400000_NS6detail17trampoline_kernelINS0_14default_configENS1_27lower_bound_config_selectorIilEEZNS1_14transform_implILb0ES3_S5_N6thrust23THRUST_200600_302600_NS6detail15normal_iteratorINS8_7pointerIiNS8_11hip_rocprim12par_nosync_tENS8_11use_defaultESE_EEEENSA_INSB_IlSD_SE_SE_EEEEZNS1_13binary_searchIS3_S5_NSA_INS8_10device_ptrIiEEEESG_SI_NS1_21lower_bound_search_opENS9_16wrapped_functionINS8_6system6detail7generic6detail18binary_search_lessEbEEEE10hipError_tPvRmT1_T2_T3_mmT4_T5_P12ihipStream_tbEUlRKiE_EESV_SZ_S10_mS11_S14_bEUlT_E_NS1_11comp_targetILNS1_3genE10ELNS1_11target_archE1201ELNS1_3gpuE5ELNS1_3repE0EEENS1_30default_config_static_selectorELNS0_4arch9wavefront6targetE1EEEvSY_.numbered_sgpr, 0
	.set _ZN7rocprim17ROCPRIM_400000_NS6detail17trampoline_kernelINS0_14default_configENS1_27lower_bound_config_selectorIilEEZNS1_14transform_implILb0ES3_S5_N6thrust23THRUST_200600_302600_NS6detail15normal_iteratorINS8_7pointerIiNS8_11hip_rocprim12par_nosync_tENS8_11use_defaultESE_EEEENSA_INSB_IlSD_SE_SE_EEEEZNS1_13binary_searchIS3_S5_NSA_INS8_10device_ptrIiEEEESG_SI_NS1_21lower_bound_search_opENS9_16wrapped_functionINS8_6system6detail7generic6detail18binary_search_lessEbEEEE10hipError_tPvRmT1_T2_T3_mmT4_T5_P12ihipStream_tbEUlRKiE_EESV_SZ_S10_mS11_S14_bEUlT_E_NS1_11comp_targetILNS1_3genE10ELNS1_11target_archE1201ELNS1_3gpuE5ELNS1_3repE0EEENS1_30default_config_static_selectorELNS0_4arch9wavefront6targetE1EEEvSY_.num_named_barrier, 0
	.set _ZN7rocprim17ROCPRIM_400000_NS6detail17trampoline_kernelINS0_14default_configENS1_27lower_bound_config_selectorIilEEZNS1_14transform_implILb0ES3_S5_N6thrust23THRUST_200600_302600_NS6detail15normal_iteratorINS8_7pointerIiNS8_11hip_rocprim12par_nosync_tENS8_11use_defaultESE_EEEENSA_INSB_IlSD_SE_SE_EEEEZNS1_13binary_searchIS3_S5_NSA_INS8_10device_ptrIiEEEESG_SI_NS1_21lower_bound_search_opENS9_16wrapped_functionINS8_6system6detail7generic6detail18binary_search_lessEbEEEE10hipError_tPvRmT1_T2_T3_mmT4_T5_P12ihipStream_tbEUlRKiE_EESV_SZ_S10_mS11_S14_bEUlT_E_NS1_11comp_targetILNS1_3genE10ELNS1_11target_archE1201ELNS1_3gpuE5ELNS1_3repE0EEENS1_30default_config_static_selectorELNS0_4arch9wavefront6targetE1EEEvSY_.private_seg_size, 0
	.set _ZN7rocprim17ROCPRIM_400000_NS6detail17trampoline_kernelINS0_14default_configENS1_27lower_bound_config_selectorIilEEZNS1_14transform_implILb0ES3_S5_N6thrust23THRUST_200600_302600_NS6detail15normal_iteratorINS8_7pointerIiNS8_11hip_rocprim12par_nosync_tENS8_11use_defaultESE_EEEENSA_INSB_IlSD_SE_SE_EEEEZNS1_13binary_searchIS3_S5_NSA_INS8_10device_ptrIiEEEESG_SI_NS1_21lower_bound_search_opENS9_16wrapped_functionINS8_6system6detail7generic6detail18binary_search_lessEbEEEE10hipError_tPvRmT1_T2_T3_mmT4_T5_P12ihipStream_tbEUlRKiE_EESV_SZ_S10_mS11_S14_bEUlT_E_NS1_11comp_targetILNS1_3genE10ELNS1_11target_archE1201ELNS1_3gpuE5ELNS1_3repE0EEENS1_30default_config_static_selectorELNS0_4arch9wavefront6targetE1EEEvSY_.uses_vcc, 0
	.set _ZN7rocprim17ROCPRIM_400000_NS6detail17trampoline_kernelINS0_14default_configENS1_27lower_bound_config_selectorIilEEZNS1_14transform_implILb0ES3_S5_N6thrust23THRUST_200600_302600_NS6detail15normal_iteratorINS8_7pointerIiNS8_11hip_rocprim12par_nosync_tENS8_11use_defaultESE_EEEENSA_INSB_IlSD_SE_SE_EEEEZNS1_13binary_searchIS3_S5_NSA_INS8_10device_ptrIiEEEESG_SI_NS1_21lower_bound_search_opENS9_16wrapped_functionINS8_6system6detail7generic6detail18binary_search_lessEbEEEE10hipError_tPvRmT1_T2_T3_mmT4_T5_P12ihipStream_tbEUlRKiE_EESV_SZ_S10_mS11_S14_bEUlT_E_NS1_11comp_targetILNS1_3genE10ELNS1_11target_archE1201ELNS1_3gpuE5ELNS1_3repE0EEENS1_30default_config_static_selectorELNS0_4arch9wavefront6targetE1EEEvSY_.uses_flat_scratch, 0
	.set _ZN7rocprim17ROCPRIM_400000_NS6detail17trampoline_kernelINS0_14default_configENS1_27lower_bound_config_selectorIilEEZNS1_14transform_implILb0ES3_S5_N6thrust23THRUST_200600_302600_NS6detail15normal_iteratorINS8_7pointerIiNS8_11hip_rocprim12par_nosync_tENS8_11use_defaultESE_EEEENSA_INSB_IlSD_SE_SE_EEEEZNS1_13binary_searchIS3_S5_NSA_INS8_10device_ptrIiEEEESG_SI_NS1_21lower_bound_search_opENS9_16wrapped_functionINS8_6system6detail7generic6detail18binary_search_lessEbEEEE10hipError_tPvRmT1_T2_T3_mmT4_T5_P12ihipStream_tbEUlRKiE_EESV_SZ_S10_mS11_S14_bEUlT_E_NS1_11comp_targetILNS1_3genE10ELNS1_11target_archE1201ELNS1_3gpuE5ELNS1_3repE0EEENS1_30default_config_static_selectorELNS0_4arch9wavefront6targetE1EEEvSY_.has_dyn_sized_stack, 0
	.set _ZN7rocprim17ROCPRIM_400000_NS6detail17trampoline_kernelINS0_14default_configENS1_27lower_bound_config_selectorIilEEZNS1_14transform_implILb0ES3_S5_N6thrust23THRUST_200600_302600_NS6detail15normal_iteratorINS8_7pointerIiNS8_11hip_rocprim12par_nosync_tENS8_11use_defaultESE_EEEENSA_INSB_IlSD_SE_SE_EEEEZNS1_13binary_searchIS3_S5_NSA_INS8_10device_ptrIiEEEESG_SI_NS1_21lower_bound_search_opENS9_16wrapped_functionINS8_6system6detail7generic6detail18binary_search_lessEbEEEE10hipError_tPvRmT1_T2_T3_mmT4_T5_P12ihipStream_tbEUlRKiE_EESV_SZ_S10_mS11_S14_bEUlT_E_NS1_11comp_targetILNS1_3genE10ELNS1_11target_archE1201ELNS1_3gpuE5ELNS1_3repE0EEENS1_30default_config_static_selectorELNS0_4arch9wavefront6targetE1EEEvSY_.has_recursion, 0
	.set _ZN7rocprim17ROCPRIM_400000_NS6detail17trampoline_kernelINS0_14default_configENS1_27lower_bound_config_selectorIilEEZNS1_14transform_implILb0ES3_S5_N6thrust23THRUST_200600_302600_NS6detail15normal_iteratorINS8_7pointerIiNS8_11hip_rocprim12par_nosync_tENS8_11use_defaultESE_EEEENSA_INSB_IlSD_SE_SE_EEEEZNS1_13binary_searchIS3_S5_NSA_INS8_10device_ptrIiEEEESG_SI_NS1_21lower_bound_search_opENS9_16wrapped_functionINS8_6system6detail7generic6detail18binary_search_lessEbEEEE10hipError_tPvRmT1_T2_T3_mmT4_T5_P12ihipStream_tbEUlRKiE_EESV_SZ_S10_mS11_S14_bEUlT_E_NS1_11comp_targetILNS1_3genE10ELNS1_11target_archE1201ELNS1_3gpuE5ELNS1_3repE0EEENS1_30default_config_static_selectorELNS0_4arch9wavefront6targetE1EEEvSY_.has_indirect_call, 0
	.section	.AMDGPU.csdata,"",@progbits
; Kernel info:
; codeLenInByte = 0
; TotalNumSgprs: 4
; NumVgprs: 0
; ScratchSize: 0
; MemoryBound: 0
; FloatMode: 240
; IeeeMode: 1
; LDSByteSize: 0 bytes/workgroup (compile time only)
; SGPRBlocks: 0
; VGPRBlocks: 0
; NumSGPRsForWavesPerEU: 4
; NumVGPRsForWavesPerEU: 1
; Occupancy: 10
; WaveLimiterHint : 0
; COMPUTE_PGM_RSRC2:SCRATCH_EN: 0
; COMPUTE_PGM_RSRC2:USER_SGPR: 6
; COMPUTE_PGM_RSRC2:TRAP_HANDLER: 0
; COMPUTE_PGM_RSRC2:TGID_X_EN: 1
; COMPUTE_PGM_RSRC2:TGID_Y_EN: 0
; COMPUTE_PGM_RSRC2:TGID_Z_EN: 0
; COMPUTE_PGM_RSRC2:TIDIG_COMP_CNT: 0
	.section	.text._ZN7rocprim17ROCPRIM_400000_NS6detail17trampoline_kernelINS0_14default_configENS1_27lower_bound_config_selectorIilEEZNS1_14transform_implILb0ES3_S5_N6thrust23THRUST_200600_302600_NS6detail15normal_iteratorINS8_7pointerIiNS8_11hip_rocprim12par_nosync_tENS8_11use_defaultESE_EEEENSA_INSB_IlSD_SE_SE_EEEEZNS1_13binary_searchIS3_S5_NSA_INS8_10device_ptrIiEEEESG_SI_NS1_21lower_bound_search_opENS9_16wrapped_functionINS8_6system6detail7generic6detail18binary_search_lessEbEEEE10hipError_tPvRmT1_T2_T3_mmT4_T5_P12ihipStream_tbEUlRKiE_EESV_SZ_S10_mS11_S14_bEUlT_E_NS1_11comp_targetILNS1_3genE10ELNS1_11target_archE1200ELNS1_3gpuE4ELNS1_3repE0EEENS1_30default_config_static_selectorELNS0_4arch9wavefront6targetE1EEEvSY_,"axG",@progbits,_ZN7rocprim17ROCPRIM_400000_NS6detail17trampoline_kernelINS0_14default_configENS1_27lower_bound_config_selectorIilEEZNS1_14transform_implILb0ES3_S5_N6thrust23THRUST_200600_302600_NS6detail15normal_iteratorINS8_7pointerIiNS8_11hip_rocprim12par_nosync_tENS8_11use_defaultESE_EEEENSA_INSB_IlSD_SE_SE_EEEEZNS1_13binary_searchIS3_S5_NSA_INS8_10device_ptrIiEEEESG_SI_NS1_21lower_bound_search_opENS9_16wrapped_functionINS8_6system6detail7generic6detail18binary_search_lessEbEEEE10hipError_tPvRmT1_T2_T3_mmT4_T5_P12ihipStream_tbEUlRKiE_EESV_SZ_S10_mS11_S14_bEUlT_E_NS1_11comp_targetILNS1_3genE10ELNS1_11target_archE1200ELNS1_3gpuE4ELNS1_3repE0EEENS1_30default_config_static_selectorELNS0_4arch9wavefront6targetE1EEEvSY_,comdat
	.protected	_ZN7rocprim17ROCPRIM_400000_NS6detail17trampoline_kernelINS0_14default_configENS1_27lower_bound_config_selectorIilEEZNS1_14transform_implILb0ES3_S5_N6thrust23THRUST_200600_302600_NS6detail15normal_iteratorINS8_7pointerIiNS8_11hip_rocprim12par_nosync_tENS8_11use_defaultESE_EEEENSA_INSB_IlSD_SE_SE_EEEEZNS1_13binary_searchIS3_S5_NSA_INS8_10device_ptrIiEEEESG_SI_NS1_21lower_bound_search_opENS9_16wrapped_functionINS8_6system6detail7generic6detail18binary_search_lessEbEEEE10hipError_tPvRmT1_T2_T3_mmT4_T5_P12ihipStream_tbEUlRKiE_EESV_SZ_S10_mS11_S14_bEUlT_E_NS1_11comp_targetILNS1_3genE10ELNS1_11target_archE1200ELNS1_3gpuE4ELNS1_3repE0EEENS1_30default_config_static_selectorELNS0_4arch9wavefront6targetE1EEEvSY_ ; -- Begin function _ZN7rocprim17ROCPRIM_400000_NS6detail17trampoline_kernelINS0_14default_configENS1_27lower_bound_config_selectorIilEEZNS1_14transform_implILb0ES3_S5_N6thrust23THRUST_200600_302600_NS6detail15normal_iteratorINS8_7pointerIiNS8_11hip_rocprim12par_nosync_tENS8_11use_defaultESE_EEEENSA_INSB_IlSD_SE_SE_EEEEZNS1_13binary_searchIS3_S5_NSA_INS8_10device_ptrIiEEEESG_SI_NS1_21lower_bound_search_opENS9_16wrapped_functionINS8_6system6detail7generic6detail18binary_search_lessEbEEEE10hipError_tPvRmT1_T2_T3_mmT4_T5_P12ihipStream_tbEUlRKiE_EESV_SZ_S10_mS11_S14_bEUlT_E_NS1_11comp_targetILNS1_3genE10ELNS1_11target_archE1200ELNS1_3gpuE4ELNS1_3repE0EEENS1_30default_config_static_selectorELNS0_4arch9wavefront6targetE1EEEvSY_
	.globl	_ZN7rocprim17ROCPRIM_400000_NS6detail17trampoline_kernelINS0_14default_configENS1_27lower_bound_config_selectorIilEEZNS1_14transform_implILb0ES3_S5_N6thrust23THRUST_200600_302600_NS6detail15normal_iteratorINS8_7pointerIiNS8_11hip_rocprim12par_nosync_tENS8_11use_defaultESE_EEEENSA_INSB_IlSD_SE_SE_EEEEZNS1_13binary_searchIS3_S5_NSA_INS8_10device_ptrIiEEEESG_SI_NS1_21lower_bound_search_opENS9_16wrapped_functionINS8_6system6detail7generic6detail18binary_search_lessEbEEEE10hipError_tPvRmT1_T2_T3_mmT4_T5_P12ihipStream_tbEUlRKiE_EESV_SZ_S10_mS11_S14_bEUlT_E_NS1_11comp_targetILNS1_3genE10ELNS1_11target_archE1200ELNS1_3gpuE4ELNS1_3repE0EEENS1_30default_config_static_selectorELNS0_4arch9wavefront6targetE1EEEvSY_
	.p2align	8
	.type	_ZN7rocprim17ROCPRIM_400000_NS6detail17trampoline_kernelINS0_14default_configENS1_27lower_bound_config_selectorIilEEZNS1_14transform_implILb0ES3_S5_N6thrust23THRUST_200600_302600_NS6detail15normal_iteratorINS8_7pointerIiNS8_11hip_rocprim12par_nosync_tENS8_11use_defaultESE_EEEENSA_INSB_IlSD_SE_SE_EEEEZNS1_13binary_searchIS3_S5_NSA_INS8_10device_ptrIiEEEESG_SI_NS1_21lower_bound_search_opENS9_16wrapped_functionINS8_6system6detail7generic6detail18binary_search_lessEbEEEE10hipError_tPvRmT1_T2_T3_mmT4_T5_P12ihipStream_tbEUlRKiE_EESV_SZ_S10_mS11_S14_bEUlT_E_NS1_11comp_targetILNS1_3genE10ELNS1_11target_archE1200ELNS1_3gpuE4ELNS1_3repE0EEENS1_30default_config_static_selectorELNS0_4arch9wavefront6targetE1EEEvSY_,@function
_ZN7rocprim17ROCPRIM_400000_NS6detail17trampoline_kernelINS0_14default_configENS1_27lower_bound_config_selectorIilEEZNS1_14transform_implILb0ES3_S5_N6thrust23THRUST_200600_302600_NS6detail15normal_iteratorINS8_7pointerIiNS8_11hip_rocprim12par_nosync_tENS8_11use_defaultESE_EEEENSA_INSB_IlSD_SE_SE_EEEEZNS1_13binary_searchIS3_S5_NSA_INS8_10device_ptrIiEEEESG_SI_NS1_21lower_bound_search_opENS9_16wrapped_functionINS8_6system6detail7generic6detail18binary_search_lessEbEEEE10hipError_tPvRmT1_T2_T3_mmT4_T5_P12ihipStream_tbEUlRKiE_EESV_SZ_S10_mS11_S14_bEUlT_E_NS1_11comp_targetILNS1_3genE10ELNS1_11target_archE1200ELNS1_3gpuE4ELNS1_3repE0EEENS1_30default_config_static_selectorELNS0_4arch9wavefront6targetE1EEEvSY_: ; @_ZN7rocprim17ROCPRIM_400000_NS6detail17trampoline_kernelINS0_14default_configENS1_27lower_bound_config_selectorIilEEZNS1_14transform_implILb0ES3_S5_N6thrust23THRUST_200600_302600_NS6detail15normal_iteratorINS8_7pointerIiNS8_11hip_rocprim12par_nosync_tENS8_11use_defaultESE_EEEENSA_INSB_IlSD_SE_SE_EEEEZNS1_13binary_searchIS3_S5_NSA_INS8_10device_ptrIiEEEESG_SI_NS1_21lower_bound_search_opENS9_16wrapped_functionINS8_6system6detail7generic6detail18binary_search_lessEbEEEE10hipError_tPvRmT1_T2_T3_mmT4_T5_P12ihipStream_tbEUlRKiE_EESV_SZ_S10_mS11_S14_bEUlT_E_NS1_11comp_targetILNS1_3genE10ELNS1_11target_archE1200ELNS1_3gpuE4ELNS1_3repE0EEENS1_30default_config_static_selectorELNS0_4arch9wavefront6targetE1EEEvSY_
; %bb.0:
	.section	.rodata,"a",@progbits
	.p2align	6, 0x0
	.amdhsa_kernel _ZN7rocprim17ROCPRIM_400000_NS6detail17trampoline_kernelINS0_14default_configENS1_27lower_bound_config_selectorIilEEZNS1_14transform_implILb0ES3_S5_N6thrust23THRUST_200600_302600_NS6detail15normal_iteratorINS8_7pointerIiNS8_11hip_rocprim12par_nosync_tENS8_11use_defaultESE_EEEENSA_INSB_IlSD_SE_SE_EEEEZNS1_13binary_searchIS3_S5_NSA_INS8_10device_ptrIiEEEESG_SI_NS1_21lower_bound_search_opENS9_16wrapped_functionINS8_6system6detail7generic6detail18binary_search_lessEbEEEE10hipError_tPvRmT1_T2_T3_mmT4_T5_P12ihipStream_tbEUlRKiE_EESV_SZ_S10_mS11_S14_bEUlT_E_NS1_11comp_targetILNS1_3genE10ELNS1_11target_archE1200ELNS1_3gpuE4ELNS1_3repE0EEENS1_30default_config_static_selectorELNS0_4arch9wavefront6targetE1EEEvSY_
		.amdhsa_group_segment_fixed_size 0
		.amdhsa_private_segment_fixed_size 0
		.amdhsa_kernarg_size 56
		.amdhsa_user_sgpr_count 6
		.amdhsa_user_sgpr_private_segment_buffer 1
		.amdhsa_user_sgpr_dispatch_ptr 0
		.amdhsa_user_sgpr_queue_ptr 0
		.amdhsa_user_sgpr_kernarg_segment_ptr 1
		.amdhsa_user_sgpr_dispatch_id 0
		.amdhsa_user_sgpr_flat_scratch_init 0
		.amdhsa_user_sgpr_private_segment_size 0
		.amdhsa_uses_dynamic_stack 0
		.amdhsa_system_sgpr_private_segment_wavefront_offset 0
		.amdhsa_system_sgpr_workgroup_id_x 1
		.amdhsa_system_sgpr_workgroup_id_y 0
		.amdhsa_system_sgpr_workgroup_id_z 0
		.amdhsa_system_sgpr_workgroup_info 0
		.amdhsa_system_vgpr_workitem_id 0
		.amdhsa_next_free_vgpr 1
		.amdhsa_next_free_sgpr 0
		.amdhsa_reserve_vcc 0
		.amdhsa_reserve_flat_scratch 0
		.amdhsa_float_round_mode_32 0
		.amdhsa_float_round_mode_16_64 0
		.amdhsa_float_denorm_mode_32 3
		.amdhsa_float_denorm_mode_16_64 3
		.amdhsa_dx10_clamp 1
		.amdhsa_ieee_mode 1
		.amdhsa_fp16_overflow 0
		.amdhsa_exception_fp_ieee_invalid_op 0
		.amdhsa_exception_fp_denorm_src 0
		.amdhsa_exception_fp_ieee_div_zero 0
		.amdhsa_exception_fp_ieee_overflow 0
		.amdhsa_exception_fp_ieee_underflow 0
		.amdhsa_exception_fp_ieee_inexact 0
		.amdhsa_exception_int_div_zero 0
	.end_amdhsa_kernel
	.section	.text._ZN7rocprim17ROCPRIM_400000_NS6detail17trampoline_kernelINS0_14default_configENS1_27lower_bound_config_selectorIilEEZNS1_14transform_implILb0ES3_S5_N6thrust23THRUST_200600_302600_NS6detail15normal_iteratorINS8_7pointerIiNS8_11hip_rocprim12par_nosync_tENS8_11use_defaultESE_EEEENSA_INSB_IlSD_SE_SE_EEEEZNS1_13binary_searchIS3_S5_NSA_INS8_10device_ptrIiEEEESG_SI_NS1_21lower_bound_search_opENS9_16wrapped_functionINS8_6system6detail7generic6detail18binary_search_lessEbEEEE10hipError_tPvRmT1_T2_T3_mmT4_T5_P12ihipStream_tbEUlRKiE_EESV_SZ_S10_mS11_S14_bEUlT_E_NS1_11comp_targetILNS1_3genE10ELNS1_11target_archE1200ELNS1_3gpuE4ELNS1_3repE0EEENS1_30default_config_static_selectorELNS0_4arch9wavefront6targetE1EEEvSY_,"axG",@progbits,_ZN7rocprim17ROCPRIM_400000_NS6detail17trampoline_kernelINS0_14default_configENS1_27lower_bound_config_selectorIilEEZNS1_14transform_implILb0ES3_S5_N6thrust23THRUST_200600_302600_NS6detail15normal_iteratorINS8_7pointerIiNS8_11hip_rocprim12par_nosync_tENS8_11use_defaultESE_EEEENSA_INSB_IlSD_SE_SE_EEEEZNS1_13binary_searchIS3_S5_NSA_INS8_10device_ptrIiEEEESG_SI_NS1_21lower_bound_search_opENS9_16wrapped_functionINS8_6system6detail7generic6detail18binary_search_lessEbEEEE10hipError_tPvRmT1_T2_T3_mmT4_T5_P12ihipStream_tbEUlRKiE_EESV_SZ_S10_mS11_S14_bEUlT_E_NS1_11comp_targetILNS1_3genE10ELNS1_11target_archE1200ELNS1_3gpuE4ELNS1_3repE0EEENS1_30default_config_static_selectorELNS0_4arch9wavefront6targetE1EEEvSY_,comdat
.Lfunc_end400:
	.size	_ZN7rocprim17ROCPRIM_400000_NS6detail17trampoline_kernelINS0_14default_configENS1_27lower_bound_config_selectorIilEEZNS1_14transform_implILb0ES3_S5_N6thrust23THRUST_200600_302600_NS6detail15normal_iteratorINS8_7pointerIiNS8_11hip_rocprim12par_nosync_tENS8_11use_defaultESE_EEEENSA_INSB_IlSD_SE_SE_EEEEZNS1_13binary_searchIS3_S5_NSA_INS8_10device_ptrIiEEEESG_SI_NS1_21lower_bound_search_opENS9_16wrapped_functionINS8_6system6detail7generic6detail18binary_search_lessEbEEEE10hipError_tPvRmT1_T2_T3_mmT4_T5_P12ihipStream_tbEUlRKiE_EESV_SZ_S10_mS11_S14_bEUlT_E_NS1_11comp_targetILNS1_3genE10ELNS1_11target_archE1200ELNS1_3gpuE4ELNS1_3repE0EEENS1_30default_config_static_selectorELNS0_4arch9wavefront6targetE1EEEvSY_, .Lfunc_end400-_ZN7rocprim17ROCPRIM_400000_NS6detail17trampoline_kernelINS0_14default_configENS1_27lower_bound_config_selectorIilEEZNS1_14transform_implILb0ES3_S5_N6thrust23THRUST_200600_302600_NS6detail15normal_iteratorINS8_7pointerIiNS8_11hip_rocprim12par_nosync_tENS8_11use_defaultESE_EEEENSA_INSB_IlSD_SE_SE_EEEEZNS1_13binary_searchIS3_S5_NSA_INS8_10device_ptrIiEEEESG_SI_NS1_21lower_bound_search_opENS9_16wrapped_functionINS8_6system6detail7generic6detail18binary_search_lessEbEEEE10hipError_tPvRmT1_T2_T3_mmT4_T5_P12ihipStream_tbEUlRKiE_EESV_SZ_S10_mS11_S14_bEUlT_E_NS1_11comp_targetILNS1_3genE10ELNS1_11target_archE1200ELNS1_3gpuE4ELNS1_3repE0EEENS1_30default_config_static_selectorELNS0_4arch9wavefront6targetE1EEEvSY_
                                        ; -- End function
	.set _ZN7rocprim17ROCPRIM_400000_NS6detail17trampoline_kernelINS0_14default_configENS1_27lower_bound_config_selectorIilEEZNS1_14transform_implILb0ES3_S5_N6thrust23THRUST_200600_302600_NS6detail15normal_iteratorINS8_7pointerIiNS8_11hip_rocprim12par_nosync_tENS8_11use_defaultESE_EEEENSA_INSB_IlSD_SE_SE_EEEEZNS1_13binary_searchIS3_S5_NSA_INS8_10device_ptrIiEEEESG_SI_NS1_21lower_bound_search_opENS9_16wrapped_functionINS8_6system6detail7generic6detail18binary_search_lessEbEEEE10hipError_tPvRmT1_T2_T3_mmT4_T5_P12ihipStream_tbEUlRKiE_EESV_SZ_S10_mS11_S14_bEUlT_E_NS1_11comp_targetILNS1_3genE10ELNS1_11target_archE1200ELNS1_3gpuE4ELNS1_3repE0EEENS1_30default_config_static_selectorELNS0_4arch9wavefront6targetE1EEEvSY_.num_vgpr, 0
	.set _ZN7rocprim17ROCPRIM_400000_NS6detail17trampoline_kernelINS0_14default_configENS1_27lower_bound_config_selectorIilEEZNS1_14transform_implILb0ES3_S5_N6thrust23THRUST_200600_302600_NS6detail15normal_iteratorINS8_7pointerIiNS8_11hip_rocprim12par_nosync_tENS8_11use_defaultESE_EEEENSA_INSB_IlSD_SE_SE_EEEEZNS1_13binary_searchIS3_S5_NSA_INS8_10device_ptrIiEEEESG_SI_NS1_21lower_bound_search_opENS9_16wrapped_functionINS8_6system6detail7generic6detail18binary_search_lessEbEEEE10hipError_tPvRmT1_T2_T3_mmT4_T5_P12ihipStream_tbEUlRKiE_EESV_SZ_S10_mS11_S14_bEUlT_E_NS1_11comp_targetILNS1_3genE10ELNS1_11target_archE1200ELNS1_3gpuE4ELNS1_3repE0EEENS1_30default_config_static_selectorELNS0_4arch9wavefront6targetE1EEEvSY_.num_agpr, 0
	.set _ZN7rocprim17ROCPRIM_400000_NS6detail17trampoline_kernelINS0_14default_configENS1_27lower_bound_config_selectorIilEEZNS1_14transform_implILb0ES3_S5_N6thrust23THRUST_200600_302600_NS6detail15normal_iteratorINS8_7pointerIiNS8_11hip_rocprim12par_nosync_tENS8_11use_defaultESE_EEEENSA_INSB_IlSD_SE_SE_EEEEZNS1_13binary_searchIS3_S5_NSA_INS8_10device_ptrIiEEEESG_SI_NS1_21lower_bound_search_opENS9_16wrapped_functionINS8_6system6detail7generic6detail18binary_search_lessEbEEEE10hipError_tPvRmT1_T2_T3_mmT4_T5_P12ihipStream_tbEUlRKiE_EESV_SZ_S10_mS11_S14_bEUlT_E_NS1_11comp_targetILNS1_3genE10ELNS1_11target_archE1200ELNS1_3gpuE4ELNS1_3repE0EEENS1_30default_config_static_selectorELNS0_4arch9wavefront6targetE1EEEvSY_.numbered_sgpr, 0
	.set _ZN7rocprim17ROCPRIM_400000_NS6detail17trampoline_kernelINS0_14default_configENS1_27lower_bound_config_selectorIilEEZNS1_14transform_implILb0ES3_S5_N6thrust23THRUST_200600_302600_NS6detail15normal_iteratorINS8_7pointerIiNS8_11hip_rocprim12par_nosync_tENS8_11use_defaultESE_EEEENSA_INSB_IlSD_SE_SE_EEEEZNS1_13binary_searchIS3_S5_NSA_INS8_10device_ptrIiEEEESG_SI_NS1_21lower_bound_search_opENS9_16wrapped_functionINS8_6system6detail7generic6detail18binary_search_lessEbEEEE10hipError_tPvRmT1_T2_T3_mmT4_T5_P12ihipStream_tbEUlRKiE_EESV_SZ_S10_mS11_S14_bEUlT_E_NS1_11comp_targetILNS1_3genE10ELNS1_11target_archE1200ELNS1_3gpuE4ELNS1_3repE0EEENS1_30default_config_static_selectorELNS0_4arch9wavefront6targetE1EEEvSY_.num_named_barrier, 0
	.set _ZN7rocprim17ROCPRIM_400000_NS6detail17trampoline_kernelINS0_14default_configENS1_27lower_bound_config_selectorIilEEZNS1_14transform_implILb0ES3_S5_N6thrust23THRUST_200600_302600_NS6detail15normal_iteratorINS8_7pointerIiNS8_11hip_rocprim12par_nosync_tENS8_11use_defaultESE_EEEENSA_INSB_IlSD_SE_SE_EEEEZNS1_13binary_searchIS3_S5_NSA_INS8_10device_ptrIiEEEESG_SI_NS1_21lower_bound_search_opENS9_16wrapped_functionINS8_6system6detail7generic6detail18binary_search_lessEbEEEE10hipError_tPvRmT1_T2_T3_mmT4_T5_P12ihipStream_tbEUlRKiE_EESV_SZ_S10_mS11_S14_bEUlT_E_NS1_11comp_targetILNS1_3genE10ELNS1_11target_archE1200ELNS1_3gpuE4ELNS1_3repE0EEENS1_30default_config_static_selectorELNS0_4arch9wavefront6targetE1EEEvSY_.private_seg_size, 0
	.set _ZN7rocprim17ROCPRIM_400000_NS6detail17trampoline_kernelINS0_14default_configENS1_27lower_bound_config_selectorIilEEZNS1_14transform_implILb0ES3_S5_N6thrust23THRUST_200600_302600_NS6detail15normal_iteratorINS8_7pointerIiNS8_11hip_rocprim12par_nosync_tENS8_11use_defaultESE_EEEENSA_INSB_IlSD_SE_SE_EEEEZNS1_13binary_searchIS3_S5_NSA_INS8_10device_ptrIiEEEESG_SI_NS1_21lower_bound_search_opENS9_16wrapped_functionINS8_6system6detail7generic6detail18binary_search_lessEbEEEE10hipError_tPvRmT1_T2_T3_mmT4_T5_P12ihipStream_tbEUlRKiE_EESV_SZ_S10_mS11_S14_bEUlT_E_NS1_11comp_targetILNS1_3genE10ELNS1_11target_archE1200ELNS1_3gpuE4ELNS1_3repE0EEENS1_30default_config_static_selectorELNS0_4arch9wavefront6targetE1EEEvSY_.uses_vcc, 0
	.set _ZN7rocprim17ROCPRIM_400000_NS6detail17trampoline_kernelINS0_14default_configENS1_27lower_bound_config_selectorIilEEZNS1_14transform_implILb0ES3_S5_N6thrust23THRUST_200600_302600_NS6detail15normal_iteratorINS8_7pointerIiNS8_11hip_rocprim12par_nosync_tENS8_11use_defaultESE_EEEENSA_INSB_IlSD_SE_SE_EEEEZNS1_13binary_searchIS3_S5_NSA_INS8_10device_ptrIiEEEESG_SI_NS1_21lower_bound_search_opENS9_16wrapped_functionINS8_6system6detail7generic6detail18binary_search_lessEbEEEE10hipError_tPvRmT1_T2_T3_mmT4_T5_P12ihipStream_tbEUlRKiE_EESV_SZ_S10_mS11_S14_bEUlT_E_NS1_11comp_targetILNS1_3genE10ELNS1_11target_archE1200ELNS1_3gpuE4ELNS1_3repE0EEENS1_30default_config_static_selectorELNS0_4arch9wavefront6targetE1EEEvSY_.uses_flat_scratch, 0
	.set _ZN7rocprim17ROCPRIM_400000_NS6detail17trampoline_kernelINS0_14default_configENS1_27lower_bound_config_selectorIilEEZNS1_14transform_implILb0ES3_S5_N6thrust23THRUST_200600_302600_NS6detail15normal_iteratorINS8_7pointerIiNS8_11hip_rocprim12par_nosync_tENS8_11use_defaultESE_EEEENSA_INSB_IlSD_SE_SE_EEEEZNS1_13binary_searchIS3_S5_NSA_INS8_10device_ptrIiEEEESG_SI_NS1_21lower_bound_search_opENS9_16wrapped_functionINS8_6system6detail7generic6detail18binary_search_lessEbEEEE10hipError_tPvRmT1_T2_T3_mmT4_T5_P12ihipStream_tbEUlRKiE_EESV_SZ_S10_mS11_S14_bEUlT_E_NS1_11comp_targetILNS1_3genE10ELNS1_11target_archE1200ELNS1_3gpuE4ELNS1_3repE0EEENS1_30default_config_static_selectorELNS0_4arch9wavefront6targetE1EEEvSY_.has_dyn_sized_stack, 0
	.set _ZN7rocprim17ROCPRIM_400000_NS6detail17trampoline_kernelINS0_14default_configENS1_27lower_bound_config_selectorIilEEZNS1_14transform_implILb0ES3_S5_N6thrust23THRUST_200600_302600_NS6detail15normal_iteratorINS8_7pointerIiNS8_11hip_rocprim12par_nosync_tENS8_11use_defaultESE_EEEENSA_INSB_IlSD_SE_SE_EEEEZNS1_13binary_searchIS3_S5_NSA_INS8_10device_ptrIiEEEESG_SI_NS1_21lower_bound_search_opENS9_16wrapped_functionINS8_6system6detail7generic6detail18binary_search_lessEbEEEE10hipError_tPvRmT1_T2_T3_mmT4_T5_P12ihipStream_tbEUlRKiE_EESV_SZ_S10_mS11_S14_bEUlT_E_NS1_11comp_targetILNS1_3genE10ELNS1_11target_archE1200ELNS1_3gpuE4ELNS1_3repE0EEENS1_30default_config_static_selectorELNS0_4arch9wavefront6targetE1EEEvSY_.has_recursion, 0
	.set _ZN7rocprim17ROCPRIM_400000_NS6detail17trampoline_kernelINS0_14default_configENS1_27lower_bound_config_selectorIilEEZNS1_14transform_implILb0ES3_S5_N6thrust23THRUST_200600_302600_NS6detail15normal_iteratorINS8_7pointerIiNS8_11hip_rocprim12par_nosync_tENS8_11use_defaultESE_EEEENSA_INSB_IlSD_SE_SE_EEEEZNS1_13binary_searchIS3_S5_NSA_INS8_10device_ptrIiEEEESG_SI_NS1_21lower_bound_search_opENS9_16wrapped_functionINS8_6system6detail7generic6detail18binary_search_lessEbEEEE10hipError_tPvRmT1_T2_T3_mmT4_T5_P12ihipStream_tbEUlRKiE_EESV_SZ_S10_mS11_S14_bEUlT_E_NS1_11comp_targetILNS1_3genE10ELNS1_11target_archE1200ELNS1_3gpuE4ELNS1_3repE0EEENS1_30default_config_static_selectorELNS0_4arch9wavefront6targetE1EEEvSY_.has_indirect_call, 0
	.section	.AMDGPU.csdata,"",@progbits
; Kernel info:
; codeLenInByte = 0
; TotalNumSgprs: 4
; NumVgprs: 0
; ScratchSize: 0
; MemoryBound: 0
; FloatMode: 240
; IeeeMode: 1
; LDSByteSize: 0 bytes/workgroup (compile time only)
; SGPRBlocks: 0
; VGPRBlocks: 0
; NumSGPRsForWavesPerEU: 4
; NumVGPRsForWavesPerEU: 1
; Occupancy: 10
; WaveLimiterHint : 0
; COMPUTE_PGM_RSRC2:SCRATCH_EN: 0
; COMPUTE_PGM_RSRC2:USER_SGPR: 6
; COMPUTE_PGM_RSRC2:TRAP_HANDLER: 0
; COMPUTE_PGM_RSRC2:TGID_X_EN: 1
; COMPUTE_PGM_RSRC2:TGID_Y_EN: 0
; COMPUTE_PGM_RSRC2:TGID_Z_EN: 0
; COMPUTE_PGM_RSRC2:TIDIG_COMP_CNT: 0
	.section	.text._ZN7rocprim17ROCPRIM_400000_NS6detail17trampoline_kernelINS0_14default_configENS1_27lower_bound_config_selectorIilEEZNS1_14transform_implILb0ES3_S5_N6thrust23THRUST_200600_302600_NS6detail15normal_iteratorINS8_7pointerIiNS8_11hip_rocprim12par_nosync_tENS8_11use_defaultESE_EEEENSA_INSB_IlSD_SE_SE_EEEEZNS1_13binary_searchIS3_S5_NSA_INS8_10device_ptrIiEEEESG_SI_NS1_21lower_bound_search_opENS9_16wrapped_functionINS8_6system6detail7generic6detail18binary_search_lessEbEEEE10hipError_tPvRmT1_T2_T3_mmT4_T5_P12ihipStream_tbEUlRKiE_EESV_SZ_S10_mS11_S14_bEUlT_E_NS1_11comp_targetILNS1_3genE9ELNS1_11target_archE1100ELNS1_3gpuE3ELNS1_3repE0EEENS1_30default_config_static_selectorELNS0_4arch9wavefront6targetE1EEEvSY_,"axG",@progbits,_ZN7rocprim17ROCPRIM_400000_NS6detail17trampoline_kernelINS0_14default_configENS1_27lower_bound_config_selectorIilEEZNS1_14transform_implILb0ES3_S5_N6thrust23THRUST_200600_302600_NS6detail15normal_iteratorINS8_7pointerIiNS8_11hip_rocprim12par_nosync_tENS8_11use_defaultESE_EEEENSA_INSB_IlSD_SE_SE_EEEEZNS1_13binary_searchIS3_S5_NSA_INS8_10device_ptrIiEEEESG_SI_NS1_21lower_bound_search_opENS9_16wrapped_functionINS8_6system6detail7generic6detail18binary_search_lessEbEEEE10hipError_tPvRmT1_T2_T3_mmT4_T5_P12ihipStream_tbEUlRKiE_EESV_SZ_S10_mS11_S14_bEUlT_E_NS1_11comp_targetILNS1_3genE9ELNS1_11target_archE1100ELNS1_3gpuE3ELNS1_3repE0EEENS1_30default_config_static_selectorELNS0_4arch9wavefront6targetE1EEEvSY_,comdat
	.protected	_ZN7rocprim17ROCPRIM_400000_NS6detail17trampoline_kernelINS0_14default_configENS1_27lower_bound_config_selectorIilEEZNS1_14transform_implILb0ES3_S5_N6thrust23THRUST_200600_302600_NS6detail15normal_iteratorINS8_7pointerIiNS8_11hip_rocprim12par_nosync_tENS8_11use_defaultESE_EEEENSA_INSB_IlSD_SE_SE_EEEEZNS1_13binary_searchIS3_S5_NSA_INS8_10device_ptrIiEEEESG_SI_NS1_21lower_bound_search_opENS9_16wrapped_functionINS8_6system6detail7generic6detail18binary_search_lessEbEEEE10hipError_tPvRmT1_T2_T3_mmT4_T5_P12ihipStream_tbEUlRKiE_EESV_SZ_S10_mS11_S14_bEUlT_E_NS1_11comp_targetILNS1_3genE9ELNS1_11target_archE1100ELNS1_3gpuE3ELNS1_3repE0EEENS1_30default_config_static_selectorELNS0_4arch9wavefront6targetE1EEEvSY_ ; -- Begin function _ZN7rocprim17ROCPRIM_400000_NS6detail17trampoline_kernelINS0_14default_configENS1_27lower_bound_config_selectorIilEEZNS1_14transform_implILb0ES3_S5_N6thrust23THRUST_200600_302600_NS6detail15normal_iteratorINS8_7pointerIiNS8_11hip_rocprim12par_nosync_tENS8_11use_defaultESE_EEEENSA_INSB_IlSD_SE_SE_EEEEZNS1_13binary_searchIS3_S5_NSA_INS8_10device_ptrIiEEEESG_SI_NS1_21lower_bound_search_opENS9_16wrapped_functionINS8_6system6detail7generic6detail18binary_search_lessEbEEEE10hipError_tPvRmT1_T2_T3_mmT4_T5_P12ihipStream_tbEUlRKiE_EESV_SZ_S10_mS11_S14_bEUlT_E_NS1_11comp_targetILNS1_3genE9ELNS1_11target_archE1100ELNS1_3gpuE3ELNS1_3repE0EEENS1_30default_config_static_selectorELNS0_4arch9wavefront6targetE1EEEvSY_
	.globl	_ZN7rocprim17ROCPRIM_400000_NS6detail17trampoline_kernelINS0_14default_configENS1_27lower_bound_config_selectorIilEEZNS1_14transform_implILb0ES3_S5_N6thrust23THRUST_200600_302600_NS6detail15normal_iteratorINS8_7pointerIiNS8_11hip_rocprim12par_nosync_tENS8_11use_defaultESE_EEEENSA_INSB_IlSD_SE_SE_EEEEZNS1_13binary_searchIS3_S5_NSA_INS8_10device_ptrIiEEEESG_SI_NS1_21lower_bound_search_opENS9_16wrapped_functionINS8_6system6detail7generic6detail18binary_search_lessEbEEEE10hipError_tPvRmT1_T2_T3_mmT4_T5_P12ihipStream_tbEUlRKiE_EESV_SZ_S10_mS11_S14_bEUlT_E_NS1_11comp_targetILNS1_3genE9ELNS1_11target_archE1100ELNS1_3gpuE3ELNS1_3repE0EEENS1_30default_config_static_selectorELNS0_4arch9wavefront6targetE1EEEvSY_
	.p2align	8
	.type	_ZN7rocprim17ROCPRIM_400000_NS6detail17trampoline_kernelINS0_14default_configENS1_27lower_bound_config_selectorIilEEZNS1_14transform_implILb0ES3_S5_N6thrust23THRUST_200600_302600_NS6detail15normal_iteratorINS8_7pointerIiNS8_11hip_rocprim12par_nosync_tENS8_11use_defaultESE_EEEENSA_INSB_IlSD_SE_SE_EEEEZNS1_13binary_searchIS3_S5_NSA_INS8_10device_ptrIiEEEESG_SI_NS1_21lower_bound_search_opENS9_16wrapped_functionINS8_6system6detail7generic6detail18binary_search_lessEbEEEE10hipError_tPvRmT1_T2_T3_mmT4_T5_P12ihipStream_tbEUlRKiE_EESV_SZ_S10_mS11_S14_bEUlT_E_NS1_11comp_targetILNS1_3genE9ELNS1_11target_archE1100ELNS1_3gpuE3ELNS1_3repE0EEENS1_30default_config_static_selectorELNS0_4arch9wavefront6targetE1EEEvSY_,@function
_ZN7rocprim17ROCPRIM_400000_NS6detail17trampoline_kernelINS0_14default_configENS1_27lower_bound_config_selectorIilEEZNS1_14transform_implILb0ES3_S5_N6thrust23THRUST_200600_302600_NS6detail15normal_iteratorINS8_7pointerIiNS8_11hip_rocprim12par_nosync_tENS8_11use_defaultESE_EEEENSA_INSB_IlSD_SE_SE_EEEEZNS1_13binary_searchIS3_S5_NSA_INS8_10device_ptrIiEEEESG_SI_NS1_21lower_bound_search_opENS9_16wrapped_functionINS8_6system6detail7generic6detail18binary_search_lessEbEEEE10hipError_tPvRmT1_T2_T3_mmT4_T5_P12ihipStream_tbEUlRKiE_EESV_SZ_S10_mS11_S14_bEUlT_E_NS1_11comp_targetILNS1_3genE9ELNS1_11target_archE1100ELNS1_3gpuE3ELNS1_3repE0EEENS1_30default_config_static_selectorELNS0_4arch9wavefront6targetE1EEEvSY_: ; @_ZN7rocprim17ROCPRIM_400000_NS6detail17trampoline_kernelINS0_14default_configENS1_27lower_bound_config_selectorIilEEZNS1_14transform_implILb0ES3_S5_N6thrust23THRUST_200600_302600_NS6detail15normal_iteratorINS8_7pointerIiNS8_11hip_rocprim12par_nosync_tENS8_11use_defaultESE_EEEENSA_INSB_IlSD_SE_SE_EEEEZNS1_13binary_searchIS3_S5_NSA_INS8_10device_ptrIiEEEESG_SI_NS1_21lower_bound_search_opENS9_16wrapped_functionINS8_6system6detail7generic6detail18binary_search_lessEbEEEE10hipError_tPvRmT1_T2_T3_mmT4_T5_P12ihipStream_tbEUlRKiE_EESV_SZ_S10_mS11_S14_bEUlT_E_NS1_11comp_targetILNS1_3genE9ELNS1_11target_archE1100ELNS1_3gpuE3ELNS1_3repE0EEENS1_30default_config_static_selectorELNS0_4arch9wavefront6targetE1EEEvSY_
; %bb.0:
	.section	.rodata,"a",@progbits
	.p2align	6, 0x0
	.amdhsa_kernel _ZN7rocprim17ROCPRIM_400000_NS6detail17trampoline_kernelINS0_14default_configENS1_27lower_bound_config_selectorIilEEZNS1_14transform_implILb0ES3_S5_N6thrust23THRUST_200600_302600_NS6detail15normal_iteratorINS8_7pointerIiNS8_11hip_rocprim12par_nosync_tENS8_11use_defaultESE_EEEENSA_INSB_IlSD_SE_SE_EEEEZNS1_13binary_searchIS3_S5_NSA_INS8_10device_ptrIiEEEESG_SI_NS1_21lower_bound_search_opENS9_16wrapped_functionINS8_6system6detail7generic6detail18binary_search_lessEbEEEE10hipError_tPvRmT1_T2_T3_mmT4_T5_P12ihipStream_tbEUlRKiE_EESV_SZ_S10_mS11_S14_bEUlT_E_NS1_11comp_targetILNS1_3genE9ELNS1_11target_archE1100ELNS1_3gpuE3ELNS1_3repE0EEENS1_30default_config_static_selectorELNS0_4arch9wavefront6targetE1EEEvSY_
		.amdhsa_group_segment_fixed_size 0
		.amdhsa_private_segment_fixed_size 0
		.amdhsa_kernarg_size 56
		.amdhsa_user_sgpr_count 6
		.amdhsa_user_sgpr_private_segment_buffer 1
		.amdhsa_user_sgpr_dispatch_ptr 0
		.amdhsa_user_sgpr_queue_ptr 0
		.amdhsa_user_sgpr_kernarg_segment_ptr 1
		.amdhsa_user_sgpr_dispatch_id 0
		.amdhsa_user_sgpr_flat_scratch_init 0
		.amdhsa_user_sgpr_private_segment_size 0
		.amdhsa_uses_dynamic_stack 0
		.amdhsa_system_sgpr_private_segment_wavefront_offset 0
		.amdhsa_system_sgpr_workgroup_id_x 1
		.amdhsa_system_sgpr_workgroup_id_y 0
		.amdhsa_system_sgpr_workgroup_id_z 0
		.amdhsa_system_sgpr_workgroup_info 0
		.amdhsa_system_vgpr_workitem_id 0
		.amdhsa_next_free_vgpr 1
		.amdhsa_next_free_sgpr 0
		.amdhsa_reserve_vcc 0
		.amdhsa_reserve_flat_scratch 0
		.amdhsa_float_round_mode_32 0
		.amdhsa_float_round_mode_16_64 0
		.amdhsa_float_denorm_mode_32 3
		.amdhsa_float_denorm_mode_16_64 3
		.amdhsa_dx10_clamp 1
		.amdhsa_ieee_mode 1
		.amdhsa_fp16_overflow 0
		.amdhsa_exception_fp_ieee_invalid_op 0
		.amdhsa_exception_fp_denorm_src 0
		.amdhsa_exception_fp_ieee_div_zero 0
		.amdhsa_exception_fp_ieee_overflow 0
		.amdhsa_exception_fp_ieee_underflow 0
		.amdhsa_exception_fp_ieee_inexact 0
		.amdhsa_exception_int_div_zero 0
	.end_amdhsa_kernel
	.section	.text._ZN7rocprim17ROCPRIM_400000_NS6detail17trampoline_kernelINS0_14default_configENS1_27lower_bound_config_selectorIilEEZNS1_14transform_implILb0ES3_S5_N6thrust23THRUST_200600_302600_NS6detail15normal_iteratorINS8_7pointerIiNS8_11hip_rocprim12par_nosync_tENS8_11use_defaultESE_EEEENSA_INSB_IlSD_SE_SE_EEEEZNS1_13binary_searchIS3_S5_NSA_INS8_10device_ptrIiEEEESG_SI_NS1_21lower_bound_search_opENS9_16wrapped_functionINS8_6system6detail7generic6detail18binary_search_lessEbEEEE10hipError_tPvRmT1_T2_T3_mmT4_T5_P12ihipStream_tbEUlRKiE_EESV_SZ_S10_mS11_S14_bEUlT_E_NS1_11comp_targetILNS1_3genE9ELNS1_11target_archE1100ELNS1_3gpuE3ELNS1_3repE0EEENS1_30default_config_static_selectorELNS0_4arch9wavefront6targetE1EEEvSY_,"axG",@progbits,_ZN7rocprim17ROCPRIM_400000_NS6detail17trampoline_kernelINS0_14default_configENS1_27lower_bound_config_selectorIilEEZNS1_14transform_implILb0ES3_S5_N6thrust23THRUST_200600_302600_NS6detail15normal_iteratorINS8_7pointerIiNS8_11hip_rocprim12par_nosync_tENS8_11use_defaultESE_EEEENSA_INSB_IlSD_SE_SE_EEEEZNS1_13binary_searchIS3_S5_NSA_INS8_10device_ptrIiEEEESG_SI_NS1_21lower_bound_search_opENS9_16wrapped_functionINS8_6system6detail7generic6detail18binary_search_lessEbEEEE10hipError_tPvRmT1_T2_T3_mmT4_T5_P12ihipStream_tbEUlRKiE_EESV_SZ_S10_mS11_S14_bEUlT_E_NS1_11comp_targetILNS1_3genE9ELNS1_11target_archE1100ELNS1_3gpuE3ELNS1_3repE0EEENS1_30default_config_static_selectorELNS0_4arch9wavefront6targetE1EEEvSY_,comdat
.Lfunc_end401:
	.size	_ZN7rocprim17ROCPRIM_400000_NS6detail17trampoline_kernelINS0_14default_configENS1_27lower_bound_config_selectorIilEEZNS1_14transform_implILb0ES3_S5_N6thrust23THRUST_200600_302600_NS6detail15normal_iteratorINS8_7pointerIiNS8_11hip_rocprim12par_nosync_tENS8_11use_defaultESE_EEEENSA_INSB_IlSD_SE_SE_EEEEZNS1_13binary_searchIS3_S5_NSA_INS8_10device_ptrIiEEEESG_SI_NS1_21lower_bound_search_opENS9_16wrapped_functionINS8_6system6detail7generic6detail18binary_search_lessEbEEEE10hipError_tPvRmT1_T2_T3_mmT4_T5_P12ihipStream_tbEUlRKiE_EESV_SZ_S10_mS11_S14_bEUlT_E_NS1_11comp_targetILNS1_3genE9ELNS1_11target_archE1100ELNS1_3gpuE3ELNS1_3repE0EEENS1_30default_config_static_selectorELNS0_4arch9wavefront6targetE1EEEvSY_, .Lfunc_end401-_ZN7rocprim17ROCPRIM_400000_NS6detail17trampoline_kernelINS0_14default_configENS1_27lower_bound_config_selectorIilEEZNS1_14transform_implILb0ES3_S5_N6thrust23THRUST_200600_302600_NS6detail15normal_iteratorINS8_7pointerIiNS8_11hip_rocprim12par_nosync_tENS8_11use_defaultESE_EEEENSA_INSB_IlSD_SE_SE_EEEEZNS1_13binary_searchIS3_S5_NSA_INS8_10device_ptrIiEEEESG_SI_NS1_21lower_bound_search_opENS9_16wrapped_functionINS8_6system6detail7generic6detail18binary_search_lessEbEEEE10hipError_tPvRmT1_T2_T3_mmT4_T5_P12ihipStream_tbEUlRKiE_EESV_SZ_S10_mS11_S14_bEUlT_E_NS1_11comp_targetILNS1_3genE9ELNS1_11target_archE1100ELNS1_3gpuE3ELNS1_3repE0EEENS1_30default_config_static_selectorELNS0_4arch9wavefront6targetE1EEEvSY_
                                        ; -- End function
	.set _ZN7rocprim17ROCPRIM_400000_NS6detail17trampoline_kernelINS0_14default_configENS1_27lower_bound_config_selectorIilEEZNS1_14transform_implILb0ES3_S5_N6thrust23THRUST_200600_302600_NS6detail15normal_iteratorINS8_7pointerIiNS8_11hip_rocprim12par_nosync_tENS8_11use_defaultESE_EEEENSA_INSB_IlSD_SE_SE_EEEEZNS1_13binary_searchIS3_S5_NSA_INS8_10device_ptrIiEEEESG_SI_NS1_21lower_bound_search_opENS9_16wrapped_functionINS8_6system6detail7generic6detail18binary_search_lessEbEEEE10hipError_tPvRmT1_T2_T3_mmT4_T5_P12ihipStream_tbEUlRKiE_EESV_SZ_S10_mS11_S14_bEUlT_E_NS1_11comp_targetILNS1_3genE9ELNS1_11target_archE1100ELNS1_3gpuE3ELNS1_3repE0EEENS1_30default_config_static_selectorELNS0_4arch9wavefront6targetE1EEEvSY_.num_vgpr, 0
	.set _ZN7rocprim17ROCPRIM_400000_NS6detail17trampoline_kernelINS0_14default_configENS1_27lower_bound_config_selectorIilEEZNS1_14transform_implILb0ES3_S5_N6thrust23THRUST_200600_302600_NS6detail15normal_iteratorINS8_7pointerIiNS8_11hip_rocprim12par_nosync_tENS8_11use_defaultESE_EEEENSA_INSB_IlSD_SE_SE_EEEEZNS1_13binary_searchIS3_S5_NSA_INS8_10device_ptrIiEEEESG_SI_NS1_21lower_bound_search_opENS9_16wrapped_functionINS8_6system6detail7generic6detail18binary_search_lessEbEEEE10hipError_tPvRmT1_T2_T3_mmT4_T5_P12ihipStream_tbEUlRKiE_EESV_SZ_S10_mS11_S14_bEUlT_E_NS1_11comp_targetILNS1_3genE9ELNS1_11target_archE1100ELNS1_3gpuE3ELNS1_3repE0EEENS1_30default_config_static_selectorELNS0_4arch9wavefront6targetE1EEEvSY_.num_agpr, 0
	.set _ZN7rocprim17ROCPRIM_400000_NS6detail17trampoline_kernelINS0_14default_configENS1_27lower_bound_config_selectorIilEEZNS1_14transform_implILb0ES3_S5_N6thrust23THRUST_200600_302600_NS6detail15normal_iteratorINS8_7pointerIiNS8_11hip_rocprim12par_nosync_tENS8_11use_defaultESE_EEEENSA_INSB_IlSD_SE_SE_EEEEZNS1_13binary_searchIS3_S5_NSA_INS8_10device_ptrIiEEEESG_SI_NS1_21lower_bound_search_opENS9_16wrapped_functionINS8_6system6detail7generic6detail18binary_search_lessEbEEEE10hipError_tPvRmT1_T2_T3_mmT4_T5_P12ihipStream_tbEUlRKiE_EESV_SZ_S10_mS11_S14_bEUlT_E_NS1_11comp_targetILNS1_3genE9ELNS1_11target_archE1100ELNS1_3gpuE3ELNS1_3repE0EEENS1_30default_config_static_selectorELNS0_4arch9wavefront6targetE1EEEvSY_.numbered_sgpr, 0
	.set _ZN7rocprim17ROCPRIM_400000_NS6detail17trampoline_kernelINS0_14default_configENS1_27lower_bound_config_selectorIilEEZNS1_14transform_implILb0ES3_S5_N6thrust23THRUST_200600_302600_NS6detail15normal_iteratorINS8_7pointerIiNS8_11hip_rocprim12par_nosync_tENS8_11use_defaultESE_EEEENSA_INSB_IlSD_SE_SE_EEEEZNS1_13binary_searchIS3_S5_NSA_INS8_10device_ptrIiEEEESG_SI_NS1_21lower_bound_search_opENS9_16wrapped_functionINS8_6system6detail7generic6detail18binary_search_lessEbEEEE10hipError_tPvRmT1_T2_T3_mmT4_T5_P12ihipStream_tbEUlRKiE_EESV_SZ_S10_mS11_S14_bEUlT_E_NS1_11comp_targetILNS1_3genE9ELNS1_11target_archE1100ELNS1_3gpuE3ELNS1_3repE0EEENS1_30default_config_static_selectorELNS0_4arch9wavefront6targetE1EEEvSY_.num_named_barrier, 0
	.set _ZN7rocprim17ROCPRIM_400000_NS6detail17trampoline_kernelINS0_14default_configENS1_27lower_bound_config_selectorIilEEZNS1_14transform_implILb0ES3_S5_N6thrust23THRUST_200600_302600_NS6detail15normal_iteratorINS8_7pointerIiNS8_11hip_rocprim12par_nosync_tENS8_11use_defaultESE_EEEENSA_INSB_IlSD_SE_SE_EEEEZNS1_13binary_searchIS3_S5_NSA_INS8_10device_ptrIiEEEESG_SI_NS1_21lower_bound_search_opENS9_16wrapped_functionINS8_6system6detail7generic6detail18binary_search_lessEbEEEE10hipError_tPvRmT1_T2_T3_mmT4_T5_P12ihipStream_tbEUlRKiE_EESV_SZ_S10_mS11_S14_bEUlT_E_NS1_11comp_targetILNS1_3genE9ELNS1_11target_archE1100ELNS1_3gpuE3ELNS1_3repE0EEENS1_30default_config_static_selectorELNS0_4arch9wavefront6targetE1EEEvSY_.private_seg_size, 0
	.set _ZN7rocprim17ROCPRIM_400000_NS6detail17trampoline_kernelINS0_14default_configENS1_27lower_bound_config_selectorIilEEZNS1_14transform_implILb0ES3_S5_N6thrust23THRUST_200600_302600_NS6detail15normal_iteratorINS8_7pointerIiNS8_11hip_rocprim12par_nosync_tENS8_11use_defaultESE_EEEENSA_INSB_IlSD_SE_SE_EEEEZNS1_13binary_searchIS3_S5_NSA_INS8_10device_ptrIiEEEESG_SI_NS1_21lower_bound_search_opENS9_16wrapped_functionINS8_6system6detail7generic6detail18binary_search_lessEbEEEE10hipError_tPvRmT1_T2_T3_mmT4_T5_P12ihipStream_tbEUlRKiE_EESV_SZ_S10_mS11_S14_bEUlT_E_NS1_11comp_targetILNS1_3genE9ELNS1_11target_archE1100ELNS1_3gpuE3ELNS1_3repE0EEENS1_30default_config_static_selectorELNS0_4arch9wavefront6targetE1EEEvSY_.uses_vcc, 0
	.set _ZN7rocprim17ROCPRIM_400000_NS6detail17trampoline_kernelINS0_14default_configENS1_27lower_bound_config_selectorIilEEZNS1_14transform_implILb0ES3_S5_N6thrust23THRUST_200600_302600_NS6detail15normal_iteratorINS8_7pointerIiNS8_11hip_rocprim12par_nosync_tENS8_11use_defaultESE_EEEENSA_INSB_IlSD_SE_SE_EEEEZNS1_13binary_searchIS3_S5_NSA_INS8_10device_ptrIiEEEESG_SI_NS1_21lower_bound_search_opENS9_16wrapped_functionINS8_6system6detail7generic6detail18binary_search_lessEbEEEE10hipError_tPvRmT1_T2_T3_mmT4_T5_P12ihipStream_tbEUlRKiE_EESV_SZ_S10_mS11_S14_bEUlT_E_NS1_11comp_targetILNS1_3genE9ELNS1_11target_archE1100ELNS1_3gpuE3ELNS1_3repE0EEENS1_30default_config_static_selectorELNS0_4arch9wavefront6targetE1EEEvSY_.uses_flat_scratch, 0
	.set _ZN7rocprim17ROCPRIM_400000_NS6detail17trampoline_kernelINS0_14default_configENS1_27lower_bound_config_selectorIilEEZNS1_14transform_implILb0ES3_S5_N6thrust23THRUST_200600_302600_NS6detail15normal_iteratorINS8_7pointerIiNS8_11hip_rocprim12par_nosync_tENS8_11use_defaultESE_EEEENSA_INSB_IlSD_SE_SE_EEEEZNS1_13binary_searchIS3_S5_NSA_INS8_10device_ptrIiEEEESG_SI_NS1_21lower_bound_search_opENS9_16wrapped_functionINS8_6system6detail7generic6detail18binary_search_lessEbEEEE10hipError_tPvRmT1_T2_T3_mmT4_T5_P12ihipStream_tbEUlRKiE_EESV_SZ_S10_mS11_S14_bEUlT_E_NS1_11comp_targetILNS1_3genE9ELNS1_11target_archE1100ELNS1_3gpuE3ELNS1_3repE0EEENS1_30default_config_static_selectorELNS0_4arch9wavefront6targetE1EEEvSY_.has_dyn_sized_stack, 0
	.set _ZN7rocprim17ROCPRIM_400000_NS6detail17trampoline_kernelINS0_14default_configENS1_27lower_bound_config_selectorIilEEZNS1_14transform_implILb0ES3_S5_N6thrust23THRUST_200600_302600_NS6detail15normal_iteratorINS8_7pointerIiNS8_11hip_rocprim12par_nosync_tENS8_11use_defaultESE_EEEENSA_INSB_IlSD_SE_SE_EEEEZNS1_13binary_searchIS3_S5_NSA_INS8_10device_ptrIiEEEESG_SI_NS1_21lower_bound_search_opENS9_16wrapped_functionINS8_6system6detail7generic6detail18binary_search_lessEbEEEE10hipError_tPvRmT1_T2_T3_mmT4_T5_P12ihipStream_tbEUlRKiE_EESV_SZ_S10_mS11_S14_bEUlT_E_NS1_11comp_targetILNS1_3genE9ELNS1_11target_archE1100ELNS1_3gpuE3ELNS1_3repE0EEENS1_30default_config_static_selectorELNS0_4arch9wavefront6targetE1EEEvSY_.has_recursion, 0
	.set _ZN7rocprim17ROCPRIM_400000_NS6detail17trampoline_kernelINS0_14default_configENS1_27lower_bound_config_selectorIilEEZNS1_14transform_implILb0ES3_S5_N6thrust23THRUST_200600_302600_NS6detail15normal_iteratorINS8_7pointerIiNS8_11hip_rocprim12par_nosync_tENS8_11use_defaultESE_EEEENSA_INSB_IlSD_SE_SE_EEEEZNS1_13binary_searchIS3_S5_NSA_INS8_10device_ptrIiEEEESG_SI_NS1_21lower_bound_search_opENS9_16wrapped_functionINS8_6system6detail7generic6detail18binary_search_lessEbEEEE10hipError_tPvRmT1_T2_T3_mmT4_T5_P12ihipStream_tbEUlRKiE_EESV_SZ_S10_mS11_S14_bEUlT_E_NS1_11comp_targetILNS1_3genE9ELNS1_11target_archE1100ELNS1_3gpuE3ELNS1_3repE0EEENS1_30default_config_static_selectorELNS0_4arch9wavefront6targetE1EEEvSY_.has_indirect_call, 0
	.section	.AMDGPU.csdata,"",@progbits
; Kernel info:
; codeLenInByte = 0
; TotalNumSgprs: 4
; NumVgprs: 0
; ScratchSize: 0
; MemoryBound: 0
; FloatMode: 240
; IeeeMode: 1
; LDSByteSize: 0 bytes/workgroup (compile time only)
; SGPRBlocks: 0
; VGPRBlocks: 0
; NumSGPRsForWavesPerEU: 4
; NumVGPRsForWavesPerEU: 1
; Occupancy: 10
; WaveLimiterHint : 0
; COMPUTE_PGM_RSRC2:SCRATCH_EN: 0
; COMPUTE_PGM_RSRC2:USER_SGPR: 6
; COMPUTE_PGM_RSRC2:TRAP_HANDLER: 0
; COMPUTE_PGM_RSRC2:TGID_X_EN: 1
; COMPUTE_PGM_RSRC2:TGID_Y_EN: 0
; COMPUTE_PGM_RSRC2:TGID_Z_EN: 0
; COMPUTE_PGM_RSRC2:TIDIG_COMP_CNT: 0
	.section	.text._ZN7rocprim17ROCPRIM_400000_NS6detail17trampoline_kernelINS0_14default_configENS1_27lower_bound_config_selectorIilEEZNS1_14transform_implILb0ES3_S5_N6thrust23THRUST_200600_302600_NS6detail15normal_iteratorINS8_7pointerIiNS8_11hip_rocprim12par_nosync_tENS8_11use_defaultESE_EEEENSA_INSB_IlSD_SE_SE_EEEEZNS1_13binary_searchIS3_S5_NSA_INS8_10device_ptrIiEEEESG_SI_NS1_21lower_bound_search_opENS9_16wrapped_functionINS8_6system6detail7generic6detail18binary_search_lessEbEEEE10hipError_tPvRmT1_T2_T3_mmT4_T5_P12ihipStream_tbEUlRKiE_EESV_SZ_S10_mS11_S14_bEUlT_E_NS1_11comp_targetILNS1_3genE8ELNS1_11target_archE1030ELNS1_3gpuE2ELNS1_3repE0EEENS1_30default_config_static_selectorELNS0_4arch9wavefront6targetE1EEEvSY_,"axG",@progbits,_ZN7rocprim17ROCPRIM_400000_NS6detail17trampoline_kernelINS0_14default_configENS1_27lower_bound_config_selectorIilEEZNS1_14transform_implILb0ES3_S5_N6thrust23THRUST_200600_302600_NS6detail15normal_iteratorINS8_7pointerIiNS8_11hip_rocprim12par_nosync_tENS8_11use_defaultESE_EEEENSA_INSB_IlSD_SE_SE_EEEEZNS1_13binary_searchIS3_S5_NSA_INS8_10device_ptrIiEEEESG_SI_NS1_21lower_bound_search_opENS9_16wrapped_functionINS8_6system6detail7generic6detail18binary_search_lessEbEEEE10hipError_tPvRmT1_T2_T3_mmT4_T5_P12ihipStream_tbEUlRKiE_EESV_SZ_S10_mS11_S14_bEUlT_E_NS1_11comp_targetILNS1_3genE8ELNS1_11target_archE1030ELNS1_3gpuE2ELNS1_3repE0EEENS1_30default_config_static_selectorELNS0_4arch9wavefront6targetE1EEEvSY_,comdat
	.protected	_ZN7rocprim17ROCPRIM_400000_NS6detail17trampoline_kernelINS0_14default_configENS1_27lower_bound_config_selectorIilEEZNS1_14transform_implILb0ES3_S5_N6thrust23THRUST_200600_302600_NS6detail15normal_iteratorINS8_7pointerIiNS8_11hip_rocprim12par_nosync_tENS8_11use_defaultESE_EEEENSA_INSB_IlSD_SE_SE_EEEEZNS1_13binary_searchIS3_S5_NSA_INS8_10device_ptrIiEEEESG_SI_NS1_21lower_bound_search_opENS9_16wrapped_functionINS8_6system6detail7generic6detail18binary_search_lessEbEEEE10hipError_tPvRmT1_T2_T3_mmT4_T5_P12ihipStream_tbEUlRKiE_EESV_SZ_S10_mS11_S14_bEUlT_E_NS1_11comp_targetILNS1_3genE8ELNS1_11target_archE1030ELNS1_3gpuE2ELNS1_3repE0EEENS1_30default_config_static_selectorELNS0_4arch9wavefront6targetE1EEEvSY_ ; -- Begin function _ZN7rocprim17ROCPRIM_400000_NS6detail17trampoline_kernelINS0_14default_configENS1_27lower_bound_config_selectorIilEEZNS1_14transform_implILb0ES3_S5_N6thrust23THRUST_200600_302600_NS6detail15normal_iteratorINS8_7pointerIiNS8_11hip_rocprim12par_nosync_tENS8_11use_defaultESE_EEEENSA_INSB_IlSD_SE_SE_EEEEZNS1_13binary_searchIS3_S5_NSA_INS8_10device_ptrIiEEEESG_SI_NS1_21lower_bound_search_opENS9_16wrapped_functionINS8_6system6detail7generic6detail18binary_search_lessEbEEEE10hipError_tPvRmT1_T2_T3_mmT4_T5_P12ihipStream_tbEUlRKiE_EESV_SZ_S10_mS11_S14_bEUlT_E_NS1_11comp_targetILNS1_3genE8ELNS1_11target_archE1030ELNS1_3gpuE2ELNS1_3repE0EEENS1_30default_config_static_selectorELNS0_4arch9wavefront6targetE1EEEvSY_
	.globl	_ZN7rocprim17ROCPRIM_400000_NS6detail17trampoline_kernelINS0_14default_configENS1_27lower_bound_config_selectorIilEEZNS1_14transform_implILb0ES3_S5_N6thrust23THRUST_200600_302600_NS6detail15normal_iteratorINS8_7pointerIiNS8_11hip_rocprim12par_nosync_tENS8_11use_defaultESE_EEEENSA_INSB_IlSD_SE_SE_EEEEZNS1_13binary_searchIS3_S5_NSA_INS8_10device_ptrIiEEEESG_SI_NS1_21lower_bound_search_opENS9_16wrapped_functionINS8_6system6detail7generic6detail18binary_search_lessEbEEEE10hipError_tPvRmT1_T2_T3_mmT4_T5_P12ihipStream_tbEUlRKiE_EESV_SZ_S10_mS11_S14_bEUlT_E_NS1_11comp_targetILNS1_3genE8ELNS1_11target_archE1030ELNS1_3gpuE2ELNS1_3repE0EEENS1_30default_config_static_selectorELNS0_4arch9wavefront6targetE1EEEvSY_
	.p2align	8
	.type	_ZN7rocprim17ROCPRIM_400000_NS6detail17trampoline_kernelINS0_14default_configENS1_27lower_bound_config_selectorIilEEZNS1_14transform_implILb0ES3_S5_N6thrust23THRUST_200600_302600_NS6detail15normal_iteratorINS8_7pointerIiNS8_11hip_rocprim12par_nosync_tENS8_11use_defaultESE_EEEENSA_INSB_IlSD_SE_SE_EEEEZNS1_13binary_searchIS3_S5_NSA_INS8_10device_ptrIiEEEESG_SI_NS1_21lower_bound_search_opENS9_16wrapped_functionINS8_6system6detail7generic6detail18binary_search_lessEbEEEE10hipError_tPvRmT1_T2_T3_mmT4_T5_P12ihipStream_tbEUlRKiE_EESV_SZ_S10_mS11_S14_bEUlT_E_NS1_11comp_targetILNS1_3genE8ELNS1_11target_archE1030ELNS1_3gpuE2ELNS1_3repE0EEENS1_30default_config_static_selectorELNS0_4arch9wavefront6targetE1EEEvSY_,@function
_ZN7rocprim17ROCPRIM_400000_NS6detail17trampoline_kernelINS0_14default_configENS1_27lower_bound_config_selectorIilEEZNS1_14transform_implILb0ES3_S5_N6thrust23THRUST_200600_302600_NS6detail15normal_iteratorINS8_7pointerIiNS8_11hip_rocprim12par_nosync_tENS8_11use_defaultESE_EEEENSA_INSB_IlSD_SE_SE_EEEEZNS1_13binary_searchIS3_S5_NSA_INS8_10device_ptrIiEEEESG_SI_NS1_21lower_bound_search_opENS9_16wrapped_functionINS8_6system6detail7generic6detail18binary_search_lessEbEEEE10hipError_tPvRmT1_T2_T3_mmT4_T5_P12ihipStream_tbEUlRKiE_EESV_SZ_S10_mS11_S14_bEUlT_E_NS1_11comp_targetILNS1_3genE8ELNS1_11target_archE1030ELNS1_3gpuE2ELNS1_3repE0EEENS1_30default_config_static_selectorELNS0_4arch9wavefront6targetE1EEEvSY_: ; @_ZN7rocprim17ROCPRIM_400000_NS6detail17trampoline_kernelINS0_14default_configENS1_27lower_bound_config_selectorIilEEZNS1_14transform_implILb0ES3_S5_N6thrust23THRUST_200600_302600_NS6detail15normal_iteratorINS8_7pointerIiNS8_11hip_rocprim12par_nosync_tENS8_11use_defaultESE_EEEENSA_INSB_IlSD_SE_SE_EEEEZNS1_13binary_searchIS3_S5_NSA_INS8_10device_ptrIiEEEESG_SI_NS1_21lower_bound_search_opENS9_16wrapped_functionINS8_6system6detail7generic6detail18binary_search_lessEbEEEE10hipError_tPvRmT1_T2_T3_mmT4_T5_P12ihipStream_tbEUlRKiE_EESV_SZ_S10_mS11_S14_bEUlT_E_NS1_11comp_targetILNS1_3genE8ELNS1_11target_archE1030ELNS1_3gpuE2ELNS1_3repE0EEENS1_30default_config_static_selectorELNS0_4arch9wavefront6targetE1EEEvSY_
; %bb.0:
	.section	.rodata,"a",@progbits
	.p2align	6, 0x0
	.amdhsa_kernel _ZN7rocprim17ROCPRIM_400000_NS6detail17trampoline_kernelINS0_14default_configENS1_27lower_bound_config_selectorIilEEZNS1_14transform_implILb0ES3_S5_N6thrust23THRUST_200600_302600_NS6detail15normal_iteratorINS8_7pointerIiNS8_11hip_rocprim12par_nosync_tENS8_11use_defaultESE_EEEENSA_INSB_IlSD_SE_SE_EEEEZNS1_13binary_searchIS3_S5_NSA_INS8_10device_ptrIiEEEESG_SI_NS1_21lower_bound_search_opENS9_16wrapped_functionINS8_6system6detail7generic6detail18binary_search_lessEbEEEE10hipError_tPvRmT1_T2_T3_mmT4_T5_P12ihipStream_tbEUlRKiE_EESV_SZ_S10_mS11_S14_bEUlT_E_NS1_11comp_targetILNS1_3genE8ELNS1_11target_archE1030ELNS1_3gpuE2ELNS1_3repE0EEENS1_30default_config_static_selectorELNS0_4arch9wavefront6targetE1EEEvSY_
		.amdhsa_group_segment_fixed_size 0
		.amdhsa_private_segment_fixed_size 0
		.amdhsa_kernarg_size 56
		.amdhsa_user_sgpr_count 6
		.amdhsa_user_sgpr_private_segment_buffer 1
		.amdhsa_user_sgpr_dispatch_ptr 0
		.amdhsa_user_sgpr_queue_ptr 0
		.amdhsa_user_sgpr_kernarg_segment_ptr 1
		.amdhsa_user_sgpr_dispatch_id 0
		.amdhsa_user_sgpr_flat_scratch_init 0
		.amdhsa_user_sgpr_private_segment_size 0
		.amdhsa_uses_dynamic_stack 0
		.amdhsa_system_sgpr_private_segment_wavefront_offset 0
		.amdhsa_system_sgpr_workgroup_id_x 1
		.amdhsa_system_sgpr_workgroup_id_y 0
		.amdhsa_system_sgpr_workgroup_id_z 0
		.amdhsa_system_sgpr_workgroup_info 0
		.amdhsa_system_vgpr_workitem_id 0
		.amdhsa_next_free_vgpr 1
		.amdhsa_next_free_sgpr 0
		.amdhsa_reserve_vcc 0
		.amdhsa_reserve_flat_scratch 0
		.amdhsa_float_round_mode_32 0
		.amdhsa_float_round_mode_16_64 0
		.amdhsa_float_denorm_mode_32 3
		.amdhsa_float_denorm_mode_16_64 3
		.amdhsa_dx10_clamp 1
		.amdhsa_ieee_mode 1
		.amdhsa_fp16_overflow 0
		.amdhsa_exception_fp_ieee_invalid_op 0
		.amdhsa_exception_fp_denorm_src 0
		.amdhsa_exception_fp_ieee_div_zero 0
		.amdhsa_exception_fp_ieee_overflow 0
		.amdhsa_exception_fp_ieee_underflow 0
		.amdhsa_exception_fp_ieee_inexact 0
		.amdhsa_exception_int_div_zero 0
	.end_amdhsa_kernel
	.section	.text._ZN7rocprim17ROCPRIM_400000_NS6detail17trampoline_kernelINS0_14default_configENS1_27lower_bound_config_selectorIilEEZNS1_14transform_implILb0ES3_S5_N6thrust23THRUST_200600_302600_NS6detail15normal_iteratorINS8_7pointerIiNS8_11hip_rocprim12par_nosync_tENS8_11use_defaultESE_EEEENSA_INSB_IlSD_SE_SE_EEEEZNS1_13binary_searchIS3_S5_NSA_INS8_10device_ptrIiEEEESG_SI_NS1_21lower_bound_search_opENS9_16wrapped_functionINS8_6system6detail7generic6detail18binary_search_lessEbEEEE10hipError_tPvRmT1_T2_T3_mmT4_T5_P12ihipStream_tbEUlRKiE_EESV_SZ_S10_mS11_S14_bEUlT_E_NS1_11comp_targetILNS1_3genE8ELNS1_11target_archE1030ELNS1_3gpuE2ELNS1_3repE0EEENS1_30default_config_static_selectorELNS0_4arch9wavefront6targetE1EEEvSY_,"axG",@progbits,_ZN7rocprim17ROCPRIM_400000_NS6detail17trampoline_kernelINS0_14default_configENS1_27lower_bound_config_selectorIilEEZNS1_14transform_implILb0ES3_S5_N6thrust23THRUST_200600_302600_NS6detail15normal_iteratorINS8_7pointerIiNS8_11hip_rocprim12par_nosync_tENS8_11use_defaultESE_EEEENSA_INSB_IlSD_SE_SE_EEEEZNS1_13binary_searchIS3_S5_NSA_INS8_10device_ptrIiEEEESG_SI_NS1_21lower_bound_search_opENS9_16wrapped_functionINS8_6system6detail7generic6detail18binary_search_lessEbEEEE10hipError_tPvRmT1_T2_T3_mmT4_T5_P12ihipStream_tbEUlRKiE_EESV_SZ_S10_mS11_S14_bEUlT_E_NS1_11comp_targetILNS1_3genE8ELNS1_11target_archE1030ELNS1_3gpuE2ELNS1_3repE0EEENS1_30default_config_static_selectorELNS0_4arch9wavefront6targetE1EEEvSY_,comdat
.Lfunc_end402:
	.size	_ZN7rocprim17ROCPRIM_400000_NS6detail17trampoline_kernelINS0_14default_configENS1_27lower_bound_config_selectorIilEEZNS1_14transform_implILb0ES3_S5_N6thrust23THRUST_200600_302600_NS6detail15normal_iteratorINS8_7pointerIiNS8_11hip_rocprim12par_nosync_tENS8_11use_defaultESE_EEEENSA_INSB_IlSD_SE_SE_EEEEZNS1_13binary_searchIS3_S5_NSA_INS8_10device_ptrIiEEEESG_SI_NS1_21lower_bound_search_opENS9_16wrapped_functionINS8_6system6detail7generic6detail18binary_search_lessEbEEEE10hipError_tPvRmT1_T2_T3_mmT4_T5_P12ihipStream_tbEUlRKiE_EESV_SZ_S10_mS11_S14_bEUlT_E_NS1_11comp_targetILNS1_3genE8ELNS1_11target_archE1030ELNS1_3gpuE2ELNS1_3repE0EEENS1_30default_config_static_selectorELNS0_4arch9wavefront6targetE1EEEvSY_, .Lfunc_end402-_ZN7rocprim17ROCPRIM_400000_NS6detail17trampoline_kernelINS0_14default_configENS1_27lower_bound_config_selectorIilEEZNS1_14transform_implILb0ES3_S5_N6thrust23THRUST_200600_302600_NS6detail15normal_iteratorINS8_7pointerIiNS8_11hip_rocprim12par_nosync_tENS8_11use_defaultESE_EEEENSA_INSB_IlSD_SE_SE_EEEEZNS1_13binary_searchIS3_S5_NSA_INS8_10device_ptrIiEEEESG_SI_NS1_21lower_bound_search_opENS9_16wrapped_functionINS8_6system6detail7generic6detail18binary_search_lessEbEEEE10hipError_tPvRmT1_T2_T3_mmT4_T5_P12ihipStream_tbEUlRKiE_EESV_SZ_S10_mS11_S14_bEUlT_E_NS1_11comp_targetILNS1_3genE8ELNS1_11target_archE1030ELNS1_3gpuE2ELNS1_3repE0EEENS1_30default_config_static_selectorELNS0_4arch9wavefront6targetE1EEEvSY_
                                        ; -- End function
	.set _ZN7rocprim17ROCPRIM_400000_NS6detail17trampoline_kernelINS0_14default_configENS1_27lower_bound_config_selectorIilEEZNS1_14transform_implILb0ES3_S5_N6thrust23THRUST_200600_302600_NS6detail15normal_iteratorINS8_7pointerIiNS8_11hip_rocprim12par_nosync_tENS8_11use_defaultESE_EEEENSA_INSB_IlSD_SE_SE_EEEEZNS1_13binary_searchIS3_S5_NSA_INS8_10device_ptrIiEEEESG_SI_NS1_21lower_bound_search_opENS9_16wrapped_functionINS8_6system6detail7generic6detail18binary_search_lessEbEEEE10hipError_tPvRmT1_T2_T3_mmT4_T5_P12ihipStream_tbEUlRKiE_EESV_SZ_S10_mS11_S14_bEUlT_E_NS1_11comp_targetILNS1_3genE8ELNS1_11target_archE1030ELNS1_3gpuE2ELNS1_3repE0EEENS1_30default_config_static_selectorELNS0_4arch9wavefront6targetE1EEEvSY_.num_vgpr, 0
	.set _ZN7rocprim17ROCPRIM_400000_NS6detail17trampoline_kernelINS0_14default_configENS1_27lower_bound_config_selectorIilEEZNS1_14transform_implILb0ES3_S5_N6thrust23THRUST_200600_302600_NS6detail15normal_iteratorINS8_7pointerIiNS8_11hip_rocprim12par_nosync_tENS8_11use_defaultESE_EEEENSA_INSB_IlSD_SE_SE_EEEEZNS1_13binary_searchIS3_S5_NSA_INS8_10device_ptrIiEEEESG_SI_NS1_21lower_bound_search_opENS9_16wrapped_functionINS8_6system6detail7generic6detail18binary_search_lessEbEEEE10hipError_tPvRmT1_T2_T3_mmT4_T5_P12ihipStream_tbEUlRKiE_EESV_SZ_S10_mS11_S14_bEUlT_E_NS1_11comp_targetILNS1_3genE8ELNS1_11target_archE1030ELNS1_3gpuE2ELNS1_3repE0EEENS1_30default_config_static_selectorELNS0_4arch9wavefront6targetE1EEEvSY_.num_agpr, 0
	.set _ZN7rocprim17ROCPRIM_400000_NS6detail17trampoline_kernelINS0_14default_configENS1_27lower_bound_config_selectorIilEEZNS1_14transform_implILb0ES3_S5_N6thrust23THRUST_200600_302600_NS6detail15normal_iteratorINS8_7pointerIiNS8_11hip_rocprim12par_nosync_tENS8_11use_defaultESE_EEEENSA_INSB_IlSD_SE_SE_EEEEZNS1_13binary_searchIS3_S5_NSA_INS8_10device_ptrIiEEEESG_SI_NS1_21lower_bound_search_opENS9_16wrapped_functionINS8_6system6detail7generic6detail18binary_search_lessEbEEEE10hipError_tPvRmT1_T2_T3_mmT4_T5_P12ihipStream_tbEUlRKiE_EESV_SZ_S10_mS11_S14_bEUlT_E_NS1_11comp_targetILNS1_3genE8ELNS1_11target_archE1030ELNS1_3gpuE2ELNS1_3repE0EEENS1_30default_config_static_selectorELNS0_4arch9wavefront6targetE1EEEvSY_.numbered_sgpr, 0
	.set _ZN7rocprim17ROCPRIM_400000_NS6detail17trampoline_kernelINS0_14default_configENS1_27lower_bound_config_selectorIilEEZNS1_14transform_implILb0ES3_S5_N6thrust23THRUST_200600_302600_NS6detail15normal_iteratorINS8_7pointerIiNS8_11hip_rocprim12par_nosync_tENS8_11use_defaultESE_EEEENSA_INSB_IlSD_SE_SE_EEEEZNS1_13binary_searchIS3_S5_NSA_INS8_10device_ptrIiEEEESG_SI_NS1_21lower_bound_search_opENS9_16wrapped_functionINS8_6system6detail7generic6detail18binary_search_lessEbEEEE10hipError_tPvRmT1_T2_T3_mmT4_T5_P12ihipStream_tbEUlRKiE_EESV_SZ_S10_mS11_S14_bEUlT_E_NS1_11comp_targetILNS1_3genE8ELNS1_11target_archE1030ELNS1_3gpuE2ELNS1_3repE0EEENS1_30default_config_static_selectorELNS0_4arch9wavefront6targetE1EEEvSY_.num_named_barrier, 0
	.set _ZN7rocprim17ROCPRIM_400000_NS6detail17trampoline_kernelINS0_14default_configENS1_27lower_bound_config_selectorIilEEZNS1_14transform_implILb0ES3_S5_N6thrust23THRUST_200600_302600_NS6detail15normal_iteratorINS8_7pointerIiNS8_11hip_rocprim12par_nosync_tENS8_11use_defaultESE_EEEENSA_INSB_IlSD_SE_SE_EEEEZNS1_13binary_searchIS3_S5_NSA_INS8_10device_ptrIiEEEESG_SI_NS1_21lower_bound_search_opENS9_16wrapped_functionINS8_6system6detail7generic6detail18binary_search_lessEbEEEE10hipError_tPvRmT1_T2_T3_mmT4_T5_P12ihipStream_tbEUlRKiE_EESV_SZ_S10_mS11_S14_bEUlT_E_NS1_11comp_targetILNS1_3genE8ELNS1_11target_archE1030ELNS1_3gpuE2ELNS1_3repE0EEENS1_30default_config_static_selectorELNS0_4arch9wavefront6targetE1EEEvSY_.private_seg_size, 0
	.set _ZN7rocprim17ROCPRIM_400000_NS6detail17trampoline_kernelINS0_14default_configENS1_27lower_bound_config_selectorIilEEZNS1_14transform_implILb0ES3_S5_N6thrust23THRUST_200600_302600_NS6detail15normal_iteratorINS8_7pointerIiNS8_11hip_rocprim12par_nosync_tENS8_11use_defaultESE_EEEENSA_INSB_IlSD_SE_SE_EEEEZNS1_13binary_searchIS3_S5_NSA_INS8_10device_ptrIiEEEESG_SI_NS1_21lower_bound_search_opENS9_16wrapped_functionINS8_6system6detail7generic6detail18binary_search_lessEbEEEE10hipError_tPvRmT1_T2_T3_mmT4_T5_P12ihipStream_tbEUlRKiE_EESV_SZ_S10_mS11_S14_bEUlT_E_NS1_11comp_targetILNS1_3genE8ELNS1_11target_archE1030ELNS1_3gpuE2ELNS1_3repE0EEENS1_30default_config_static_selectorELNS0_4arch9wavefront6targetE1EEEvSY_.uses_vcc, 0
	.set _ZN7rocprim17ROCPRIM_400000_NS6detail17trampoline_kernelINS0_14default_configENS1_27lower_bound_config_selectorIilEEZNS1_14transform_implILb0ES3_S5_N6thrust23THRUST_200600_302600_NS6detail15normal_iteratorINS8_7pointerIiNS8_11hip_rocprim12par_nosync_tENS8_11use_defaultESE_EEEENSA_INSB_IlSD_SE_SE_EEEEZNS1_13binary_searchIS3_S5_NSA_INS8_10device_ptrIiEEEESG_SI_NS1_21lower_bound_search_opENS9_16wrapped_functionINS8_6system6detail7generic6detail18binary_search_lessEbEEEE10hipError_tPvRmT1_T2_T3_mmT4_T5_P12ihipStream_tbEUlRKiE_EESV_SZ_S10_mS11_S14_bEUlT_E_NS1_11comp_targetILNS1_3genE8ELNS1_11target_archE1030ELNS1_3gpuE2ELNS1_3repE0EEENS1_30default_config_static_selectorELNS0_4arch9wavefront6targetE1EEEvSY_.uses_flat_scratch, 0
	.set _ZN7rocprim17ROCPRIM_400000_NS6detail17trampoline_kernelINS0_14default_configENS1_27lower_bound_config_selectorIilEEZNS1_14transform_implILb0ES3_S5_N6thrust23THRUST_200600_302600_NS6detail15normal_iteratorINS8_7pointerIiNS8_11hip_rocprim12par_nosync_tENS8_11use_defaultESE_EEEENSA_INSB_IlSD_SE_SE_EEEEZNS1_13binary_searchIS3_S5_NSA_INS8_10device_ptrIiEEEESG_SI_NS1_21lower_bound_search_opENS9_16wrapped_functionINS8_6system6detail7generic6detail18binary_search_lessEbEEEE10hipError_tPvRmT1_T2_T3_mmT4_T5_P12ihipStream_tbEUlRKiE_EESV_SZ_S10_mS11_S14_bEUlT_E_NS1_11comp_targetILNS1_3genE8ELNS1_11target_archE1030ELNS1_3gpuE2ELNS1_3repE0EEENS1_30default_config_static_selectorELNS0_4arch9wavefront6targetE1EEEvSY_.has_dyn_sized_stack, 0
	.set _ZN7rocprim17ROCPRIM_400000_NS6detail17trampoline_kernelINS0_14default_configENS1_27lower_bound_config_selectorIilEEZNS1_14transform_implILb0ES3_S5_N6thrust23THRUST_200600_302600_NS6detail15normal_iteratorINS8_7pointerIiNS8_11hip_rocprim12par_nosync_tENS8_11use_defaultESE_EEEENSA_INSB_IlSD_SE_SE_EEEEZNS1_13binary_searchIS3_S5_NSA_INS8_10device_ptrIiEEEESG_SI_NS1_21lower_bound_search_opENS9_16wrapped_functionINS8_6system6detail7generic6detail18binary_search_lessEbEEEE10hipError_tPvRmT1_T2_T3_mmT4_T5_P12ihipStream_tbEUlRKiE_EESV_SZ_S10_mS11_S14_bEUlT_E_NS1_11comp_targetILNS1_3genE8ELNS1_11target_archE1030ELNS1_3gpuE2ELNS1_3repE0EEENS1_30default_config_static_selectorELNS0_4arch9wavefront6targetE1EEEvSY_.has_recursion, 0
	.set _ZN7rocprim17ROCPRIM_400000_NS6detail17trampoline_kernelINS0_14default_configENS1_27lower_bound_config_selectorIilEEZNS1_14transform_implILb0ES3_S5_N6thrust23THRUST_200600_302600_NS6detail15normal_iteratorINS8_7pointerIiNS8_11hip_rocprim12par_nosync_tENS8_11use_defaultESE_EEEENSA_INSB_IlSD_SE_SE_EEEEZNS1_13binary_searchIS3_S5_NSA_INS8_10device_ptrIiEEEESG_SI_NS1_21lower_bound_search_opENS9_16wrapped_functionINS8_6system6detail7generic6detail18binary_search_lessEbEEEE10hipError_tPvRmT1_T2_T3_mmT4_T5_P12ihipStream_tbEUlRKiE_EESV_SZ_S10_mS11_S14_bEUlT_E_NS1_11comp_targetILNS1_3genE8ELNS1_11target_archE1030ELNS1_3gpuE2ELNS1_3repE0EEENS1_30default_config_static_selectorELNS0_4arch9wavefront6targetE1EEEvSY_.has_indirect_call, 0
	.section	.AMDGPU.csdata,"",@progbits
; Kernel info:
; codeLenInByte = 0
; TotalNumSgprs: 4
; NumVgprs: 0
; ScratchSize: 0
; MemoryBound: 0
; FloatMode: 240
; IeeeMode: 1
; LDSByteSize: 0 bytes/workgroup (compile time only)
; SGPRBlocks: 0
; VGPRBlocks: 0
; NumSGPRsForWavesPerEU: 4
; NumVGPRsForWavesPerEU: 1
; Occupancy: 10
; WaveLimiterHint : 0
; COMPUTE_PGM_RSRC2:SCRATCH_EN: 0
; COMPUTE_PGM_RSRC2:USER_SGPR: 6
; COMPUTE_PGM_RSRC2:TRAP_HANDLER: 0
; COMPUTE_PGM_RSRC2:TGID_X_EN: 1
; COMPUTE_PGM_RSRC2:TGID_Y_EN: 0
; COMPUTE_PGM_RSRC2:TGID_Z_EN: 0
; COMPUTE_PGM_RSRC2:TIDIG_COMP_CNT: 0
	.section	.text._ZN7rocprim17ROCPRIM_400000_NS6detail17trampoline_kernelINS0_14default_configENS1_27lower_bound_config_selectorIilEEZNS1_14transform_implILb0ES3_S5_N6thrust23THRUST_200600_302600_NS6detail15normal_iteratorINS8_7pointerIiNS8_11hip_rocprim5par_tENS8_11use_defaultESE_EEEENSA_INSB_IlSD_SE_SE_EEEEZNS1_13binary_searchIS3_S5_NSA_INS8_10device_ptrIiEEEESG_SI_NS1_21lower_bound_search_opENS9_16wrapped_functionINS8_6system6detail7generic6detail18binary_search_lessEbEEEE10hipError_tPvRmT1_T2_T3_mmT4_T5_P12ihipStream_tbEUlRKiE_EESV_SZ_S10_mS11_S14_bEUlT_E_NS1_11comp_targetILNS1_3genE0ELNS1_11target_archE4294967295ELNS1_3gpuE0ELNS1_3repE0EEENS1_30default_config_static_selectorELNS0_4arch9wavefront6targetE1EEEvSY_,"axG",@progbits,_ZN7rocprim17ROCPRIM_400000_NS6detail17trampoline_kernelINS0_14default_configENS1_27lower_bound_config_selectorIilEEZNS1_14transform_implILb0ES3_S5_N6thrust23THRUST_200600_302600_NS6detail15normal_iteratorINS8_7pointerIiNS8_11hip_rocprim5par_tENS8_11use_defaultESE_EEEENSA_INSB_IlSD_SE_SE_EEEEZNS1_13binary_searchIS3_S5_NSA_INS8_10device_ptrIiEEEESG_SI_NS1_21lower_bound_search_opENS9_16wrapped_functionINS8_6system6detail7generic6detail18binary_search_lessEbEEEE10hipError_tPvRmT1_T2_T3_mmT4_T5_P12ihipStream_tbEUlRKiE_EESV_SZ_S10_mS11_S14_bEUlT_E_NS1_11comp_targetILNS1_3genE0ELNS1_11target_archE4294967295ELNS1_3gpuE0ELNS1_3repE0EEENS1_30default_config_static_selectorELNS0_4arch9wavefront6targetE1EEEvSY_,comdat
	.protected	_ZN7rocprim17ROCPRIM_400000_NS6detail17trampoline_kernelINS0_14default_configENS1_27lower_bound_config_selectorIilEEZNS1_14transform_implILb0ES3_S5_N6thrust23THRUST_200600_302600_NS6detail15normal_iteratorINS8_7pointerIiNS8_11hip_rocprim5par_tENS8_11use_defaultESE_EEEENSA_INSB_IlSD_SE_SE_EEEEZNS1_13binary_searchIS3_S5_NSA_INS8_10device_ptrIiEEEESG_SI_NS1_21lower_bound_search_opENS9_16wrapped_functionINS8_6system6detail7generic6detail18binary_search_lessEbEEEE10hipError_tPvRmT1_T2_T3_mmT4_T5_P12ihipStream_tbEUlRKiE_EESV_SZ_S10_mS11_S14_bEUlT_E_NS1_11comp_targetILNS1_3genE0ELNS1_11target_archE4294967295ELNS1_3gpuE0ELNS1_3repE0EEENS1_30default_config_static_selectorELNS0_4arch9wavefront6targetE1EEEvSY_ ; -- Begin function _ZN7rocprim17ROCPRIM_400000_NS6detail17trampoline_kernelINS0_14default_configENS1_27lower_bound_config_selectorIilEEZNS1_14transform_implILb0ES3_S5_N6thrust23THRUST_200600_302600_NS6detail15normal_iteratorINS8_7pointerIiNS8_11hip_rocprim5par_tENS8_11use_defaultESE_EEEENSA_INSB_IlSD_SE_SE_EEEEZNS1_13binary_searchIS3_S5_NSA_INS8_10device_ptrIiEEEESG_SI_NS1_21lower_bound_search_opENS9_16wrapped_functionINS8_6system6detail7generic6detail18binary_search_lessEbEEEE10hipError_tPvRmT1_T2_T3_mmT4_T5_P12ihipStream_tbEUlRKiE_EESV_SZ_S10_mS11_S14_bEUlT_E_NS1_11comp_targetILNS1_3genE0ELNS1_11target_archE4294967295ELNS1_3gpuE0ELNS1_3repE0EEENS1_30default_config_static_selectorELNS0_4arch9wavefront6targetE1EEEvSY_
	.globl	_ZN7rocprim17ROCPRIM_400000_NS6detail17trampoline_kernelINS0_14default_configENS1_27lower_bound_config_selectorIilEEZNS1_14transform_implILb0ES3_S5_N6thrust23THRUST_200600_302600_NS6detail15normal_iteratorINS8_7pointerIiNS8_11hip_rocprim5par_tENS8_11use_defaultESE_EEEENSA_INSB_IlSD_SE_SE_EEEEZNS1_13binary_searchIS3_S5_NSA_INS8_10device_ptrIiEEEESG_SI_NS1_21lower_bound_search_opENS9_16wrapped_functionINS8_6system6detail7generic6detail18binary_search_lessEbEEEE10hipError_tPvRmT1_T2_T3_mmT4_T5_P12ihipStream_tbEUlRKiE_EESV_SZ_S10_mS11_S14_bEUlT_E_NS1_11comp_targetILNS1_3genE0ELNS1_11target_archE4294967295ELNS1_3gpuE0ELNS1_3repE0EEENS1_30default_config_static_selectorELNS0_4arch9wavefront6targetE1EEEvSY_
	.p2align	8
	.type	_ZN7rocprim17ROCPRIM_400000_NS6detail17trampoline_kernelINS0_14default_configENS1_27lower_bound_config_selectorIilEEZNS1_14transform_implILb0ES3_S5_N6thrust23THRUST_200600_302600_NS6detail15normal_iteratorINS8_7pointerIiNS8_11hip_rocprim5par_tENS8_11use_defaultESE_EEEENSA_INSB_IlSD_SE_SE_EEEEZNS1_13binary_searchIS3_S5_NSA_INS8_10device_ptrIiEEEESG_SI_NS1_21lower_bound_search_opENS9_16wrapped_functionINS8_6system6detail7generic6detail18binary_search_lessEbEEEE10hipError_tPvRmT1_T2_T3_mmT4_T5_P12ihipStream_tbEUlRKiE_EESV_SZ_S10_mS11_S14_bEUlT_E_NS1_11comp_targetILNS1_3genE0ELNS1_11target_archE4294967295ELNS1_3gpuE0ELNS1_3repE0EEENS1_30default_config_static_selectorELNS0_4arch9wavefront6targetE1EEEvSY_,@function
_ZN7rocprim17ROCPRIM_400000_NS6detail17trampoline_kernelINS0_14default_configENS1_27lower_bound_config_selectorIilEEZNS1_14transform_implILb0ES3_S5_N6thrust23THRUST_200600_302600_NS6detail15normal_iteratorINS8_7pointerIiNS8_11hip_rocprim5par_tENS8_11use_defaultESE_EEEENSA_INSB_IlSD_SE_SE_EEEEZNS1_13binary_searchIS3_S5_NSA_INS8_10device_ptrIiEEEESG_SI_NS1_21lower_bound_search_opENS9_16wrapped_functionINS8_6system6detail7generic6detail18binary_search_lessEbEEEE10hipError_tPvRmT1_T2_T3_mmT4_T5_P12ihipStream_tbEUlRKiE_EESV_SZ_S10_mS11_S14_bEUlT_E_NS1_11comp_targetILNS1_3genE0ELNS1_11target_archE4294967295ELNS1_3gpuE0ELNS1_3repE0EEENS1_30default_config_static_selectorELNS0_4arch9wavefront6targetE1EEEvSY_: ; @_ZN7rocprim17ROCPRIM_400000_NS6detail17trampoline_kernelINS0_14default_configENS1_27lower_bound_config_selectorIilEEZNS1_14transform_implILb0ES3_S5_N6thrust23THRUST_200600_302600_NS6detail15normal_iteratorINS8_7pointerIiNS8_11hip_rocprim5par_tENS8_11use_defaultESE_EEEENSA_INSB_IlSD_SE_SE_EEEEZNS1_13binary_searchIS3_S5_NSA_INS8_10device_ptrIiEEEESG_SI_NS1_21lower_bound_search_opENS9_16wrapped_functionINS8_6system6detail7generic6detail18binary_search_lessEbEEEE10hipError_tPvRmT1_T2_T3_mmT4_T5_P12ihipStream_tbEUlRKiE_EESV_SZ_S10_mS11_S14_bEUlT_E_NS1_11comp_targetILNS1_3genE0ELNS1_11target_archE4294967295ELNS1_3gpuE0ELNS1_3repE0EEENS1_30default_config_static_selectorELNS0_4arch9wavefront6targetE1EEEvSY_
; %bb.0:
	.section	.rodata,"a",@progbits
	.p2align	6, 0x0
	.amdhsa_kernel _ZN7rocprim17ROCPRIM_400000_NS6detail17trampoline_kernelINS0_14default_configENS1_27lower_bound_config_selectorIilEEZNS1_14transform_implILb0ES3_S5_N6thrust23THRUST_200600_302600_NS6detail15normal_iteratorINS8_7pointerIiNS8_11hip_rocprim5par_tENS8_11use_defaultESE_EEEENSA_INSB_IlSD_SE_SE_EEEEZNS1_13binary_searchIS3_S5_NSA_INS8_10device_ptrIiEEEESG_SI_NS1_21lower_bound_search_opENS9_16wrapped_functionINS8_6system6detail7generic6detail18binary_search_lessEbEEEE10hipError_tPvRmT1_T2_T3_mmT4_T5_P12ihipStream_tbEUlRKiE_EESV_SZ_S10_mS11_S14_bEUlT_E_NS1_11comp_targetILNS1_3genE0ELNS1_11target_archE4294967295ELNS1_3gpuE0ELNS1_3repE0EEENS1_30default_config_static_selectorELNS0_4arch9wavefront6targetE1EEEvSY_
		.amdhsa_group_segment_fixed_size 0
		.amdhsa_private_segment_fixed_size 0
		.amdhsa_kernarg_size 56
		.amdhsa_user_sgpr_count 6
		.amdhsa_user_sgpr_private_segment_buffer 1
		.amdhsa_user_sgpr_dispatch_ptr 0
		.amdhsa_user_sgpr_queue_ptr 0
		.amdhsa_user_sgpr_kernarg_segment_ptr 1
		.amdhsa_user_sgpr_dispatch_id 0
		.amdhsa_user_sgpr_flat_scratch_init 0
		.amdhsa_user_sgpr_private_segment_size 0
		.amdhsa_uses_dynamic_stack 0
		.amdhsa_system_sgpr_private_segment_wavefront_offset 0
		.amdhsa_system_sgpr_workgroup_id_x 1
		.amdhsa_system_sgpr_workgroup_id_y 0
		.amdhsa_system_sgpr_workgroup_id_z 0
		.amdhsa_system_sgpr_workgroup_info 0
		.amdhsa_system_vgpr_workitem_id 0
		.amdhsa_next_free_vgpr 1
		.amdhsa_next_free_sgpr 0
		.amdhsa_reserve_vcc 0
		.amdhsa_reserve_flat_scratch 0
		.amdhsa_float_round_mode_32 0
		.amdhsa_float_round_mode_16_64 0
		.amdhsa_float_denorm_mode_32 3
		.amdhsa_float_denorm_mode_16_64 3
		.amdhsa_dx10_clamp 1
		.amdhsa_ieee_mode 1
		.amdhsa_fp16_overflow 0
		.amdhsa_exception_fp_ieee_invalid_op 0
		.amdhsa_exception_fp_denorm_src 0
		.amdhsa_exception_fp_ieee_div_zero 0
		.amdhsa_exception_fp_ieee_overflow 0
		.amdhsa_exception_fp_ieee_underflow 0
		.amdhsa_exception_fp_ieee_inexact 0
		.amdhsa_exception_int_div_zero 0
	.end_amdhsa_kernel
	.section	.text._ZN7rocprim17ROCPRIM_400000_NS6detail17trampoline_kernelINS0_14default_configENS1_27lower_bound_config_selectorIilEEZNS1_14transform_implILb0ES3_S5_N6thrust23THRUST_200600_302600_NS6detail15normal_iteratorINS8_7pointerIiNS8_11hip_rocprim5par_tENS8_11use_defaultESE_EEEENSA_INSB_IlSD_SE_SE_EEEEZNS1_13binary_searchIS3_S5_NSA_INS8_10device_ptrIiEEEESG_SI_NS1_21lower_bound_search_opENS9_16wrapped_functionINS8_6system6detail7generic6detail18binary_search_lessEbEEEE10hipError_tPvRmT1_T2_T3_mmT4_T5_P12ihipStream_tbEUlRKiE_EESV_SZ_S10_mS11_S14_bEUlT_E_NS1_11comp_targetILNS1_3genE0ELNS1_11target_archE4294967295ELNS1_3gpuE0ELNS1_3repE0EEENS1_30default_config_static_selectorELNS0_4arch9wavefront6targetE1EEEvSY_,"axG",@progbits,_ZN7rocprim17ROCPRIM_400000_NS6detail17trampoline_kernelINS0_14default_configENS1_27lower_bound_config_selectorIilEEZNS1_14transform_implILb0ES3_S5_N6thrust23THRUST_200600_302600_NS6detail15normal_iteratorINS8_7pointerIiNS8_11hip_rocprim5par_tENS8_11use_defaultESE_EEEENSA_INSB_IlSD_SE_SE_EEEEZNS1_13binary_searchIS3_S5_NSA_INS8_10device_ptrIiEEEESG_SI_NS1_21lower_bound_search_opENS9_16wrapped_functionINS8_6system6detail7generic6detail18binary_search_lessEbEEEE10hipError_tPvRmT1_T2_T3_mmT4_T5_P12ihipStream_tbEUlRKiE_EESV_SZ_S10_mS11_S14_bEUlT_E_NS1_11comp_targetILNS1_3genE0ELNS1_11target_archE4294967295ELNS1_3gpuE0ELNS1_3repE0EEENS1_30default_config_static_selectorELNS0_4arch9wavefront6targetE1EEEvSY_,comdat
.Lfunc_end403:
	.size	_ZN7rocprim17ROCPRIM_400000_NS6detail17trampoline_kernelINS0_14default_configENS1_27lower_bound_config_selectorIilEEZNS1_14transform_implILb0ES3_S5_N6thrust23THRUST_200600_302600_NS6detail15normal_iteratorINS8_7pointerIiNS8_11hip_rocprim5par_tENS8_11use_defaultESE_EEEENSA_INSB_IlSD_SE_SE_EEEEZNS1_13binary_searchIS3_S5_NSA_INS8_10device_ptrIiEEEESG_SI_NS1_21lower_bound_search_opENS9_16wrapped_functionINS8_6system6detail7generic6detail18binary_search_lessEbEEEE10hipError_tPvRmT1_T2_T3_mmT4_T5_P12ihipStream_tbEUlRKiE_EESV_SZ_S10_mS11_S14_bEUlT_E_NS1_11comp_targetILNS1_3genE0ELNS1_11target_archE4294967295ELNS1_3gpuE0ELNS1_3repE0EEENS1_30default_config_static_selectorELNS0_4arch9wavefront6targetE1EEEvSY_, .Lfunc_end403-_ZN7rocprim17ROCPRIM_400000_NS6detail17trampoline_kernelINS0_14default_configENS1_27lower_bound_config_selectorIilEEZNS1_14transform_implILb0ES3_S5_N6thrust23THRUST_200600_302600_NS6detail15normal_iteratorINS8_7pointerIiNS8_11hip_rocprim5par_tENS8_11use_defaultESE_EEEENSA_INSB_IlSD_SE_SE_EEEEZNS1_13binary_searchIS3_S5_NSA_INS8_10device_ptrIiEEEESG_SI_NS1_21lower_bound_search_opENS9_16wrapped_functionINS8_6system6detail7generic6detail18binary_search_lessEbEEEE10hipError_tPvRmT1_T2_T3_mmT4_T5_P12ihipStream_tbEUlRKiE_EESV_SZ_S10_mS11_S14_bEUlT_E_NS1_11comp_targetILNS1_3genE0ELNS1_11target_archE4294967295ELNS1_3gpuE0ELNS1_3repE0EEENS1_30default_config_static_selectorELNS0_4arch9wavefront6targetE1EEEvSY_
                                        ; -- End function
	.set _ZN7rocprim17ROCPRIM_400000_NS6detail17trampoline_kernelINS0_14default_configENS1_27lower_bound_config_selectorIilEEZNS1_14transform_implILb0ES3_S5_N6thrust23THRUST_200600_302600_NS6detail15normal_iteratorINS8_7pointerIiNS8_11hip_rocprim5par_tENS8_11use_defaultESE_EEEENSA_INSB_IlSD_SE_SE_EEEEZNS1_13binary_searchIS3_S5_NSA_INS8_10device_ptrIiEEEESG_SI_NS1_21lower_bound_search_opENS9_16wrapped_functionINS8_6system6detail7generic6detail18binary_search_lessEbEEEE10hipError_tPvRmT1_T2_T3_mmT4_T5_P12ihipStream_tbEUlRKiE_EESV_SZ_S10_mS11_S14_bEUlT_E_NS1_11comp_targetILNS1_3genE0ELNS1_11target_archE4294967295ELNS1_3gpuE0ELNS1_3repE0EEENS1_30default_config_static_selectorELNS0_4arch9wavefront6targetE1EEEvSY_.num_vgpr, 0
	.set _ZN7rocprim17ROCPRIM_400000_NS6detail17trampoline_kernelINS0_14default_configENS1_27lower_bound_config_selectorIilEEZNS1_14transform_implILb0ES3_S5_N6thrust23THRUST_200600_302600_NS6detail15normal_iteratorINS8_7pointerIiNS8_11hip_rocprim5par_tENS8_11use_defaultESE_EEEENSA_INSB_IlSD_SE_SE_EEEEZNS1_13binary_searchIS3_S5_NSA_INS8_10device_ptrIiEEEESG_SI_NS1_21lower_bound_search_opENS9_16wrapped_functionINS8_6system6detail7generic6detail18binary_search_lessEbEEEE10hipError_tPvRmT1_T2_T3_mmT4_T5_P12ihipStream_tbEUlRKiE_EESV_SZ_S10_mS11_S14_bEUlT_E_NS1_11comp_targetILNS1_3genE0ELNS1_11target_archE4294967295ELNS1_3gpuE0ELNS1_3repE0EEENS1_30default_config_static_selectorELNS0_4arch9wavefront6targetE1EEEvSY_.num_agpr, 0
	.set _ZN7rocprim17ROCPRIM_400000_NS6detail17trampoline_kernelINS0_14default_configENS1_27lower_bound_config_selectorIilEEZNS1_14transform_implILb0ES3_S5_N6thrust23THRUST_200600_302600_NS6detail15normal_iteratorINS8_7pointerIiNS8_11hip_rocprim5par_tENS8_11use_defaultESE_EEEENSA_INSB_IlSD_SE_SE_EEEEZNS1_13binary_searchIS3_S5_NSA_INS8_10device_ptrIiEEEESG_SI_NS1_21lower_bound_search_opENS9_16wrapped_functionINS8_6system6detail7generic6detail18binary_search_lessEbEEEE10hipError_tPvRmT1_T2_T3_mmT4_T5_P12ihipStream_tbEUlRKiE_EESV_SZ_S10_mS11_S14_bEUlT_E_NS1_11comp_targetILNS1_3genE0ELNS1_11target_archE4294967295ELNS1_3gpuE0ELNS1_3repE0EEENS1_30default_config_static_selectorELNS0_4arch9wavefront6targetE1EEEvSY_.numbered_sgpr, 0
	.set _ZN7rocprim17ROCPRIM_400000_NS6detail17trampoline_kernelINS0_14default_configENS1_27lower_bound_config_selectorIilEEZNS1_14transform_implILb0ES3_S5_N6thrust23THRUST_200600_302600_NS6detail15normal_iteratorINS8_7pointerIiNS8_11hip_rocprim5par_tENS8_11use_defaultESE_EEEENSA_INSB_IlSD_SE_SE_EEEEZNS1_13binary_searchIS3_S5_NSA_INS8_10device_ptrIiEEEESG_SI_NS1_21lower_bound_search_opENS9_16wrapped_functionINS8_6system6detail7generic6detail18binary_search_lessEbEEEE10hipError_tPvRmT1_T2_T3_mmT4_T5_P12ihipStream_tbEUlRKiE_EESV_SZ_S10_mS11_S14_bEUlT_E_NS1_11comp_targetILNS1_3genE0ELNS1_11target_archE4294967295ELNS1_3gpuE0ELNS1_3repE0EEENS1_30default_config_static_selectorELNS0_4arch9wavefront6targetE1EEEvSY_.num_named_barrier, 0
	.set _ZN7rocprim17ROCPRIM_400000_NS6detail17trampoline_kernelINS0_14default_configENS1_27lower_bound_config_selectorIilEEZNS1_14transform_implILb0ES3_S5_N6thrust23THRUST_200600_302600_NS6detail15normal_iteratorINS8_7pointerIiNS8_11hip_rocprim5par_tENS8_11use_defaultESE_EEEENSA_INSB_IlSD_SE_SE_EEEEZNS1_13binary_searchIS3_S5_NSA_INS8_10device_ptrIiEEEESG_SI_NS1_21lower_bound_search_opENS9_16wrapped_functionINS8_6system6detail7generic6detail18binary_search_lessEbEEEE10hipError_tPvRmT1_T2_T3_mmT4_T5_P12ihipStream_tbEUlRKiE_EESV_SZ_S10_mS11_S14_bEUlT_E_NS1_11comp_targetILNS1_3genE0ELNS1_11target_archE4294967295ELNS1_3gpuE0ELNS1_3repE0EEENS1_30default_config_static_selectorELNS0_4arch9wavefront6targetE1EEEvSY_.private_seg_size, 0
	.set _ZN7rocprim17ROCPRIM_400000_NS6detail17trampoline_kernelINS0_14default_configENS1_27lower_bound_config_selectorIilEEZNS1_14transform_implILb0ES3_S5_N6thrust23THRUST_200600_302600_NS6detail15normal_iteratorINS8_7pointerIiNS8_11hip_rocprim5par_tENS8_11use_defaultESE_EEEENSA_INSB_IlSD_SE_SE_EEEEZNS1_13binary_searchIS3_S5_NSA_INS8_10device_ptrIiEEEESG_SI_NS1_21lower_bound_search_opENS9_16wrapped_functionINS8_6system6detail7generic6detail18binary_search_lessEbEEEE10hipError_tPvRmT1_T2_T3_mmT4_T5_P12ihipStream_tbEUlRKiE_EESV_SZ_S10_mS11_S14_bEUlT_E_NS1_11comp_targetILNS1_3genE0ELNS1_11target_archE4294967295ELNS1_3gpuE0ELNS1_3repE0EEENS1_30default_config_static_selectorELNS0_4arch9wavefront6targetE1EEEvSY_.uses_vcc, 0
	.set _ZN7rocprim17ROCPRIM_400000_NS6detail17trampoline_kernelINS0_14default_configENS1_27lower_bound_config_selectorIilEEZNS1_14transform_implILb0ES3_S5_N6thrust23THRUST_200600_302600_NS6detail15normal_iteratorINS8_7pointerIiNS8_11hip_rocprim5par_tENS8_11use_defaultESE_EEEENSA_INSB_IlSD_SE_SE_EEEEZNS1_13binary_searchIS3_S5_NSA_INS8_10device_ptrIiEEEESG_SI_NS1_21lower_bound_search_opENS9_16wrapped_functionINS8_6system6detail7generic6detail18binary_search_lessEbEEEE10hipError_tPvRmT1_T2_T3_mmT4_T5_P12ihipStream_tbEUlRKiE_EESV_SZ_S10_mS11_S14_bEUlT_E_NS1_11comp_targetILNS1_3genE0ELNS1_11target_archE4294967295ELNS1_3gpuE0ELNS1_3repE0EEENS1_30default_config_static_selectorELNS0_4arch9wavefront6targetE1EEEvSY_.uses_flat_scratch, 0
	.set _ZN7rocprim17ROCPRIM_400000_NS6detail17trampoline_kernelINS0_14default_configENS1_27lower_bound_config_selectorIilEEZNS1_14transform_implILb0ES3_S5_N6thrust23THRUST_200600_302600_NS6detail15normal_iteratorINS8_7pointerIiNS8_11hip_rocprim5par_tENS8_11use_defaultESE_EEEENSA_INSB_IlSD_SE_SE_EEEEZNS1_13binary_searchIS3_S5_NSA_INS8_10device_ptrIiEEEESG_SI_NS1_21lower_bound_search_opENS9_16wrapped_functionINS8_6system6detail7generic6detail18binary_search_lessEbEEEE10hipError_tPvRmT1_T2_T3_mmT4_T5_P12ihipStream_tbEUlRKiE_EESV_SZ_S10_mS11_S14_bEUlT_E_NS1_11comp_targetILNS1_3genE0ELNS1_11target_archE4294967295ELNS1_3gpuE0ELNS1_3repE0EEENS1_30default_config_static_selectorELNS0_4arch9wavefront6targetE1EEEvSY_.has_dyn_sized_stack, 0
	.set _ZN7rocprim17ROCPRIM_400000_NS6detail17trampoline_kernelINS0_14default_configENS1_27lower_bound_config_selectorIilEEZNS1_14transform_implILb0ES3_S5_N6thrust23THRUST_200600_302600_NS6detail15normal_iteratorINS8_7pointerIiNS8_11hip_rocprim5par_tENS8_11use_defaultESE_EEEENSA_INSB_IlSD_SE_SE_EEEEZNS1_13binary_searchIS3_S5_NSA_INS8_10device_ptrIiEEEESG_SI_NS1_21lower_bound_search_opENS9_16wrapped_functionINS8_6system6detail7generic6detail18binary_search_lessEbEEEE10hipError_tPvRmT1_T2_T3_mmT4_T5_P12ihipStream_tbEUlRKiE_EESV_SZ_S10_mS11_S14_bEUlT_E_NS1_11comp_targetILNS1_3genE0ELNS1_11target_archE4294967295ELNS1_3gpuE0ELNS1_3repE0EEENS1_30default_config_static_selectorELNS0_4arch9wavefront6targetE1EEEvSY_.has_recursion, 0
	.set _ZN7rocprim17ROCPRIM_400000_NS6detail17trampoline_kernelINS0_14default_configENS1_27lower_bound_config_selectorIilEEZNS1_14transform_implILb0ES3_S5_N6thrust23THRUST_200600_302600_NS6detail15normal_iteratorINS8_7pointerIiNS8_11hip_rocprim5par_tENS8_11use_defaultESE_EEEENSA_INSB_IlSD_SE_SE_EEEEZNS1_13binary_searchIS3_S5_NSA_INS8_10device_ptrIiEEEESG_SI_NS1_21lower_bound_search_opENS9_16wrapped_functionINS8_6system6detail7generic6detail18binary_search_lessEbEEEE10hipError_tPvRmT1_T2_T3_mmT4_T5_P12ihipStream_tbEUlRKiE_EESV_SZ_S10_mS11_S14_bEUlT_E_NS1_11comp_targetILNS1_3genE0ELNS1_11target_archE4294967295ELNS1_3gpuE0ELNS1_3repE0EEENS1_30default_config_static_selectorELNS0_4arch9wavefront6targetE1EEEvSY_.has_indirect_call, 0
	.section	.AMDGPU.csdata,"",@progbits
; Kernel info:
; codeLenInByte = 0
; TotalNumSgprs: 4
; NumVgprs: 0
; ScratchSize: 0
; MemoryBound: 0
; FloatMode: 240
; IeeeMode: 1
; LDSByteSize: 0 bytes/workgroup (compile time only)
; SGPRBlocks: 0
; VGPRBlocks: 0
; NumSGPRsForWavesPerEU: 4
; NumVGPRsForWavesPerEU: 1
; Occupancy: 10
; WaveLimiterHint : 0
; COMPUTE_PGM_RSRC2:SCRATCH_EN: 0
; COMPUTE_PGM_RSRC2:USER_SGPR: 6
; COMPUTE_PGM_RSRC2:TRAP_HANDLER: 0
; COMPUTE_PGM_RSRC2:TGID_X_EN: 1
; COMPUTE_PGM_RSRC2:TGID_Y_EN: 0
; COMPUTE_PGM_RSRC2:TGID_Z_EN: 0
; COMPUTE_PGM_RSRC2:TIDIG_COMP_CNT: 0
	.section	.text._ZN7rocprim17ROCPRIM_400000_NS6detail17trampoline_kernelINS0_14default_configENS1_27lower_bound_config_selectorIilEEZNS1_14transform_implILb0ES3_S5_N6thrust23THRUST_200600_302600_NS6detail15normal_iteratorINS8_7pointerIiNS8_11hip_rocprim5par_tENS8_11use_defaultESE_EEEENSA_INSB_IlSD_SE_SE_EEEEZNS1_13binary_searchIS3_S5_NSA_INS8_10device_ptrIiEEEESG_SI_NS1_21lower_bound_search_opENS9_16wrapped_functionINS8_6system6detail7generic6detail18binary_search_lessEbEEEE10hipError_tPvRmT1_T2_T3_mmT4_T5_P12ihipStream_tbEUlRKiE_EESV_SZ_S10_mS11_S14_bEUlT_E_NS1_11comp_targetILNS1_3genE5ELNS1_11target_archE942ELNS1_3gpuE9ELNS1_3repE0EEENS1_30default_config_static_selectorELNS0_4arch9wavefront6targetE1EEEvSY_,"axG",@progbits,_ZN7rocprim17ROCPRIM_400000_NS6detail17trampoline_kernelINS0_14default_configENS1_27lower_bound_config_selectorIilEEZNS1_14transform_implILb0ES3_S5_N6thrust23THRUST_200600_302600_NS6detail15normal_iteratorINS8_7pointerIiNS8_11hip_rocprim5par_tENS8_11use_defaultESE_EEEENSA_INSB_IlSD_SE_SE_EEEEZNS1_13binary_searchIS3_S5_NSA_INS8_10device_ptrIiEEEESG_SI_NS1_21lower_bound_search_opENS9_16wrapped_functionINS8_6system6detail7generic6detail18binary_search_lessEbEEEE10hipError_tPvRmT1_T2_T3_mmT4_T5_P12ihipStream_tbEUlRKiE_EESV_SZ_S10_mS11_S14_bEUlT_E_NS1_11comp_targetILNS1_3genE5ELNS1_11target_archE942ELNS1_3gpuE9ELNS1_3repE0EEENS1_30default_config_static_selectorELNS0_4arch9wavefront6targetE1EEEvSY_,comdat
	.protected	_ZN7rocprim17ROCPRIM_400000_NS6detail17trampoline_kernelINS0_14default_configENS1_27lower_bound_config_selectorIilEEZNS1_14transform_implILb0ES3_S5_N6thrust23THRUST_200600_302600_NS6detail15normal_iteratorINS8_7pointerIiNS8_11hip_rocprim5par_tENS8_11use_defaultESE_EEEENSA_INSB_IlSD_SE_SE_EEEEZNS1_13binary_searchIS3_S5_NSA_INS8_10device_ptrIiEEEESG_SI_NS1_21lower_bound_search_opENS9_16wrapped_functionINS8_6system6detail7generic6detail18binary_search_lessEbEEEE10hipError_tPvRmT1_T2_T3_mmT4_T5_P12ihipStream_tbEUlRKiE_EESV_SZ_S10_mS11_S14_bEUlT_E_NS1_11comp_targetILNS1_3genE5ELNS1_11target_archE942ELNS1_3gpuE9ELNS1_3repE0EEENS1_30default_config_static_selectorELNS0_4arch9wavefront6targetE1EEEvSY_ ; -- Begin function _ZN7rocprim17ROCPRIM_400000_NS6detail17trampoline_kernelINS0_14default_configENS1_27lower_bound_config_selectorIilEEZNS1_14transform_implILb0ES3_S5_N6thrust23THRUST_200600_302600_NS6detail15normal_iteratorINS8_7pointerIiNS8_11hip_rocprim5par_tENS8_11use_defaultESE_EEEENSA_INSB_IlSD_SE_SE_EEEEZNS1_13binary_searchIS3_S5_NSA_INS8_10device_ptrIiEEEESG_SI_NS1_21lower_bound_search_opENS9_16wrapped_functionINS8_6system6detail7generic6detail18binary_search_lessEbEEEE10hipError_tPvRmT1_T2_T3_mmT4_T5_P12ihipStream_tbEUlRKiE_EESV_SZ_S10_mS11_S14_bEUlT_E_NS1_11comp_targetILNS1_3genE5ELNS1_11target_archE942ELNS1_3gpuE9ELNS1_3repE0EEENS1_30default_config_static_selectorELNS0_4arch9wavefront6targetE1EEEvSY_
	.globl	_ZN7rocprim17ROCPRIM_400000_NS6detail17trampoline_kernelINS0_14default_configENS1_27lower_bound_config_selectorIilEEZNS1_14transform_implILb0ES3_S5_N6thrust23THRUST_200600_302600_NS6detail15normal_iteratorINS8_7pointerIiNS8_11hip_rocprim5par_tENS8_11use_defaultESE_EEEENSA_INSB_IlSD_SE_SE_EEEEZNS1_13binary_searchIS3_S5_NSA_INS8_10device_ptrIiEEEESG_SI_NS1_21lower_bound_search_opENS9_16wrapped_functionINS8_6system6detail7generic6detail18binary_search_lessEbEEEE10hipError_tPvRmT1_T2_T3_mmT4_T5_P12ihipStream_tbEUlRKiE_EESV_SZ_S10_mS11_S14_bEUlT_E_NS1_11comp_targetILNS1_3genE5ELNS1_11target_archE942ELNS1_3gpuE9ELNS1_3repE0EEENS1_30default_config_static_selectorELNS0_4arch9wavefront6targetE1EEEvSY_
	.p2align	8
	.type	_ZN7rocprim17ROCPRIM_400000_NS6detail17trampoline_kernelINS0_14default_configENS1_27lower_bound_config_selectorIilEEZNS1_14transform_implILb0ES3_S5_N6thrust23THRUST_200600_302600_NS6detail15normal_iteratorINS8_7pointerIiNS8_11hip_rocprim5par_tENS8_11use_defaultESE_EEEENSA_INSB_IlSD_SE_SE_EEEEZNS1_13binary_searchIS3_S5_NSA_INS8_10device_ptrIiEEEESG_SI_NS1_21lower_bound_search_opENS9_16wrapped_functionINS8_6system6detail7generic6detail18binary_search_lessEbEEEE10hipError_tPvRmT1_T2_T3_mmT4_T5_P12ihipStream_tbEUlRKiE_EESV_SZ_S10_mS11_S14_bEUlT_E_NS1_11comp_targetILNS1_3genE5ELNS1_11target_archE942ELNS1_3gpuE9ELNS1_3repE0EEENS1_30default_config_static_selectorELNS0_4arch9wavefront6targetE1EEEvSY_,@function
_ZN7rocprim17ROCPRIM_400000_NS6detail17trampoline_kernelINS0_14default_configENS1_27lower_bound_config_selectorIilEEZNS1_14transform_implILb0ES3_S5_N6thrust23THRUST_200600_302600_NS6detail15normal_iteratorINS8_7pointerIiNS8_11hip_rocprim5par_tENS8_11use_defaultESE_EEEENSA_INSB_IlSD_SE_SE_EEEEZNS1_13binary_searchIS3_S5_NSA_INS8_10device_ptrIiEEEESG_SI_NS1_21lower_bound_search_opENS9_16wrapped_functionINS8_6system6detail7generic6detail18binary_search_lessEbEEEE10hipError_tPvRmT1_T2_T3_mmT4_T5_P12ihipStream_tbEUlRKiE_EESV_SZ_S10_mS11_S14_bEUlT_E_NS1_11comp_targetILNS1_3genE5ELNS1_11target_archE942ELNS1_3gpuE9ELNS1_3repE0EEENS1_30default_config_static_selectorELNS0_4arch9wavefront6targetE1EEEvSY_: ; @_ZN7rocprim17ROCPRIM_400000_NS6detail17trampoline_kernelINS0_14default_configENS1_27lower_bound_config_selectorIilEEZNS1_14transform_implILb0ES3_S5_N6thrust23THRUST_200600_302600_NS6detail15normal_iteratorINS8_7pointerIiNS8_11hip_rocprim5par_tENS8_11use_defaultESE_EEEENSA_INSB_IlSD_SE_SE_EEEEZNS1_13binary_searchIS3_S5_NSA_INS8_10device_ptrIiEEEESG_SI_NS1_21lower_bound_search_opENS9_16wrapped_functionINS8_6system6detail7generic6detail18binary_search_lessEbEEEE10hipError_tPvRmT1_T2_T3_mmT4_T5_P12ihipStream_tbEUlRKiE_EESV_SZ_S10_mS11_S14_bEUlT_E_NS1_11comp_targetILNS1_3genE5ELNS1_11target_archE942ELNS1_3gpuE9ELNS1_3repE0EEENS1_30default_config_static_selectorELNS0_4arch9wavefront6targetE1EEEvSY_
; %bb.0:
	.section	.rodata,"a",@progbits
	.p2align	6, 0x0
	.amdhsa_kernel _ZN7rocprim17ROCPRIM_400000_NS6detail17trampoline_kernelINS0_14default_configENS1_27lower_bound_config_selectorIilEEZNS1_14transform_implILb0ES3_S5_N6thrust23THRUST_200600_302600_NS6detail15normal_iteratorINS8_7pointerIiNS8_11hip_rocprim5par_tENS8_11use_defaultESE_EEEENSA_INSB_IlSD_SE_SE_EEEEZNS1_13binary_searchIS3_S5_NSA_INS8_10device_ptrIiEEEESG_SI_NS1_21lower_bound_search_opENS9_16wrapped_functionINS8_6system6detail7generic6detail18binary_search_lessEbEEEE10hipError_tPvRmT1_T2_T3_mmT4_T5_P12ihipStream_tbEUlRKiE_EESV_SZ_S10_mS11_S14_bEUlT_E_NS1_11comp_targetILNS1_3genE5ELNS1_11target_archE942ELNS1_3gpuE9ELNS1_3repE0EEENS1_30default_config_static_selectorELNS0_4arch9wavefront6targetE1EEEvSY_
		.amdhsa_group_segment_fixed_size 0
		.amdhsa_private_segment_fixed_size 0
		.amdhsa_kernarg_size 56
		.amdhsa_user_sgpr_count 6
		.amdhsa_user_sgpr_private_segment_buffer 1
		.amdhsa_user_sgpr_dispatch_ptr 0
		.amdhsa_user_sgpr_queue_ptr 0
		.amdhsa_user_sgpr_kernarg_segment_ptr 1
		.amdhsa_user_sgpr_dispatch_id 0
		.amdhsa_user_sgpr_flat_scratch_init 0
		.amdhsa_user_sgpr_private_segment_size 0
		.amdhsa_uses_dynamic_stack 0
		.amdhsa_system_sgpr_private_segment_wavefront_offset 0
		.amdhsa_system_sgpr_workgroup_id_x 1
		.amdhsa_system_sgpr_workgroup_id_y 0
		.amdhsa_system_sgpr_workgroup_id_z 0
		.amdhsa_system_sgpr_workgroup_info 0
		.amdhsa_system_vgpr_workitem_id 0
		.amdhsa_next_free_vgpr 1
		.amdhsa_next_free_sgpr 0
		.amdhsa_reserve_vcc 0
		.amdhsa_reserve_flat_scratch 0
		.amdhsa_float_round_mode_32 0
		.amdhsa_float_round_mode_16_64 0
		.amdhsa_float_denorm_mode_32 3
		.amdhsa_float_denorm_mode_16_64 3
		.amdhsa_dx10_clamp 1
		.amdhsa_ieee_mode 1
		.amdhsa_fp16_overflow 0
		.amdhsa_exception_fp_ieee_invalid_op 0
		.amdhsa_exception_fp_denorm_src 0
		.amdhsa_exception_fp_ieee_div_zero 0
		.amdhsa_exception_fp_ieee_overflow 0
		.amdhsa_exception_fp_ieee_underflow 0
		.amdhsa_exception_fp_ieee_inexact 0
		.amdhsa_exception_int_div_zero 0
	.end_amdhsa_kernel
	.section	.text._ZN7rocprim17ROCPRIM_400000_NS6detail17trampoline_kernelINS0_14default_configENS1_27lower_bound_config_selectorIilEEZNS1_14transform_implILb0ES3_S5_N6thrust23THRUST_200600_302600_NS6detail15normal_iteratorINS8_7pointerIiNS8_11hip_rocprim5par_tENS8_11use_defaultESE_EEEENSA_INSB_IlSD_SE_SE_EEEEZNS1_13binary_searchIS3_S5_NSA_INS8_10device_ptrIiEEEESG_SI_NS1_21lower_bound_search_opENS9_16wrapped_functionINS8_6system6detail7generic6detail18binary_search_lessEbEEEE10hipError_tPvRmT1_T2_T3_mmT4_T5_P12ihipStream_tbEUlRKiE_EESV_SZ_S10_mS11_S14_bEUlT_E_NS1_11comp_targetILNS1_3genE5ELNS1_11target_archE942ELNS1_3gpuE9ELNS1_3repE0EEENS1_30default_config_static_selectorELNS0_4arch9wavefront6targetE1EEEvSY_,"axG",@progbits,_ZN7rocprim17ROCPRIM_400000_NS6detail17trampoline_kernelINS0_14default_configENS1_27lower_bound_config_selectorIilEEZNS1_14transform_implILb0ES3_S5_N6thrust23THRUST_200600_302600_NS6detail15normal_iteratorINS8_7pointerIiNS8_11hip_rocprim5par_tENS8_11use_defaultESE_EEEENSA_INSB_IlSD_SE_SE_EEEEZNS1_13binary_searchIS3_S5_NSA_INS8_10device_ptrIiEEEESG_SI_NS1_21lower_bound_search_opENS9_16wrapped_functionINS8_6system6detail7generic6detail18binary_search_lessEbEEEE10hipError_tPvRmT1_T2_T3_mmT4_T5_P12ihipStream_tbEUlRKiE_EESV_SZ_S10_mS11_S14_bEUlT_E_NS1_11comp_targetILNS1_3genE5ELNS1_11target_archE942ELNS1_3gpuE9ELNS1_3repE0EEENS1_30default_config_static_selectorELNS0_4arch9wavefront6targetE1EEEvSY_,comdat
.Lfunc_end404:
	.size	_ZN7rocprim17ROCPRIM_400000_NS6detail17trampoline_kernelINS0_14default_configENS1_27lower_bound_config_selectorIilEEZNS1_14transform_implILb0ES3_S5_N6thrust23THRUST_200600_302600_NS6detail15normal_iteratorINS8_7pointerIiNS8_11hip_rocprim5par_tENS8_11use_defaultESE_EEEENSA_INSB_IlSD_SE_SE_EEEEZNS1_13binary_searchIS3_S5_NSA_INS8_10device_ptrIiEEEESG_SI_NS1_21lower_bound_search_opENS9_16wrapped_functionINS8_6system6detail7generic6detail18binary_search_lessEbEEEE10hipError_tPvRmT1_T2_T3_mmT4_T5_P12ihipStream_tbEUlRKiE_EESV_SZ_S10_mS11_S14_bEUlT_E_NS1_11comp_targetILNS1_3genE5ELNS1_11target_archE942ELNS1_3gpuE9ELNS1_3repE0EEENS1_30default_config_static_selectorELNS0_4arch9wavefront6targetE1EEEvSY_, .Lfunc_end404-_ZN7rocprim17ROCPRIM_400000_NS6detail17trampoline_kernelINS0_14default_configENS1_27lower_bound_config_selectorIilEEZNS1_14transform_implILb0ES3_S5_N6thrust23THRUST_200600_302600_NS6detail15normal_iteratorINS8_7pointerIiNS8_11hip_rocprim5par_tENS8_11use_defaultESE_EEEENSA_INSB_IlSD_SE_SE_EEEEZNS1_13binary_searchIS3_S5_NSA_INS8_10device_ptrIiEEEESG_SI_NS1_21lower_bound_search_opENS9_16wrapped_functionINS8_6system6detail7generic6detail18binary_search_lessEbEEEE10hipError_tPvRmT1_T2_T3_mmT4_T5_P12ihipStream_tbEUlRKiE_EESV_SZ_S10_mS11_S14_bEUlT_E_NS1_11comp_targetILNS1_3genE5ELNS1_11target_archE942ELNS1_3gpuE9ELNS1_3repE0EEENS1_30default_config_static_selectorELNS0_4arch9wavefront6targetE1EEEvSY_
                                        ; -- End function
	.set _ZN7rocprim17ROCPRIM_400000_NS6detail17trampoline_kernelINS0_14default_configENS1_27lower_bound_config_selectorIilEEZNS1_14transform_implILb0ES3_S5_N6thrust23THRUST_200600_302600_NS6detail15normal_iteratorINS8_7pointerIiNS8_11hip_rocprim5par_tENS8_11use_defaultESE_EEEENSA_INSB_IlSD_SE_SE_EEEEZNS1_13binary_searchIS3_S5_NSA_INS8_10device_ptrIiEEEESG_SI_NS1_21lower_bound_search_opENS9_16wrapped_functionINS8_6system6detail7generic6detail18binary_search_lessEbEEEE10hipError_tPvRmT1_T2_T3_mmT4_T5_P12ihipStream_tbEUlRKiE_EESV_SZ_S10_mS11_S14_bEUlT_E_NS1_11comp_targetILNS1_3genE5ELNS1_11target_archE942ELNS1_3gpuE9ELNS1_3repE0EEENS1_30default_config_static_selectorELNS0_4arch9wavefront6targetE1EEEvSY_.num_vgpr, 0
	.set _ZN7rocprim17ROCPRIM_400000_NS6detail17trampoline_kernelINS0_14default_configENS1_27lower_bound_config_selectorIilEEZNS1_14transform_implILb0ES3_S5_N6thrust23THRUST_200600_302600_NS6detail15normal_iteratorINS8_7pointerIiNS8_11hip_rocprim5par_tENS8_11use_defaultESE_EEEENSA_INSB_IlSD_SE_SE_EEEEZNS1_13binary_searchIS3_S5_NSA_INS8_10device_ptrIiEEEESG_SI_NS1_21lower_bound_search_opENS9_16wrapped_functionINS8_6system6detail7generic6detail18binary_search_lessEbEEEE10hipError_tPvRmT1_T2_T3_mmT4_T5_P12ihipStream_tbEUlRKiE_EESV_SZ_S10_mS11_S14_bEUlT_E_NS1_11comp_targetILNS1_3genE5ELNS1_11target_archE942ELNS1_3gpuE9ELNS1_3repE0EEENS1_30default_config_static_selectorELNS0_4arch9wavefront6targetE1EEEvSY_.num_agpr, 0
	.set _ZN7rocprim17ROCPRIM_400000_NS6detail17trampoline_kernelINS0_14default_configENS1_27lower_bound_config_selectorIilEEZNS1_14transform_implILb0ES3_S5_N6thrust23THRUST_200600_302600_NS6detail15normal_iteratorINS8_7pointerIiNS8_11hip_rocprim5par_tENS8_11use_defaultESE_EEEENSA_INSB_IlSD_SE_SE_EEEEZNS1_13binary_searchIS3_S5_NSA_INS8_10device_ptrIiEEEESG_SI_NS1_21lower_bound_search_opENS9_16wrapped_functionINS8_6system6detail7generic6detail18binary_search_lessEbEEEE10hipError_tPvRmT1_T2_T3_mmT4_T5_P12ihipStream_tbEUlRKiE_EESV_SZ_S10_mS11_S14_bEUlT_E_NS1_11comp_targetILNS1_3genE5ELNS1_11target_archE942ELNS1_3gpuE9ELNS1_3repE0EEENS1_30default_config_static_selectorELNS0_4arch9wavefront6targetE1EEEvSY_.numbered_sgpr, 0
	.set _ZN7rocprim17ROCPRIM_400000_NS6detail17trampoline_kernelINS0_14default_configENS1_27lower_bound_config_selectorIilEEZNS1_14transform_implILb0ES3_S5_N6thrust23THRUST_200600_302600_NS6detail15normal_iteratorINS8_7pointerIiNS8_11hip_rocprim5par_tENS8_11use_defaultESE_EEEENSA_INSB_IlSD_SE_SE_EEEEZNS1_13binary_searchIS3_S5_NSA_INS8_10device_ptrIiEEEESG_SI_NS1_21lower_bound_search_opENS9_16wrapped_functionINS8_6system6detail7generic6detail18binary_search_lessEbEEEE10hipError_tPvRmT1_T2_T3_mmT4_T5_P12ihipStream_tbEUlRKiE_EESV_SZ_S10_mS11_S14_bEUlT_E_NS1_11comp_targetILNS1_3genE5ELNS1_11target_archE942ELNS1_3gpuE9ELNS1_3repE0EEENS1_30default_config_static_selectorELNS0_4arch9wavefront6targetE1EEEvSY_.num_named_barrier, 0
	.set _ZN7rocprim17ROCPRIM_400000_NS6detail17trampoline_kernelINS0_14default_configENS1_27lower_bound_config_selectorIilEEZNS1_14transform_implILb0ES3_S5_N6thrust23THRUST_200600_302600_NS6detail15normal_iteratorINS8_7pointerIiNS8_11hip_rocprim5par_tENS8_11use_defaultESE_EEEENSA_INSB_IlSD_SE_SE_EEEEZNS1_13binary_searchIS3_S5_NSA_INS8_10device_ptrIiEEEESG_SI_NS1_21lower_bound_search_opENS9_16wrapped_functionINS8_6system6detail7generic6detail18binary_search_lessEbEEEE10hipError_tPvRmT1_T2_T3_mmT4_T5_P12ihipStream_tbEUlRKiE_EESV_SZ_S10_mS11_S14_bEUlT_E_NS1_11comp_targetILNS1_3genE5ELNS1_11target_archE942ELNS1_3gpuE9ELNS1_3repE0EEENS1_30default_config_static_selectorELNS0_4arch9wavefront6targetE1EEEvSY_.private_seg_size, 0
	.set _ZN7rocprim17ROCPRIM_400000_NS6detail17trampoline_kernelINS0_14default_configENS1_27lower_bound_config_selectorIilEEZNS1_14transform_implILb0ES3_S5_N6thrust23THRUST_200600_302600_NS6detail15normal_iteratorINS8_7pointerIiNS8_11hip_rocprim5par_tENS8_11use_defaultESE_EEEENSA_INSB_IlSD_SE_SE_EEEEZNS1_13binary_searchIS3_S5_NSA_INS8_10device_ptrIiEEEESG_SI_NS1_21lower_bound_search_opENS9_16wrapped_functionINS8_6system6detail7generic6detail18binary_search_lessEbEEEE10hipError_tPvRmT1_T2_T3_mmT4_T5_P12ihipStream_tbEUlRKiE_EESV_SZ_S10_mS11_S14_bEUlT_E_NS1_11comp_targetILNS1_3genE5ELNS1_11target_archE942ELNS1_3gpuE9ELNS1_3repE0EEENS1_30default_config_static_selectorELNS0_4arch9wavefront6targetE1EEEvSY_.uses_vcc, 0
	.set _ZN7rocprim17ROCPRIM_400000_NS6detail17trampoline_kernelINS0_14default_configENS1_27lower_bound_config_selectorIilEEZNS1_14transform_implILb0ES3_S5_N6thrust23THRUST_200600_302600_NS6detail15normal_iteratorINS8_7pointerIiNS8_11hip_rocprim5par_tENS8_11use_defaultESE_EEEENSA_INSB_IlSD_SE_SE_EEEEZNS1_13binary_searchIS3_S5_NSA_INS8_10device_ptrIiEEEESG_SI_NS1_21lower_bound_search_opENS9_16wrapped_functionINS8_6system6detail7generic6detail18binary_search_lessEbEEEE10hipError_tPvRmT1_T2_T3_mmT4_T5_P12ihipStream_tbEUlRKiE_EESV_SZ_S10_mS11_S14_bEUlT_E_NS1_11comp_targetILNS1_3genE5ELNS1_11target_archE942ELNS1_3gpuE9ELNS1_3repE0EEENS1_30default_config_static_selectorELNS0_4arch9wavefront6targetE1EEEvSY_.uses_flat_scratch, 0
	.set _ZN7rocprim17ROCPRIM_400000_NS6detail17trampoline_kernelINS0_14default_configENS1_27lower_bound_config_selectorIilEEZNS1_14transform_implILb0ES3_S5_N6thrust23THRUST_200600_302600_NS6detail15normal_iteratorINS8_7pointerIiNS8_11hip_rocprim5par_tENS8_11use_defaultESE_EEEENSA_INSB_IlSD_SE_SE_EEEEZNS1_13binary_searchIS3_S5_NSA_INS8_10device_ptrIiEEEESG_SI_NS1_21lower_bound_search_opENS9_16wrapped_functionINS8_6system6detail7generic6detail18binary_search_lessEbEEEE10hipError_tPvRmT1_T2_T3_mmT4_T5_P12ihipStream_tbEUlRKiE_EESV_SZ_S10_mS11_S14_bEUlT_E_NS1_11comp_targetILNS1_3genE5ELNS1_11target_archE942ELNS1_3gpuE9ELNS1_3repE0EEENS1_30default_config_static_selectorELNS0_4arch9wavefront6targetE1EEEvSY_.has_dyn_sized_stack, 0
	.set _ZN7rocprim17ROCPRIM_400000_NS6detail17trampoline_kernelINS0_14default_configENS1_27lower_bound_config_selectorIilEEZNS1_14transform_implILb0ES3_S5_N6thrust23THRUST_200600_302600_NS6detail15normal_iteratorINS8_7pointerIiNS8_11hip_rocprim5par_tENS8_11use_defaultESE_EEEENSA_INSB_IlSD_SE_SE_EEEEZNS1_13binary_searchIS3_S5_NSA_INS8_10device_ptrIiEEEESG_SI_NS1_21lower_bound_search_opENS9_16wrapped_functionINS8_6system6detail7generic6detail18binary_search_lessEbEEEE10hipError_tPvRmT1_T2_T3_mmT4_T5_P12ihipStream_tbEUlRKiE_EESV_SZ_S10_mS11_S14_bEUlT_E_NS1_11comp_targetILNS1_3genE5ELNS1_11target_archE942ELNS1_3gpuE9ELNS1_3repE0EEENS1_30default_config_static_selectorELNS0_4arch9wavefront6targetE1EEEvSY_.has_recursion, 0
	.set _ZN7rocprim17ROCPRIM_400000_NS6detail17trampoline_kernelINS0_14default_configENS1_27lower_bound_config_selectorIilEEZNS1_14transform_implILb0ES3_S5_N6thrust23THRUST_200600_302600_NS6detail15normal_iteratorINS8_7pointerIiNS8_11hip_rocprim5par_tENS8_11use_defaultESE_EEEENSA_INSB_IlSD_SE_SE_EEEEZNS1_13binary_searchIS3_S5_NSA_INS8_10device_ptrIiEEEESG_SI_NS1_21lower_bound_search_opENS9_16wrapped_functionINS8_6system6detail7generic6detail18binary_search_lessEbEEEE10hipError_tPvRmT1_T2_T3_mmT4_T5_P12ihipStream_tbEUlRKiE_EESV_SZ_S10_mS11_S14_bEUlT_E_NS1_11comp_targetILNS1_3genE5ELNS1_11target_archE942ELNS1_3gpuE9ELNS1_3repE0EEENS1_30default_config_static_selectorELNS0_4arch9wavefront6targetE1EEEvSY_.has_indirect_call, 0
	.section	.AMDGPU.csdata,"",@progbits
; Kernel info:
; codeLenInByte = 0
; TotalNumSgprs: 4
; NumVgprs: 0
; ScratchSize: 0
; MemoryBound: 0
; FloatMode: 240
; IeeeMode: 1
; LDSByteSize: 0 bytes/workgroup (compile time only)
; SGPRBlocks: 0
; VGPRBlocks: 0
; NumSGPRsForWavesPerEU: 4
; NumVGPRsForWavesPerEU: 1
; Occupancy: 10
; WaveLimiterHint : 0
; COMPUTE_PGM_RSRC2:SCRATCH_EN: 0
; COMPUTE_PGM_RSRC2:USER_SGPR: 6
; COMPUTE_PGM_RSRC2:TRAP_HANDLER: 0
; COMPUTE_PGM_RSRC2:TGID_X_EN: 1
; COMPUTE_PGM_RSRC2:TGID_Y_EN: 0
; COMPUTE_PGM_RSRC2:TGID_Z_EN: 0
; COMPUTE_PGM_RSRC2:TIDIG_COMP_CNT: 0
	.section	.text._ZN7rocprim17ROCPRIM_400000_NS6detail17trampoline_kernelINS0_14default_configENS1_27lower_bound_config_selectorIilEEZNS1_14transform_implILb0ES3_S5_N6thrust23THRUST_200600_302600_NS6detail15normal_iteratorINS8_7pointerIiNS8_11hip_rocprim5par_tENS8_11use_defaultESE_EEEENSA_INSB_IlSD_SE_SE_EEEEZNS1_13binary_searchIS3_S5_NSA_INS8_10device_ptrIiEEEESG_SI_NS1_21lower_bound_search_opENS9_16wrapped_functionINS8_6system6detail7generic6detail18binary_search_lessEbEEEE10hipError_tPvRmT1_T2_T3_mmT4_T5_P12ihipStream_tbEUlRKiE_EESV_SZ_S10_mS11_S14_bEUlT_E_NS1_11comp_targetILNS1_3genE4ELNS1_11target_archE910ELNS1_3gpuE8ELNS1_3repE0EEENS1_30default_config_static_selectorELNS0_4arch9wavefront6targetE1EEEvSY_,"axG",@progbits,_ZN7rocprim17ROCPRIM_400000_NS6detail17trampoline_kernelINS0_14default_configENS1_27lower_bound_config_selectorIilEEZNS1_14transform_implILb0ES3_S5_N6thrust23THRUST_200600_302600_NS6detail15normal_iteratorINS8_7pointerIiNS8_11hip_rocprim5par_tENS8_11use_defaultESE_EEEENSA_INSB_IlSD_SE_SE_EEEEZNS1_13binary_searchIS3_S5_NSA_INS8_10device_ptrIiEEEESG_SI_NS1_21lower_bound_search_opENS9_16wrapped_functionINS8_6system6detail7generic6detail18binary_search_lessEbEEEE10hipError_tPvRmT1_T2_T3_mmT4_T5_P12ihipStream_tbEUlRKiE_EESV_SZ_S10_mS11_S14_bEUlT_E_NS1_11comp_targetILNS1_3genE4ELNS1_11target_archE910ELNS1_3gpuE8ELNS1_3repE0EEENS1_30default_config_static_selectorELNS0_4arch9wavefront6targetE1EEEvSY_,comdat
	.protected	_ZN7rocprim17ROCPRIM_400000_NS6detail17trampoline_kernelINS0_14default_configENS1_27lower_bound_config_selectorIilEEZNS1_14transform_implILb0ES3_S5_N6thrust23THRUST_200600_302600_NS6detail15normal_iteratorINS8_7pointerIiNS8_11hip_rocprim5par_tENS8_11use_defaultESE_EEEENSA_INSB_IlSD_SE_SE_EEEEZNS1_13binary_searchIS3_S5_NSA_INS8_10device_ptrIiEEEESG_SI_NS1_21lower_bound_search_opENS9_16wrapped_functionINS8_6system6detail7generic6detail18binary_search_lessEbEEEE10hipError_tPvRmT1_T2_T3_mmT4_T5_P12ihipStream_tbEUlRKiE_EESV_SZ_S10_mS11_S14_bEUlT_E_NS1_11comp_targetILNS1_3genE4ELNS1_11target_archE910ELNS1_3gpuE8ELNS1_3repE0EEENS1_30default_config_static_selectorELNS0_4arch9wavefront6targetE1EEEvSY_ ; -- Begin function _ZN7rocprim17ROCPRIM_400000_NS6detail17trampoline_kernelINS0_14default_configENS1_27lower_bound_config_selectorIilEEZNS1_14transform_implILb0ES3_S5_N6thrust23THRUST_200600_302600_NS6detail15normal_iteratorINS8_7pointerIiNS8_11hip_rocprim5par_tENS8_11use_defaultESE_EEEENSA_INSB_IlSD_SE_SE_EEEEZNS1_13binary_searchIS3_S5_NSA_INS8_10device_ptrIiEEEESG_SI_NS1_21lower_bound_search_opENS9_16wrapped_functionINS8_6system6detail7generic6detail18binary_search_lessEbEEEE10hipError_tPvRmT1_T2_T3_mmT4_T5_P12ihipStream_tbEUlRKiE_EESV_SZ_S10_mS11_S14_bEUlT_E_NS1_11comp_targetILNS1_3genE4ELNS1_11target_archE910ELNS1_3gpuE8ELNS1_3repE0EEENS1_30default_config_static_selectorELNS0_4arch9wavefront6targetE1EEEvSY_
	.globl	_ZN7rocprim17ROCPRIM_400000_NS6detail17trampoline_kernelINS0_14default_configENS1_27lower_bound_config_selectorIilEEZNS1_14transform_implILb0ES3_S5_N6thrust23THRUST_200600_302600_NS6detail15normal_iteratorINS8_7pointerIiNS8_11hip_rocprim5par_tENS8_11use_defaultESE_EEEENSA_INSB_IlSD_SE_SE_EEEEZNS1_13binary_searchIS3_S5_NSA_INS8_10device_ptrIiEEEESG_SI_NS1_21lower_bound_search_opENS9_16wrapped_functionINS8_6system6detail7generic6detail18binary_search_lessEbEEEE10hipError_tPvRmT1_T2_T3_mmT4_T5_P12ihipStream_tbEUlRKiE_EESV_SZ_S10_mS11_S14_bEUlT_E_NS1_11comp_targetILNS1_3genE4ELNS1_11target_archE910ELNS1_3gpuE8ELNS1_3repE0EEENS1_30default_config_static_selectorELNS0_4arch9wavefront6targetE1EEEvSY_
	.p2align	8
	.type	_ZN7rocprim17ROCPRIM_400000_NS6detail17trampoline_kernelINS0_14default_configENS1_27lower_bound_config_selectorIilEEZNS1_14transform_implILb0ES3_S5_N6thrust23THRUST_200600_302600_NS6detail15normal_iteratorINS8_7pointerIiNS8_11hip_rocprim5par_tENS8_11use_defaultESE_EEEENSA_INSB_IlSD_SE_SE_EEEEZNS1_13binary_searchIS3_S5_NSA_INS8_10device_ptrIiEEEESG_SI_NS1_21lower_bound_search_opENS9_16wrapped_functionINS8_6system6detail7generic6detail18binary_search_lessEbEEEE10hipError_tPvRmT1_T2_T3_mmT4_T5_P12ihipStream_tbEUlRKiE_EESV_SZ_S10_mS11_S14_bEUlT_E_NS1_11comp_targetILNS1_3genE4ELNS1_11target_archE910ELNS1_3gpuE8ELNS1_3repE0EEENS1_30default_config_static_selectorELNS0_4arch9wavefront6targetE1EEEvSY_,@function
_ZN7rocprim17ROCPRIM_400000_NS6detail17trampoline_kernelINS0_14default_configENS1_27lower_bound_config_selectorIilEEZNS1_14transform_implILb0ES3_S5_N6thrust23THRUST_200600_302600_NS6detail15normal_iteratorINS8_7pointerIiNS8_11hip_rocprim5par_tENS8_11use_defaultESE_EEEENSA_INSB_IlSD_SE_SE_EEEEZNS1_13binary_searchIS3_S5_NSA_INS8_10device_ptrIiEEEESG_SI_NS1_21lower_bound_search_opENS9_16wrapped_functionINS8_6system6detail7generic6detail18binary_search_lessEbEEEE10hipError_tPvRmT1_T2_T3_mmT4_T5_P12ihipStream_tbEUlRKiE_EESV_SZ_S10_mS11_S14_bEUlT_E_NS1_11comp_targetILNS1_3genE4ELNS1_11target_archE910ELNS1_3gpuE8ELNS1_3repE0EEENS1_30default_config_static_selectorELNS0_4arch9wavefront6targetE1EEEvSY_: ; @_ZN7rocprim17ROCPRIM_400000_NS6detail17trampoline_kernelINS0_14default_configENS1_27lower_bound_config_selectorIilEEZNS1_14transform_implILb0ES3_S5_N6thrust23THRUST_200600_302600_NS6detail15normal_iteratorINS8_7pointerIiNS8_11hip_rocprim5par_tENS8_11use_defaultESE_EEEENSA_INSB_IlSD_SE_SE_EEEEZNS1_13binary_searchIS3_S5_NSA_INS8_10device_ptrIiEEEESG_SI_NS1_21lower_bound_search_opENS9_16wrapped_functionINS8_6system6detail7generic6detail18binary_search_lessEbEEEE10hipError_tPvRmT1_T2_T3_mmT4_T5_P12ihipStream_tbEUlRKiE_EESV_SZ_S10_mS11_S14_bEUlT_E_NS1_11comp_targetILNS1_3genE4ELNS1_11target_archE910ELNS1_3gpuE8ELNS1_3repE0EEENS1_30default_config_static_selectorELNS0_4arch9wavefront6targetE1EEEvSY_
; %bb.0:
	.section	.rodata,"a",@progbits
	.p2align	6, 0x0
	.amdhsa_kernel _ZN7rocprim17ROCPRIM_400000_NS6detail17trampoline_kernelINS0_14default_configENS1_27lower_bound_config_selectorIilEEZNS1_14transform_implILb0ES3_S5_N6thrust23THRUST_200600_302600_NS6detail15normal_iteratorINS8_7pointerIiNS8_11hip_rocprim5par_tENS8_11use_defaultESE_EEEENSA_INSB_IlSD_SE_SE_EEEEZNS1_13binary_searchIS3_S5_NSA_INS8_10device_ptrIiEEEESG_SI_NS1_21lower_bound_search_opENS9_16wrapped_functionINS8_6system6detail7generic6detail18binary_search_lessEbEEEE10hipError_tPvRmT1_T2_T3_mmT4_T5_P12ihipStream_tbEUlRKiE_EESV_SZ_S10_mS11_S14_bEUlT_E_NS1_11comp_targetILNS1_3genE4ELNS1_11target_archE910ELNS1_3gpuE8ELNS1_3repE0EEENS1_30default_config_static_selectorELNS0_4arch9wavefront6targetE1EEEvSY_
		.amdhsa_group_segment_fixed_size 0
		.amdhsa_private_segment_fixed_size 0
		.amdhsa_kernarg_size 56
		.amdhsa_user_sgpr_count 6
		.amdhsa_user_sgpr_private_segment_buffer 1
		.amdhsa_user_sgpr_dispatch_ptr 0
		.amdhsa_user_sgpr_queue_ptr 0
		.amdhsa_user_sgpr_kernarg_segment_ptr 1
		.amdhsa_user_sgpr_dispatch_id 0
		.amdhsa_user_sgpr_flat_scratch_init 0
		.amdhsa_user_sgpr_private_segment_size 0
		.amdhsa_uses_dynamic_stack 0
		.amdhsa_system_sgpr_private_segment_wavefront_offset 0
		.amdhsa_system_sgpr_workgroup_id_x 1
		.amdhsa_system_sgpr_workgroup_id_y 0
		.amdhsa_system_sgpr_workgroup_id_z 0
		.amdhsa_system_sgpr_workgroup_info 0
		.amdhsa_system_vgpr_workitem_id 0
		.amdhsa_next_free_vgpr 1
		.amdhsa_next_free_sgpr 0
		.amdhsa_reserve_vcc 0
		.amdhsa_reserve_flat_scratch 0
		.amdhsa_float_round_mode_32 0
		.amdhsa_float_round_mode_16_64 0
		.amdhsa_float_denorm_mode_32 3
		.amdhsa_float_denorm_mode_16_64 3
		.amdhsa_dx10_clamp 1
		.amdhsa_ieee_mode 1
		.amdhsa_fp16_overflow 0
		.amdhsa_exception_fp_ieee_invalid_op 0
		.amdhsa_exception_fp_denorm_src 0
		.amdhsa_exception_fp_ieee_div_zero 0
		.amdhsa_exception_fp_ieee_overflow 0
		.amdhsa_exception_fp_ieee_underflow 0
		.amdhsa_exception_fp_ieee_inexact 0
		.amdhsa_exception_int_div_zero 0
	.end_amdhsa_kernel
	.section	.text._ZN7rocprim17ROCPRIM_400000_NS6detail17trampoline_kernelINS0_14default_configENS1_27lower_bound_config_selectorIilEEZNS1_14transform_implILb0ES3_S5_N6thrust23THRUST_200600_302600_NS6detail15normal_iteratorINS8_7pointerIiNS8_11hip_rocprim5par_tENS8_11use_defaultESE_EEEENSA_INSB_IlSD_SE_SE_EEEEZNS1_13binary_searchIS3_S5_NSA_INS8_10device_ptrIiEEEESG_SI_NS1_21lower_bound_search_opENS9_16wrapped_functionINS8_6system6detail7generic6detail18binary_search_lessEbEEEE10hipError_tPvRmT1_T2_T3_mmT4_T5_P12ihipStream_tbEUlRKiE_EESV_SZ_S10_mS11_S14_bEUlT_E_NS1_11comp_targetILNS1_3genE4ELNS1_11target_archE910ELNS1_3gpuE8ELNS1_3repE0EEENS1_30default_config_static_selectorELNS0_4arch9wavefront6targetE1EEEvSY_,"axG",@progbits,_ZN7rocprim17ROCPRIM_400000_NS6detail17trampoline_kernelINS0_14default_configENS1_27lower_bound_config_selectorIilEEZNS1_14transform_implILb0ES3_S5_N6thrust23THRUST_200600_302600_NS6detail15normal_iteratorINS8_7pointerIiNS8_11hip_rocprim5par_tENS8_11use_defaultESE_EEEENSA_INSB_IlSD_SE_SE_EEEEZNS1_13binary_searchIS3_S5_NSA_INS8_10device_ptrIiEEEESG_SI_NS1_21lower_bound_search_opENS9_16wrapped_functionINS8_6system6detail7generic6detail18binary_search_lessEbEEEE10hipError_tPvRmT1_T2_T3_mmT4_T5_P12ihipStream_tbEUlRKiE_EESV_SZ_S10_mS11_S14_bEUlT_E_NS1_11comp_targetILNS1_3genE4ELNS1_11target_archE910ELNS1_3gpuE8ELNS1_3repE0EEENS1_30default_config_static_selectorELNS0_4arch9wavefront6targetE1EEEvSY_,comdat
.Lfunc_end405:
	.size	_ZN7rocprim17ROCPRIM_400000_NS6detail17trampoline_kernelINS0_14default_configENS1_27lower_bound_config_selectorIilEEZNS1_14transform_implILb0ES3_S5_N6thrust23THRUST_200600_302600_NS6detail15normal_iteratorINS8_7pointerIiNS8_11hip_rocprim5par_tENS8_11use_defaultESE_EEEENSA_INSB_IlSD_SE_SE_EEEEZNS1_13binary_searchIS3_S5_NSA_INS8_10device_ptrIiEEEESG_SI_NS1_21lower_bound_search_opENS9_16wrapped_functionINS8_6system6detail7generic6detail18binary_search_lessEbEEEE10hipError_tPvRmT1_T2_T3_mmT4_T5_P12ihipStream_tbEUlRKiE_EESV_SZ_S10_mS11_S14_bEUlT_E_NS1_11comp_targetILNS1_3genE4ELNS1_11target_archE910ELNS1_3gpuE8ELNS1_3repE0EEENS1_30default_config_static_selectorELNS0_4arch9wavefront6targetE1EEEvSY_, .Lfunc_end405-_ZN7rocprim17ROCPRIM_400000_NS6detail17trampoline_kernelINS0_14default_configENS1_27lower_bound_config_selectorIilEEZNS1_14transform_implILb0ES3_S5_N6thrust23THRUST_200600_302600_NS6detail15normal_iteratorINS8_7pointerIiNS8_11hip_rocprim5par_tENS8_11use_defaultESE_EEEENSA_INSB_IlSD_SE_SE_EEEEZNS1_13binary_searchIS3_S5_NSA_INS8_10device_ptrIiEEEESG_SI_NS1_21lower_bound_search_opENS9_16wrapped_functionINS8_6system6detail7generic6detail18binary_search_lessEbEEEE10hipError_tPvRmT1_T2_T3_mmT4_T5_P12ihipStream_tbEUlRKiE_EESV_SZ_S10_mS11_S14_bEUlT_E_NS1_11comp_targetILNS1_3genE4ELNS1_11target_archE910ELNS1_3gpuE8ELNS1_3repE0EEENS1_30default_config_static_selectorELNS0_4arch9wavefront6targetE1EEEvSY_
                                        ; -- End function
	.set _ZN7rocprim17ROCPRIM_400000_NS6detail17trampoline_kernelINS0_14default_configENS1_27lower_bound_config_selectorIilEEZNS1_14transform_implILb0ES3_S5_N6thrust23THRUST_200600_302600_NS6detail15normal_iteratorINS8_7pointerIiNS8_11hip_rocprim5par_tENS8_11use_defaultESE_EEEENSA_INSB_IlSD_SE_SE_EEEEZNS1_13binary_searchIS3_S5_NSA_INS8_10device_ptrIiEEEESG_SI_NS1_21lower_bound_search_opENS9_16wrapped_functionINS8_6system6detail7generic6detail18binary_search_lessEbEEEE10hipError_tPvRmT1_T2_T3_mmT4_T5_P12ihipStream_tbEUlRKiE_EESV_SZ_S10_mS11_S14_bEUlT_E_NS1_11comp_targetILNS1_3genE4ELNS1_11target_archE910ELNS1_3gpuE8ELNS1_3repE0EEENS1_30default_config_static_selectorELNS0_4arch9wavefront6targetE1EEEvSY_.num_vgpr, 0
	.set _ZN7rocprim17ROCPRIM_400000_NS6detail17trampoline_kernelINS0_14default_configENS1_27lower_bound_config_selectorIilEEZNS1_14transform_implILb0ES3_S5_N6thrust23THRUST_200600_302600_NS6detail15normal_iteratorINS8_7pointerIiNS8_11hip_rocprim5par_tENS8_11use_defaultESE_EEEENSA_INSB_IlSD_SE_SE_EEEEZNS1_13binary_searchIS3_S5_NSA_INS8_10device_ptrIiEEEESG_SI_NS1_21lower_bound_search_opENS9_16wrapped_functionINS8_6system6detail7generic6detail18binary_search_lessEbEEEE10hipError_tPvRmT1_T2_T3_mmT4_T5_P12ihipStream_tbEUlRKiE_EESV_SZ_S10_mS11_S14_bEUlT_E_NS1_11comp_targetILNS1_3genE4ELNS1_11target_archE910ELNS1_3gpuE8ELNS1_3repE0EEENS1_30default_config_static_selectorELNS0_4arch9wavefront6targetE1EEEvSY_.num_agpr, 0
	.set _ZN7rocprim17ROCPRIM_400000_NS6detail17trampoline_kernelINS0_14default_configENS1_27lower_bound_config_selectorIilEEZNS1_14transform_implILb0ES3_S5_N6thrust23THRUST_200600_302600_NS6detail15normal_iteratorINS8_7pointerIiNS8_11hip_rocprim5par_tENS8_11use_defaultESE_EEEENSA_INSB_IlSD_SE_SE_EEEEZNS1_13binary_searchIS3_S5_NSA_INS8_10device_ptrIiEEEESG_SI_NS1_21lower_bound_search_opENS9_16wrapped_functionINS8_6system6detail7generic6detail18binary_search_lessEbEEEE10hipError_tPvRmT1_T2_T3_mmT4_T5_P12ihipStream_tbEUlRKiE_EESV_SZ_S10_mS11_S14_bEUlT_E_NS1_11comp_targetILNS1_3genE4ELNS1_11target_archE910ELNS1_3gpuE8ELNS1_3repE0EEENS1_30default_config_static_selectorELNS0_4arch9wavefront6targetE1EEEvSY_.numbered_sgpr, 0
	.set _ZN7rocprim17ROCPRIM_400000_NS6detail17trampoline_kernelINS0_14default_configENS1_27lower_bound_config_selectorIilEEZNS1_14transform_implILb0ES3_S5_N6thrust23THRUST_200600_302600_NS6detail15normal_iteratorINS8_7pointerIiNS8_11hip_rocprim5par_tENS8_11use_defaultESE_EEEENSA_INSB_IlSD_SE_SE_EEEEZNS1_13binary_searchIS3_S5_NSA_INS8_10device_ptrIiEEEESG_SI_NS1_21lower_bound_search_opENS9_16wrapped_functionINS8_6system6detail7generic6detail18binary_search_lessEbEEEE10hipError_tPvRmT1_T2_T3_mmT4_T5_P12ihipStream_tbEUlRKiE_EESV_SZ_S10_mS11_S14_bEUlT_E_NS1_11comp_targetILNS1_3genE4ELNS1_11target_archE910ELNS1_3gpuE8ELNS1_3repE0EEENS1_30default_config_static_selectorELNS0_4arch9wavefront6targetE1EEEvSY_.num_named_barrier, 0
	.set _ZN7rocprim17ROCPRIM_400000_NS6detail17trampoline_kernelINS0_14default_configENS1_27lower_bound_config_selectorIilEEZNS1_14transform_implILb0ES3_S5_N6thrust23THRUST_200600_302600_NS6detail15normal_iteratorINS8_7pointerIiNS8_11hip_rocprim5par_tENS8_11use_defaultESE_EEEENSA_INSB_IlSD_SE_SE_EEEEZNS1_13binary_searchIS3_S5_NSA_INS8_10device_ptrIiEEEESG_SI_NS1_21lower_bound_search_opENS9_16wrapped_functionINS8_6system6detail7generic6detail18binary_search_lessEbEEEE10hipError_tPvRmT1_T2_T3_mmT4_T5_P12ihipStream_tbEUlRKiE_EESV_SZ_S10_mS11_S14_bEUlT_E_NS1_11comp_targetILNS1_3genE4ELNS1_11target_archE910ELNS1_3gpuE8ELNS1_3repE0EEENS1_30default_config_static_selectorELNS0_4arch9wavefront6targetE1EEEvSY_.private_seg_size, 0
	.set _ZN7rocprim17ROCPRIM_400000_NS6detail17trampoline_kernelINS0_14default_configENS1_27lower_bound_config_selectorIilEEZNS1_14transform_implILb0ES3_S5_N6thrust23THRUST_200600_302600_NS6detail15normal_iteratorINS8_7pointerIiNS8_11hip_rocprim5par_tENS8_11use_defaultESE_EEEENSA_INSB_IlSD_SE_SE_EEEEZNS1_13binary_searchIS3_S5_NSA_INS8_10device_ptrIiEEEESG_SI_NS1_21lower_bound_search_opENS9_16wrapped_functionINS8_6system6detail7generic6detail18binary_search_lessEbEEEE10hipError_tPvRmT1_T2_T3_mmT4_T5_P12ihipStream_tbEUlRKiE_EESV_SZ_S10_mS11_S14_bEUlT_E_NS1_11comp_targetILNS1_3genE4ELNS1_11target_archE910ELNS1_3gpuE8ELNS1_3repE0EEENS1_30default_config_static_selectorELNS0_4arch9wavefront6targetE1EEEvSY_.uses_vcc, 0
	.set _ZN7rocprim17ROCPRIM_400000_NS6detail17trampoline_kernelINS0_14default_configENS1_27lower_bound_config_selectorIilEEZNS1_14transform_implILb0ES3_S5_N6thrust23THRUST_200600_302600_NS6detail15normal_iteratorINS8_7pointerIiNS8_11hip_rocprim5par_tENS8_11use_defaultESE_EEEENSA_INSB_IlSD_SE_SE_EEEEZNS1_13binary_searchIS3_S5_NSA_INS8_10device_ptrIiEEEESG_SI_NS1_21lower_bound_search_opENS9_16wrapped_functionINS8_6system6detail7generic6detail18binary_search_lessEbEEEE10hipError_tPvRmT1_T2_T3_mmT4_T5_P12ihipStream_tbEUlRKiE_EESV_SZ_S10_mS11_S14_bEUlT_E_NS1_11comp_targetILNS1_3genE4ELNS1_11target_archE910ELNS1_3gpuE8ELNS1_3repE0EEENS1_30default_config_static_selectorELNS0_4arch9wavefront6targetE1EEEvSY_.uses_flat_scratch, 0
	.set _ZN7rocprim17ROCPRIM_400000_NS6detail17trampoline_kernelINS0_14default_configENS1_27lower_bound_config_selectorIilEEZNS1_14transform_implILb0ES3_S5_N6thrust23THRUST_200600_302600_NS6detail15normal_iteratorINS8_7pointerIiNS8_11hip_rocprim5par_tENS8_11use_defaultESE_EEEENSA_INSB_IlSD_SE_SE_EEEEZNS1_13binary_searchIS3_S5_NSA_INS8_10device_ptrIiEEEESG_SI_NS1_21lower_bound_search_opENS9_16wrapped_functionINS8_6system6detail7generic6detail18binary_search_lessEbEEEE10hipError_tPvRmT1_T2_T3_mmT4_T5_P12ihipStream_tbEUlRKiE_EESV_SZ_S10_mS11_S14_bEUlT_E_NS1_11comp_targetILNS1_3genE4ELNS1_11target_archE910ELNS1_3gpuE8ELNS1_3repE0EEENS1_30default_config_static_selectorELNS0_4arch9wavefront6targetE1EEEvSY_.has_dyn_sized_stack, 0
	.set _ZN7rocprim17ROCPRIM_400000_NS6detail17trampoline_kernelINS0_14default_configENS1_27lower_bound_config_selectorIilEEZNS1_14transform_implILb0ES3_S5_N6thrust23THRUST_200600_302600_NS6detail15normal_iteratorINS8_7pointerIiNS8_11hip_rocprim5par_tENS8_11use_defaultESE_EEEENSA_INSB_IlSD_SE_SE_EEEEZNS1_13binary_searchIS3_S5_NSA_INS8_10device_ptrIiEEEESG_SI_NS1_21lower_bound_search_opENS9_16wrapped_functionINS8_6system6detail7generic6detail18binary_search_lessEbEEEE10hipError_tPvRmT1_T2_T3_mmT4_T5_P12ihipStream_tbEUlRKiE_EESV_SZ_S10_mS11_S14_bEUlT_E_NS1_11comp_targetILNS1_3genE4ELNS1_11target_archE910ELNS1_3gpuE8ELNS1_3repE0EEENS1_30default_config_static_selectorELNS0_4arch9wavefront6targetE1EEEvSY_.has_recursion, 0
	.set _ZN7rocprim17ROCPRIM_400000_NS6detail17trampoline_kernelINS0_14default_configENS1_27lower_bound_config_selectorIilEEZNS1_14transform_implILb0ES3_S5_N6thrust23THRUST_200600_302600_NS6detail15normal_iteratorINS8_7pointerIiNS8_11hip_rocprim5par_tENS8_11use_defaultESE_EEEENSA_INSB_IlSD_SE_SE_EEEEZNS1_13binary_searchIS3_S5_NSA_INS8_10device_ptrIiEEEESG_SI_NS1_21lower_bound_search_opENS9_16wrapped_functionINS8_6system6detail7generic6detail18binary_search_lessEbEEEE10hipError_tPvRmT1_T2_T3_mmT4_T5_P12ihipStream_tbEUlRKiE_EESV_SZ_S10_mS11_S14_bEUlT_E_NS1_11comp_targetILNS1_3genE4ELNS1_11target_archE910ELNS1_3gpuE8ELNS1_3repE0EEENS1_30default_config_static_selectorELNS0_4arch9wavefront6targetE1EEEvSY_.has_indirect_call, 0
	.section	.AMDGPU.csdata,"",@progbits
; Kernel info:
; codeLenInByte = 0
; TotalNumSgprs: 4
; NumVgprs: 0
; ScratchSize: 0
; MemoryBound: 0
; FloatMode: 240
; IeeeMode: 1
; LDSByteSize: 0 bytes/workgroup (compile time only)
; SGPRBlocks: 0
; VGPRBlocks: 0
; NumSGPRsForWavesPerEU: 4
; NumVGPRsForWavesPerEU: 1
; Occupancy: 10
; WaveLimiterHint : 0
; COMPUTE_PGM_RSRC2:SCRATCH_EN: 0
; COMPUTE_PGM_RSRC2:USER_SGPR: 6
; COMPUTE_PGM_RSRC2:TRAP_HANDLER: 0
; COMPUTE_PGM_RSRC2:TGID_X_EN: 1
; COMPUTE_PGM_RSRC2:TGID_Y_EN: 0
; COMPUTE_PGM_RSRC2:TGID_Z_EN: 0
; COMPUTE_PGM_RSRC2:TIDIG_COMP_CNT: 0
	.section	.text._ZN7rocprim17ROCPRIM_400000_NS6detail17trampoline_kernelINS0_14default_configENS1_27lower_bound_config_selectorIilEEZNS1_14transform_implILb0ES3_S5_N6thrust23THRUST_200600_302600_NS6detail15normal_iteratorINS8_7pointerIiNS8_11hip_rocprim5par_tENS8_11use_defaultESE_EEEENSA_INSB_IlSD_SE_SE_EEEEZNS1_13binary_searchIS3_S5_NSA_INS8_10device_ptrIiEEEESG_SI_NS1_21lower_bound_search_opENS9_16wrapped_functionINS8_6system6detail7generic6detail18binary_search_lessEbEEEE10hipError_tPvRmT1_T2_T3_mmT4_T5_P12ihipStream_tbEUlRKiE_EESV_SZ_S10_mS11_S14_bEUlT_E_NS1_11comp_targetILNS1_3genE3ELNS1_11target_archE908ELNS1_3gpuE7ELNS1_3repE0EEENS1_30default_config_static_selectorELNS0_4arch9wavefront6targetE1EEEvSY_,"axG",@progbits,_ZN7rocprim17ROCPRIM_400000_NS6detail17trampoline_kernelINS0_14default_configENS1_27lower_bound_config_selectorIilEEZNS1_14transform_implILb0ES3_S5_N6thrust23THRUST_200600_302600_NS6detail15normal_iteratorINS8_7pointerIiNS8_11hip_rocprim5par_tENS8_11use_defaultESE_EEEENSA_INSB_IlSD_SE_SE_EEEEZNS1_13binary_searchIS3_S5_NSA_INS8_10device_ptrIiEEEESG_SI_NS1_21lower_bound_search_opENS9_16wrapped_functionINS8_6system6detail7generic6detail18binary_search_lessEbEEEE10hipError_tPvRmT1_T2_T3_mmT4_T5_P12ihipStream_tbEUlRKiE_EESV_SZ_S10_mS11_S14_bEUlT_E_NS1_11comp_targetILNS1_3genE3ELNS1_11target_archE908ELNS1_3gpuE7ELNS1_3repE0EEENS1_30default_config_static_selectorELNS0_4arch9wavefront6targetE1EEEvSY_,comdat
	.protected	_ZN7rocprim17ROCPRIM_400000_NS6detail17trampoline_kernelINS0_14default_configENS1_27lower_bound_config_selectorIilEEZNS1_14transform_implILb0ES3_S5_N6thrust23THRUST_200600_302600_NS6detail15normal_iteratorINS8_7pointerIiNS8_11hip_rocprim5par_tENS8_11use_defaultESE_EEEENSA_INSB_IlSD_SE_SE_EEEEZNS1_13binary_searchIS3_S5_NSA_INS8_10device_ptrIiEEEESG_SI_NS1_21lower_bound_search_opENS9_16wrapped_functionINS8_6system6detail7generic6detail18binary_search_lessEbEEEE10hipError_tPvRmT1_T2_T3_mmT4_T5_P12ihipStream_tbEUlRKiE_EESV_SZ_S10_mS11_S14_bEUlT_E_NS1_11comp_targetILNS1_3genE3ELNS1_11target_archE908ELNS1_3gpuE7ELNS1_3repE0EEENS1_30default_config_static_selectorELNS0_4arch9wavefront6targetE1EEEvSY_ ; -- Begin function _ZN7rocprim17ROCPRIM_400000_NS6detail17trampoline_kernelINS0_14default_configENS1_27lower_bound_config_selectorIilEEZNS1_14transform_implILb0ES3_S5_N6thrust23THRUST_200600_302600_NS6detail15normal_iteratorINS8_7pointerIiNS8_11hip_rocprim5par_tENS8_11use_defaultESE_EEEENSA_INSB_IlSD_SE_SE_EEEEZNS1_13binary_searchIS3_S5_NSA_INS8_10device_ptrIiEEEESG_SI_NS1_21lower_bound_search_opENS9_16wrapped_functionINS8_6system6detail7generic6detail18binary_search_lessEbEEEE10hipError_tPvRmT1_T2_T3_mmT4_T5_P12ihipStream_tbEUlRKiE_EESV_SZ_S10_mS11_S14_bEUlT_E_NS1_11comp_targetILNS1_3genE3ELNS1_11target_archE908ELNS1_3gpuE7ELNS1_3repE0EEENS1_30default_config_static_selectorELNS0_4arch9wavefront6targetE1EEEvSY_
	.globl	_ZN7rocprim17ROCPRIM_400000_NS6detail17trampoline_kernelINS0_14default_configENS1_27lower_bound_config_selectorIilEEZNS1_14transform_implILb0ES3_S5_N6thrust23THRUST_200600_302600_NS6detail15normal_iteratorINS8_7pointerIiNS8_11hip_rocprim5par_tENS8_11use_defaultESE_EEEENSA_INSB_IlSD_SE_SE_EEEEZNS1_13binary_searchIS3_S5_NSA_INS8_10device_ptrIiEEEESG_SI_NS1_21lower_bound_search_opENS9_16wrapped_functionINS8_6system6detail7generic6detail18binary_search_lessEbEEEE10hipError_tPvRmT1_T2_T3_mmT4_T5_P12ihipStream_tbEUlRKiE_EESV_SZ_S10_mS11_S14_bEUlT_E_NS1_11comp_targetILNS1_3genE3ELNS1_11target_archE908ELNS1_3gpuE7ELNS1_3repE0EEENS1_30default_config_static_selectorELNS0_4arch9wavefront6targetE1EEEvSY_
	.p2align	8
	.type	_ZN7rocprim17ROCPRIM_400000_NS6detail17trampoline_kernelINS0_14default_configENS1_27lower_bound_config_selectorIilEEZNS1_14transform_implILb0ES3_S5_N6thrust23THRUST_200600_302600_NS6detail15normal_iteratorINS8_7pointerIiNS8_11hip_rocprim5par_tENS8_11use_defaultESE_EEEENSA_INSB_IlSD_SE_SE_EEEEZNS1_13binary_searchIS3_S5_NSA_INS8_10device_ptrIiEEEESG_SI_NS1_21lower_bound_search_opENS9_16wrapped_functionINS8_6system6detail7generic6detail18binary_search_lessEbEEEE10hipError_tPvRmT1_T2_T3_mmT4_T5_P12ihipStream_tbEUlRKiE_EESV_SZ_S10_mS11_S14_bEUlT_E_NS1_11comp_targetILNS1_3genE3ELNS1_11target_archE908ELNS1_3gpuE7ELNS1_3repE0EEENS1_30default_config_static_selectorELNS0_4arch9wavefront6targetE1EEEvSY_,@function
_ZN7rocprim17ROCPRIM_400000_NS6detail17trampoline_kernelINS0_14default_configENS1_27lower_bound_config_selectorIilEEZNS1_14transform_implILb0ES3_S5_N6thrust23THRUST_200600_302600_NS6detail15normal_iteratorINS8_7pointerIiNS8_11hip_rocprim5par_tENS8_11use_defaultESE_EEEENSA_INSB_IlSD_SE_SE_EEEEZNS1_13binary_searchIS3_S5_NSA_INS8_10device_ptrIiEEEESG_SI_NS1_21lower_bound_search_opENS9_16wrapped_functionINS8_6system6detail7generic6detail18binary_search_lessEbEEEE10hipError_tPvRmT1_T2_T3_mmT4_T5_P12ihipStream_tbEUlRKiE_EESV_SZ_S10_mS11_S14_bEUlT_E_NS1_11comp_targetILNS1_3genE3ELNS1_11target_archE908ELNS1_3gpuE7ELNS1_3repE0EEENS1_30default_config_static_selectorELNS0_4arch9wavefront6targetE1EEEvSY_: ; @_ZN7rocprim17ROCPRIM_400000_NS6detail17trampoline_kernelINS0_14default_configENS1_27lower_bound_config_selectorIilEEZNS1_14transform_implILb0ES3_S5_N6thrust23THRUST_200600_302600_NS6detail15normal_iteratorINS8_7pointerIiNS8_11hip_rocprim5par_tENS8_11use_defaultESE_EEEENSA_INSB_IlSD_SE_SE_EEEEZNS1_13binary_searchIS3_S5_NSA_INS8_10device_ptrIiEEEESG_SI_NS1_21lower_bound_search_opENS9_16wrapped_functionINS8_6system6detail7generic6detail18binary_search_lessEbEEEE10hipError_tPvRmT1_T2_T3_mmT4_T5_P12ihipStream_tbEUlRKiE_EESV_SZ_S10_mS11_S14_bEUlT_E_NS1_11comp_targetILNS1_3genE3ELNS1_11target_archE908ELNS1_3gpuE7ELNS1_3repE0EEENS1_30default_config_static_selectorELNS0_4arch9wavefront6targetE1EEEvSY_
; %bb.0:
	.section	.rodata,"a",@progbits
	.p2align	6, 0x0
	.amdhsa_kernel _ZN7rocprim17ROCPRIM_400000_NS6detail17trampoline_kernelINS0_14default_configENS1_27lower_bound_config_selectorIilEEZNS1_14transform_implILb0ES3_S5_N6thrust23THRUST_200600_302600_NS6detail15normal_iteratorINS8_7pointerIiNS8_11hip_rocprim5par_tENS8_11use_defaultESE_EEEENSA_INSB_IlSD_SE_SE_EEEEZNS1_13binary_searchIS3_S5_NSA_INS8_10device_ptrIiEEEESG_SI_NS1_21lower_bound_search_opENS9_16wrapped_functionINS8_6system6detail7generic6detail18binary_search_lessEbEEEE10hipError_tPvRmT1_T2_T3_mmT4_T5_P12ihipStream_tbEUlRKiE_EESV_SZ_S10_mS11_S14_bEUlT_E_NS1_11comp_targetILNS1_3genE3ELNS1_11target_archE908ELNS1_3gpuE7ELNS1_3repE0EEENS1_30default_config_static_selectorELNS0_4arch9wavefront6targetE1EEEvSY_
		.amdhsa_group_segment_fixed_size 0
		.amdhsa_private_segment_fixed_size 0
		.amdhsa_kernarg_size 56
		.amdhsa_user_sgpr_count 6
		.amdhsa_user_sgpr_private_segment_buffer 1
		.amdhsa_user_sgpr_dispatch_ptr 0
		.amdhsa_user_sgpr_queue_ptr 0
		.amdhsa_user_sgpr_kernarg_segment_ptr 1
		.amdhsa_user_sgpr_dispatch_id 0
		.amdhsa_user_sgpr_flat_scratch_init 0
		.amdhsa_user_sgpr_private_segment_size 0
		.amdhsa_uses_dynamic_stack 0
		.amdhsa_system_sgpr_private_segment_wavefront_offset 0
		.amdhsa_system_sgpr_workgroup_id_x 1
		.amdhsa_system_sgpr_workgroup_id_y 0
		.amdhsa_system_sgpr_workgroup_id_z 0
		.amdhsa_system_sgpr_workgroup_info 0
		.amdhsa_system_vgpr_workitem_id 0
		.amdhsa_next_free_vgpr 1
		.amdhsa_next_free_sgpr 0
		.amdhsa_reserve_vcc 0
		.amdhsa_reserve_flat_scratch 0
		.amdhsa_float_round_mode_32 0
		.amdhsa_float_round_mode_16_64 0
		.amdhsa_float_denorm_mode_32 3
		.amdhsa_float_denorm_mode_16_64 3
		.amdhsa_dx10_clamp 1
		.amdhsa_ieee_mode 1
		.amdhsa_fp16_overflow 0
		.amdhsa_exception_fp_ieee_invalid_op 0
		.amdhsa_exception_fp_denorm_src 0
		.amdhsa_exception_fp_ieee_div_zero 0
		.amdhsa_exception_fp_ieee_overflow 0
		.amdhsa_exception_fp_ieee_underflow 0
		.amdhsa_exception_fp_ieee_inexact 0
		.amdhsa_exception_int_div_zero 0
	.end_amdhsa_kernel
	.section	.text._ZN7rocprim17ROCPRIM_400000_NS6detail17trampoline_kernelINS0_14default_configENS1_27lower_bound_config_selectorIilEEZNS1_14transform_implILb0ES3_S5_N6thrust23THRUST_200600_302600_NS6detail15normal_iteratorINS8_7pointerIiNS8_11hip_rocprim5par_tENS8_11use_defaultESE_EEEENSA_INSB_IlSD_SE_SE_EEEEZNS1_13binary_searchIS3_S5_NSA_INS8_10device_ptrIiEEEESG_SI_NS1_21lower_bound_search_opENS9_16wrapped_functionINS8_6system6detail7generic6detail18binary_search_lessEbEEEE10hipError_tPvRmT1_T2_T3_mmT4_T5_P12ihipStream_tbEUlRKiE_EESV_SZ_S10_mS11_S14_bEUlT_E_NS1_11comp_targetILNS1_3genE3ELNS1_11target_archE908ELNS1_3gpuE7ELNS1_3repE0EEENS1_30default_config_static_selectorELNS0_4arch9wavefront6targetE1EEEvSY_,"axG",@progbits,_ZN7rocprim17ROCPRIM_400000_NS6detail17trampoline_kernelINS0_14default_configENS1_27lower_bound_config_selectorIilEEZNS1_14transform_implILb0ES3_S5_N6thrust23THRUST_200600_302600_NS6detail15normal_iteratorINS8_7pointerIiNS8_11hip_rocprim5par_tENS8_11use_defaultESE_EEEENSA_INSB_IlSD_SE_SE_EEEEZNS1_13binary_searchIS3_S5_NSA_INS8_10device_ptrIiEEEESG_SI_NS1_21lower_bound_search_opENS9_16wrapped_functionINS8_6system6detail7generic6detail18binary_search_lessEbEEEE10hipError_tPvRmT1_T2_T3_mmT4_T5_P12ihipStream_tbEUlRKiE_EESV_SZ_S10_mS11_S14_bEUlT_E_NS1_11comp_targetILNS1_3genE3ELNS1_11target_archE908ELNS1_3gpuE7ELNS1_3repE0EEENS1_30default_config_static_selectorELNS0_4arch9wavefront6targetE1EEEvSY_,comdat
.Lfunc_end406:
	.size	_ZN7rocprim17ROCPRIM_400000_NS6detail17trampoline_kernelINS0_14default_configENS1_27lower_bound_config_selectorIilEEZNS1_14transform_implILb0ES3_S5_N6thrust23THRUST_200600_302600_NS6detail15normal_iteratorINS8_7pointerIiNS8_11hip_rocprim5par_tENS8_11use_defaultESE_EEEENSA_INSB_IlSD_SE_SE_EEEEZNS1_13binary_searchIS3_S5_NSA_INS8_10device_ptrIiEEEESG_SI_NS1_21lower_bound_search_opENS9_16wrapped_functionINS8_6system6detail7generic6detail18binary_search_lessEbEEEE10hipError_tPvRmT1_T2_T3_mmT4_T5_P12ihipStream_tbEUlRKiE_EESV_SZ_S10_mS11_S14_bEUlT_E_NS1_11comp_targetILNS1_3genE3ELNS1_11target_archE908ELNS1_3gpuE7ELNS1_3repE0EEENS1_30default_config_static_selectorELNS0_4arch9wavefront6targetE1EEEvSY_, .Lfunc_end406-_ZN7rocprim17ROCPRIM_400000_NS6detail17trampoline_kernelINS0_14default_configENS1_27lower_bound_config_selectorIilEEZNS1_14transform_implILb0ES3_S5_N6thrust23THRUST_200600_302600_NS6detail15normal_iteratorINS8_7pointerIiNS8_11hip_rocprim5par_tENS8_11use_defaultESE_EEEENSA_INSB_IlSD_SE_SE_EEEEZNS1_13binary_searchIS3_S5_NSA_INS8_10device_ptrIiEEEESG_SI_NS1_21lower_bound_search_opENS9_16wrapped_functionINS8_6system6detail7generic6detail18binary_search_lessEbEEEE10hipError_tPvRmT1_T2_T3_mmT4_T5_P12ihipStream_tbEUlRKiE_EESV_SZ_S10_mS11_S14_bEUlT_E_NS1_11comp_targetILNS1_3genE3ELNS1_11target_archE908ELNS1_3gpuE7ELNS1_3repE0EEENS1_30default_config_static_selectorELNS0_4arch9wavefront6targetE1EEEvSY_
                                        ; -- End function
	.set _ZN7rocprim17ROCPRIM_400000_NS6detail17trampoline_kernelINS0_14default_configENS1_27lower_bound_config_selectorIilEEZNS1_14transform_implILb0ES3_S5_N6thrust23THRUST_200600_302600_NS6detail15normal_iteratorINS8_7pointerIiNS8_11hip_rocprim5par_tENS8_11use_defaultESE_EEEENSA_INSB_IlSD_SE_SE_EEEEZNS1_13binary_searchIS3_S5_NSA_INS8_10device_ptrIiEEEESG_SI_NS1_21lower_bound_search_opENS9_16wrapped_functionINS8_6system6detail7generic6detail18binary_search_lessEbEEEE10hipError_tPvRmT1_T2_T3_mmT4_T5_P12ihipStream_tbEUlRKiE_EESV_SZ_S10_mS11_S14_bEUlT_E_NS1_11comp_targetILNS1_3genE3ELNS1_11target_archE908ELNS1_3gpuE7ELNS1_3repE0EEENS1_30default_config_static_selectorELNS0_4arch9wavefront6targetE1EEEvSY_.num_vgpr, 0
	.set _ZN7rocprim17ROCPRIM_400000_NS6detail17trampoline_kernelINS0_14default_configENS1_27lower_bound_config_selectorIilEEZNS1_14transform_implILb0ES3_S5_N6thrust23THRUST_200600_302600_NS6detail15normal_iteratorINS8_7pointerIiNS8_11hip_rocprim5par_tENS8_11use_defaultESE_EEEENSA_INSB_IlSD_SE_SE_EEEEZNS1_13binary_searchIS3_S5_NSA_INS8_10device_ptrIiEEEESG_SI_NS1_21lower_bound_search_opENS9_16wrapped_functionINS8_6system6detail7generic6detail18binary_search_lessEbEEEE10hipError_tPvRmT1_T2_T3_mmT4_T5_P12ihipStream_tbEUlRKiE_EESV_SZ_S10_mS11_S14_bEUlT_E_NS1_11comp_targetILNS1_3genE3ELNS1_11target_archE908ELNS1_3gpuE7ELNS1_3repE0EEENS1_30default_config_static_selectorELNS0_4arch9wavefront6targetE1EEEvSY_.num_agpr, 0
	.set _ZN7rocprim17ROCPRIM_400000_NS6detail17trampoline_kernelINS0_14default_configENS1_27lower_bound_config_selectorIilEEZNS1_14transform_implILb0ES3_S5_N6thrust23THRUST_200600_302600_NS6detail15normal_iteratorINS8_7pointerIiNS8_11hip_rocprim5par_tENS8_11use_defaultESE_EEEENSA_INSB_IlSD_SE_SE_EEEEZNS1_13binary_searchIS3_S5_NSA_INS8_10device_ptrIiEEEESG_SI_NS1_21lower_bound_search_opENS9_16wrapped_functionINS8_6system6detail7generic6detail18binary_search_lessEbEEEE10hipError_tPvRmT1_T2_T3_mmT4_T5_P12ihipStream_tbEUlRKiE_EESV_SZ_S10_mS11_S14_bEUlT_E_NS1_11comp_targetILNS1_3genE3ELNS1_11target_archE908ELNS1_3gpuE7ELNS1_3repE0EEENS1_30default_config_static_selectorELNS0_4arch9wavefront6targetE1EEEvSY_.numbered_sgpr, 0
	.set _ZN7rocprim17ROCPRIM_400000_NS6detail17trampoline_kernelINS0_14default_configENS1_27lower_bound_config_selectorIilEEZNS1_14transform_implILb0ES3_S5_N6thrust23THRUST_200600_302600_NS6detail15normal_iteratorINS8_7pointerIiNS8_11hip_rocprim5par_tENS8_11use_defaultESE_EEEENSA_INSB_IlSD_SE_SE_EEEEZNS1_13binary_searchIS3_S5_NSA_INS8_10device_ptrIiEEEESG_SI_NS1_21lower_bound_search_opENS9_16wrapped_functionINS8_6system6detail7generic6detail18binary_search_lessEbEEEE10hipError_tPvRmT1_T2_T3_mmT4_T5_P12ihipStream_tbEUlRKiE_EESV_SZ_S10_mS11_S14_bEUlT_E_NS1_11comp_targetILNS1_3genE3ELNS1_11target_archE908ELNS1_3gpuE7ELNS1_3repE0EEENS1_30default_config_static_selectorELNS0_4arch9wavefront6targetE1EEEvSY_.num_named_barrier, 0
	.set _ZN7rocprim17ROCPRIM_400000_NS6detail17trampoline_kernelINS0_14default_configENS1_27lower_bound_config_selectorIilEEZNS1_14transform_implILb0ES3_S5_N6thrust23THRUST_200600_302600_NS6detail15normal_iteratorINS8_7pointerIiNS8_11hip_rocprim5par_tENS8_11use_defaultESE_EEEENSA_INSB_IlSD_SE_SE_EEEEZNS1_13binary_searchIS3_S5_NSA_INS8_10device_ptrIiEEEESG_SI_NS1_21lower_bound_search_opENS9_16wrapped_functionINS8_6system6detail7generic6detail18binary_search_lessEbEEEE10hipError_tPvRmT1_T2_T3_mmT4_T5_P12ihipStream_tbEUlRKiE_EESV_SZ_S10_mS11_S14_bEUlT_E_NS1_11comp_targetILNS1_3genE3ELNS1_11target_archE908ELNS1_3gpuE7ELNS1_3repE0EEENS1_30default_config_static_selectorELNS0_4arch9wavefront6targetE1EEEvSY_.private_seg_size, 0
	.set _ZN7rocprim17ROCPRIM_400000_NS6detail17trampoline_kernelINS0_14default_configENS1_27lower_bound_config_selectorIilEEZNS1_14transform_implILb0ES3_S5_N6thrust23THRUST_200600_302600_NS6detail15normal_iteratorINS8_7pointerIiNS8_11hip_rocprim5par_tENS8_11use_defaultESE_EEEENSA_INSB_IlSD_SE_SE_EEEEZNS1_13binary_searchIS3_S5_NSA_INS8_10device_ptrIiEEEESG_SI_NS1_21lower_bound_search_opENS9_16wrapped_functionINS8_6system6detail7generic6detail18binary_search_lessEbEEEE10hipError_tPvRmT1_T2_T3_mmT4_T5_P12ihipStream_tbEUlRKiE_EESV_SZ_S10_mS11_S14_bEUlT_E_NS1_11comp_targetILNS1_3genE3ELNS1_11target_archE908ELNS1_3gpuE7ELNS1_3repE0EEENS1_30default_config_static_selectorELNS0_4arch9wavefront6targetE1EEEvSY_.uses_vcc, 0
	.set _ZN7rocprim17ROCPRIM_400000_NS6detail17trampoline_kernelINS0_14default_configENS1_27lower_bound_config_selectorIilEEZNS1_14transform_implILb0ES3_S5_N6thrust23THRUST_200600_302600_NS6detail15normal_iteratorINS8_7pointerIiNS8_11hip_rocprim5par_tENS8_11use_defaultESE_EEEENSA_INSB_IlSD_SE_SE_EEEEZNS1_13binary_searchIS3_S5_NSA_INS8_10device_ptrIiEEEESG_SI_NS1_21lower_bound_search_opENS9_16wrapped_functionINS8_6system6detail7generic6detail18binary_search_lessEbEEEE10hipError_tPvRmT1_T2_T3_mmT4_T5_P12ihipStream_tbEUlRKiE_EESV_SZ_S10_mS11_S14_bEUlT_E_NS1_11comp_targetILNS1_3genE3ELNS1_11target_archE908ELNS1_3gpuE7ELNS1_3repE0EEENS1_30default_config_static_selectorELNS0_4arch9wavefront6targetE1EEEvSY_.uses_flat_scratch, 0
	.set _ZN7rocprim17ROCPRIM_400000_NS6detail17trampoline_kernelINS0_14default_configENS1_27lower_bound_config_selectorIilEEZNS1_14transform_implILb0ES3_S5_N6thrust23THRUST_200600_302600_NS6detail15normal_iteratorINS8_7pointerIiNS8_11hip_rocprim5par_tENS8_11use_defaultESE_EEEENSA_INSB_IlSD_SE_SE_EEEEZNS1_13binary_searchIS3_S5_NSA_INS8_10device_ptrIiEEEESG_SI_NS1_21lower_bound_search_opENS9_16wrapped_functionINS8_6system6detail7generic6detail18binary_search_lessEbEEEE10hipError_tPvRmT1_T2_T3_mmT4_T5_P12ihipStream_tbEUlRKiE_EESV_SZ_S10_mS11_S14_bEUlT_E_NS1_11comp_targetILNS1_3genE3ELNS1_11target_archE908ELNS1_3gpuE7ELNS1_3repE0EEENS1_30default_config_static_selectorELNS0_4arch9wavefront6targetE1EEEvSY_.has_dyn_sized_stack, 0
	.set _ZN7rocprim17ROCPRIM_400000_NS6detail17trampoline_kernelINS0_14default_configENS1_27lower_bound_config_selectorIilEEZNS1_14transform_implILb0ES3_S5_N6thrust23THRUST_200600_302600_NS6detail15normal_iteratorINS8_7pointerIiNS8_11hip_rocprim5par_tENS8_11use_defaultESE_EEEENSA_INSB_IlSD_SE_SE_EEEEZNS1_13binary_searchIS3_S5_NSA_INS8_10device_ptrIiEEEESG_SI_NS1_21lower_bound_search_opENS9_16wrapped_functionINS8_6system6detail7generic6detail18binary_search_lessEbEEEE10hipError_tPvRmT1_T2_T3_mmT4_T5_P12ihipStream_tbEUlRKiE_EESV_SZ_S10_mS11_S14_bEUlT_E_NS1_11comp_targetILNS1_3genE3ELNS1_11target_archE908ELNS1_3gpuE7ELNS1_3repE0EEENS1_30default_config_static_selectorELNS0_4arch9wavefront6targetE1EEEvSY_.has_recursion, 0
	.set _ZN7rocprim17ROCPRIM_400000_NS6detail17trampoline_kernelINS0_14default_configENS1_27lower_bound_config_selectorIilEEZNS1_14transform_implILb0ES3_S5_N6thrust23THRUST_200600_302600_NS6detail15normal_iteratorINS8_7pointerIiNS8_11hip_rocprim5par_tENS8_11use_defaultESE_EEEENSA_INSB_IlSD_SE_SE_EEEEZNS1_13binary_searchIS3_S5_NSA_INS8_10device_ptrIiEEEESG_SI_NS1_21lower_bound_search_opENS9_16wrapped_functionINS8_6system6detail7generic6detail18binary_search_lessEbEEEE10hipError_tPvRmT1_T2_T3_mmT4_T5_P12ihipStream_tbEUlRKiE_EESV_SZ_S10_mS11_S14_bEUlT_E_NS1_11comp_targetILNS1_3genE3ELNS1_11target_archE908ELNS1_3gpuE7ELNS1_3repE0EEENS1_30default_config_static_selectorELNS0_4arch9wavefront6targetE1EEEvSY_.has_indirect_call, 0
	.section	.AMDGPU.csdata,"",@progbits
; Kernel info:
; codeLenInByte = 0
; TotalNumSgprs: 4
; NumVgprs: 0
; ScratchSize: 0
; MemoryBound: 0
; FloatMode: 240
; IeeeMode: 1
; LDSByteSize: 0 bytes/workgroup (compile time only)
; SGPRBlocks: 0
; VGPRBlocks: 0
; NumSGPRsForWavesPerEU: 4
; NumVGPRsForWavesPerEU: 1
; Occupancy: 10
; WaveLimiterHint : 0
; COMPUTE_PGM_RSRC2:SCRATCH_EN: 0
; COMPUTE_PGM_RSRC2:USER_SGPR: 6
; COMPUTE_PGM_RSRC2:TRAP_HANDLER: 0
; COMPUTE_PGM_RSRC2:TGID_X_EN: 1
; COMPUTE_PGM_RSRC2:TGID_Y_EN: 0
; COMPUTE_PGM_RSRC2:TGID_Z_EN: 0
; COMPUTE_PGM_RSRC2:TIDIG_COMP_CNT: 0
	.section	.text._ZN7rocprim17ROCPRIM_400000_NS6detail17trampoline_kernelINS0_14default_configENS1_27lower_bound_config_selectorIilEEZNS1_14transform_implILb0ES3_S5_N6thrust23THRUST_200600_302600_NS6detail15normal_iteratorINS8_7pointerIiNS8_11hip_rocprim5par_tENS8_11use_defaultESE_EEEENSA_INSB_IlSD_SE_SE_EEEEZNS1_13binary_searchIS3_S5_NSA_INS8_10device_ptrIiEEEESG_SI_NS1_21lower_bound_search_opENS9_16wrapped_functionINS8_6system6detail7generic6detail18binary_search_lessEbEEEE10hipError_tPvRmT1_T2_T3_mmT4_T5_P12ihipStream_tbEUlRKiE_EESV_SZ_S10_mS11_S14_bEUlT_E_NS1_11comp_targetILNS1_3genE2ELNS1_11target_archE906ELNS1_3gpuE6ELNS1_3repE0EEENS1_30default_config_static_selectorELNS0_4arch9wavefront6targetE1EEEvSY_,"axG",@progbits,_ZN7rocprim17ROCPRIM_400000_NS6detail17trampoline_kernelINS0_14default_configENS1_27lower_bound_config_selectorIilEEZNS1_14transform_implILb0ES3_S5_N6thrust23THRUST_200600_302600_NS6detail15normal_iteratorINS8_7pointerIiNS8_11hip_rocprim5par_tENS8_11use_defaultESE_EEEENSA_INSB_IlSD_SE_SE_EEEEZNS1_13binary_searchIS3_S5_NSA_INS8_10device_ptrIiEEEESG_SI_NS1_21lower_bound_search_opENS9_16wrapped_functionINS8_6system6detail7generic6detail18binary_search_lessEbEEEE10hipError_tPvRmT1_T2_T3_mmT4_T5_P12ihipStream_tbEUlRKiE_EESV_SZ_S10_mS11_S14_bEUlT_E_NS1_11comp_targetILNS1_3genE2ELNS1_11target_archE906ELNS1_3gpuE6ELNS1_3repE0EEENS1_30default_config_static_selectorELNS0_4arch9wavefront6targetE1EEEvSY_,comdat
	.protected	_ZN7rocprim17ROCPRIM_400000_NS6detail17trampoline_kernelINS0_14default_configENS1_27lower_bound_config_selectorIilEEZNS1_14transform_implILb0ES3_S5_N6thrust23THRUST_200600_302600_NS6detail15normal_iteratorINS8_7pointerIiNS8_11hip_rocprim5par_tENS8_11use_defaultESE_EEEENSA_INSB_IlSD_SE_SE_EEEEZNS1_13binary_searchIS3_S5_NSA_INS8_10device_ptrIiEEEESG_SI_NS1_21lower_bound_search_opENS9_16wrapped_functionINS8_6system6detail7generic6detail18binary_search_lessEbEEEE10hipError_tPvRmT1_T2_T3_mmT4_T5_P12ihipStream_tbEUlRKiE_EESV_SZ_S10_mS11_S14_bEUlT_E_NS1_11comp_targetILNS1_3genE2ELNS1_11target_archE906ELNS1_3gpuE6ELNS1_3repE0EEENS1_30default_config_static_selectorELNS0_4arch9wavefront6targetE1EEEvSY_ ; -- Begin function _ZN7rocprim17ROCPRIM_400000_NS6detail17trampoline_kernelINS0_14default_configENS1_27lower_bound_config_selectorIilEEZNS1_14transform_implILb0ES3_S5_N6thrust23THRUST_200600_302600_NS6detail15normal_iteratorINS8_7pointerIiNS8_11hip_rocprim5par_tENS8_11use_defaultESE_EEEENSA_INSB_IlSD_SE_SE_EEEEZNS1_13binary_searchIS3_S5_NSA_INS8_10device_ptrIiEEEESG_SI_NS1_21lower_bound_search_opENS9_16wrapped_functionINS8_6system6detail7generic6detail18binary_search_lessEbEEEE10hipError_tPvRmT1_T2_T3_mmT4_T5_P12ihipStream_tbEUlRKiE_EESV_SZ_S10_mS11_S14_bEUlT_E_NS1_11comp_targetILNS1_3genE2ELNS1_11target_archE906ELNS1_3gpuE6ELNS1_3repE0EEENS1_30default_config_static_selectorELNS0_4arch9wavefront6targetE1EEEvSY_
	.globl	_ZN7rocprim17ROCPRIM_400000_NS6detail17trampoline_kernelINS0_14default_configENS1_27lower_bound_config_selectorIilEEZNS1_14transform_implILb0ES3_S5_N6thrust23THRUST_200600_302600_NS6detail15normal_iteratorINS8_7pointerIiNS8_11hip_rocprim5par_tENS8_11use_defaultESE_EEEENSA_INSB_IlSD_SE_SE_EEEEZNS1_13binary_searchIS3_S5_NSA_INS8_10device_ptrIiEEEESG_SI_NS1_21lower_bound_search_opENS9_16wrapped_functionINS8_6system6detail7generic6detail18binary_search_lessEbEEEE10hipError_tPvRmT1_T2_T3_mmT4_T5_P12ihipStream_tbEUlRKiE_EESV_SZ_S10_mS11_S14_bEUlT_E_NS1_11comp_targetILNS1_3genE2ELNS1_11target_archE906ELNS1_3gpuE6ELNS1_3repE0EEENS1_30default_config_static_selectorELNS0_4arch9wavefront6targetE1EEEvSY_
	.p2align	8
	.type	_ZN7rocprim17ROCPRIM_400000_NS6detail17trampoline_kernelINS0_14default_configENS1_27lower_bound_config_selectorIilEEZNS1_14transform_implILb0ES3_S5_N6thrust23THRUST_200600_302600_NS6detail15normal_iteratorINS8_7pointerIiNS8_11hip_rocprim5par_tENS8_11use_defaultESE_EEEENSA_INSB_IlSD_SE_SE_EEEEZNS1_13binary_searchIS3_S5_NSA_INS8_10device_ptrIiEEEESG_SI_NS1_21lower_bound_search_opENS9_16wrapped_functionINS8_6system6detail7generic6detail18binary_search_lessEbEEEE10hipError_tPvRmT1_T2_T3_mmT4_T5_P12ihipStream_tbEUlRKiE_EESV_SZ_S10_mS11_S14_bEUlT_E_NS1_11comp_targetILNS1_3genE2ELNS1_11target_archE906ELNS1_3gpuE6ELNS1_3repE0EEENS1_30default_config_static_selectorELNS0_4arch9wavefront6targetE1EEEvSY_,@function
_ZN7rocprim17ROCPRIM_400000_NS6detail17trampoline_kernelINS0_14default_configENS1_27lower_bound_config_selectorIilEEZNS1_14transform_implILb0ES3_S5_N6thrust23THRUST_200600_302600_NS6detail15normal_iteratorINS8_7pointerIiNS8_11hip_rocprim5par_tENS8_11use_defaultESE_EEEENSA_INSB_IlSD_SE_SE_EEEEZNS1_13binary_searchIS3_S5_NSA_INS8_10device_ptrIiEEEESG_SI_NS1_21lower_bound_search_opENS9_16wrapped_functionINS8_6system6detail7generic6detail18binary_search_lessEbEEEE10hipError_tPvRmT1_T2_T3_mmT4_T5_P12ihipStream_tbEUlRKiE_EESV_SZ_S10_mS11_S14_bEUlT_E_NS1_11comp_targetILNS1_3genE2ELNS1_11target_archE906ELNS1_3gpuE6ELNS1_3repE0EEENS1_30default_config_static_selectorELNS0_4arch9wavefront6targetE1EEEvSY_: ; @_ZN7rocprim17ROCPRIM_400000_NS6detail17trampoline_kernelINS0_14default_configENS1_27lower_bound_config_selectorIilEEZNS1_14transform_implILb0ES3_S5_N6thrust23THRUST_200600_302600_NS6detail15normal_iteratorINS8_7pointerIiNS8_11hip_rocprim5par_tENS8_11use_defaultESE_EEEENSA_INSB_IlSD_SE_SE_EEEEZNS1_13binary_searchIS3_S5_NSA_INS8_10device_ptrIiEEEESG_SI_NS1_21lower_bound_search_opENS9_16wrapped_functionINS8_6system6detail7generic6detail18binary_search_lessEbEEEE10hipError_tPvRmT1_T2_T3_mmT4_T5_P12ihipStream_tbEUlRKiE_EESV_SZ_S10_mS11_S14_bEUlT_E_NS1_11comp_targetILNS1_3genE2ELNS1_11target_archE906ELNS1_3gpuE6ELNS1_3repE0EEENS1_30default_config_static_selectorELNS0_4arch9wavefront6targetE1EEEvSY_
; %bb.0:
	s_load_dwordx4 s[16:19], s[4:5], 0x0
	s_load_dwordx4 s[8:11], s[4:5], 0x18
	s_load_dwordx2 s[12:13], s[4:5], 0x28
	s_load_dword s15, s[4:5], 0x38
	s_waitcnt lgkmcnt(0)
	s_lshl_b64 s[0:1], s[18:19], 2
	s_add_u32 s2, s16, s0
	s_addc_u32 s3, s17, s1
	s_lshl_b64 s[0:1], s[18:19], 3
	s_add_u32 s7, s8, s0
	s_addc_u32 s14, s9, s1
	s_lshl_b32 s8, s6, 8
	s_add_i32 s15, s15, -1
	s_mov_b32 s9, 0
	s_cmp_lg_u32 s6, s15
	s_mov_b64 s[0:1], -1
	s_cbranch_scc0 .LBB407_7
; %bb.1:
	s_cmp_eq_u64 s[12:13], 0
	s_mov_b64 s[0:1], 0
	s_cbranch_scc1 .LBB407_5
; %bb.2:
	s_lshl_b64 s[16:17], s[8:9], 2
	s_add_u32 s6, s2, s16
	s_addc_u32 s15, s3, s17
	v_lshlrev_b32_e32 v1, 2, v0
	v_mov_b32_e32 v2, s15
	v_add_co_u32_e32 v1, vcc, s6, v1
	v_addc_co_u32_e32 v2, vcc, 0, v2, vcc
	flat_load_dword v5, v[1:2]
	v_mov_b32_e32 v1, 0
	v_mov_b32_e32 v3, s12
	;; [unrolled: 1-line block ×5, first 2 shown]
.LBB407_3:                              ; =>This Inner Loop Header: Depth=1
	v_sub_co_u32_e32 v7, vcc, v3, v1
	v_subb_co_u32_e32 v8, vcc, v4, v2, vcc
	v_lshrrev_b64 v[9:10], 1, v[7:8]
	v_lshrrev_b64 v[7:8], 6, v[7:8]
	v_add_co_u32_e32 v9, vcc, v9, v1
	v_addc_co_u32_e32 v10, vcc, v10, v2, vcc
	v_add_co_u32_e32 v7, vcc, v9, v7
	v_addc_co_u32_e32 v8, vcc, v10, v8, vcc
	v_lshlrev_b64 v[9:10], 2, v[7:8]
	v_add_co_u32_e32 v9, vcc, s10, v9
	v_addc_co_u32_e32 v10, vcc, v6, v10, vcc
	global_load_dword v9, v[9:10], off
	v_add_co_u32_e32 v10, vcc, 1, v7
	v_addc_co_u32_e32 v11, vcc, 0, v8, vcc
	s_waitcnt vmcnt(0) lgkmcnt(0)
	v_cmp_lt_i32_e32 vcc, v9, v5
	v_cndmask_b32_e32 v4, v8, v4, vcc
	v_cndmask_b32_e32 v3, v7, v3, vcc
	v_cndmask_b32_e32 v2, v2, v11, vcc
	v_cndmask_b32_e32 v1, v1, v10, vcc
	v_cmp_ge_u64_e32 vcc, v[1:2], v[3:4]
	s_or_b64 s[0:1], vcc, s[0:1]
	s_andn2_b64 exec, exec, s[0:1]
	s_cbranch_execnz .LBB407_3
; %bb.4:
	s_or_b64 exec, exec, s[0:1]
	s_branch .LBB407_6
.LBB407_5:
	v_mov_b32_e32 v1, 0
	v_mov_b32_e32 v2, 0
.LBB407_6:
	s_lshl_b64 s[0:1], s[8:9], 3
	s_add_u32 s0, s7, s0
	s_addc_u32 s1, s14, s1
	v_lshlrev_b32_e32 v3, 3, v0
	v_mov_b32_e32 v4, s1
	v_add_co_u32_e32 v3, vcc, s0, v3
	v_addc_co_u32_e32 v4, vcc, 0, v4, vcc
	s_mov_b64 s[0:1], 0
	flat_store_dwordx2 v[3:4], v[1:2]
.LBB407_7:
	s_and_b64 vcc, exec, s[0:1]
	s_cbranch_vccz .LBB407_16
; %bb.8:
	s_load_dword s0, s[4:5], 0x10
                                        ; implicit-def: $vgpr5
	s_waitcnt lgkmcnt(0)
	s_sub_i32 s4, s0, s8
	v_cmp_le_u32_e64 s[0:1], s4, v0
	v_cmp_gt_u32_e32 vcc, s4, v0
	s_and_saveexec_b64 s[4:5], vcc
	s_cbranch_execz .LBB407_10
; %bb.9:
	s_lshl_b64 s[16:17], s[8:9], 2
	s_add_u32 s2, s2, s16
	s_addc_u32 s3, s3, s17
	v_lshlrev_b32_e32 v1, 2, v0
	v_mov_b32_e32 v2, s3
	v_add_co_u32_e64 v1, s[2:3], s2, v1
	v_addc_co_u32_e64 v2, s[2:3], 0, v2, s[2:3]
	flat_load_dword v5, v[1:2]
.LBB407_10:
	s_or_b64 exec, exec, s[4:5]
	s_cmp_lg_u64 s[12:13], 0
	s_cselect_b64 s[4:5], -1, 0
	s_xor_b64 s[0:1], s[0:1], -1
	v_mov_b32_e32 v1, 0
	s_mov_b64 s[2:3], 0
	v_mov_b32_e32 v2, 0
	s_and_b64 s[0:1], s[0:1], s[4:5]
	s_and_saveexec_b64 s[4:5], s[0:1]
	s_cbranch_execz .LBB407_14
; %bb.11:
	v_mov_b32_e32 v1, 0
	v_mov_b32_e32 v3, s12
	;; [unrolled: 1-line block ×5, first 2 shown]
.LBB407_12:                             ; =>This Inner Loop Header: Depth=1
	v_sub_co_u32_e64 v7, s[0:1], v3, v1
	v_subb_co_u32_e64 v8, s[0:1], v4, v2, s[0:1]
	v_lshrrev_b64 v[9:10], 1, v[7:8]
	v_lshrrev_b64 v[7:8], 6, v[7:8]
	v_add_co_u32_e64 v9, s[0:1], v9, v1
	v_addc_co_u32_e64 v10, s[0:1], v10, v2, s[0:1]
	v_add_co_u32_e64 v7, s[0:1], v9, v7
	v_addc_co_u32_e64 v8, s[0:1], v10, v8, s[0:1]
	v_lshlrev_b64 v[9:10], 2, v[7:8]
	v_add_co_u32_e64 v9, s[0:1], s10, v9
	v_addc_co_u32_e64 v10, s[0:1], v6, v10, s[0:1]
	global_load_dword v9, v[9:10], off
	v_add_co_u32_e64 v10, s[0:1], 1, v7
	v_addc_co_u32_e64 v11, s[0:1], 0, v8, s[0:1]
	s_waitcnt vmcnt(0) lgkmcnt(0)
	v_cmp_lt_i32_e64 s[0:1], v9, v5
	v_cndmask_b32_e64 v4, v8, v4, s[0:1]
	v_cndmask_b32_e64 v3, v7, v3, s[0:1]
	;; [unrolled: 1-line block ×4, first 2 shown]
	v_cmp_ge_u64_e64 s[0:1], v[1:2], v[3:4]
	s_or_b64 s[2:3], s[0:1], s[2:3]
	s_andn2_b64 exec, exec, s[2:3]
	s_cbranch_execnz .LBB407_12
; %bb.13:
	s_or_b64 exec, exec, s[2:3]
.LBB407_14:
	s_or_b64 exec, exec, s[4:5]
	s_and_saveexec_b64 s[0:1], vcc
	s_cbranch_execz .LBB407_16
; %bb.15:
	s_lshl_b64 s[0:1], s[8:9], 3
	s_add_u32 s0, s7, s0
	s_addc_u32 s1, s14, s1
	v_lshlrev_b32_e32 v0, 3, v0
	v_mov_b32_e32 v4, s1
	v_add_co_u32_e32 v3, vcc, s0, v0
	v_addc_co_u32_e32 v4, vcc, 0, v4, vcc
	flat_store_dwordx2 v[3:4], v[1:2]
.LBB407_16:
	s_endpgm
	.section	.rodata,"a",@progbits
	.p2align	6, 0x0
	.amdhsa_kernel _ZN7rocprim17ROCPRIM_400000_NS6detail17trampoline_kernelINS0_14default_configENS1_27lower_bound_config_selectorIilEEZNS1_14transform_implILb0ES3_S5_N6thrust23THRUST_200600_302600_NS6detail15normal_iteratorINS8_7pointerIiNS8_11hip_rocprim5par_tENS8_11use_defaultESE_EEEENSA_INSB_IlSD_SE_SE_EEEEZNS1_13binary_searchIS3_S5_NSA_INS8_10device_ptrIiEEEESG_SI_NS1_21lower_bound_search_opENS9_16wrapped_functionINS8_6system6detail7generic6detail18binary_search_lessEbEEEE10hipError_tPvRmT1_T2_T3_mmT4_T5_P12ihipStream_tbEUlRKiE_EESV_SZ_S10_mS11_S14_bEUlT_E_NS1_11comp_targetILNS1_3genE2ELNS1_11target_archE906ELNS1_3gpuE6ELNS1_3repE0EEENS1_30default_config_static_selectorELNS0_4arch9wavefront6targetE1EEEvSY_
		.amdhsa_group_segment_fixed_size 0
		.amdhsa_private_segment_fixed_size 0
		.amdhsa_kernarg_size 312
		.amdhsa_user_sgpr_count 6
		.amdhsa_user_sgpr_private_segment_buffer 1
		.amdhsa_user_sgpr_dispatch_ptr 0
		.amdhsa_user_sgpr_queue_ptr 0
		.amdhsa_user_sgpr_kernarg_segment_ptr 1
		.amdhsa_user_sgpr_dispatch_id 0
		.amdhsa_user_sgpr_flat_scratch_init 0
		.amdhsa_user_sgpr_private_segment_size 0
		.amdhsa_uses_dynamic_stack 0
		.amdhsa_system_sgpr_private_segment_wavefront_offset 0
		.amdhsa_system_sgpr_workgroup_id_x 1
		.amdhsa_system_sgpr_workgroup_id_y 0
		.amdhsa_system_sgpr_workgroup_id_z 0
		.amdhsa_system_sgpr_workgroup_info 0
		.amdhsa_system_vgpr_workitem_id 0
		.amdhsa_next_free_vgpr 12
		.amdhsa_next_free_sgpr 20
		.amdhsa_reserve_vcc 1
		.amdhsa_reserve_flat_scratch 0
		.amdhsa_float_round_mode_32 0
		.amdhsa_float_round_mode_16_64 0
		.amdhsa_float_denorm_mode_32 3
		.amdhsa_float_denorm_mode_16_64 3
		.amdhsa_dx10_clamp 1
		.amdhsa_ieee_mode 1
		.amdhsa_fp16_overflow 0
		.amdhsa_exception_fp_ieee_invalid_op 0
		.amdhsa_exception_fp_denorm_src 0
		.amdhsa_exception_fp_ieee_div_zero 0
		.amdhsa_exception_fp_ieee_overflow 0
		.amdhsa_exception_fp_ieee_underflow 0
		.amdhsa_exception_fp_ieee_inexact 0
		.amdhsa_exception_int_div_zero 0
	.end_amdhsa_kernel
	.section	.text._ZN7rocprim17ROCPRIM_400000_NS6detail17trampoline_kernelINS0_14default_configENS1_27lower_bound_config_selectorIilEEZNS1_14transform_implILb0ES3_S5_N6thrust23THRUST_200600_302600_NS6detail15normal_iteratorINS8_7pointerIiNS8_11hip_rocprim5par_tENS8_11use_defaultESE_EEEENSA_INSB_IlSD_SE_SE_EEEEZNS1_13binary_searchIS3_S5_NSA_INS8_10device_ptrIiEEEESG_SI_NS1_21lower_bound_search_opENS9_16wrapped_functionINS8_6system6detail7generic6detail18binary_search_lessEbEEEE10hipError_tPvRmT1_T2_T3_mmT4_T5_P12ihipStream_tbEUlRKiE_EESV_SZ_S10_mS11_S14_bEUlT_E_NS1_11comp_targetILNS1_3genE2ELNS1_11target_archE906ELNS1_3gpuE6ELNS1_3repE0EEENS1_30default_config_static_selectorELNS0_4arch9wavefront6targetE1EEEvSY_,"axG",@progbits,_ZN7rocprim17ROCPRIM_400000_NS6detail17trampoline_kernelINS0_14default_configENS1_27lower_bound_config_selectorIilEEZNS1_14transform_implILb0ES3_S5_N6thrust23THRUST_200600_302600_NS6detail15normal_iteratorINS8_7pointerIiNS8_11hip_rocprim5par_tENS8_11use_defaultESE_EEEENSA_INSB_IlSD_SE_SE_EEEEZNS1_13binary_searchIS3_S5_NSA_INS8_10device_ptrIiEEEESG_SI_NS1_21lower_bound_search_opENS9_16wrapped_functionINS8_6system6detail7generic6detail18binary_search_lessEbEEEE10hipError_tPvRmT1_T2_T3_mmT4_T5_P12ihipStream_tbEUlRKiE_EESV_SZ_S10_mS11_S14_bEUlT_E_NS1_11comp_targetILNS1_3genE2ELNS1_11target_archE906ELNS1_3gpuE6ELNS1_3repE0EEENS1_30default_config_static_selectorELNS0_4arch9wavefront6targetE1EEEvSY_,comdat
.Lfunc_end407:
	.size	_ZN7rocprim17ROCPRIM_400000_NS6detail17trampoline_kernelINS0_14default_configENS1_27lower_bound_config_selectorIilEEZNS1_14transform_implILb0ES3_S5_N6thrust23THRUST_200600_302600_NS6detail15normal_iteratorINS8_7pointerIiNS8_11hip_rocprim5par_tENS8_11use_defaultESE_EEEENSA_INSB_IlSD_SE_SE_EEEEZNS1_13binary_searchIS3_S5_NSA_INS8_10device_ptrIiEEEESG_SI_NS1_21lower_bound_search_opENS9_16wrapped_functionINS8_6system6detail7generic6detail18binary_search_lessEbEEEE10hipError_tPvRmT1_T2_T3_mmT4_T5_P12ihipStream_tbEUlRKiE_EESV_SZ_S10_mS11_S14_bEUlT_E_NS1_11comp_targetILNS1_3genE2ELNS1_11target_archE906ELNS1_3gpuE6ELNS1_3repE0EEENS1_30default_config_static_selectorELNS0_4arch9wavefront6targetE1EEEvSY_, .Lfunc_end407-_ZN7rocprim17ROCPRIM_400000_NS6detail17trampoline_kernelINS0_14default_configENS1_27lower_bound_config_selectorIilEEZNS1_14transform_implILb0ES3_S5_N6thrust23THRUST_200600_302600_NS6detail15normal_iteratorINS8_7pointerIiNS8_11hip_rocprim5par_tENS8_11use_defaultESE_EEEENSA_INSB_IlSD_SE_SE_EEEEZNS1_13binary_searchIS3_S5_NSA_INS8_10device_ptrIiEEEESG_SI_NS1_21lower_bound_search_opENS9_16wrapped_functionINS8_6system6detail7generic6detail18binary_search_lessEbEEEE10hipError_tPvRmT1_T2_T3_mmT4_T5_P12ihipStream_tbEUlRKiE_EESV_SZ_S10_mS11_S14_bEUlT_E_NS1_11comp_targetILNS1_3genE2ELNS1_11target_archE906ELNS1_3gpuE6ELNS1_3repE0EEENS1_30default_config_static_selectorELNS0_4arch9wavefront6targetE1EEEvSY_
                                        ; -- End function
	.set _ZN7rocprim17ROCPRIM_400000_NS6detail17trampoline_kernelINS0_14default_configENS1_27lower_bound_config_selectorIilEEZNS1_14transform_implILb0ES3_S5_N6thrust23THRUST_200600_302600_NS6detail15normal_iteratorINS8_7pointerIiNS8_11hip_rocprim5par_tENS8_11use_defaultESE_EEEENSA_INSB_IlSD_SE_SE_EEEEZNS1_13binary_searchIS3_S5_NSA_INS8_10device_ptrIiEEEESG_SI_NS1_21lower_bound_search_opENS9_16wrapped_functionINS8_6system6detail7generic6detail18binary_search_lessEbEEEE10hipError_tPvRmT1_T2_T3_mmT4_T5_P12ihipStream_tbEUlRKiE_EESV_SZ_S10_mS11_S14_bEUlT_E_NS1_11comp_targetILNS1_3genE2ELNS1_11target_archE906ELNS1_3gpuE6ELNS1_3repE0EEENS1_30default_config_static_selectorELNS0_4arch9wavefront6targetE1EEEvSY_.num_vgpr, 12
	.set _ZN7rocprim17ROCPRIM_400000_NS6detail17trampoline_kernelINS0_14default_configENS1_27lower_bound_config_selectorIilEEZNS1_14transform_implILb0ES3_S5_N6thrust23THRUST_200600_302600_NS6detail15normal_iteratorINS8_7pointerIiNS8_11hip_rocprim5par_tENS8_11use_defaultESE_EEEENSA_INSB_IlSD_SE_SE_EEEEZNS1_13binary_searchIS3_S5_NSA_INS8_10device_ptrIiEEEESG_SI_NS1_21lower_bound_search_opENS9_16wrapped_functionINS8_6system6detail7generic6detail18binary_search_lessEbEEEE10hipError_tPvRmT1_T2_T3_mmT4_T5_P12ihipStream_tbEUlRKiE_EESV_SZ_S10_mS11_S14_bEUlT_E_NS1_11comp_targetILNS1_3genE2ELNS1_11target_archE906ELNS1_3gpuE6ELNS1_3repE0EEENS1_30default_config_static_selectorELNS0_4arch9wavefront6targetE1EEEvSY_.num_agpr, 0
	.set _ZN7rocprim17ROCPRIM_400000_NS6detail17trampoline_kernelINS0_14default_configENS1_27lower_bound_config_selectorIilEEZNS1_14transform_implILb0ES3_S5_N6thrust23THRUST_200600_302600_NS6detail15normal_iteratorINS8_7pointerIiNS8_11hip_rocprim5par_tENS8_11use_defaultESE_EEEENSA_INSB_IlSD_SE_SE_EEEEZNS1_13binary_searchIS3_S5_NSA_INS8_10device_ptrIiEEEESG_SI_NS1_21lower_bound_search_opENS9_16wrapped_functionINS8_6system6detail7generic6detail18binary_search_lessEbEEEE10hipError_tPvRmT1_T2_T3_mmT4_T5_P12ihipStream_tbEUlRKiE_EESV_SZ_S10_mS11_S14_bEUlT_E_NS1_11comp_targetILNS1_3genE2ELNS1_11target_archE906ELNS1_3gpuE6ELNS1_3repE0EEENS1_30default_config_static_selectorELNS0_4arch9wavefront6targetE1EEEvSY_.numbered_sgpr, 20
	.set _ZN7rocprim17ROCPRIM_400000_NS6detail17trampoline_kernelINS0_14default_configENS1_27lower_bound_config_selectorIilEEZNS1_14transform_implILb0ES3_S5_N6thrust23THRUST_200600_302600_NS6detail15normal_iteratorINS8_7pointerIiNS8_11hip_rocprim5par_tENS8_11use_defaultESE_EEEENSA_INSB_IlSD_SE_SE_EEEEZNS1_13binary_searchIS3_S5_NSA_INS8_10device_ptrIiEEEESG_SI_NS1_21lower_bound_search_opENS9_16wrapped_functionINS8_6system6detail7generic6detail18binary_search_lessEbEEEE10hipError_tPvRmT1_T2_T3_mmT4_T5_P12ihipStream_tbEUlRKiE_EESV_SZ_S10_mS11_S14_bEUlT_E_NS1_11comp_targetILNS1_3genE2ELNS1_11target_archE906ELNS1_3gpuE6ELNS1_3repE0EEENS1_30default_config_static_selectorELNS0_4arch9wavefront6targetE1EEEvSY_.num_named_barrier, 0
	.set _ZN7rocprim17ROCPRIM_400000_NS6detail17trampoline_kernelINS0_14default_configENS1_27lower_bound_config_selectorIilEEZNS1_14transform_implILb0ES3_S5_N6thrust23THRUST_200600_302600_NS6detail15normal_iteratorINS8_7pointerIiNS8_11hip_rocprim5par_tENS8_11use_defaultESE_EEEENSA_INSB_IlSD_SE_SE_EEEEZNS1_13binary_searchIS3_S5_NSA_INS8_10device_ptrIiEEEESG_SI_NS1_21lower_bound_search_opENS9_16wrapped_functionINS8_6system6detail7generic6detail18binary_search_lessEbEEEE10hipError_tPvRmT1_T2_T3_mmT4_T5_P12ihipStream_tbEUlRKiE_EESV_SZ_S10_mS11_S14_bEUlT_E_NS1_11comp_targetILNS1_3genE2ELNS1_11target_archE906ELNS1_3gpuE6ELNS1_3repE0EEENS1_30default_config_static_selectorELNS0_4arch9wavefront6targetE1EEEvSY_.private_seg_size, 0
	.set _ZN7rocprim17ROCPRIM_400000_NS6detail17trampoline_kernelINS0_14default_configENS1_27lower_bound_config_selectorIilEEZNS1_14transform_implILb0ES3_S5_N6thrust23THRUST_200600_302600_NS6detail15normal_iteratorINS8_7pointerIiNS8_11hip_rocprim5par_tENS8_11use_defaultESE_EEEENSA_INSB_IlSD_SE_SE_EEEEZNS1_13binary_searchIS3_S5_NSA_INS8_10device_ptrIiEEEESG_SI_NS1_21lower_bound_search_opENS9_16wrapped_functionINS8_6system6detail7generic6detail18binary_search_lessEbEEEE10hipError_tPvRmT1_T2_T3_mmT4_T5_P12ihipStream_tbEUlRKiE_EESV_SZ_S10_mS11_S14_bEUlT_E_NS1_11comp_targetILNS1_3genE2ELNS1_11target_archE906ELNS1_3gpuE6ELNS1_3repE0EEENS1_30default_config_static_selectorELNS0_4arch9wavefront6targetE1EEEvSY_.uses_vcc, 1
	.set _ZN7rocprim17ROCPRIM_400000_NS6detail17trampoline_kernelINS0_14default_configENS1_27lower_bound_config_selectorIilEEZNS1_14transform_implILb0ES3_S5_N6thrust23THRUST_200600_302600_NS6detail15normal_iteratorINS8_7pointerIiNS8_11hip_rocprim5par_tENS8_11use_defaultESE_EEEENSA_INSB_IlSD_SE_SE_EEEEZNS1_13binary_searchIS3_S5_NSA_INS8_10device_ptrIiEEEESG_SI_NS1_21lower_bound_search_opENS9_16wrapped_functionINS8_6system6detail7generic6detail18binary_search_lessEbEEEE10hipError_tPvRmT1_T2_T3_mmT4_T5_P12ihipStream_tbEUlRKiE_EESV_SZ_S10_mS11_S14_bEUlT_E_NS1_11comp_targetILNS1_3genE2ELNS1_11target_archE906ELNS1_3gpuE6ELNS1_3repE0EEENS1_30default_config_static_selectorELNS0_4arch9wavefront6targetE1EEEvSY_.uses_flat_scratch, 0
	.set _ZN7rocprim17ROCPRIM_400000_NS6detail17trampoline_kernelINS0_14default_configENS1_27lower_bound_config_selectorIilEEZNS1_14transform_implILb0ES3_S5_N6thrust23THRUST_200600_302600_NS6detail15normal_iteratorINS8_7pointerIiNS8_11hip_rocprim5par_tENS8_11use_defaultESE_EEEENSA_INSB_IlSD_SE_SE_EEEEZNS1_13binary_searchIS3_S5_NSA_INS8_10device_ptrIiEEEESG_SI_NS1_21lower_bound_search_opENS9_16wrapped_functionINS8_6system6detail7generic6detail18binary_search_lessEbEEEE10hipError_tPvRmT1_T2_T3_mmT4_T5_P12ihipStream_tbEUlRKiE_EESV_SZ_S10_mS11_S14_bEUlT_E_NS1_11comp_targetILNS1_3genE2ELNS1_11target_archE906ELNS1_3gpuE6ELNS1_3repE0EEENS1_30default_config_static_selectorELNS0_4arch9wavefront6targetE1EEEvSY_.has_dyn_sized_stack, 0
	.set _ZN7rocprim17ROCPRIM_400000_NS6detail17trampoline_kernelINS0_14default_configENS1_27lower_bound_config_selectorIilEEZNS1_14transform_implILb0ES3_S5_N6thrust23THRUST_200600_302600_NS6detail15normal_iteratorINS8_7pointerIiNS8_11hip_rocprim5par_tENS8_11use_defaultESE_EEEENSA_INSB_IlSD_SE_SE_EEEEZNS1_13binary_searchIS3_S5_NSA_INS8_10device_ptrIiEEEESG_SI_NS1_21lower_bound_search_opENS9_16wrapped_functionINS8_6system6detail7generic6detail18binary_search_lessEbEEEE10hipError_tPvRmT1_T2_T3_mmT4_T5_P12ihipStream_tbEUlRKiE_EESV_SZ_S10_mS11_S14_bEUlT_E_NS1_11comp_targetILNS1_3genE2ELNS1_11target_archE906ELNS1_3gpuE6ELNS1_3repE0EEENS1_30default_config_static_selectorELNS0_4arch9wavefront6targetE1EEEvSY_.has_recursion, 0
	.set _ZN7rocprim17ROCPRIM_400000_NS6detail17trampoline_kernelINS0_14default_configENS1_27lower_bound_config_selectorIilEEZNS1_14transform_implILb0ES3_S5_N6thrust23THRUST_200600_302600_NS6detail15normal_iteratorINS8_7pointerIiNS8_11hip_rocprim5par_tENS8_11use_defaultESE_EEEENSA_INSB_IlSD_SE_SE_EEEEZNS1_13binary_searchIS3_S5_NSA_INS8_10device_ptrIiEEEESG_SI_NS1_21lower_bound_search_opENS9_16wrapped_functionINS8_6system6detail7generic6detail18binary_search_lessEbEEEE10hipError_tPvRmT1_T2_T3_mmT4_T5_P12ihipStream_tbEUlRKiE_EESV_SZ_S10_mS11_S14_bEUlT_E_NS1_11comp_targetILNS1_3genE2ELNS1_11target_archE906ELNS1_3gpuE6ELNS1_3repE0EEENS1_30default_config_static_selectorELNS0_4arch9wavefront6targetE1EEEvSY_.has_indirect_call, 0
	.section	.AMDGPU.csdata,"",@progbits
; Kernel info:
; codeLenInByte = 700
; TotalNumSgprs: 24
; NumVgprs: 12
; ScratchSize: 0
; MemoryBound: 0
; FloatMode: 240
; IeeeMode: 1
; LDSByteSize: 0 bytes/workgroup (compile time only)
; SGPRBlocks: 2
; VGPRBlocks: 2
; NumSGPRsForWavesPerEU: 24
; NumVGPRsForWavesPerEU: 12
; Occupancy: 10
; WaveLimiterHint : 0
; COMPUTE_PGM_RSRC2:SCRATCH_EN: 0
; COMPUTE_PGM_RSRC2:USER_SGPR: 6
; COMPUTE_PGM_RSRC2:TRAP_HANDLER: 0
; COMPUTE_PGM_RSRC2:TGID_X_EN: 1
; COMPUTE_PGM_RSRC2:TGID_Y_EN: 0
; COMPUTE_PGM_RSRC2:TGID_Z_EN: 0
; COMPUTE_PGM_RSRC2:TIDIG_COMP_CNT: 0
	.section	.text._ZN7rocprim17ROCPRIM_400000_NS6detail17trampoline_kernelINS0_14default_configENS1_27lower_bound_config_selectorIilEEZNS1_14transform_implILb0ES3_S5_N6thrust23THRUST_200600_302600_NS6detail15normal_iteratorINS8_7pointerIiNS8_11hip_rocprim5par_tENS8_11use_defaultESE_EEEENSA_INSB_IlSD_SE_SE_EEEEZNS1_13binary_searchIS3_S5_NSA_INS8_10device_ptrIiEEEESG_SI_NS1_21lower_bound_search_opENS9_16wrapped_functionINS8_6system6detail7generic6detail18binary_search_lessEbEEEE10hipError_tPvRmT1_T2_T3_mmT4_T5_P12ihipStream_tbEUlRKiE_EESV_SZ_S10_mS11_S14_bEUlT_E_NS1_11comp_targetILNS1_3genE10ELNS1_11target_archE1201ELNS1_3gpuE5ELNS1_3repE0EEENS1_30default_config_static_selectorELNS0_4arch9wavefront6targetE1EEEvSY_,"axG",@progbits,_ZN7rocprim17ROCPRIM_400000_NS6detail17trampoline_kernelINS0_14default_configENS1_27lower_bound_config_selectorIilEEZNS1_14transform_implILb0ES3_S5_N6thrust23THRUST_200600_302600_NS6detail15normal_iteratorINS8_7pointerIiNS8_11hip_rocprim5par_tENS8_11use_defaultESE_EEEENSA_INSB_IlSD_SE_SE_EEEEZNS1_13binary_searchIS3_S5_NSA_INS8_10device_ptrIiEEEESG_SI_NS1_21lower_bound_search_opENS9_16wrapped_functionINS8_6system6detail7generic6detail18binary_search_lessEbEEEE10hipError_tPvRmT1_T2_T3_mmT4_T5_P12ihipStream_tbEUlRKiE_EESV_SZ_S10_mS11_S14_bEUlT_E_NS1_11comp_targetILNS1_3genE10ELNS1_11target_archE1201ELNS1_3gpuE5ELNS1_3repE0EEENS1_30default_config_static_selectorELNS0_4arch9wavefront6targetE1EEEvSY_,comdat
	.protected	_ZN7rocprim17ROCPRIM_400000_NS6detail17trampoline_kernelINS0_14default_configENS1_27lower_bound_config_selectorIilEEZNS1_14transform_implILb0ES3_S5_N6thrust23THRUST_200600_302600_NS6detail15normal_iteratorINS8_7pointerIiNS8_11hip_rocprim5par_tENS8_11use_defaultESE_EEEENSA_INSB_IlSD_SE_SE_EEEEZNS1_13binary_searchIS3_S5_NSA_INS8_10device_ptrIiEEEESG_SI_NS1_21lower_bound_search_opENS9_16wrapped_functionINS8_6system6detail7generic6detail18binary_search_lessEbEEEE10hipError_tPvRmT1_T2_T3_mmT4_T5_P12ihipStream_tbEUlRKiE_EESV_SZ_S10_mS11_S14_bEUlT_E_NS1_11comp_targetILNS1_3genE10ELNS1_11target_archE1201ELNS1_3gpuE5ELNS1_3repE0EEENS1_30default_config_static_selectorELNS0_4arch9wavefront6targetE1EEEvSY_ ; -- Begin function _ZN7rocprim17ROCPRIM_400000_NS6detail17trampoline_kernelINS0_14default_configENS1_27lower_bound_config_selectorIilEEZNS1_14transform_implILb0ES3_S5_N6thrust23THRUST_200600_302600_NS6detail15normal_iteratorINS8_7pointerIiNS8_11hip_rocprim5par_tENS8_11use_defaultESE_EEEENSA_INSB_IlSD_SE_SE_EEEEZNS1_13binary_searchIS3_S5_NSA_INS8_10device_ptrIiEEEESG_SI_NS1_21lower_bound_search_opENS9_16wrapped_functionINS8_6system6detail7generic6detail18binary_search_lessEbEEEE10hipError_tPvRmT1_T2_T3_mmT4_T5_P12ihipStream_tbEUlRKiE_EESV_SZ_S10_mS11_S14_bEUlT_E_NS1_11comp_targetILNS1_3genE10ELNS1_11target_archE1201ELNS1_3gpuE5ELNS1_3repE0EEENS1_30default_config_static_selectorELNS0_4arch9wavefront6targetE1EEEvSY_
	.globl	_ZN7rocprim17ROCPRIM_400000_NS6detail17trampoline_kernelINS0_14default_configENS1_27lower_bound_config_selectorIilEEZNS1_14transform_implILb0ES3_S5_N6thrust23THRUST_200600_302600_NS6detail15normal_iteratorINS8_7pointerIiNS8_11hip_rocprim5par_tENS8_11use_defaultESE_EEEENSA_INSB_IlSD_SE_SE_EEEEZNS1_13binary_searchIS3_S5_NSA_INS8_10device_ptrIiEEEESG_SI_NS1_21lower_bound_search_opENS9_16wrapped_functionINS8_6system6detail7generic6detail18binary_search_lessEbEEEE10hipError_tPvRmT1_T2_T3_mmT4_T5_P12ihipStream_tbEUlRKiE_EESV_SZ_S10_mS11_S14_bEUlT_E_NS1_11comp_targetILNS1_3genE10ELNS1_11target_archE1201ELNS1_3gpuE5ELNS1_3repE0EEENS1_30default_config_static_selectorELNS0_4arch9wavefront6targetE1EEEvSY_
	.p2align	8
	.type	_ZN7rocprim17ROCPRIM_400000_NS6detail17trampoline_kernelINS0_14default_configENS1_27lower_bound_config_selectorIilEEZNS1_14transform_implILb0ES3_S5_N6thrust23THRUST_200600_302600_NS6detail15normal_iteratorINS8_7pointerIiNS8_11hip_rocprim5par_tENS8_11use_defaultESE_EEEENSA_INSB_IlSD_SE_SE_EEEEZNS1_13binary_searchIS3_S5_NSA_INS8_10device_ptrIiEEEESG_SI_NS1_21lower_bound_search_opENS9_16wrapped_functionINS8_6system6detail7generic6detail18binary_search_lessEbEEEE10hipError_tPvRmT1_T2_T3_mmT4_T5_P12ihipStream_tbEUlRKiE_EESV_SZ_S10_mS11_S14_bEUlT_E_NS1_11comp_targetILNS1_3genE10ELNS1_11target_archE1201ELNS1_3gpuE5ELNS1_3repE0EEENS1_30default_config_static_selectorELNS0_4arch9wavefront6targetE1EEEvSY_,@function
_ZN7rocprim17ROCPRIM_400000_NS6detail17trampoline_kernelINS0_14default_configENS1_27lower_bound_config_selectorIilEEZNS1_14transform_implILb0ES3_S5_N6thrust23THRUST_200600_302600_NS6detail15normal_iteratorINS8_7pointerIiNS8_11hip_rocprim5par_tENS8_11use_defaultESE_EEEENSA_INSB_IlSD_SE_SE_EEEEZNS1_13binary_searchIS3_S5_NSA_INS8_10device_ptrIiEEEESG_SI_NS1_21lower_bound_search_opENS9_16wrapped_functionINS8_6system6detail7generic6detail18binary_search_lessEbEEEE10hipError_tPvRmT1_T2_T3_mmT4_T5_P12ihipStream_tbEUlRKiE_EESV_SZ_S10_mS11_S14_bEUlT_E_NS1_11comp_targetILNS1_3genE10ELNS1_11target_archE1201ELNS1_3gpuE5ELNS1_3repE0EEENS1_30default_config_static_selectorELNS0_4arch9wavefront6targetE1EEEvSY_: ; @_ZN7rocprim17ROCPRIM_400000_NS6detail17trampoline_kernelINS0_14default_configENS1_27lower_bound_config_selectorIilEEZNS1_14transform_implILb0ES3_S5_N6thrust23THRUST_200600_302600_NS6detail15normal_iteratorINS8_7pointerIiNS8_11hip_rocprim5par_tENS8_11use_defaultESE_EEEENSA_INSB_IlSD_SE_SE_EEEEZNS1_13binary_searchIS3_S5_NSA_INS8_10device_ptrIiEEEESG_SI_NS1_21lower_bound_search_opENS9_16wrapped_functionINS8_6system6detail7generic6detail18binary_search_lessEbEEEE10hipError_tPvRmT1_T2_T3_mmT4_T5_P12ihipStream_tbEUlRKiE_EESV_SZ_S10_mS11_S14_bEUlT_E_NS1_11comp_targetILNS1_3genE10ELNS1_11target_archE1201ELNS1_3gpuE5ELNS1_3repE0EEENS1_30default_config_static_selectorELNS0_4arch9wavefront6targetE1EEEvSY_
; %bb.0:
	.section	.rodata,"a",@progbits
	.p2align	6, 0x0
	.amdhsa_kernel _ZN7rocprim17ROCPRIM_400000_NS6detail17trampoline_kernelINS0_14default_configENS1_27lower_bound_config_selectorIilEEZNS1_14transform_implILb0ES3_S5_N6thrust23THRUST_200600_302600_NS6detail15normal_iteratorINS8_7pointerIiNS8_11hip_rocprim5par_tENS8_11use_defaultESE_EEEENSA_INSB_IlSD_SE_SE_EEEEZNS1_13binary_searchIS3_S5_NSA_INS8_10device_ptrIiEEEESG_SI_NS1_21lower_bound_search_opENS9_16wrapped_functionINS8_6system6detail7generic6detail18binary_search_lessEbEEEE10hipError_tPvRmT1_T2_T3_mmT4_T5_P12ihipStream_tbEUlRKiE_EESV_SZ_S10_mS11_S14_bEUlT_E_NS1_11comp_targetILNS1_3genE10ELNS1_11target_archE1201ELNS1_3gpuE5ELNS1_3repE0EEENS1_30default_config_static_selectorELNS0_4arch9wavefront6targetE1EEEvSY_
		.amdhsa_group_segment_fixed_size 0
		.amdhsa_private_segment_fixed_size 0
		.amdhsa_kernarg_size 56
		.amdhsa_user_sgpr_count 6
		.amdhsa_user_sgpr_private_segment_buffer 1
		.amdhsa_user_sgpr_dispatch_ptr 0
		.amdhsa_user_sgpr_queue_ptr 0
		.amdhsa_user_sgpr_kernarg_segment_ptr 1
		.amdhsa_user_sgpr_dispatch_id 0
		.amdhsa_user_sgpr_flat_scratch_init 0
		.amdhsa_user_sgpr_private_segment_size 0
		.amdhsa_uses_dynamic_stack 0
		.amdhsa_system_sgpr_private_segment_wavefront_offset 0
		.amdhsa_system_sgpr_workgroup_id_x 1
		.amdhsa_system_sgpr_workgroup_id_y 0
		.amdhsa_system_sgpr_workgroup_id_z 0
		.amdhsa_system_sgpr_workgroup_info 0
		.amdhsa_system_vgpr_workitem_id 0
		.amdhsa_next_free_vgpr 1
		.amdhsa_next_free_sgpr 0
		.amdhsa_reserve_vcc 0
		.amdhsa_reserve_flat_scratch 0
		.amdhsa_float_round_mode_32 0
		.amdhsa_float_round_mode_16_64 0
		.amdhsa_float_denorm_mode_32 3
		.amdhsa_float_denorm_mode_16_64 3
		.amdhsa_dx10_clamp 1
		.amdhsa_ieee_mode 1
		.amdhsa_fp16_overflow 0
		.amdhsa_exception_fp_ieee_invalid_op 0
		.amdhsa_exception_fp_denorm_src 0
		.amdhsa_exception_fp_ieee_div_zero 0
		.amdhsa_exception_fp_ieee_overflow 0
		.amdhsa_exception_fp_ieee_underflow 0
		.amdhsa_exception_fp_ieee_inexact 0
		.amdhsa_exception_int_div_zero 0
	.end_amdhsa_kernel
	.section	.text._ZN7rocprim17ROCPRIM_400000_NS6detail17trampoline_kernelINS0_14default_configENS1_27lower_bound_config_selectorIilEEZNS1_14transform_implILb0ES3_S5_N6thrust23THRUST_200600_302600_NS6detail15normal_iteratorINS8_7pointerIiNS8_11hip_rocprim5par_tENS8_11use_defaultESE_EEEENSA_INSB_IlSD_SE_SE_EEEEZNS1_13binary_searchIS3_S5_NSA_INS8_10device_ptrIiEEEESG_SI_NS1_21lower_bound_search_opENS9_16wrapped_functionINS8_6system6detail7generic6detail18binary_search_lessEbEEEE10hipError_tPvRmT1_T2_T3_mmT4_T5_P12ihipStream_tbEUlRKiE_EESV_SZ_S10_mS11_S14_bEUlT_E_NS1_11comp_targetILNS1_3genE10ELNS1_11target_archE1201ELNS1_3gpuE5ELNS1_3repE0EEENS1_30default_config_static_selectorELNS0_4arch9wavefront6targetE1EEEvSY_,"axG",@progbits,_ZN7rocprim17ROCPRIM_400000_NS6detail17trampoline_kernelINS0_14default_configENS1_27lower_bound_config_selectorIilEEZNS1_14transform_implILb0ES3_S5_N6thrust23THRUST_200600_302600_NS6detail15normal_iteratorINS8_7pointerIiNS8_11hip_rocprim5par_tENS8_11use_defaultESE_EEEENSA_INSB_IlSD_SE_SE_EEEEZNS1_13binary_searchIS3_S5_NSA_INS8_10device_ptrIiEEEESG_SI_NS1_21lower_bound_search_opENS9_16wrapped_functionINS8_6system6detail7generic6detail18binary_search_lessEbEEEE10hipError_tPvRmT1_T2_T3_mmT4_T5_P12ihipStream_tbEUlRKiE_EESV_SZ_S10_mS11_S14_bEUlT_E_NS1_11comp_targetILNS1_3genE10ELNS1_11target_archE1201ELNS1_3gpuE5ELNS1_3repE0EEENS1_30default_config_static_selectorELNS0_4arch9wavefront6targetE1EEEvSY_,comdat
.Lfunc_end408:
	.size	_ZN7rocprim17ROCPRIM_400000_NS6detail17trampoline_kernelINS0_14default_configENS1_27lower_bound_config_selectorIilEEZNS1_14transform_implILb0ES3_S5_N6thrust23THRUST_200600_302600_NS6detail15normal_iteratorINS8_7pointerIiNS8_11hip_rocprim5par_tENS8_11use_defaultESE_EEEENSA_INSB_IlSD_SE_SE_EEEEZNS1_13binary_searchIS3_S5_NSA_INS8_10device_ptrIiEEEESG_SI_NS1_21lower_bound_search_opENS9_16wrapped_functionINS8_6system6detail7generic6detail18binary_search_lessEbEEEE10hipError_tPvRmT1_T2_T3_mmT4_T5_P12ihipStream_tbEUlRKiE_EESV_SZ_S10_mS11_S14_bEUlT_E_NS1_11comp_targetILNS1_3genE10ELNS1_11target_archE1201ELNS1_3gpuE5ELNS1_3repE0EEENS1_30default_config_static_selectorELNS0_4arch9wavefront6targetE1EEEvSY_, .Lfunc_end408-_ZN7rocprim17ROCPRIM_400000_NS6detail17trampoline_kernelINS0_14default_configENS1_27lower_bound_config_selectorIilEEZNS1_14transform_implILb0ES3_S5_N6thrust23THRUST_200600_302600_NS6detail15normal_iteratorINS8_7pointerIiNS8_11hip_rocprim5par_tENS8_11use_defaultESE_EEEENSA_INSB_IlSD_SE_SE_EEEEZNS1_13binary_searchIS3_S5_NSA_INS8_10device_ptrIiEEEESG_SI_NS1_21lower_bound_search_opENS9_16wrapped_functionINS8_6system6detail7generic6detail18binary_search_lessEbEEEE10hipError_tPvRmT1_T2_T3_mmT4_T5_P12ihipStream_tbEUlRKiE_EESV_SZ_S10_mS11_S14_bEUlT_E_NS1_11comp_targetILNS1_3genE10ELNS1_11target_archE1201ELNS1_3gpuE5ELNS1_3repE0EEENS1_30default_config_static_selectorELNS0_4arch9wavefront6targetE1EEEvSY_
                                        ; -- End function
	.set _ZN7rocprim17ROCPRIM_400000_NS6detail17trampoline_kernelINS0_14default_configENS1_27lower_bound_config_selectorIilEEZNS1_14transform_implILb0ES3_S5_N6thrust23THRUST_200600_302600_NS6detail15normal_iteratorINS8_7pointerIiNS8_11hip_rocprim5par_tENS8_11use_defaultESE_EEEENSA_INSB_IlSD_SE_SE_EEEEZNS1_13binary_searchIS3_S5_NSA_INS8_10device_ptrIiEEEESG_SI_NS1_21lower_bound_search_opENS9_16wrapped_functionINS8_6system6detail7generic6detail18binary_search_lessEbEEEE10hipError_tPvRmT1_T2_T3_mmT4_T5_P12ihipStream_tbEUlRKiE_EESV_SZ_S10_mS11_S14_bEUlT_E_NS1_11comp_targetILNS1_3genE10ELNS1_11target_archE1201ELNS1_3gpuE5ELNS1_3repE0EEENS1_30default_config_static_selectorELNS0_4arch9wavefront6targetE1EEEvSY_.num_vgpr, 0
	.set _ZN7rocprim17ROCPRIM_400000_NS6detail17trampoline_kernelINS0_14default_configENS1_27lower_bound_config_selectorIilEEZNS1_14transform_implILb0ES3_S5_N6thrust23THRUST_200600_302600_NS6detail15normal_iteratorINS8_7pointerIiNS8_11hip_rocprim5par_tENS8_11use_defaultESE_EEEENSA_INSB_IlSD_SE_SE_EEEEZNS1_13binary_searchIS3_S5_NSA_INS8_10device_ptrIiEEEESG_SI_NS1_21lower_bound_search_opENS9_16wrapped_functionINS8_6system6detail7generic6detail18binary_search_lessEbEEEE10hipError_tPvRmT1_T2_T3_mmT4_T5_P12ihipStream_tbEUlRKiE_EESV_SZ_S10_mS11_S14_bEUlT_E_NS1_11comp_targetILNS1_3genE10ELNS1_11target_archE1201ELNS1_3gpuE5ELNS1_3repE0EEENS1_30default_config_static_selectorELNS0_4arch9wavefront6targetE1EEEvSY_.num_agpr, 0
	.set _ZN7rocprim17ROCPRIM_400000_NS6detail17trampoline_kernelINS0_14default_configENS1_27lower_bound_config_selectorIilEEZNS1_14transform_implILb0ES3_S5_N6thrust23THRUST_200600_302600_NS6detail15normal_iteratorINS8_7pointerIiNS8_11hip_rocprim5par_tENS8_11use_defaultESE_EEEENSA_INSB_IlSD_SE_SE_EEEEZNS1_13binary_searchIS3_S5_NSA_INS8_10device_ptrIiEEEESG_SI_NS1_21lower_bound_search_opENS9_16wrapped_functionINS8_6system6detail7generic6detail18binary_search_lessEbEEEE10hipError_tPvRmT1_T2_T3_mmT4_T5_P12ihipStream_tbEUlRKiE_EESV_SZ_S10_mS11_S14_bEUlT_E_NS1_11comp_targetILNS1_3genE10ELNS1_11target_archE1201ELNS1_3gpuE5ELNS1_3repE0EEENS1_30default_config_static_selectorELNS0_4arch9wavefront6targetE1EEEvSY_.numbered_sgpr, 0
	.set _ZN7rocprim17ROCPRIM_400000_NS6detail17trampoline_kernelINS0_14default_configENS1_27lower_bound_config_selectorIilEEZNS1_14transform_implILb0ES3_S5_N6thrust23THRUST_200600_302600_NS6detail15normal_iteratorINS8_7pointerIiNS8_11hip_rocprim5par_tENS8_11use_defaultESE_EEEENSA_INSB_IlSD_SE_SE_EEEEZNS1_13binary_searchIS3_S5_NSA_INS8_10device_ptrIiEEEESG_SI_NS1_21lower_bound_search_opENS9_16wrapped_functionINS8_6system6detail7generic6detail18binary_search_lessEbEEEE10hipError_tPvRmT1_T2_T3_mmT4_T5_P12ihipStream_tbEUlRKiE_EESV_SZ_S10_mS11_S14_bEUlT_E_NS1_11comp_targetILNS1_3genE10ELNS1_11target_archE1201ELNS1_3gpuE5ELNS1_3repE0EEENS1_30default_config_static_selectorELNS0_4arch9wavefront6targetE1EEEvSY_.num_named_barrier, 0
	.set _ZN7rocprim17ROCPRIM_400000_NS6detail17trampoline_kernelINS0_14default_configENS1_27lower_bound_config_selectorIilEEZNS1_14transform_implILb0ES3_S5_N6thrust23THRUST_200600_302600_NS6detail15normal_iteratorINS8_7pointerIiNS8_11hip_rocprim5par_tENS8_11use_defaultESE_EEEENSA_INSB_IlSD_SE_SE_EEEEZNS1_13binary_searchIS3_S5_NSA_INS8_10device_ptrIiEEEESG_SI_NS1_21lower_bound_search_opENS9_16wrapped_functionINS8_6system6detail7generic6detail18binary_search_lessEbEEEE10hipError_tPvRmT1_T2_T3_mmT4_T5_P12ihipStream_tbEUlRKiE_EESV_SZ_S10_mS11_S14_bEUlT_E_NS1_11comp_targetILNS1_3genE10ELNS1_11target_archE1201ELNS1_3gpuE5ELNS1_3repE0EEENS1_30default_config_static_selectorELNS0_4arch9wavefront6targetE1EEEvSY_.private_seg_size, 0
	.set _ZN7rocprim17ROCPRIM_400000_NS6detail17trampoline_kernelINS0_14default_configENS1_27lower_bound_config_selectorIilEEZNS1_14transform_implILb0ES3_S5_N6thrust23THRUST_200600_302600_NS6detail15normal_iteratorINS8_7pointerIiNS8_11hip_rocprim5par_tENS8_11use_defaultESE_EEEENSA_INSB_IlSD_SE_SE_EEEEZNS1_13binary_searchIS3_S5_NSA_INS8_10device_ptrIiEEEESG_SI_NS1_21lower_bound_search_opENS9_16wrapped_functionINS8_6system6detail7generic6detail18binary_search_lessEbEEEE10hipError_tPvRmT1_T2_T3_mmT4_T5_P12ihipStream_tbEUlRKiE_EESV_SZ_S10_mS11_S14_bEUlT_E_NS1_11comp_targetILNS1_3genE10ELNS1_11target_archE1201ELNS1_3gpuE5ELNS1_3repE0EEENS1_30default_config_static_selectorELNS0_4arch9wavefront6targetE1EEEvSY_.uses_vcc, 0
	.set _ZN7rocprim17ROCPRIM_400000_NS6detail17trampoline_kernelINS0_14default_configENS1_27lower_bound_config_selectorIilEEZNS1_14transform_implILb0ES3_S5_N6thrust23THRUST_200600_302600_NS6detail15normal_iteratorINS8_7pointerIiNS8_11hip_rocprim5par_tENS8_11use_defaultESE_EEEENSA_INSB_IlSD_SE_SE_EEEEZNS1_13binary_searchIS3_S5_NSA_INS8_10device_ptrIiEEEESG_SI_NS1_21lower_bound_search_opENS9_16wrapped_functionINS8_6system6detail7generic6detail18binary_search_lessEbEEEE10hipError_tPvRmT1_T2_T3_mmT4_T5_P12ihipStream_tbEUlRKiE_EESV_SZ_S10_mS11_S14_bEUlT_E_NS1_11comp_targetILNS1_3genE10ELNS1_11target_archE1201ELNS1_3gpuE5ELNS1_3repE0EEENS1_30default_config_static_selectorELNS0_4arch9wavefront6targetE1EEEvSY_.uses_flat_scratch, 0
	.set _ZN7rocprim17ROCPRIM_400000_NS6detail17trampoline_kernelINS0_14default_configENS1_27lower_bound_config_selectorIilEEZNS1_14transform_implILb0ES3_S5_N6thrust23THRUST_200600_302600_NS6detail15normal_iteratorINS8_7pointerIiNS8_11hip_rocprim5par_tENS8_11use_defaultESE_EEEENSA_INSB_IlSD_SE_SE_EEEEZNS1_13binary_searchIS3_S5_NSA_INS8_10device_ptrIiEEEESG_SI_NS1_21lower_bound_search_opENS9_16wrapped_functionINS8_6system6detail7generic6detail18binary_search_lessEbEEEE10hipError_tPvRmT1_T2_T3_mmT4_T5_P12ihipStream_tbEUlRKiE_EESV_SZ_S10_mS11_S14_bEUlT_E_NS1_11comp_targetILNS1_3genE10ELNS1_11target_archE1201ELNS1_3gpuE5ELNS1_3repE0EEENS1_30default_config_static_selectorELNS0_4arch9wavefront6targetE1EEEvSY_.has_dyn_sized_stack, 0
	.set _ZN7rocprim17ROCPRIM_400000_NS6detail17trampoline_kernelINS0_14default_configENS1_27lower_bound_config_selectorIilEEZNS1_14transform_implILb0ES3_S5_N6thrust23THRUST_200600_302600_NS6detail15normal_iteratorINS8_7pointerIiNS8_11hip_rocprim5par_tENS8_11use_defaultESE_EEEENSA_INSB_IlSD_SE_SE_EEEEZNS1_13binary_searchIS3_S5_NSA_INS8_10device_ptrIiEEEESG_SI_NS1_21lower_bound_search_opENS9_16wrapped_functionINS8_6system6detail7generic6detail18binary_search_lessEbEEEE10hipError_tPvRmT1_T2_T3_mmT4_T5_P12ihipStream_tbEUlRKiE_EESV_SZ_S10_mS11_S14_bEUlT_E_NS1_11comp_targetILNS1_3genE10ELNS1_11target_archE1201ELNS1_3gpuE5ELNS1_3repE0EEENS1_30default_config_static_selectorELNS0_4arch9wavefront6targetE1EEEvSY_.has_recursion, 0
	.set _ZN7rocprim17ROCPRIM_400000_NS6detail17trampoline_kernelINS0_14default_configENS1_27lower_bound_config_selectorIilEEZNS1_14transform_implILb0ES3_S5_N6thrust23THRUST_200600_302600_NS6detail15normal_iteratorINS8_7pointerIiNS8_11hip_rocprim5par_tENS8_11use_defaultESE_EEEENSA_INSB_IlSD_SE_SE_EEEEZNS1_13binary_searchIS3_S5_NSA_INS8_10device_ptrIiEEEESG_SI_NS1_21lower_bound_search_opENS9_16wrapped_functionINS8_6system6detail7generic6detail18binary_search_lessEbEEEE10hipError_tPvRmT1_T2_T3_mmT4_T5_P12ihipStream_tbEUlRKiE_EESV_SZ_S10_mS11_S14_bEUlT_E_NS1_11comp_targetILNS1_3genE10ELNS1_11target_archE1201ELNS1_3gpuE5ELNS1_3repE0EEENS1_30default_config_static_selectorELNS0_4arch9wavefront6targetE1EEEvSY_.has_indirect_call, 0
	.section	.AMDGPU.csdata,"",@progbits
; Kernel info:
; codeLenInByte = 0
; TotalNumSgprs: 4
; NumVgprs: 0
; ScratchSize: 0
; MemoryBound: 0
; FloatMode: 240
; IeeeMode: 1
; LDSByteSize: 0 bytes/workgroup (compile time only)
; SGPRBlocks: 0
; VGPRBlocks: 0
; NumSGPRsForWavesPerEU: 4
; NumVGPRsForWavesPerEU: 1
; Occupancy: 10
; WaveLimiterHint : 0
; COMPUTE_PGM_RSRC2:SCRATCH_EN: 0
; COMPUTE_PGM_RSRC2:USER_SGPR: 6
; COMPUTE_PGM_RSRC2:TRAP_HANDLER: 0
; COMPUTE_PGM_RSRC2:TGID_X_EN: 1
; COMPUTE_PGM_RSRC2:TGID_Y_EN: 0
; COMPUTE_PGM_RSRC2:TGID_Z_EN: 0
; COMPUTE_PGM_RSRC2:TIDIG_COMP_CNT: 0
	.section	.text._ZN7rocprim17ROCPRIM_400000_NS6detail17trampoline_kernelINS0_14default_configENS1_27lower_bound_config_selectorIilEEZNS1_14transform_implILb0ES3_S5_N6thrust23THRUST_200600_302600_NS6detail15normal_iteratorINS8_7pointerIiNS8_11hip_rocprim5par_tENS8_11use_defaultESE_EEEENSA_INSB_IlSD_SE_SE_EEEEZNS1_13binary_searchIS3_S5_NSA_INS8_10device_ptrIiEEEESG_SI_NS1_21lower_bound_search_opENS9_16wrapped_functionINS8_6system6detail7generic6detail18binary_search_lessEbEEEE10hipError_tPvRmT1_T2_T3_mmT4_T5_P12ihipStream_tbEUlRKiE_EESV_SZ_S10_mS11_S14_bEUlT_E_NS1_11comp_targetILNS1_3genE10ELNS1_11target_archE1200ELNS1_3gpuE4ELNS1_3repE0EEENS1_30default_config_static_selectorELNS0_4arch9wavefront6targetE1EEEvSY_,"axG",@progbits,_ZN7rocprim17ROCPRIM_400000_NS6detail17trampoline_kernelINS0_14default_configENS1_27lower_bound_config_selectorIilEEZNS1_14transform_implILb0ES3_S5_N6thrust23THRUST_200600_302600_NS6detail15normal_iteratorINS8_7pointerIiNS8_11hip_rocprim5par_tENS8_11use_defaultESE_EEEENSA_INSB_IlSD_SE_SE_EEEEZNS1_13binary_searchIS3_S5_NSA_INS8_10device_ptrIiEEEESG_SI_NS1_21lower_bound_search_opENS9_16wrapped_functionINS8_6system6detail7generic6detail18binary_search_lessEbEEEE10hipError_tPvRmT1_T2_T3_mmT4_T5_P12ihipStream_tbEUlRKiE_EESV_SZ_S10_mS11_S14_bEUlT_E_NS1_11comp_targetILNS1_3genE10ELNS1_11target_archE1200ELNS1_3gpuE4ELNS1_3repE0EEENS1_30default_config_static_selectorELNS0_4arch9wavefront6targetE1EEEvSY_,comdat
	.protected	_ZN7rocprim17ROCPRIM_400000_NS6detail17trampoline_kernelINS0_14default_configENS1_27lower_bound_config_selectorIilEEZNS1_14transform_implILb0ES3_S5_N6thrust23THRUST_200600_302600_NS6detail15normal_iteratorINS8_7pointerIiNS8_11hip_rocprim5par_tENS8_11use_defaultESE_EEEENSA_INSB_IlSD_SE_SE_EEEEZNS1_13binary_searchIS3_S5_NSA_INS8_10device_ptrIiEEEESG_SI_NS1_21lower_bound_search_opENS9_16wrapped_functionINS8_6system6detail7generic6detail18binary_search_lessEbEEEE10hipError_tPvRmT1_T2_T3_mmT4_T5_P12ihipStream_tbEUlRKiE_EESV_SZ_S10_mS11_S14_bEUlT_E_NS1_11comp_targetILNS1_3genE10ELNS1_11target_archE1200ELNS1_3gpuE4ELNS1_3repE0EEENS1_30default_config_static_selectorELNS0_4arch9wavefront6targetE1EEEvSY_ ; -- Begin function _ZN7rocprim17ROCPRIM_400000_NS6detail17trampoline_kernelINS0_14default_configENS1_27lower_bound_config_selectorIilEEZNS1_14transform_implILb0ES3_S5_N6thrust23THRUST_200600_302600_NS6detail15normal_iteratorINS8_7pointerIiNS8_11hip_rocprim5par_tENS8_11use_defaultESE_EEEENSA_INSB_IlSD_SE_SE_EEEEZNS1_13binary_searchIS3_S5_NSA_INS8_10device_ptrIiEEEESG_SI_NS1_21lower_bound_search_opENS9_16wrapped_functionINS8_6system6detail7generic6detail18binary_search_lessEbEEEE10hipError_tPvRmT1_T2_T3_mmT4_T5_P12ihipStream_tbEUlRKiE_EESV_SZ_S10_mS11_S14_bEUlT_E_NS1_11comp_targetILNS1_3genE10ELNS1_11target_archE1200ELNS1_3gpuE4ELNS1_3repE0EEENS1_30default_config_static_selectorELNS0_4arch9wavefront6targetE1EEEvSY_
	.globl	_ZN7rocprim17ROCPRIM_400000_NS6detail17trampoline_kernelINS0_14default_configENS1_27lower_bound_config_selectorIilEEZNS1_14transform_implILb0ES3_S5_N6thrust23THRUST_200600_302600_NS6detail15normal_iteratorINS8_7pointerIiNS8_11hip_rocprim5par_tENS8_11use_defaultESE_EEEENSA_INSB_IlSD_SE_SE_EEEEZNS1_13binary_searchIS3_S5_NSA_INS8_10device_ptrIiEEEESG_SI_NS1_21lower_bound_search_opENS9_16wrapped_functionINS8_6system6detail7generic6detail18binary_search_lessEbEEEE10hipError_tPvRmT1_T2_T3_mmT4_T5_P12ihipStream_tbEUlRKiE_EESV_SZ_S10_mS11_S14_bEUlT_E_NS1_11comp_targetILNS1_3genE10ELNS1_11target_archE1200ELNS1_3gpuE4ELNS1_3repE0EEENS1_30default_config_static_selectorELNS0_4arch9wavefront6targetE1EEEvSY_
	.p2align	8
	.type	_ZN7rocprim17ROCPRIM_400000_NS6detail17trampoline_kernelINS0_14default_configENS1_27lower_bound_config_selectorIilEEZNS1_14transform_implILb0ES3_S5_N6thrust23THRUST_200600_302600_NS6detail15normal_iteratorINS8_7pointerIiNS8_11hip_rocprim5par_tENS8_11use_defaultESE_EEEENSA_INSB_IlSD_SE_SE_EEEEZNS1_13binary_searchIS3_S5_NSA_INS8_10device_ptrIiEEEESG_SI_NS1_21lower_bound_search_opENS9_16wrapped_functionINS8_6system6detail7generic6detail18binary_search_lessEbEEEE10hipError_tPvRmT1_T2_T3_mmT4_T5_P12ihipStream_tbEUlRKiE_EESV_SZ_S10_mS11_S14_bEUlT_E_NS1_11comp_targetILNS1_3genE10ELNS1_11target_archE1200ELNS1_3gpuE4ELNS1_3repE0EEENS1_30default_config_static_selectorELNS0_4arch9wavefront6targetE1EEEvSY_,@function
_ZN7rocprim17ROCPRIM_400000_NS6detail17trampoline_kernelINS0_14default_configENS1_27lower_bound_config_selectorIilEEZNS1_14transform_implILb0ES3_S5_N6thrust23THRUST_200600_302600_NS6detail15normal_iteratorINS8_7pointerIiNS8_11hip_rocprim5par_tENS8_11use_defaultESE_EEEENSA_INSB_IlSD_SE_SE_EEEEZNS1_13binary_searchIS3_S5_NSA_INS8_10device_ptrIiEEEESG_SI_NS1_21lower_bound_search_opENS9_16wrapped_functionINS8_6system6detail7generic6detail18binary_search_lessEbEEEE10hipError_tPvRmT1_T2_T3_mmT4_T5_P12ihipStream_tbEUlRKiE_EESV_SZ_S10_mS11_S14_bEUlT_E_NS1_11comp_targetILNS1_3genE10ELNS1_11target_archE1200ELNS1_3gpuE4ELNS1_3repE0EEENS1_30default_config_static_selectorELNS0_4arch9wavefront6targetE1EEEvSY_: ; @_ZN7rocprim17ROCPRIM_400000_NS6detail17trampoline_kernelINS0_14default_configENS1_27lower_bound_config_selectorIilEEZNS1_14transform_implILb0ES3_S5_N6thrust23THRUST_200600_302600_NS6detail15normal_iteratorINS8_7pointerIiNS8_11hip_rocprim5par_tENS8_11use_defaultESE_EEEENSA_INSB_IlSD_SE_SE_EEEEZNS1_13binary_searchIS3_S5_NSA_INS8_10device_ptrIiEEEESG_SI_NS1_21lower_bound_search_opENS9_16wrapped_functionINS8_6system6detail7generic6detail18binary_search_lessEbEEEE10hipError_tPvRmT1_T2_T3_mmT4_T5_P12ihipStream_tbEUlRKiE_EESV_SZ_S10_mS11_S14_bEUlT_E_NS1_11comp_targetILNS1_3genE10ELNS1_11target_archE1200ELNS1_3gpuE4ELNS1_3repE0EEENS1_30default_config_static_selectorELNS0_4arch9wavefront6targetE1EEEvSY_
; %bb.0:
	.section	.rodata,"a",@progbits
	.p2align	6, 0x0
	.amdhsa_kernel _ZN7rocprim17ROCPRIM_400000_NS6detail17trampoline_kernelINS0_14default_configENS1_27lower_bound_config_selectorIilEEZNS1_14transform_implILb0ES3_S5_N6thrust23THRUST_200600_302600_NS6detail15normal_iteratorINS8_7pointerIiNS8_11hip_rocprim5par_tENS8_11use_defaultESE_EEEENSA_INSB_IlSD_SE_SE_EEEEZNS1_13binary_searchIS3_S5_NSA_INS8_10device_ptrIiEEEESG_SI_NS1_21lower_bound_search_opENS9_16wrapped_functionINS8_6system6detail7generic6detail18binary_search_lessEbEEEE10hipError_tPvRmT1_T2_T3_mmT4_T5_P12ihipStream_tbEUlRKiE_EESV_SZ_S10_mS11_S14_bEUlT_E_NS1_11comp_targetILNS1_3genE10ELNS1_11target_archE1200ELNS1_3gpuE4ELNS1_3repE0EEENS1_30default_config_static_selectorELNS0_4arch9wavefront6targetE1EEEvSY_
		.amdhsa_group_segment_fixed_size 0
		.amdhsa_private_segment_fixed_size 0
		.amdhsa_kernarg_size 56
		.amdhsa_user_sgpr_count 6
		.amdhsa_user_sgpr_private_segment_buffer 1
		.amdhsa_user_sgpr_dispatch_ptr 0
		.amdhsa_user_sgpr_queue_ptr 0
		.amdhsa_user_sgpr_kernarg_segment_ptr 1
		.amdhsa_user_sgpr_dispatch_id 0
		.amdhsa_user_sgpr_flat_scratch_init 0
		.amdhsa_user_sgpr_private_segment_size 0
		.amdhsa_uses_dynamic_stack 0
		.amdhsa_system_sgpr_private_segment_wavefront_offset 0
		.amdhsa_system_sgpr_workgroup_id_x 1
		.amdhsa_system_sgpr_workgroup_id_y 0
		.amdhsa_system_sgpr_workgroup_id_z 0
		.amdhsa_system_sgpr_workgroup_info 0
		.amdhsa_system_vgpr_workitem_id 0
		.amdhsa_next_free_vgpr 1
		.amdhsa_next_free_sgpr 0
		.amdhsa_reserve_vcc 0
		.amdhsa_reserve_flat_scratch 0
		.amdhsa_float_round_mode_32 0
		.amdhsa_float_round_mode_16_64 0
		.amdhsa_float_denorm_mode_32 3
		.amdhsa_float_denorm_mode_16_64 3
		.amdhsa_dx10_clamp 1
		.amdhsa_ieee_mode 1
		.amdhsa_fp16_overflow 0
		.amdhsa_exception_fp_ieee_invalid_op 0
		.amdhsa_exception_fp_denorm_src 0
		.amdhsa_exception_fp_ieee_div_zero 0
		.amdhsa_exception_fp_ieee_overflow 0
		.amdhsa_exception_fp_ieee_underflow 0
		.amdhsa_exception_fp_ieee_inexact 0
		.amdhsa_exception_int_div_zero 0
	.end_amdhsa_kernel
	.section	.text._ZN7rocprim17ROCPRIM_400000_NS6detail17trampoline_kernelINS0_14default_configENS1_27lower_bound_config_selectorIilEEZNS1_14transform_implILb0ES3_S5_N6thrust23THRUST_200600_302600_NS6detail15normal_iteratorINS8_7pointerIiNS8_11hip_rocprim5par_tENS8_11use_defaultESE_EEEENSA_INSB_IlSD_SE_SE_EEEEZNS1_13binary_searchIS3_S5_NSA_INS8_10device_ptrIiEEEESG_SI_NS1_21lower_bound_search_opENS9_16wrapped_functionINS8_6system6detail7generic6detail18binary_search_lessEbEEEE10hipError_tPvRmT1_T2_T3_mmT4_T5_P12ihipStream_tbEUlRKiE_EESV_SZ_S10_mS11_S14_bEUlT_E_NS1_11comp_targetILNS1_3genE10ELNS1_11target_archE1200ELNS1_3gpuE4ELNS1_3repE0EEENS1_30default_config_static_selectorELNS0_4arch9wavefront6targetE1EEEvSY_,"axG",@progbits,_ZN7rocprim17ROCPRIM_400000_NS6detail17trampoline_kernelINS0_14default_configENS1_27lower_bound_config_selectorIilEEZNS1_14transform_implILb0ES3_S5_N6thrust23THRUST_200600_302600_NS6detail15normal_iteratorINS8_7pointerIiNS8_11hip_rocprim5par_tENS8_11use_defaultESE_EEEENSA_INSB_IlSD_SE_SE_EEEEZNS1_13binary_searchIS3_S5_NSA_INS8_10device_ptrIiEEEESG_SI_NS1_21lower_bound_search_opENS9_16wrapped_functionINS8_6system6detail7generic6detail18binary_search_lessEbEEEE10hipError_tPvRmT1_T2_T3_mmT4_T5_P12ihipStream_tbEUlRKiE_EESV_SZ_S10_mS11_S14_bEUlT_E_NS1_11comp_targetILNS1_3genE10ELNS1_11target_archE1200ELNS1_3gpuE4ELNS1_3repE0EEENS1_30default_config_static_selectorELNS0_4arch9wavefront6targetE1EEEvSY_,comdat
.Lfunc_end409:
	.size	_ZN7rocprim17ROCPRIM_400000_NS6detail17trampoline_kernelINS0_14default_configENS1_27lower_bound_config_selectorIilEEZNS1_14transform_implILb0ES3_S5_N6thrust23THRUST_200600_302600_NS6detail15normal_iteratorINS8_7pointerIiNS8_11hip_rocprim5par_tENS8_11use_defaultESE_EEEENSA_INSB_IlSD_SE_SE_EEEEZNS1_13binary_searchIS3_S5_NSA_INS8_10device_ptrIiEEEESG_SI_NS1_21lower_bound_search_opENS9_16wrapped_functionINS8_6system6detail7generic6detail18binary_search_lessEbEEEE10hipError_tPvRmT1_T2_T3_mmT4_T5_P12ihipStream_tbEUlRKiE_EESV_SZ_S10_mS11_S14_bEUlT_E_NS1_11comp_targetILNS1_3genE10ELNS1_11target_archE1200ELNS1_3gpuE4ELNS1_3repE0EEENS1_30default_config_static_selectorELNS0_4arch9wavefront6targetE1EEEvSY_, .Lfunc_end409-_ZN7rocprim17ROCPRIM_400000_NS6detail17trampoline_kernelINS0_14default_configENS1_27lower_bound_config_selectorIilEEZNS1_14transform_implILb0ES3_S5_N6thrust23THRUST_200600_302600_NS6detail15normal_iteratorINS8_7pointerIiNS8_11hip_rocprim5par_tENS8_11use_defaultESE_EEEENSA_INSB_IlSD_SE_SE_EEEEZNS1_13binary_searchIS3_S5_NSA_INS8_10device_ptrIiEEEESG_SI_NS1_21lower_bound_search_opENS9_16wrapped_functionINS8_6system6detail7generic6detail18binary_search_lessEbEEEE10hipError_tPvRmT1_T2_T3_mmT4_T5_P12ihipStream_tbEUlRKiE_EESV_SZ_S10_mS11_S14_bEUlT_E_NS1_11comp_targetILNS1_3genE10ELNS1_11target_archE1200ELNS1_3gpuE4ELNS1_3repE0EEENS1_30default_config_static_selectorELNS0_4arch9wavefront6targetE1EEEvSY_
                                        ; -- End function
	.set _ZN7rocprim17ROCPRIM_400000_NS6detail17trampoline_kernelINS0_14default_configENS1_27lower_bound_config_selectorIilEEZNS1_14transform_implILb0ES3_S5_N6thrust23THRUST_200600_302600_NS6detail15normal_iteratorINS8_7pointerIiNS8_11hip_rocprim5par_tENS8_11use_defaultESE_EEEENSA_INSB_IlSD_SE_SE_EEEEZNS1_13binary_searchIS3_S5_NSA_INS8_10device_ptrIiEEEESG_SI_NS1_21lower_bound_search_opENS9_16wrapped_functionINS8_6system6detail7generic6detail18binary_search_lessEbEEEE10hipError_tPvRmT1_T2_T3_mmT4_T5_P12ihipStream_tbEUlRKiE_EESV_SZ_S10_mS11_S14_bEUlT_E_NS1_11comp_targetILNS1_3genE10ELNS1_11target_archE1200ELNS1_3gpuE4ELNS1_3repE0EEENS1_30default_config_static_selectorELNS0_4arch9wavefront6targetE1EEEvSY_.num_vgpr, 0
	.set _ZN7rocprim17ROCPRIM_400000_NS6detail17trampoline_kernelINS0_14default_configENS1_27lower_bound_config_selectorIilEEZNS1_14transform_implILb0ES3_S5_N6thrust23THRUST_200600_302600_NS6detail15normal_iteratorINS8_7pointerIiNS8_11hip_rocprim5par_tENS8_11use_defaultESE_EEEENSA_INSB_IlSD_SE_SE_EEEEZNS1_13binary_searchIS3_S5_NSA_INS8_10device_ptrIiEEEESG_SI_NS1_21lower_bound_search_opENS9_16wrapped_functionINS8_6system6detail7generic6detail18binary_search_lessEbEEEE10hipError_tPvRmT1_T2_T3_mmT4_T5_P12ihipStream_tbEUlRKiE_EESV_SZ_S10_mS11_S14_bEUlT_E_NS1_11comp_targetILNS1_3genE10ELNS1_11target_archE1200ELNS1_3gpuE4ELNS1_3repE0EEENS1_30default_config_static_selectorELNS0_4arch9wavefront6targetE1EEEvSY_.num_agpr, 0
	.set _ZN7rocprim17ROCPRIM_400000_NS6detail17trampoline_kernelINS0_14default_configENS1_27lower_bound_config_selectorIilEEZNS1_14transform_implILb0ES3_S5_N6thrust23THRUST_200600_302600_NS6detail15normal_iteratorINS8_7pointerIiNS8_11hip_rocprim5par_tENS8_11use_defaultESE_EEEENSA_INSB_IlSD_SE_SE_EEEEZNS1_13binary_searchIS3_S5_NSA_INS8_10device_ptrIiEEEESG_SI_NS1_21lower_bound_search_opENS9_16wrapped_functionINS8_6system6detail7generic6detail18binary_search_lessEbEEEE10hipError_tPvRmT1_T2_T3_mmT4_T5_P12ihipStream_tbEUlRKiE_EESV_SZ_S10_mS11_S14_bEUlT_E_NS1_11comp_targetILNS1_3genE10ELNS1_11target_archE1200ELNS1_3gpuE4ELNS1_3repE0EEENS1_30default_config_static_selectorELNS0_4arch9wavefront6targetE1EEEvSY_.numbered_sgpr, 0
	.set _ZN7rocprim17ROCPRIM_400000_NS6detail17trampoline_kernelINS0_14default_configENS1_27lower_bound_config_selectorIilEEZNS1_14transform_implILb0ES3_S5_N6thrust23THRUST_200600_302600_NS6detail15normal_iteratorINS8_7pointerIiNS8_11hip_rocprim5par_tENS8_11use_defaultESE_EEEENSA_INSB_IlSD_SE_SE_EEEEZNS1_13binary_searchIS3_S5_NSA_INS8_10device_ptrIiEEEESG_SI_NS1_21lower_bound_search_opENS9_16wrapped_functionINS8_6system6detail7generic6detail18binary_search_lessEbEEEE10hipError_tPvRmT1_T2_T3_mmT4_T5_P12ihipStream_tbEUlRKiE_EESV_SZ_S10_mS11_S14_bEUlT_E_NS1_11comp_targetILNS1_3genE10ELNS1_11target_archE1200ELNS1_3gpuE4ELNS1_3repE0EEENS1_30default_config_static_selectorELNS0_4arch9wavefront6targetE1EEEvSY_.num_named_barrier, 0
	.set _ZN7rocprim17ROCPRIM_400000_NS6detail17trampoline_kernelINS0_14default_configENS1_27lower_bound_config_selectorIilEEZNS1_14transform_implILb0ES3_S5_N6thrust23THRUST_200600_302600_NS6detail15normal_iteratorINS8_7pointerIiNS8_11hip_rocprim5par_tENS8_11use_defaultESE_EEEENSA_INSB_IlSD_SE_SE_EEEEZNS1_13binary_searchIS3_S5_NSA_INS8_10device_ptrIiEEEESG_SI_NS1_21lower_bound_search_opENS9_16wrapped_functionINS8_6system6detail7generic6detail18binary_search_lessEbEEEE10hipError_tPvRmT1_T2_T3_mmT4_T5_P12ihipStream_tbEUlRKiE_EESV_SZ_S10_mS11_S14_bEUlT_E_NS1_11comp_targetILNS1_3genE10ELNS1_11target_archE1200ELNS1_3gpuE4ELNS1_3repE0EEENS1_30default_config_static_selectorELNS0_4arch9wavefront6targetE1EEEvSY_.private_seg_size, 0
	.set _ZN7rocprim17ROCPRIM_400000_NS6detail17trampoline_kernelINS0_14default_configENS1_27lower_bound_config_selectorIilEEZNS1_14transform_implILb0ES3_S5_N6thrust23THRUST_200600_302600_NS6detail15normal_iteratorINS8_7pointerIiNS8_11hip_rocprim5par_tENS8_11use_defaultESE_EEEENSA_INSB_IlSD_SE_SE_EEEEZNS1_13binary_searchIS3_S5_NSA_INS8_10device_ptrIiEEEESG_SI_NS1_21lower_bound_search_opENS9_16wrapped_functionINS8_6system6detail7generic6detail18binary_search_lessEbEEEE10hipError_tPvRmT1_T2_T3_mmT4_T5_P12ihipStream_tbEUlRKiE_EESV_SZ_S10_mS11_S14_bEUlT_E_NS1_11comp_targetILNS1_3genE10ELNS1_11target_archE1200ELNS1_3gpuE4ELNS1_3repE0EEENS1_30default_config_static_selectorELNS0_4arch9wavefront6targetE1EEEvSY_.uses_vcc, 0
	.set _ZN7rocprim17ROCPRIM_400000_NS6detail17trampoline_kernelINS0_14default_configENS1_27lower_bound_config_selectorIilEEZNS1_14transform_implILb0ES3_S5_N6thrust23THRUST_200600_302600_NS6detail15normal_iteratorINS8_7pointerIiNS8_11hip_rocprim5par_tENS8_11use_defaultESE_EEEENSA_INSB_IlSD_SE_SE_EEEEZNS1_13binary_searchIS3_S5_NSA_INS8_10device_ptrIiEEEESG_SI_NS1_21lower_bound_search_opENS9_16wrapped_functionINS8_6system6detail7generic6detail18binary_search_lessEbEEEE10hipError_tPvRmT1_T2_T3_mmT4_T5_P12ihipStream_tbEUlRKiE_EESV_SZ_S10_mS11_S14_bEUlT_E_NS1_11comp_targetILNS1_3genE10ELNS1_11target_archE1200ELNS1_3gpuE4ELNS1_3repE0EEENS1_30default_config_static_selectorELNS0_4arch9wavefront6targetE1EEEvSY_.uses_flat_scratch, 0
	.set _ZN7rocprim17ROCPRIM_400000_NS6detail17trampoline_kernelINS0_14default_configENS1_27lower_bound_config_selectorIilEEZNS1_14transform_implILb0ES3_S5_N6thrust23THRUST_200600_302600_NS6detail15normal_iteratorINS8_7pointerIiNS8_11hip_rocprim5par_tENS8_11use_defaultESE_EEEENSA_INSB_IlSD_SE_SE_EEEEZNS1_13binary_searchIS3_S5_NSA_INS8_10device_ptrIiEEEESG_SI_NS1_21lower_bound_search_opENS9_16wrapped_functionINS8_6system6detail7generic6detail18binary_search_lessEbEEEE10hipError_tPvRmT1_T2_T3_mmT4_T5_P12ihipStream_tbEUlRKiE_EESV_SZ_S10_mS11_S14_bEUlT_E_NS1_11comp_targetILNS1_3genE10ELNS1_11target_archE1200ELNS1_3gpuE4ELNS1_3repE0EEENS1_30default_config_static_selectorELNS0_4arch9wavefront6targetE1EEEvSY_.has_dyn_sized_stack, 0
	.set _ZN7rocprim17ROCPRIM_400000_NS6detail17trampoline_kernelINS0_14default_configENS1_27lower_bound_config_selectorIilEEZNS1_14transform_implILb0ES3_S5_N6thrust23THRUST_200600_302600_NS6detail15normal_iteratorINS8_7pointerIiNS8_11hip_rocprim5par_tENS8_11use_defaultESE_EEEENSA_INSB_IlSD_SE_SE_EEEEZNS1_13binary_searchIS3_S5_NSA_INS8_10device_ptrIiEEEESG_SI_NS1_21lower_bound_search_opENS9_16wrapped_functionINS8_6system6detail7generic6detail18binary_search_lessEbEEEE10hipError_tPvRmT1_T2_T3_mmT4_T5_P12ihipStream_tbEUlRKiE_EESV_SZ_S10_mS11_S14_bEUlT_E_NS1_11comp_targetILNS1_3genE10ELNS1_11target_archE1200ELNS1_3gpuE4ELNS1_3repE0EEENS1_30default_config_static_selectorELNS0_4arch9wavefront6targetE1EEEvSY_.has_recursion, 0
	.set _ZN7rocprim17ROCPRIM_400000_NS6detail17trampoline_kernelINS0_14default_configENS1_27lower_bound_config_selectorIilEEZNS1_14transform_implILb0ES3_S5_N6thrust23THRUST_200600_302600_NS6detail15normal_iteratorINS8_7pointerIiNS8_11hip_rocprim5par_tENS8_11use_defaultESE_EEEENSA_INSB_IlSD_SE_SE_EEEEZNS1_13binary_searchIS3_S5_NSA_INS8_10device_ptrIiEEEESG_SI_NS1_21lower_bound_search_opENS9_16wrapped_functionINS8_6system6detail7generic6detail18binary_search_lessEbEEEE10hipError_tPvRmT1_T2_T3_mmT4_T5_P12ihipStream_tbEUlRKiE_EESV_SZ_S10_mS11_S14_bEUlT_E_NS1_11comp_targetILNS1_3genE10ELNS1_11target_archE1200ELNS1_3gpuE4ELNS1_3repE0EEENS1_30default_config_static_selectorELNS0_4arch9wavefront6targetE1EEEvSY_.has_indirect_call, 0
	.section	.AMDGPU.csdata,"",@progbits
; Kernel info:
; codeLenInByte = 0
; TotalNumSgprs: 4
; NumVgprs: 0
; ScratchSize: 0
; MemoryBound: 0
; FloatMode: 240
; IeeeMode: 1
; LDSByteSize: 0 bytes/workgroup (compile time only)
; SGPRBlocks: 0
; VGPRBlocks: 0
; NumSGPRsForWavesPerEU: 4
; NumVGPRsForWavesPerEU: 1
; Occupancy: 10
; WaveLimiterHint : 0
; COMPUTE_PGM_RSRC2:SCRATCH_EN: 0
; COMPUTE_PGM_RSRC2:USER_SGPR: 6
; COMPUTE_PGM_RSRC2:TRAP_HANDLER: 0
; COMPUTE_PGM_RSRC2:TGID_X_EN: 1
; COMPUTE_PGM_RSRC2:TGID_Y_EN: 0
; COMPUTE_PGM_RSRC2:TGID_Z_EN: 0
; COMPUTE_PGM_RSRC2:TIDIG_COMP_CNT: 0
	.section	.text._ZN7rocprim17ROCPRIM_400000_NS6detail17trampoline_kernelINS0_14default_configENS1_27lower_bound_config_selectorIilEEZNS1_14transform_implILb0ES3_S5_N6thrust23THRUST_200600_302600_NS6detail15normal_iteratorINS8_7pointerIiNS8_11hip_rocprim5par_tENS8_11use_defaultESE_EEEENSA_INSB_IlSD_SE_SE_EEEEZNS1_13binary_searchIS3_S5_NSA_INS8_10device_ptrIiEEEESG_SI_NS1_21lower_bound_search_opENS9_16wrapped_functionINS8_6system6detail7generic6detail18binary_search_lessEbEEEE10hipError_tPvRmT1_T2_T3_mmT4_T5_P12ihipStream_tbEUlRKiE_EESV_SZ_S10_mS11_S14_bEUlT_E_NS1_11comp_targetILNS1_3genE9ELNS1_11target_archE1100ELNS1_3gpuE3ELNS1_3repE0EEENS1_30default_config_static_selectorELNS0_4arch9wavefront6targetE1EEEvSY_,"axG",@progbits,_ZN7rocprim17ROCPRIM_400000_NS6detail17trampoline_kernelINS0_14default_configENS1_27lower_bound_config_selectorIilEEZNS1_14transform_implILb0ES3_S5_N6thrust23THRUST_200600_302600_NS6detail15normal_iteratorINS8_7pointerIiNS8_11hip_rocprim5par_tENS8_11use_defaultESE_EEEENSA_INSB_IlSD_SE_SE_EEEEZNS1_13binary_searchIS3_S5_NSA_INS8_10device_ptrIiEEEESG_SI_NS1_21lower_bound_search_opENS9_16wrapped_functionINS8_6system6detail7generic6detail18binary_search_lessEbEEEE10hipError_tPvRmT1_T2_T3_mmT4_T5_P12ihipStream_tbEUlRKiE_EESV_SZ_S10_mS11_S14_bEUlT_E_NS1_11comp_targetILNS1_3genE9ELNS1_11target_archE1100ELNS1_3gpuE3ELNS1_3repE0EEENS1_30default_config_static_selectorELNS0_4arch9wavefront6targetE1EEEvSY_,comdat
	.protected	_ZN7rocprim17ROCPRIM_400000_NS6detail17trampoline_kernelINS0_14default_configENS1_27lower_bound_config_selectorIilEEZNS1_14transform_implILb0ES3_S5_N6thrust23THRUST_200600_302600_NS6detail15normal_iteratorINS8_7pointerIiNS8_11hip_rocprim5par_tENS8_11use_defaultESE_EEEENSA_INSB_IlSD_SE_SE_EEEEZNS1_13binary_searchIS3_S5_NSA_INS8_10device_ptrIiEEEESG_SI_NS1_21lower_bound_search_opENS9_16wrapped_functionINS8_6system6detail7generic6detail18binary_search_lessEbEEEE10hipError_tPvRmT1_T2_T3_mmT4_T5_P12ihipStream_tbEUlRKiE_EESV_SZ_S10_mS11_S14_bEUlT_E_NS1_11comp_targetILNS1_3genE9ELNS1_11target_archE1100ELNS1_3gpuE3ELNS1_3repE0EEENS1_30default_config_static_selectorELNS0_4arch9wavefront6targetE1EEEvSY_ ; -- Begin function _ZN7rocprim17ROCPRIM_400000_NS6detail17trampoline_kernelINS0_14default_configENS1_27lower_bound_config_selectorIilEEZNS1_14transform_implILb0ES3_S5_N6thrust23THRUST_200600_302600_NS6detail15normal_iteratorINS8_7pointerIiNS8_11hip_rocprim5par_tENS8_11use_defaultESE_EEEENSA_INSB_IlSD_SE_SE_EEEEZNS1_13binary_searchIS3_S5_NSA_INS8_10device_ptrIiEEEESG_SI_NS1_21lower_bound_search_opENS9_16wrapped_functionINS8_6system6detail7generic6detail18binary_search_lessEbEEEE10hipError_tPvRmT1_T2_T3_mmT4_T5_P12ihipStream_tbEUlRKiE_EESV_SZ_S10_mS11_S14_bEUlT_E_NS1_11comp_targetILNS1_3genE9ELNS1_11target_archE1100ELNS1_3gpuE3ELNS1_3repE0EEENS1_30default_config_static_selectorELNS0_4arch9wavefront6targetE1EEEvSY_
	.globl	_ZN7rocprim17ROCPRIM_400000_NS6detail17trampoline_kernelINS0_14default_configENS1_27lower_bound_config_selectorIilEEZNS1_14transform_implILb0ES3_S5_N6thrust23THRUST_200600_302600_NS6detail15normal_iteratorINS8_7pointerIiNS8_11hip_rocprim5par_tENS8_11use_defaultESE_EEEENSA_INSB_IlSD_SE_SE_EEEEZNS1_13binary_searchIS3_S5_NSA_INS8_10device_ptrIiEEEESG_SI_NS1_21lower_bound_search_opENS9_16wrapped_functionINS8_6system6detail7generic6detail18binary_search_lessEbEEEE10hipError_tPvRmT1_T2_T3_mmT4_T5_P12ihipStream_tbEUlRKiE_EESV_SZ_S10_mS11_S14_bEUlT_E_NS1_11comp_targetILNS1_3genE9ELNS1_11target_archE1100ELNS1_3gpuE3ELNS1_3repE0EEENS1_30default_config_static_selectorELNS0_4arch9wavefront6targetE1EEEvSY_
	.p2align	8
	.type	_ZN7rocprim17ROCPRIM_400000_NS6detail17trampoline_kernelINS0_14default_configENS1_27lower_bound_config_selectorIilEEZNS1_14transform_implILb0ES3_S5_N6thrust23THRUST_200600_302600_NS6detail15normal_iteratorINS8_7pointerIiNS8_11hip_rocprim5par_tENS8_11use_defaultESE_EEEENSA_INSB_IlSD_SE_SE_EEEEZNS1_13binary_searchIS3_S5_NSA_INS8_10device_ptrIiEEEESG_SI_NS1_21lower_bound_search_opENS9_16wrapped_functionINS8_6system6detail7generic6detail18binary_search_lessEbEEEE10hipError_tPvRmT1_T2_T3_mmT4_T5_P12ihipStream_tbEUlRKiE_EESV_SZ_S10_mS11_S14_bEUlT_E_NS1_11comp_targetILNS1_3genE9ELNS1_11target_archE1100ELNS1_3gpuE3ELNS1_3repE0EEENS1_30default_config_static_selectorELNS0_4arch9wavefront6targetE1EEEvSY_,@function
_ZN7rocprim17ROCPRIM_400000_NS6detail17trampoline_kernelINS0_14default_configENS1_27lower_bound_config_selectorIilEEZNS1_14transform_implILb0ES3_S5_N6thrust23THRUST_200600_302600_NS6detail15normal_iteratorINS8_7pointerIiNS8_11hip_rocprim5par_tENS8_11use_defaultESE_EEEENSA_INSB_IlSD_SE_SE_EEEEZNS1_13binary_searchIS3_S5_NSA_INS8_10device_ptrIiEEEESG_SI_NS1_21lower_bound_search_opENS9_16wrapped_functionINS8_6system6detail7generic6detail18binary_search_lessEbEEEE10hipError_tPvRmT1_T2_T3_mmT4_T5_P12ihipStream_tbEUlRKiE_EESV_SZ_S10_mS11_S14_bEUlT_E_NS1_11comp_targetILNS1_3genE9ELNS1_11target_archE1100ELNS1_3gpuE3ELNS1_3repE0EEENS1_30default_config_static_selectorELNS0_4arch9wavefront6targetE1EEEvSY_: ; @_ZN7rocprim17ROCPRIM_400000_NS6detail17trampoline_kernelINS0_14default_configENS1_27lower_bound_config_selectorIilEEZNS1_14transform_implILb0ES3_S5_N6thrust23THRUST_200600_302600_NS6detail15normal_iteratorINS8_7pointerIiNS8_11hip_rocprim5par_tENS8_11use_defaultESE_EEEENSA_INSB_IlSD_SE_SE_EEEEZNS1_13binary_searchIS3_S5_NSA_INS8_10device_ptrIiEEEESG_SI_NS1_21lower_bound_search_opENS9_16wrapped_functionINS8_6system6detail7generic6detail18binary_search_lessEbEEEE10hipError_tPvRmT1_T2_T3_mmT4_T5_P12ihipStream_tbEUlRKiE_EESV_SZ_S10_mS11_S14_bEUlT_E_NS1_11comp_targetILNS1_3genE9ELNS1_11target_archE1100ELNS1_3gpuE3ELNS1_3repE0EEENS1_30default_config_static_selectorELNS0_4arch9wavefront6targetE1EEEvSY_
; %bb.0:
	.section	.rodata,"a",@progbits
	.p2align	6, 0x0
	.amdhsa_kernel _ZN7rocprim17ROCPRIM_400000_NS6detail17trampoline_kernelINS0_14default_configENS1_27lower_bound_config_selectorIilEEZNS1_14transform_implILb0ES3_S5_N6thrust23THRUST_200600_302600_NS6detail15normal_iteratorINS8_7pointerIiNS8_11hip_rocprim5par_tENS8_11use_defaultESE_EEEENSA_INSB_IlSD_SE_SE_EEEEZNS1_13binary_searchIS3_S5_NSA_INS8_10device_ptrIiEEEESG_SI_NS1_21lower_bound_search_opENS9_16wrapped_functionINS8_6system6detail7generic6detail18binary_search_lessEbEEEE10hipError_tPvRmT1_T2_T3_mmT4_T5_P12ihipStream_tbEUlRKiE_EESV_SZ_S10_mS11_S14_bEUlT_E_NS1_11comp_targetILNS1_3genE9ELNS1_11target_archE1100ELNS1_3gpuE3ELNS1_3repE0EEENS1_30default_config_static_selectorELNS0_4arch9wavefront6targetE1EEEvSY_
		.amdhsa_group_segment_fixed_size 0
		.amdhsa_private_segment_fixed_size 0
		.amdhsa_kernarg_size 56
		.amdhsa_user_sgpr_count 6
		.amdhsa_user_sgpr_private_segment_buffer 1
		.amdhsa_user_sgpr_dispatch_ptr 0
		.amdhsa_user_sgpr_queue_ptr 0
		.amdhsa_user_sgpr_kernarg_segment_ptr 1
		.amdhsa_user_sgpr_dispatch_id 0
		.amdhsa_user_sgpr_flat_scratch_init 0
		.amdhsa_user_sgpr_private_segment_size 0
		.amdhsa_uses_dynamic_stack 0
		.amdhsa_system_sgpr_private_segment_wavefront_offset 0
		.amdhsa_system_sgpr_workgroup_id_x 1
		.amdhsa_system_sgpr_workgroup_id_y 0
		.amdhsa_system_sgpr_workgroup_id_z 0
		.amdhsa_system_sgpr_workgroup_info 0
		.amdhsa_system_vgpr_workitem_id 0
		.amdhsa_next_free_vgpr 1
		.amdhsa_next_free_sgpr 0
		.amdhsa_reserve_vcc 0
		.amdhsa_reserve_flat_scratch 0
		.amdhsa_float_round_mode_32 0
		.amdhsa_float_round_mode_16_64 0
		.amdhsa_float_denorm_mode_32 3
		.amdhsa_float_denorm_mode_16_64 3
		.amdhsa_dx10_clamp 1
		.amdhsa_ieee_mode 1
		.amdhsa_fp16_overflow 0
		.amdhsa_exception_fp_ieee_invalid_op 0
		.amdhsa_exception_fp_denorm_src 0
		.amdhsa_exception_fp_ieee_div_zero 0
		.amdhsa_exception_fp_ieee_overflow 0
		.amdhsa_exception_fp_ieee_underflow 0
		.amdhsa_exception_fp_ieee_inexact 0
		.amdhsa_exception_int_div_zero 0
	.end_amdhsa_kernel
	.section	.text._ZN7rocprim17ROCPRIM_400000_NS6detail17trampoline_kernelINS0_14default_configENS1_27lower_bound_config_selectorIilEEZNS1_14transform_implILb0ES3_S5_N6thrust23THRUST_200600_302600_NS6detail15normal_iteratorINS8_7pointerIiNS8_11hip_rocprim5par_tENS8_11use_defaultESE_EEEENSA_INSB_IlSD_SE_SE_EEEEZNS1_13binary_searchIS3_S5_NSA_INS8_10device_ptrIiEEEESG_SI_NS1_21lower_bound_search_opENS9_16wrapped_functionINS8_6system6detail7generic6detail18binary_search_lessEbEEEE10hipError_tPvRmT1_T2_T3_mmT4_T5_P12ihipStream_tbEUlRKiE_EESV_SZ_S10_mS11_S14_bEUlT_E_NS1_11comp_targetILNS1_3genE9ELNS1_11target_archE1100ELNS1_3gpuE3ELNS1_3repE0EEENS1_30default_config_static_selectorELNS0_4arch9wavefront6targetE1EEEvSY_,"axG",@progbits,_ZN7rocprim17ROCPRIM_400000_NS6detail17trampoline_kernelINS0_14default_configENS1_27lower_bound_config_selectorIilEEZNS1_14transform_implILb0ES3_S5_N6thrust23THRUST_200600_302600_NS6detail15normal_iteratorINS8_7pointerIiNS8_11hip_rocprim5par_tENS8_11use_defaultESE_EEEENSA_INSB_IlSD_SE_SE_EEEEZNS1_13binary_searchIS3_S5_NSA_INS8_10device_ptrIiEEEESG_SI_NS1_21lower_bound_search_opENS9_16wrapped_functionINS8_6system6detail7generic6detail18binary_search_lessEbEEEE10hipError_tPvRmT1_T2_T3_mmT4_T5_P12ihipStream_tbEUlRKiE_EESV_SZ_S10_mS11_S14_bEUlT_E_NS1_11comp_targetILNS1_3genE9ELNS1_11target_archE1100ELNS1_3gpuE3ELNS1_3repE0EEENS1_30default_config_static_selectorELNS0_4arch9wavefront6targetE1EEEvSY_,comdat
.Lfunc_end410:
	.size	_ZN7rocprim17ROCPRIM_400000_NS6detail17trampoline_kernelINS0_14default_configENS1_27lower_bound_config_selectorIilEEZNS1_14transform_implILb0ES3_S5_N6thrust23THRUST_200600_302600_NS6detail15normal_iteratorINS8_7pointerIiNS8_11hip_rocprim5par_tENS8_11use_defaultESE_EEEENSA_INSB_IlSD_SE_SE_EEEEZNS1_13binary_searchIS3_S5_NSA_INS8_10device_ptrIiEEEESG_SI_NS1_21lower_bound_search_opENS9_16wrapped_functionINS8_6system6detail7generic6detail18binary_search_lessEbEEEE10hipError_tPvRmT1_T2_T3_mmT4_T5_P12ihipStream_tbEUlRKiE_EESV_SZ_S10_mS11_S14_bEUlT_E_NS1_11comp_targetILNS1_3genE9ELNS1_11target_archE1100ELNS1_3gpuE3ELNS1_3repE0EEENS1_30default_config_static_selectorELNS0_4arch9wavefront6targetE1EEEvSY_, .Lfunc_end410-_ZN7rocprim17ROCPRIM_400000_NS6detail17trampoline_kernelINS0_14default_configENS1_27lower_bound_config_selectorIilEEZNS1_14transform_implILb0ES3_S5_N6thrust23THRUST_200600_302600_NS6detail15normal_iteratorINS8_7pointerIiNS8_11hip_rocprim5par_tENS8_11use_defaultESE_EEEENSA_INSB_IlSD_SE_SE_EEEEZNS1_13binary_searchIS3_S5_NSA_INS8_10device_ptrIiEEEESG_SI_NS1_21lower_bound_search_opENS9_16wrapped_functionINS8_6system6detail7generic6detail18binary_search_lessEbEEEE10hipError_tPvRmT1_T2_T3_mmT4_T5_P12ihipStream_tbEUlRKiE_EESV_SZ_S10_mS11_S14_bEUlT_E_NS1_11comp_targetILNS1_3genE9ELNS1_11target_archE1100ELNS1_3gpuE3ELNS1_3repE0EEENS1_30default_config_static_selectorELNS0_4arch9wavefront6targetE1EEEvSY_
                                        ; -- End function
	.set _ZN7rocprim17ROCPRIM_400000_NS6detail17trampoline_kernelINS0_14default_configENS1_27lower_bound_config_selectorIilEEZNS1_14transform_implILb0ES3_S5_N6thrust23THRUST_200600_302600_NS6detail15normal_iteratorINS8_7pointerIiNS8_11hip_rocprim5par_tENS8_11use_defaultESE_EEEENSA_INSB_IlSD_SE_SE_EEEEZNS1_13binary_searchIS3_S5_NSA_INS8_10device_ptrIiEEEESG_SI_NS1_21lower_bound_search_opENS9_16wrapped_functionINS8_6system6detail7generic6detail18binary_search_lessEbEEEE10hipError_tPvRmT1_T2_T3_mmT4_T5_P12ihipStream_tbEUlRKiE_EESV_SZ_S10_mS11_S14_bEUlT_E_NS1_11comp_targetILNS1_3genE9ELNS1_11target_archE1100ELNS1_3gpuE3ELNS1_3repE0EEENS1_30default_config_static_selectorELNS0_4arch9wavefront6targetE1EEEvSY_.num_vgpr, 0
	.set _ZN7rocprim17ROCPRIM_400000_NS6detail17trampoline_kernelINS0_14default_configENS1_27lower_bound_config_selectorIilEEZNS1_14transform_implILb0ES3_S5_N6thrust23THRUST_200600_302600_NS6detail15normal_iteratorINS8_7pointerIiNS8_11hip_rocprim5par_tENS8_11use_defaultESE_EEEENSA_INSB_IlSD_SE_SE_EEEEZNS1_13binary_searchIS3_S5_NSA_INS8_10device_ptrIiEEEESG_SI_NS1_21lower_bound_search_opENS9_16wrapped_functionINS8_6system6detail7generic6detail18binary_search_lessEbEEEE10hipError_tPvRmT1_T2_T3_mmT4_T5_P12ihipStream_tbEUlRKiE_EESV_SZ_S10_mS11_S14_bEUlT_E_NS1_11comp_targetILNS1_3genE9ELNS1_11target_archE1100ELNS1_3gpuE3ELNS1_3repE0EEENS1_30default_config_static_selectorELNS0_4arch9wavefront6targetE1EEEvSY_.num_agpr, 0
	.set _ZN7rocprim17ROCPRIM_400000_NS6detail17trampoline_kernelINS0_14default_configENS1_27lower_bound_config_selectorIilEEZNS1_14transform_implILb0ES3_S5_N6thrust23THRUST_200600_302600_NS6detail15normal_iteratorINS8_7pointerIiNS8_11hip_rocprim5par_tENS8_11use_defaultESE_EEEENSA_INSB_IlSD_SE_SE_EEEEZNS1_13binary_searchIS3_S5_NSA_INS8_10device_ptrIiEEEESG_SI_NS1_21lower_bound_search_opENS9_16wrapped_functionINS8_6system6detail7generic6detail18binary_search_lessEbEEEE10hipError_tPvRmT1_T2_T3_mmT4_T5_P12ihipStream_tbEUlRKiE_EESV_SZ_S10_mS11_S14_bEUlT_E_NS1_11comp_targetILNS1_3genE9ELNS1_11target_archE1100ELNS1_3gpuE3ELNS1_3repE0EEENS1_30default_config_static_selectorELNS0_4arch9wavefront6targetE1EEEvSY_.numbered_sgpr, 0
	.set _ZN7rocprim17ROCPRIM_400000_NS6detail17trampoline_kernelINS0_14default_configENS1_27lower_bound_config_selectorIilEEZNS1_14transform_implILb0ES3_S5_N6thrust23THRUST_200600_302600_NS6detail15normal_iteratorINS8_7pointerIiNS8_11hip_rocprim5par_tENS8_11use_defaultESE_EEEENSA_INSB_IlSD_SE_SE_EEEEZNS1_13binary_searchIS3_S5_NSA_INS8_10device_ptrIiEEEESG_SI_NS1_21lower_bound_search_opENS9_16wrapped_functionINS8_6system6detail7generic6detail18binary_search_lessEbEEEE10hipError_tPvRmT1_T2_T3_mmT4_T5_P12ihipStream_tbEUlRKiE_EESV_SZ_S10_mS11_S14_bEUlT_E_NS1_11comp_targetILNS1_3genE9ELNS1_11target_archE1100ELNS1_3gpuE3ELNS1_3repE0EEENS1_30default_config_static_selectorELNS0_4arch9wavefront6targetE1EEEvSY_.num_named_barrier, 0
	.set _ZN7rocprim17ROCPRIM_400000_NS6detail17trampoline_kernelINS0_14default_configENS1_27lower_bound_config_selectorIilEEZNS1_14transform_implILb0ES3_S5_N6thrust23THRUST_200600_302600_NS6detail15normal_iteratorINS8_7pointerIiNS8_11hip_rocprim5par_tENS8_11use_defaultESE_EEEENSA_INSB_IlSD_SE_SE_EEEEZNS1_13binary_searchIS3_S5_NSA_INS8_10device_ptrIiEEEESG_SI_NS1_21lower_bound_search_opENS9_16wrapped_functionINS8_6system6detail7generic6detail18binary_search_lessEbEEEE10hipError_tPvRmT1_T2_T3_mmT4_T5_P12ihipStream_tbEUlRKiE_EESV_SZ_S10_mS11_S14_bEUlT_E_NS1_11comp_targetILNS1_3genE9ELNS1_11target_archE1100ELNS1_3gpuE3ELNS1_3repE0EEENS1_30default_config_static_selectorELNS0_4arch9wavefront6targetE1EEEvSY_.private_seg_size, 0
	.set _ZN7rocprim17ROCPRIM_400000_NS6detail17trampoline_kernelINS0_14default_configENS1_27lower_bound_config_selectorIilEEZNS1_14transform_implILb0ES3_S5_N6thrust23THRUST_200600_302600_NS6detail15normal_iteratorINS8_7pointerIiNS8_11hip_rocprim5par_tENS8_11use_defaultESE_EEEENSA_INSB_IlSD_SE_SE_EEEEZNS1_13binary_searchIS3_S5_NSA_INS8_10device_ptrIiEEEESG_SI_NS1_21lower_bound_search_opENS9_16wrapped_functionINS8_6system6detail7generic6detail18binary_search_lessEbEEEE10hipError_tPvRmT1_T2_T3_mmT4_T5_P12ihipStream_tbEUlRKiE_EESV_SZ_S10_mS11_S14_bEUlT_E_NS1_11comp_targetILNS1_3genE9ELNS1_11target_archE1100ELNS1_3gpuE3ELNS1_3repE0EEENS1_30default_config_static_selectorELNS0_4arch9wavefront6targetE1EEEvSY_.uses_vcc, 0
	.set _ZN7rocprim17ROCPRIM_400000_NS6detail17trampoline_kernelINS0_14default_configENS1_27lower_bound_config_selectorIilEEZNS1_14transform_implILb0ES3_S5_N6thrust23THRUST_200600_302600_NS6detail15normal_iteratorINS8_7pointerIiNS8_11hip_rocprim5par_tENS8_11use_defaultESE_EEEENSA_INSB_IlSD_SE_SE_EEEEZNS1_13binary_searchIS3_S5_NSA_INS8_10device_ptrIiEEEESG_SI_NS1_21lower_bound_search_opENS9_16wrapped_functionINS8_6system6detail7generic6detail18binary_search_lessEbEEEE10hipError_tPvRmT1_T2_T3_mmT4_T5_P12ihipStream_tbEUlRKiE_EESV_SZ_S10_mS11_S14_bEUlT_E_NS1_11comp_targetILNS1_3genE9ELNS1_11target_archE1100ELNS1_3gpuE3ELNS1_3repE0EEENS1_30default_config_static_selectorELNS0_4arch9wavefront6targetE1EEEvSY_.uses_flat_scratch, 0
	.set _ZN7rocprim17ROCPRIM_400000_NS6detail17trampoline_kernelINS0_14default_configENS1_27lower_bound_config_selectorIilEEZNS1_14transform_implILb0ES3_S5_N6thrust23THRUST_200600_302600_NS6detail15normal_iteratorINS8_7pointerIiNS8_11hip_rocprim5par_tENS8_11use_defaultESE_EEEENSA_INSB_IlSD_SE_SE_EEEEZNS1_13binary_searchIS3_S5_NSA_INS8_10device_ptrIiEEEESG_SI_NS1_21lower_bound_search_opENS9_16wrapped_functionINS8_6system6detail7generic6detail18binary_search_lessEbEEEE10hipError_tPvRmT1_T2_T3_mmT4_T5_P12ihipStream_tbEUlRKiE_EESV_SZ_S10_mS11_S14_bEUlT_E_NS1_11comp_targetILNS1_3genE9ELNS1_11target_archE1100ELNS1_3gpuE3ELNS1_3repE0EEENS1_30default_config_static_selectorELNS0_4arch9wavefront6targetE1EEEvSY_.has_dyn_sized_stack, 0
	.set _ZN7rocprim17ROCPRIM_400000_NS6detail17trampoline_kernelINS0_14default_configENS1_27lower_bound_config_selectorIilEEZNS1_14transform_implILb0ES3_S5_N6thrust23THRUST_200600_302600_NS6detail15normal_iteratorINS8_7pointerIiNS8_11hip_rocprim5par_tENS8_11use_defaultESE_EEEENSA_INSB_IlSD_SE_SE_EEEEZNS1_13binary_searchIS3_S5_NSA_INS8_10device_ptrIiEEEESG_SI_NS1_21lower_bound_search_opENS9_16wrapped_functionINS8_6system6detail7generic6detail18binary_search_lessEbEEEE10hipError_tPvRmT1_T2_T3_mmT4_T5_P12ihipStream_tbEUlRKiE_EESV_SZ_S10_mS11_S14_bEUlT_E_NS1_11comp_targetILNS1_3genE9ELNS1_11target_archE1100ELNS1_3gpuE3ELNS1_3repE0EEENS1_30default_config_static_selectorELNS0_4arch9wavefront6targetE1EEEvSY_.has_recursion, 0
	.set _ZN7rocprim17ROCPRIM_400000_NS6detail17trampoline_kernelINS0_14default_configENS1_27lower_bound_config_selectorIilEEZNS1_14transform_implILb0ES3_S5_N6thrust23THRUST_200600_302600_NS6detail15normal_iteratorINS8_7pointerIiNS8_11hip_rocprim5par_tENS8_11use_defaultESE_EEEENSA_INSB_IlSD_SE_SE_EEEEZNS1_13binary_searchIS3_S5_NSA_INS8_10device_ptrIiEEEESG_SI_NS1_21lower_bound_search_opENS9_16wrapped_functionINS8_6system6detail7generic6detail18binary_search_lessEbEEEE10hipError_tPvRmT1_T2_T3_mmT4_T5_P12ihipStream_tbEUlRKiE_EESV_SZ_S10_mS11_S14_bEUlT_E_NS1_11comp_targetILNS1_3genE9ELNS1_11target_archE1100ELNS1_3gpuE3ELNS1_3repE0EEENS1_30default_config_static_selectorELNS0_4arch9wavefront6targetE1EEEvSY_.has_indirect_call, 0
	.section	.AMDGPU.csdata,"",@progbits
; Kernel info:
; codeLenInByte = 0
; TotalNumSgprs: 4
; NumVgprs: 0
; ScratchSize: 0
; MemoryBound: 0
; FloatMode: 240
; IeeeMode: 1
; LDSByteSize: 0 bytes/workgroup (compile time only)
; SGPRBlocks: 0
; VGPRBlocks: 0
; NumSGPRsForWavesPerEU: 4
; NumVGPRsForWavesPerEU: 1
; Occupancy: 10
; WaveLimiterHint : 0
; COMPUTE_PGM_RSRC2:SCRATCH_EN: 0
; COMPUTE_PGM_RSRC2:USER_SGPR: 6
; COMPUTE_PGM_RSRC2:TRAP_HANDLER: 0
; COMPUTE_PGM_RSRC2:TGID_X_EN: 1
; COMPUTE_PGM_RSRC2:TGID_Y_EN: 0
; COMPUTE_PGM_RSRC2:TGID_Z_EN: 0
; COMPUTE_PGM_RSRC2:TIDIG_COMP_CNT: 0
	.section	.text._ZN7rocprim17ROCPRIM_400000_NS6detail17trampoline_kernelINS0_14default_configENS1_27lower_bound_config_selectorIilEEZNS1_14transform_implILb0ES3_S5_N6thrust23THRUST_200600_302600_NS6detail15normal_iteratorINS8_7pointerIiNS8_11hip_rocprim5par_tENS8_11use_defaultESE_EEEENSA_INSB_IlSD_SE_SE_EEEEZNS1_13binary_searchIS3_S5_NSA_INS8_10device_ptrIiEEEESG_SI_NS1_21lower_bound_search_opENS9_16wrapped_functionINS8_6system6detail7generic6detail18binary_search_lessEbEEEE10hipError_tPvRmT1_T2_T3_mmT4_T5_P12ihipStream_tbEUlRKiE_EESV_SZ_S10_mS11_S14_bEUlT_E_NS1_11comp_targetILNS1_3genE8ELNS1_11target_archE1030ELNS1_3gpuE2ELNS1_3repE0EEENS1_30default_config_static_selectorELNS0_4arch9wavefront6targetE1EEEvSY_,"axG",@progbits,_ZN7rocprim17ROCPRIM_400000_NS6detail17trampoline_kernelINS0_14default_configENS1_27lower_bound_config_selectorIilEEZNS1_14transform_implILb0ES3_S5_N6thrust23THRUST_200600_302600_NS6detail15normal_iteratorINS8_7pointerIiNS8_11hip_rocprim5par_tENS8_11use_defaultESE_EEEENSA_INSB_IlSD_SE_SE_EEEEZNS1_13binary_searchIS3_S5_NSA_INS8_10device_ptrIiEEEESG_SI_NS1_21lower_bound_search_opENS9_16wrapped_functionINS8_6system6detail7generic6detail18binary_search_lessEbEEEE10hipError_tPvRmT1_T2_T3_mmT4_T5_P12ihipStream_tbEUlRKiE_EESV_SZ_S10_mS11_S14_bEUlT_E_NS1_11comp_targetILNS1_3genE8ELNS1_11target_archE1030ELNS1_3gpuE2ELNS1_3repE0EEENS1_30default_config_static_selectorELNS0_4arch9wavefront6targetE1EEEvSY_,comdat
	.protected	_ZN7rocprim17ROCPRIM_400000_NS6detail17trampoline_kernelINS0_14default_configENS1_27lower_bound_config_selectorIilEEZNS1_14transform_implILb0ES3_S5_N6thrust23THRUST_200600_302600_NS6detail15normal_iteratorINS8_7pointerIiNS8_11hip_rocprim5par_tENS8_11use_defaultESE_EEEENSA_INSB_IlSD_SE_SE_EEEEZNS1_13binary_searchIS3_S5_NSA_INS8_10device_ptrIiEEEESG_SI_NS1_21lower_bound_search_opENS9_16wrapped_functionINS8_6system6detail7generic6detail18binary_search_lessEbEEEE10hipError_tPvRmT1_T2_T3_mmT4_T5_P12ihipStream_tbEUlRKiE_EESV_SZ_S10_mS11_S14_bEUlT_E_NS1_11comp_targetILNS1_3genE8ELNS1_11target_archE1030ELNS1_3gpuE2ELNS1_3repE0EEENS1_30default_config_static_selectorELNS0_4arch9wavefront6targetE1EEEvSY_ ; -- Begin function _ZN7rocprim17ROCPRIM_400000_NS6detail17trampoline_kernelINS0_14default_configENS1_27lower_bound_config_selectorIilEEZNS1_14transform_implILb0ES3_S5_N6thrust23THRUST_200600_302600_NS6detail15normal_iteratorINS8_7pointerIiNS8_11hip_rocprim5par_tENS8_11use_defaultESE_EEEENSA_INSB_IlSD_SE_SE_EEEEZNS1_13binary_searchIS3_S5_NSA_INS8_10device_ptrIiEEEESG_SI_NS1_21lower_bound_search_opENS9_16wrapped_functionINS8_6system6detail7generic6detail18binary_search_lessEbEEEE10hipError_tPvRmT1_T2_T3_mmT4_T5_P12ihipStream_tbEUlRKiE_EESV_SZ_S10_mS11_S14_bEUlT_E_NS1_11comp_targetILNS1_3genE8ELNS1_11target_archE1030ELNS1_3gpuE2ELNS1_3repE0EEENS1_30default_config_static_selectorELNS0_4arch9wavefront6targetE1EEEvSY_
	.globl	_ZN7rocprim17ROCPRIM_400000_NS6detail17trampoline_kernelINS0_14default_configENS1_27lower_bound_config_selectorIilEEZNS1_14transform_implILb0ES3_S5_N6thrust23THRUST_200600_302600_NS6detail15normal_iteratorINS8_7pointerIiNS8_11hip_rocprim5par_tENS8_11use_defaultESE_EEEENSA_INSB_IlSD_SE_SE_EEEEZNS1_13binary_searchIS3_S5_NSA_INS8_10device_ptrIiEEEESG_SI_NS1_21lower_bound_search_opENS9_16wrapped_functionINS8_6system6detail7generic6detail18binary_search_lessEbEEEE10hipError_tPvRmT1_T2_T3_mmT4_T5_P12ihipStream_tbEUlRKiE_EESV_SZ_S10_mS11_S14_bEUlT_E_NS1_11comp_targetILNS1_3genE8ELNS1_11target_archE1030ELNS1_3gpuE2ELNS1_3repE0EEENS1_30default_config_static_selectorELNS0_4arch9wavefront6targetE1EEEvSY_
	.p2align	8
	.type	_ZN7rocprim17ROCPRIM_400000_NS6detail17trampoline_kernelINS0_14default_configENS1_27lower_bound_config_selectorIilEEZNS1_14transform_implILb0ES3_S5_N6thrust23THRUST_200600_302600_NS6detail15normal_iteratorINS8_7pointerIiNS8_11hip_rocprim5par_tENS8_11use_defaultESE_EEEENSA_INSB_IlSD_SE_SE_EEEEZNS1_13binary_searchIS3_S5_NSA_INS8_10device_ptrIiEEEESG_SI_NS1_21lower_bound_search_opENS9_16wrapped_functionINS8_6system6detail7generic6detail18binary_search_lessEbEEEE10hipError_tPvRmT1_T2_T3_mmT4_T5_P12ihipStream_tbEUlRKiE_EESV_SZ_S10_mS11_S14_bEUlT_E_NS1_11comp_targetILNS1_3genE8ELNS1_11target_archE1030ELNS1_3gpuE2ELNS1_3repE0EEENS1_30default_config_static_selectorELNS0_4arch9wavefront6targetE1EEEvSY_,@function
_ZN7rocprim17ROCPRIM_400000_NS6detail17trampoline_kernelINS0_14default_configENS1_27lower_bound_config_selectorIilEEZNS1_14transform_implILb0ES3_S5_N6thrust23THRUST_200600_302600_NS6detail15normal_iteratorINS8_7pointerIiNS8_11hip_rocprim5par_tENS8_11use_defaultESE_EEEENSA_INSB_IlSD_SE_SE_EEEEZNS1_13binary_searchIS3_S5_NSA_INS8_10device_ptrIiEEEESG_SI_NS1_21lower_bound_search_opENS9_16wrapped_functionINS8_6system6detail7generic6detail18binary_search_lessEbEEEE10hipError_tPvRmT1_T2_T3_mmT4_T5_P12ihipStream_tbEUlRKiE_EESV_SZ_S10_mS11_S14_bEUlT_E_NS1_11comp_targetILNS1_3genE8ELNS1_11target_archE1030ELNS1_3gpuE2ELNS1_3repE0EEENS1_30default_config_static_selectorELNS0_4arch9wavefront6targetE1EEEvSY_: ; @_ZN7rocprim17ROCPRIM_400000_NS6detail17trampoline_kernelINS0_14default_configENS1_27lower_bound_config_selectorIilEEZNS1_14transform_implILb0ES3_S5_N6thrust23THRUST_200600_302600_NS6detail15normal_iteratorINS8_7pointerIiNS8_11hip_rocprim5par_tENS8_11use_defaultESE_EEEENSA_INSB_IlSD_SE_SE_EEEEZNS1_13binary_searchIS3_S5_NSA_INS8_10device_ptrIiEEEESG_SI_NS1_21lower_bound_search_opENS9_16wrapped_functionINS8_6system6detail7generic6detail18binary_search_lessEbEEEE10hipError_tPvRmT1_T2_T3_mmT4_T5_P12ihipStream_tbEUlRKiE_EESV_SZ_S10_mS11_S14_bEUlT_E_NS1_11comp_targetILNS1_3genE8ELNS1_11target_archE1030ELNS1_3gpuE2ELNS1_3repE0EEENS1_30default_config_static_selectorELNS0_4arch9wavefront6targetE1EEEvSY_
; %bb.0:
	.section	.rodata,"a",@progbits
	.p2align	6, 0x0
	.amdhsa_kernel _ZN7rocprim17ROCPRIM_400000_NS6detail17trampoline_kernelINS0_14default_configENS1_27lower_bound_config_selectorIilEEZNS1_14transform_implILb0ES3_S5_N6thrust23THRUST_200600_302600_NS6detail15normal_iteratorINS8_7pointerIiNS8_11hip_rocprim5par_tENS8_11use_defaultESE_EEEENSA_INSB_IlSD_SE_SE_EEEEZNS1_13binary_searchIS3_S5_NSA_INS8_10device_ptrIiEEEESG_SI_NS1_21lower_bound_search_opENS9_16wrapped_functionINS8_6system6detail7generic6detail18binary_search_lessEbEEEE10hipError_tPvRmT1_T2_T3_mmT4_T5_P12ihipStream_tbEUlRKiE_EESV_SZ_S10_mS11_S14_bEUlT_E_NS1_11comp_targetILNS1_3genE8ELNS1_11target_archE1030ELNS1_3gpuE2ELNS1_3repE0EEENS1_30default_config_static_selectorELNS0_4arch9wavefront6targetE1EEEvSY_
		.amdhsa_group_segment_fixed_size 0
		.amdhsa_private_segment_fixed_size 0
		.amdhsa_kernarg_size 56
		.amdhsa_user_sgpr_count 6
		.amdhsa_user_sgpr_private_segment_buffer 1
		.amdhsa_user_sgpr_dispatch_ptr 0
		.amdhsa_user_sgpr_queue_ptr 0
		.amdhsa_user_sgpr_kernarg_segment_ptr 1
		.amdhsa_user_sgpr_dispatch_id 0
		.amdhsa_user_sgpr_flat_scratch_init 0
		.amdhsa_user_sgpr_private_segment_size 0
		.amdhsa_uses_dynamic_stack 0
		.amdhsa_system_sgpr_private_segment_wavefront_offset 0
		.amdhsa_system_sgpr_workgroup_id_x 1
		.amdhsa_system_sgpr_workgroup_id_y 0
		.amdhsa_system_sgpr_workgroup_id_z 0
		.amdhsa_system_sgpr_workgroup_info 0
		.amdhsa_system_vgpr_workitem_id 0
		.amdhsa_next_free_vgpr 1
		.amdhsa_next_free_sgpr 0
		.amdhsa_reserve_vcc 0
		.amdhsa_reserve_flat_scratch 0
		.amdhsa_float_round_mode_32 0
		.amdhsa_float_round_mode_16_64 0
		.amdhsa_float_denorm_mode_32 3
		.amdhsa_float_denorm_mode_16_64 3
		.amdhsa_dx10_clamp 1
		.amdhsa_ieee_mode 1
		.amdhsa_fp16_overflow 0
		.amdhsa_exception_fp_ieee_invalid_op 0
		.amdhsa_exception_fp_denorm_src 0
		.amdhsa_exception_fp_ieee_div_zero 0
		.amdhsa_exception_fp_ieee_overflow 0
		.amdhsa_exception_fp_ieee_underflow 0
		.amdhsa_exception_fp_ieee_inexact 0
		.amdhsa_exception_int_div_zero 0
	.end_amdhsa_kernel
	.section	.text._ZN7rocprim17ROCPRIM_400000_NS6detail17trampoline_kernelINS0_14default_configENS1_27lower_bound_config_selectorIilEEZNS1_14transform_implILb0ES3_S5_N6thrust23THRUST_200600_302600_NS6detail15normal_iteratorINS8_7pointerIiNS8_11hip_rocprim5par_tENS8_11use_defaultESE_EEEENSA_INSB_IlSD_SE_SE_EEEEZNS1_13binary_searchIS3_S5_NSA_INS8_10device_ptrIiEEEESG_SI_NS1_21lower_bound_search_opENS9_16wrapped_functionINS8_6system6detail7generic6detail18binary_search_lessEbEEEE10hipError_tPvRmT1_T2_T3_mmT4_T5_P12ihipStream_tbEUlRKiE_EESV_SZ_S10_mS11_S14_bEUlT_E_NS1_11comp_targetILNS1_3genE8ELNS1_11target_archE1030ELNS1_3gpuE2ELNS1_3repE0EEENS1_30default_config_static_selectorELNS0_4arch9wavefront6targetE1EEEvSY_,"axG",@progbits,_ZN7rocprim17ROCPRIM_400000_NS6detail17trampoline_kernelINS0_14default_configENS1_27lower_bound_config_selectorIilEEZNS1_14transform_implILb0ES3_S5_N6thrust23THRUST_200600_302600_NS6detail15normal_iteratorINS8_7pointerIiNS8_11hip_rocprim5par_tENS8_11use_defaultESE_EEEENSA_INSB_IlSD_SE_SE_EEEEZNS1_13binary_searchIS3_S5_NSA_INS8_10device_ptrIiEEEESG_SI_NS1_21lower_bound_search_opENS9_16wrapped_functionINS8_6system6detail7generic6detail18binary_search_lessEbEEEE10hipError_tPvRmT1_T2_T3_mmT4_T5_P12ihipStream_tbEUlRKiE_EESV_SZ_S10_mS11_S14_bEUlT_E_NS1_11comp_targetILNS1_3genE8ELNS1_11target_archE1030ELNS1_3gpuE2ELNS1_3repE0EEENS1_30default_config_static_selectorELNS0_4arch9wavefront6targetE1EEEvSY_,comdat
.Lfunc_end411:
	.size	_ZN7rocprim17ROCPRIM_400000_NS6detail17trampoline_kernelINS0_14default_configENS1_27lower_bound_config_selectorIilEEZNS1_14transform_implILb0ES3_S5_N6thrust23THRUST_200600_302600_NS6detail15normal_iteratorINS8_7pointerIiNS8_11hip_rocprim5par_tENS8_11use_defaultESE_EEEENSA_INSB_IlSD_SE_SE_EEEEZNS1_13binary_searchIS3_S5_NSA_INS8_10device_ptrIiEEEESG_SI_NS1_21lower_bound_search_opENS9_16wrapped_functionINS8_6system6detail7generic6detail18binary_search_lessEbEEEE10hipError_tPvRmT1_T2_T3_mmT4_T5_P12ihipStream_tbEUlRKiE_EESV_SZ_S10_mS11_S14_bEUlT_E_NS1_11comp_targetILNS1_3genE8ELNS1_11target_archE1030ELNS1_3gpuE2ELNS1_3repE0EEENS1_30default_config_static_selectorELNS0_4arch9wavefront6targetE1EEEvSY_, .Lfunc_end411-_ZN7rocprim17ROCPRIM_400000_NS6detail17trampoline_kernelINS0_14default_configENS1_27lower_bound_config_selectorIilEEZNS1_14transform_implILb0ES3_S5_N6thrust23THRUST_200600_302600_NS6detail15normal_iteratorINS8_7pointerIiNS8_11hip_rocprim5par_tENS8_11use_defaultESE_EEEENSA_INSB_IlSD_SE_SE_EEEEZNS1_13binary_searchIS3_S5_NSA_INS8_10device_ptrIiEEEESG_SI_NS1_21lower_bound_search_opENS9_16wrapped_functionINS8_6system6detail7generic6detail18binary_search_lessEbEEEE10hipError_tPvRmT1_T2_T3_mmT4_T5_P12ihipStream_tbEUlRKiE_EESV_SZ_S10_mS11_S14_bEUlT_E_NS1_11comp_targetILNS1_3genE8ELNS1_11target_archE1030ELNS1_3gpuE2ELNS1_3repE0EEENS1_30default_config_static_selectorELNS0_4arch9wavefront6targetE1EEEvSY_
                                        ; -- End function
	.set _ZN7rocprim17ROCPRIM_400000_NS6detail17trampoline_kernelINS0_14default_configENS1_27lower_bound_config_selectorIilEEZNS1_14transform_implILb0ES3_S5_N6thrust23THRUST_200600_302600_NS6detail15normal_iteratorINS8_7pointerIiNS8_11hip_rocprim5par_tENS8_11use_defaultESE_EEEENSA_INSB_IlSD_SE_SE_EEEEZNS1_13binary_searchIS3_S5_NSA_INS8_10device_ptrIiEEEESG_SI_NS1_21lower_bound_search_opENS9_16wrapped_functionINS8_6system6detail7generic6detail18binary_search_lessEbEEEE10hipError_tPvRmT1_T2_T3_mmT4_T5_P12ihipStream_tbEUlRKiE_EESV_SZ_S10_mS11_S14_bEUlT_E_NS1_11comp_targetILNS1_3genE8ELNS1_11target_archE1030ELNS1_3gpuE2ELNS1_3repE0EEENS1_30default_config_static_selectorELNS0_4arch9wavefront6targetE1EEEvSY_.num_vgpr, 0
	.set _ZN7rocprim17ROCPRIM_400000_NS6detail17trampoline_kernelINS0_14default_configENS1_27lower_bound_config_selectorIilEEZNS1_14transform_implILb0ES3_S5_N6thrust23THRUST_200600_302600_NS6detail15normal_iteratorINS8_7pointerIiNS8_11hip_rocprim5par_tENS8_11use_defaultESE_EEEENSA_INSB_IlSD_SE_SE_EEEEZNS1_13binary_searchIS3_S5_NSA_INS8_10device_ptrIiEEEESG_SI_NS1_21lower_bound_search_opENS9_16wrapped_functionINS8_6system6detail7generic6detail18binary_search_lessEbEEEE10hipError_tPvRmT1_T2_T3_mmT4_T5_P12ihipStream_tbEUlRKiE_EESV_SZ_S10_mS11_S14_bEUlT_E_NS1_11comp_targetILNS1_3genE8ELNS1_11target_archE1030ELNS1_3gpuE2ELNS1_3repE0EEENS1_30default_config_static_selectorELNS0_4arch9wavefront6targetE1EEEvSY_.num_agpr, 0
	.set _ZN7rocprim17ROCPRIM_400000_NS6detail17trampoline_kernelINS0_14default_configENS1_27lower_bound_config_selectorIilEEZNS1_14transform_implILb0ES3_S5_N6thrust23THRUST_200600_302600_NS6detail15normal_iteratorINS8_7pointerIiNS8_11hip_rocprim5par_tENS8_11use_defaultESE_EEEENSA_INSB_IlSD_SE_SE_EEEEZNS1_13binary_searchIS3_S5_NSA_INS8_10device_ptrIiEEEESG_SI_NS1_21lower_bound_search_opENS9_16wrapped_functionINS8_6system6detail7generic6detail18binary_search_lessEbEEEE10hipError_tPvRmT1_T2_T3_mmT4_T5_P12ihipStream_tbEUlRKiE_EESV_SZ_S10_mS11_S14_bEUlT_E_NS1_11comp_targetILNS1_3genE8ELNS1_11target_archE1030ELNS1_3gpuE2ELNS1_3repE0EEENS1_30default_config_static_selectorELNS0_4arch9wavefront6targetE1EEEvSY_.numbered_sgpr, 0
	.set _ZN7rocprim17ROCPRIM_400000_NS6detail17trampoline_kernelINS0_14default_configENS1_27lower_bound_config_selectorIilEEZNS1_14transform_implILb0ES3_S5_N6thrust23THRUST_200600_302600_NS6detail15normal_iteratorINS8_7pointerIiNS8_11hip_rocprim5par_tENS8_11use_defaultESE_EEEENSA_INSB_IlSD_SE_SE_EEEEZNS1_13binary_searchIS3_S5_NSA_INS8_10device_ptrIiEEEESG_SI_NS1_21lower_bound_search_opENS9_16wrapped_functionINS8_6system6detail7generic6detail18binary_search_lessEbEEEE10hipError_tPvRmT1_T2_T3_mmT4_T5_P12ihipStream_tbEUlRKiE_EESV_SZ_S10_mS11_S14_bEUlT_E_NS1_11comp_targetILNS1_3genE8ELNS1_11target_archE1030ELNS1_3gpuE2ELNS1_3repE0EEENS1_30default_config_static_selectorELNS0_4arch9wavefront6targetE1EEEvSY_.num_named_barrier, 0
	.set _ZN7rocprim17ROCPRIM_400000_NS6detail17trampoline_kernelINS0_14default_configENS1_27lower_bound_config_selectorIilEEZNS1_14transform_implILb0ES3_S5_N6thrust23THRUST_200600_302600_NS6detail15normal_iteratorINS8_7pointerIiNS8_11hip_rocprim5par_tENS8_11use_defaultESE_EEEENSA_INSB_IlSD_SE_SE_EEEEZNS1_13binary_searchIS3_S5_NSA_INS8_10device_ptrIiEEEESG_SI_NS1_21lower_bound_search_opENS9_16wrapped_functionINS8_6system6detail7generic6detail18binary_search_lessEbEEEE10hipError_tPvRmT1_T2_T3_mmT4_T5_P12ihipStream_tbEUlRKiE_EESV_SZ_S10_mS11_S14_bEUlT_E_NS1_11comp_targetILNS1_3genE8ELNS1_11target_archE1030ELNS1_3gpuE2ELNS1_3repE0EEENS1_30default_config_static_selectorELNS0_4arch9wavefront6targetE1EEEvSY_.private_seg_size, 0
	.set _ZN7rocprim17ROCPRIM_400000_NS6detail17trampoline_kernelINS0_14default_configENS1_27lower_bound_config_selectorIilEEZNS1_14transform_implILb0ES3_S5_N6thrust23THRUST_200600_302600_NS6detail15normal_iteratorINS8_7pointerIiNS8_11hip_rocprim5par_tENS8_11use_defaultESE_EEEENSA_INSB_IlSD_SE_SE_EEEEZNS1_13binary_searchIS3_S5_NSA_INS8_10device_ptrIiEEEESG_SI_NS1_21lower_bound_search_opENS9_16wrapped_functionINS8_6system6detail7generic6detail18binary_search_lessEbEEEE10hipError_tPvRmT1_T2_T3_mmT4_T5_P12ihipStream_tbEUlRKiE_EESV_SZ_S10_mS11_S14_bEUlT_E_NS1_11comp_targetILNS1_3genE8ELNS1_11target_archE1030ELNS1_3gpuE2ELNS1_3repE0EEENS1_30default_config_static_selectorELNS0_4arch9wavefront6targetE1EEEvSY_.uses_vcc, 0
	.set _ZN7rocprim17ROCPRIM_400000_NS6detail17trampoline_kernelINS0_14default_configENS1_27lower_bound_config_selectorIilEEZNS1_14transform_implILb0ES3_S5_N6thrust23THRUST_200600_302600_NS6detail15normal_iteratorINS8_7pointerIiNS8_11hip_rocprim5par_tENS8_11use_defaultESE_EEEENSA_INSB_IlSD_SE_SE_EEEEZNS1_13binary_searchIS3_S5_NSA_INS8_10device_ptrIiEEEESG_SI_NS1_21lower_bound_search_opENS9_16wrapped_functionINS8_6system6detail7generic6detail18binary_search_lessEbEEEE10hipError_tPvRmT1_T2_T3_mmT4_T5_P12ihipStream_tbEUlRKiE_EESV_SZ_S10_mS11_S14_bEUlT_E_NS1_11comp_targetILNS1_3genE8ELNS1_11target_archE1030ELNS1_3gpuE2ELNS1_3repE0EEENS1_30default_config_static_selectorELNS0_4arch9wavefront6targetE1EEEvSY_.uses_flat_scratch, 0
	.set _ZN7rocprim17ROCPRIM_400000_NS6detail17trampoline_kernelINS0_14default_configENS1_27lower_bound_config_selectorIilEEZNS1_14transform_implILb0ES3_S5_N6thrust23THRUST_200600_302600_NS6detail15normal_iteratorINS8_7pointerIiNS8_11hip_rocprim5par_tENS8_11use_defaultESE_EEEENSA_INSB_IlSD_SE_SE_EEEEZNS1_13binary_searchIS3_S5_NSA_INS8_10device_ptrIiEEEESG_SI_NS1_21lower_bound_search_opENS9_16wrapped_functionINS8_6system6detail7generic6detail18binary_search_lessEbEEEE10hipError_tPvRmT1_T2_T3_mmT4_T5_P12ihipStream_tbEUlRKiE_EESV_SZ_S10_mS11_S14_bEUlT_E_NS1_11comp_targetILNS1_3genE8ELNS1_11target_archE1030ELNS1_3gpuE2ELNS1_3repE0EEENS1_30default_config_static_selectorELNS0_4arch9wavefront6targetE1EEEvSY_.has_dyn_sized_stack, 0
	.set _ZN7rocprim17ROCPRIM_400000_NS6detail17trampoline_kernelINS0_14default_configENS1_27lower_bound_config_selectorIilEEZNS1_14transform_implILb0ES3_S5_N6thrust23THRUST_200600_302600_NS6detail15normal_iteratorINS8_7pointerIiNS8_11hip_rocprim5par_tENS8_11use_defaultESE_EEEENSA_INSB_IlSD_SE_SE_EEEEZNS1_13binary_searchIS3_S5_NSA_INS8_10device_ptrIiEEEESG_SI_NS1_21lower_bound_search_opENS9_16wrapped_functionINS8_6system6detail7generic6detail18binary_search_lessEbEEEE10hipError_tPvRmT1_T2_T3_mmT4_T5_P12ihipStream_tbEUlRKiE_EESV_SZ_S10_mS11_S14_bEUlT_E_NS1_11comp_targetILNS1_3genE8ELNS1_11target_archE1030ELNS1_3gpuE2ELNS1_3repE0EEENS1_30default_config_static_selectorELNS0_4arch9wavefront6targetE1EEEvSY_.has_recursion, 0
	.set _ZN7rocprim17ROCPRIM_400000_NS6detail17trampoline_kernelINS0_14default_configENS1_27lower_bound_config_selectorIilEEZNS1_14transform_implILb0ES3_S5_N6thrust23THRUST_200600_302600_NS6detail15normal_iteratorINS8_7pointerIiNS8_11hip_rocprim5par_tENS8_11use_defaultESE_EEEENSA_INSB_IlSD_SE_SE_EEEEZNS1_13binary_searchIS3_S5_NSA_INS8_10device_ptrIiEEEESG_SI_NS1_21lower_bound_search_opENS9_16wrapped_functionINS8_6system6detail7generic6detail18binary_search_lessEbEEEE10hipError_tPvRmT1_T2_T3_mmT4_T5_P12ihipStream_tbEUlRKiE_EESV_SZ_S10_mS11_S14_bEUlT_E_NS1_11comp_targetILNS1_3genE8ELNS1_11target_archE1030ELNS1_3gpuE2ELNS1_3repE0EEENS1_30default_config_static_selectorELNS0_4arch9wavefront6targetE1EEEvSY_.has_indirect_call, 0
	.section	.AMDGPU.csdata,"",@progbits
; Kernel info:
; codeLenInByte = 0
; TotalNumSgprs: 4
; NumVgprs: 0
; ScratchSize: 0
; MemoryBound: 0
; FloatMode: 240
; IeeeMode: 1
; LDSByteSize: 0 bytes/workgroup (compile time only)
; SGPRBlocks: 0
; VGPRBlocks: 0
; NumSGPRsForWavesPerEU: 4
; NumVGPRsForWavesPerEU: 1
; Occupancy: 10
; WaveLimiterHint : 0
; COMPUTE_PGM_RSRC2:SCRATCH_EN: 0
; COMPUTE_PGM_RSRC2:USER_SGPR: 6
; COMPUTE_PGM_RSRC2:TRAP_HANDLER: 0
; COMPUTE_PGM_RSRC2:TGID_X_EN: 1
; COMPUTE_PGM_RSRC2:TGID_Y_EN: 0
; COMPUTE_PGM_RSRC2:TGID_Z_EN: 0
; COMPUTE_PGM_RSRC2:TIDIG_COMP_CNT: 0
	.section	.text._ZN7rocprim17ROCPRIM_400000_NS6detail17trampoline_kernelINS0_14default_configENS1_27lower_bound_config_selectorIslEEZNS1_14transform_implILb0ES3_S5_N6thrust23THRUST_200600_302600_NS6detail15normal_iteratorINS8_7pointerIsNS8_11hip_rocprim5par_tENS8_11use_defaultESE_EEEENSA_INSB_IlSD_SE_SE_EEEEZNS1_13binary_searchIS3_S5_NSA_INS8_10device_ptrIsEEEESG_SI_NS1_21lower_bound_search_opENS9_16wrapped_functionINS8_6system6detail7generic6detail18binary_search_lessEbEEEE10hipError_tPvRmT1_T2_T3_mmT4_T5_P12ihipStream_tbEUlRKsE_EESV_SZ_S10_mS11_S14_bEUlT_E_NS1_11comp_targetILNS1_3genE0ELNS1_11target_archE4294967295ELNS1_3gpuE0ELNS1_3repE0EEENS1_30default_config_static_selectorELNS0_4arch9wavefront6targetE1EEEvSY_,"axG",@progbits,_ZN7rocprim17ROCPRIM_400000_NS6detail17trampoline_kernelINS0_14default_configENS1_27lower_bound_config_selectorIslEEZNS1_14transform_implILb0ES3_S5_N6thrust23THRUST_200600_302600_NS6detail15normal_iteratorINS8_7pointerIsNS8_11hip_rocprim5par_tENS8_11use_defaultESE_EEEENSA_INSB_IlSD_SE_SE_EEEEZNS1_13binary_searchIS3_S5_NSA_INS8_10device_ptrIsEEEESG_SI_NS1_21lower_bound_search_opENS9_16wrapped_functionINS8_6system6detail7generic6detail18binary_search_lessEbEEEE10hipError_tPvRmT1_T2_T3_mmT4_T5_P12ihipStream_tbEUlRKsE_EESV_SZ_S10_mS11_S14_bEUlT_E_NS1_11comp_targetILNS1_3genE0ELNS1_11target_archE4294967295ELNS1_3gpuE0ELNS1_3repE0EEENS1_30default_config_static_selectorELNS0_4arch9wavefront6targetE1EEEvSY_,comdat
	.protected	_ZN7rocprim17ROCPRIM_400000_NS6detail17trampoline_kernelINS0_14default_configENS1_27lower_bound_config_selectorIslEEZNS1_14transform_implILb0ES3_S5_N6thrust23THRUST_200600_302600_NS6detail15normal_iteratorINS8_7pointerIsNS8_11hip_rocprim5par_tENS8_11use_defaultESE_EEEENSA_INSB_IlSD_SE_SE_EEEEZNS1_13binary_searchIS3_S5_NSA_INS8_10device_ptrIsEEEESG_SI_NS1_21lower_bound_search_opENS9_16wrapped_functionINS8_6system6detail7generic6detail18binary_search_lessEbEEEE10hipError_tPvRmT1_T2_T3_mmT4_T5_P12ihipStream_tbEUlRKsE_EESV_SZ_S10_mS11_S14_bEUlT_E_NS1_11comp_targetILNS1_3genE0ELNS1_11target_archE4294967295ELNS1_3gpuE0ELNS1_3repE0EEENS1_30default_config_static_selectorELNS0_4arch9wavefront6targetE1EEEvSY_ ; -- Begin function _ZN7rocprim17ROCPRIM_400000_NS6detail17trampoline_kernelINS0_14default_configENS1_27lower_bound_config_selectorIslEEZNS1_14transform_implILb0ES3_S5_N6thrust23THRUST_200600_302600_NS6detail15normal_iteratorINS8_7pointerIsNS8_11hip_rocprim5par_tENS8_11use_defaultESE_EEEENSA_INSB_IlSD_SE_SE_EEEEZNS1_13binary_searchIS3_S5_NSA_INS8_10device_ptrIsEEEESG_SI_NS1_21lower_bound_search_opENS9_16wrapped_functionINS8_6system6detail7generic6detail18binary_search_lessEbEEEE10hipError_tPvRmT1_T2_T3_mmT4_T5_P12ihipStream_tbEUlRKsE_EESV_SZ_S10_mS11_S14_bEUlT_E_NS1_11comp_targetILNS1_3genE0ELNS1_11target_archE4294967295ELNS1_3gpuE0ELNS1_3repE0EEENS1_30default_config_static_selectorELNS0_4arch9wavefront6targetE1EEEvSY_
	.globl	_ZN7rocprim17ROCPRIM_400000_NS6detail17trampoline_kernelINS0_14default_configENS1_27lower_bound_config_selectorIslEEZNS1_14transform_implILb0ES3_S5_N6thrust23THRUST_200600_302600_NS6detail15normal_iteratorINS8_7pointerIsNS8_11hip_rocprim5par_tENS8_11use_defaultESE_EEEENSA_INSB_IlSD_SE_SE_EEEEZNS1_13binary_searchIS3_S5_NSA_INS8_10device_ptrIsEEEESG_SI_NS1_21lower_bound_search_opENS9_16wrapped_functionINS8_6system6detail7generic6detail18binary_search_lessEbEEEE10hipError_tPvRmT1_T2_T3_mmT4_T5_P12ihipStream_tbEUlRKsE_EESV_SZ_S10_mS11_S14_bEUlT_E_NS1_11comp_targetILNS1_3genE0ELNS1_11target_archE4294967295ELNS1_3gpuE0ELNS1_3repE0EEENS1_30default_config_static_selectorELNS0_4arch9wavefront6targetE1EEEvSY_
	.p2align	8
	.type	_ZN7rocprim17ROCPRIM_400000_NS6detail17trampoline_kernelINS0_14default_configENS1_27lower_bound_config_selectorIslEEZNS1_14transform_implILb0ES3_S5_N6thrust23THRUST_200600_302600_NS6detail15normal_iteratorINS8_7pointerIsNS8_11hip_rocprim5par_tENS8_11use_defaultESE_EEEENSA_INSB_IlSD_SE_SE_EEEEZNS1_13binary_searchIS3_S5_NSA_INS8_10device_ptrIsEEEESG_SI_NS1_21lower_bound_search_opENS9_16wrapped_functionINS8_6system6detail7generic6detail18binary_search_lessEbEEEE10hipError_tPvRmT1_T2_T3_mmT4_T5_P12ihipStream_tbEUlRKsE_EESV_SZ_S10_mS11_S14_bEUlT_E_NS1_11comp_targetILNS1_3genE0ELNS1_11target_archE4294967295ELNS1_3gpuE0ELNS1_3repE0EEENS1_30default_config_static_selectorELNS0_4arch9wavefront6targetE1EEEvSY_,@function
_ZN7rocprim17ROCPRIM_400000_NS6detail17trampoline_kernelINS0_14default_configENS1_27lower_bound_config_selectorIslEEZNS1_14transform_implILb0ES3_S5_N6thrust23THRUST_200600_302600_NS6detail15normal_iteratorINS8_7pointerIsNS8_11hip_rocprim5par_tENS8_11use_defaultESE_EEEENSA_INSB_IlSD_SE_SE_EEEEZNS1_13binary_searchIS3_S5_NSA_INS8_10device_ptrIsEEEESG_SI_NS1_21lower_bound_search_opENS9_16wrapped_functionINS8_6system6detail7generic6detail18binary_search_lessEbEEEE10hipError_tPvRmT1_T2_T3_mmT4_T5_P12ihipStream_tbEUlRKsE_EESV_SZ_S10_mS11_S14_bEUlT_E_NS1_11comp_targetILNS1_3genE0ELNS1_11target_archE4294967295ELNS1_3gpuE0ELNS1_3repE0EEENS1_30default_config_static_selectorELNS0_4arch9wavefront6targetE1EEEvSY_: ; @_ZN7rocprim17ROCPRIM_400000_NS6detail17trampoline_kernelINS0_14default_configENS1_27lower_bound_config_selectorIslEEZNS1_14transform_implILb0ES3_S5_N6thrust23THRUST_200600_302600_NS6detail15normal_iteratorINS8_7pointerIsNS8_11hip_rocprim5par_tENS8_11use_defaultESE_EEEENSA_INSB_IlSD_SE_SE_EEEEZNS1_13binary_searchIS3_S5_NSA_INS8_10device_ptrIsEEEESG_SI_NS1_21lower_bound_search_opENS9_16wrapped_functionINS8_6system6detail7generic6detail18binary_search_lessEbEEEE10hipError_tPvRmT1_T2_T3_mmT4_T5_P12ihipStream_tbEUlRKsE_EESV_SZ_S10_mS11_S14_bEUlT_E_NS1_11comp_targetILNS1_3genE0ELNS1_11target_archE4294967295ELNS1_3gpuE0ELNS1_3repE0EEENS1_30default_config_static_selectorELNS0_4arch9wavefront6targetE1EEEvSY_
; %bb.0:
	.section	.rodata,"a",@progbits
	.p2align	6, 0x0
	.amdhsa_kernel _ZN7rocprim17ROCPRIM_400000_NS6detail17trampoline_kernelINS0_14default_configENS1_27lower_bound_config_selectorIslEEZNS1_14transform_implILb0ES3_S5_N6thrust23THRUST_200600_302600_NS6detail15normal_iteratorINS8_7pointerIsNS8_11hip_rocprim5par_tENS8_11use_defaultESE_EEEENSA_INSB_IlSD_SE_SE_EEEEZNS1_13binary_searchIS3_S5_NSA_INS8_10device_ptrIsEEEESG_SI_NS1_21lower_bound_search_opENS9_16wrapped_functionINS8_6system6detail7generic6detail18binary_search_lessEbEEEE10hipError_tPvRmT1_T2_T3_mmT4_T5_P12ihipStream_tbEUlRKsE_EESV_SZ_S10_mS11_S14_bEUlT_E_NS1_11comp_targetILNS1_3genE0ELNS1_11target_archE4294967295ELNS1_3gpuE0ELNS1_3repE0EEENS1_30default_config_static_selectorELNS0_4arch9wavefront6targetE1EEEvSY_
		.amdhsa_group_segment_fixed_size 0
		.amdhsa_private_segment_fixed_size 0
		.amdhsa_kernarg_size 56
		.amdhsa_user_sgpr_count 6
		.amdhsa_user_sgpr_private_segment_buffer 1
		.amdhsa_user_sgpr_dispatch_ptr 0
		.amdhsa_user_sgpr_queue_ptr 0
		.amdhsa_user_sgpr_kernarg_segment_ptr 1
		.amdhsa_user_sgpr_dispatch_id 0
		.amdhsa_user_sgpr_flat_scratch_init 0
		.amdhsa_user_sgpr_private_segment_size 0
		.amdhsa_uses_dynamic_stack 0
		.amdhsa_system_sgpr_private_segment_wavefront_offset 0
		.amdhsa_system_sgpr_workgroup_id_x 1
		.amdhsa_system_sgpr_workgroup_id_y 0
		.amdhsa_system_sgpr_workgroup_id_z 0
		.amdhsa_system_sgpr_workgroup_info 0
		.amdhsa_system_vgpr_workitem_id 0
		.amdhsa_next_free_vgpr 1
		.amdhsa_next_free_sgpr 0
		.amdhsa_reserve_vcc 0
		.amdhsa_reserve_flat_scratch 0
		.amdhsa_float_round_mode_32 0
		.amdhsa_float_round_mode_16_64 0
		.amdhsa_float_denorm_mode_32 3
		.amdhsa_float_denorm_mode_16_64 3
		.amdhsa_dx10_clamp 1
		.amdhsa_ieee_mode 1
		.amdhsa_fp16_overflow 0
		.amdhsa_exception_fp_ieee_invalid_op 0
		.amdhsa_exception_fp_denorm_src 0
		.amdhsa_exception_fp_ieee_div_zero 0
		.amdhsa_exception_fp_ieee_overflow 0
		.amdhsa_exception_fp_ieee_underflow 0
		.amdhsa_exception_fp_ieee_inexact 0
		.amdhsa_exception_int_div_zero 0
	.end_amdhsa_kernel
	.section	.text._ZN7rocprim17ROCPRIM_400000_NS6detail17trampoline_kernelINS0_14default_configENS1_27lower_bound_config_selectorIslEEZNS1_14transform_implILb0ES3_S5_N6thrust23THRUST_200600_302600_NS6detail15normal_iteratorINS8_7pointerIsNS8_11hip_rocprim5par_tENS8_11use_defaultESE_EEEENSA_INSB_IlSD_SE_SE_EEEEZNS1_13binary_searchIS3_S5_NSA_INS8_10device_ptrIsEEEESG_SI_NS1_21lower_bound_search_opENS9_16wrapped_functionINS8_6system6detail7generic6detail18binary_search_lessEbEEEE10hipError_tPvRmT1_T2_T3_mmT4_T5_P12ihipStream_tbEUlRKsE_EESV_SZ_S10_mS11_S14_bEUlT_E_NS1_11comp_targetILNS1_3genE0ELNS1_11target_archE4294967295ELNS1_3gpuE0ELNS1_3repE0EEENS1_30default_config_static_selectorELNS0_4arch9wavefront6targetE1EEEvSY_,"axG",@progbits,_ZN7rocprim17ROCPRIM_400000_NS6detail17trampoline_kernelINS0_14default_configENS1_27lower_bound_config_selectorIslEEZNS1_14transform_implILb0ES3_S5_N6thrust23THRUST_200600_302600_NS6detail15normal_iteratorINS8_7pointerIsNS8_11hip_rocprim5par_tENS8_11use_defaultESE_EEEENSA_INSB_IlSD_SE_SE_EEEEZNS1_13binary_searchIS3_S5_NSA_INS8_10device_ptrIsEEEESG_SI_NS1_21lower_bound_search_opENS9_16wrapped_functionINS8_6system6detail7generic6detail18binary_search_lessEbEEEE10hipError_tPvRmT1_T2_T3_mmT4_T5_P12ihipStream_tbEUlRKsE_EESV_SZ_S10_mS11_S14_bEUlT_E_NS1_11comp_targetILNS1_3genE0ELNS1_11target_archE4294967295ELNS1_3gpuE0ELNS1_3repE0EEENS1_30default_config_static_selectorELNS0_4arch9wavefront6targetE1EEEvSY_,comdat
.Lfunc_end412:
	.size	_ZN7rocprim17ROCPRIM_400000_NS6detail17trampoline_kernelINS0_14default_configENS1_27lower_bound_config_selectorIslEEZNS1_14transform_implILb0ES3_S5_N6thrust23THRUST_200600_302600_NS6detail15normal_iteratorINS8_7pointerIsNS8_11hip_rocprim5par_tENS8_11use_defaultESE_EEEENSA_INSB_IlSD_SE_SE_EEEEZNS1_13binary_searchIS3_S5_NSA_INS8_10device_ptrIsEEEESG_SI_NS1_21lower_bound_search_opENS9_16wrapped_functionINS8_6system6detail7generic6detail18binary_search_lessEbEEEE10hipError_tPvRmT1_T2_T3_mmT4_T5_P12ihipStream_tbEUlRKsE_EESV_SZ_S10_mS11_S14_bEUlT_E_NS1_11comp_targetILNS1_3genE0ELNS1_11target_archE4294967295ELNS1_3gpuE0ELNS1_3repE0EEENS1_30default_config_static_selectorELNS0_4arch9wavefront6targetE1EEEvSY_, .Lfunc_end412-_ZN7rocprim17ROCPRIM_400000_NS6detail17trampoline_kernelINS0_14default_configENS1_27lower_bound_config_selectorIslEEZNS1_14transform_implILb0ES3_S5_N6thrust23THRUST_200600_302600_NS6detail15normal_iteratorINS8_7pointerIsNS8_11hip_rocprim5par_tENS8_11use_defaultESE_EEEENSA_INSB_IlSD_SE_SE_EEEEZNS1_13binary_searchIS3_S5_NSA_INS8_10device_ptrIsEEEESG_SI_NS1_21lower_bound_search_opENS9_16wrapped_functionINS8_6system6detail7generic6detail18binary_search_lessEbEEEE10hipError_tPvRmT1_T2_T3_mmT4_T5_P12ihipStream_tbEUlRKsE_EESV_SZ_S10_mS11_S14_bEUlT_E_NS1_11comp_targetILNS1_3genE0ELNS1_11target_archE4294967295ELNS1_3gpuE0ELNS1_3repE0EEENS1_30default_config_static_selectorELNS0_4arch9wavefront6targetE1EEEvSY_
                                        ; -- End function
	.set _ZN7rocprim17ROCPRIM_400000_NS6detail17trampoline_kernelINS0_14default_configENS1_27lower_bound_config_selectorIslEEZNS1_14transform_implILb0ES3_S5_N6thrust23THRUST_200600_302600_NS6detail15normal_iteratorINS8_7pointerIsNS8_11hip_rocprim5par_tENS8_11use_defaultESE_EEEENSA_INSB_IlSD_SE_SE_EEEEZNS1_13binary_searchIS3_S5_NSA_INS8_10device_ptrIsEEEESG_SI_NS1_21lower_bound_search_opENS9_16wrapped_functionINS8_6system6detail7generic6detail18binary_search_lessEbEEEE10hipError_tPvRmT1_T2_T3_mmT4_T5_P12ihipStream_tbEUlRKsE_EESV_SZ_S10_mS11_S14_bEUlT_E_NS1_11comp_targetILNS1_3genE0ELNS1_11target_archE4294967295ELNS1_3gpuE0ELNS1_3repE0EEENS1_30default_config_static_selectorELNS0_4arch9wavefront6targetE1EEEvSY_.num_vgpr, 0
	.set _ZN7rocprim17ROCPRIM_400000_NS6detail17trampoline_kernelINS0_14default_configENS1_27lower_bound_config_selectorIslEEZNS1_14transform_implILb0ES3_S5_N6thrust23THRUST_200600_302600_NS6detail15normal_iteratorINS8_7pointerIsNS8_11hip_rocprim5par_tENS8_11use_defaultESE_EEEENSA_INSB_IlSD_SE_SE_EEEEZNS1_13binary_searchIS3_S5_NSA_INS8_10device_ptrIsEEEESG_SI_NS1_21lower_bound_search_opENS9_16wrapped_functionINS8_6system6detail7generic6detail18binary_search_lessEbEEEE10hipError_tPvRmT1_T2_T3_mmT4_T5_P12ihipStream_tbEUlRKsE_EESV_SZ_S10_mS11_S14_bEUlT_E_NS1_11comp_targetILNS1_3genE0ELNS1_11target_archE4294967295ELNS1_3gpuE0ELNS1_3repE0EEENS1_30default_config_static_selectorELNS0_4arch9wavefront6targetE1EEEvSY_.num_agpr, 0
	.set _ZN7rocprim17ROCPRIM_400000_NS6detail17trampoline_kernelINS0_14default_configENS1_27lower_bound_config_selectorIslEEZNS1_14transform_implILb0ES3_S5_N6thrust23THRUST_200600_302600_NS6detail15normal_iteratorINS8_7pointerIsNS8_11hip_rocprim5par_tENS8_11use_defaultESE_EEEENSA_INSB_IlSD_SE_SE_EEEEZNS1_13binary_searchIS3_S5_NSA_INS8_10device_ptrIsEEEESG_SI_NS1_21lower_bound_search_opENS9_16wrapped_functionINS8_6system6detail7generic6detail18binary_search_lessEbEEEE10hipError_tPvRmT1_T2_T3_mmT4_T5_P12ihipStream_tbEUlRKsE_EESV_SZ_S10_mS11_S14_bEUlT_E_NS1_11comp_targetILNS1_3genE0ELNS1_11target_archE4294967295ELNS1_3gpuE0ELNS1_3repE0EEENS1_30default_config_static_selectorELNS0_4arch9wavefront6targetE1EEEvSY_.numbered_sgpr, 0
	.set _ZN7rocprim17ROCPRIM_400000_NS6detail17trampoline_kernelINS0_14default_configENS1_27lower_bound_config_selectorIslEEZNS1_14transform_implILb0ES3_S5_N6thrust23THRUST_200600_302600_NS6detail15normal_iteratorINS8_7pointerIsNS8_11hip_rocprim5par_tENS8_11use_defaultESE_EEEENSA_INSB_IlSD_SE_SE_EEEEZNS1_13binary_searchIS3_S5_NSA_INS8_10device_ptrIsEEEESG_SI_NS1_21lower_bound_search_opENS9_16wrapped_functionINS8_6system6detail7generic6detail18binary_search_lessEbEEEE10hipError_tPvRmT1_T2_T3_mmT4_T5_P12ihipStream_tbEUlRKsE_EESV_SZ_S10_mS11_S14_bEUlT_E_NS1_11comp_targetILNS1_3genE0ELNS1_11target_archE4294967295ELNS1_3gpuE0ELNS1_3repE0EEENS1_30default_config_static_selectorELNS0_4arch9wavefront6targetE1EEEvSY_.num_named_barrier, 0
	.set _ZN7rocprim17ROCPRIM_400000_NS6detail17trampoline_kernelINS0_14default_configENS1_27lower_bound_config_selectorIslEEZNS1_14transform_implILb0ES3_S5_N6thrust23THRUST_200600_302600_NS6detail15normal_iteratorINS8_7pointerIsNS8_11hip_rocprim5par_tENS8_11use_defaultESE_EEEENSA_INSB_IlSD_SE_SE_EEEEZNS1_13binary_searchIS3_S5_NSA_INS8_10device_ptrIsEEEESG_SI_NS1_21lower_bound_search_opENS9_16wrapped_functionINS8_6system6detail7generic6detail18binary_search_lessEbEEEE10hipError_tPvRmT1_T2_T3_mmT4_T5_P12ihipStream_tbEUlRKsE_EESV_SZ_S10_mS11_S14_bEUlT_E_NS1_11comp_targetILNS1_3genE0ELNS1_11target_archE4294967295ELNS1_3gpuE0ELNS1_3repE0EEENS1_30default_config_static_selectorELNS0_4arch9wavefront6targetE1EEEvSY_.private_seg_size, 0
	.set _ZN7rocprim17ROCPRIM_400000_NS6detail17trampoline_kernelINS0_14default_configENS1_27lower_bound_config_selectorIslEEZNS1_14transform_implILb0ES3_S5_N6thrust23THRUST_200600_302600_NS6detail15normal_iteratorINS8_7pointerIsNS8_11hip_rocprim5par_tENS8_11use_defaultESE_EEEENSA_INSB_IlSD_SE_SE_EEEEZNS1_13binary_searchIS3_S5_NSA_INS8_10device_ptrIsEEEESG_SI_NS1_21lower_bound_search_opENS9_16wrapped_functionINS8_6system6detail7generic6detail18binary_search_lessEbEEEE10hipError_tPvRmT1_T2_T3_mmT4_T5_P12ihipStream_tbEUlRKsE_EESV_SZ_S10_mS11_S14_bEUlT_E_NS1_11comp_targetILNS1_3genE0ELNS1_11target_archE4294967295ELNS1_3gpuE0ELNS1_3repE0EEENS1_30default_config_static_selectorELNS0_4arch9wavefront6targetE1EEEvSY_.uses_vcc, 0
	.set _ZN7rocprim17ROCPRIM_400000_NS6detail17trampoline_kernelINS0_14default_configENS1_27lower_bound_config_selectorIslEEZNS1_14transform_implILb0ES3_S5_N6thrust23THRUST_200600_302600_NS6detail15normal_iteratorINS8_7pointerIsNS8_11hip_rocprim5par_tENS8_11use_defaultESE_EEEENSA_INSB_IlSD_SE_SE_EEEEZNS1_13binary_searchIS3_S5_NSA_INS8_10device_ptrIsEEEESG_SI_NS1_21lower_bound_search_opENS9_16wrapped_functionINS8_6system6detail7generic6detail18binary_search_lessEbEEEE10hipError_tPvRmT1_T2_T3_mmT4_T5_P12ihipStream_tbEUlRKsE_EESV_SZ_S10_mS11_S14_bEUlT_E_NS1_11comp_targetILNS1_3genE0ELNS1_11target_archE4294967295ELNS1_3gpuE0ELNS1_3repE0EEENS1_30default_config_static_selectorELNS0_4arch9wavefront6targetE1EEEvSY_.uses_flat_scratch, 0
	.set _ZN7rocprim17ROCPRIM_400000_NS6detail17trampoline_kernelINS0_14default_configENS1_27lower_bound_config_selectorIslEEZNS1_14transform_implILb0ES3_S5_N6thrust23THRUST_200600_302600_NS6detail15normal_iteratorINS8_7pointerIsNS8_11hip_rocprim5par_tENS8_11use_defaultESE_EEEENSA_INSB_IlSD_SE_SE_EEEEZNS1_13binary_searchIS3_S5_NSA_INS8_10device_ptrIsEEEESG_SI_NS1_21lower_bound_search_opENS9_16wrapped_functionINS8_6system6detail7generic6detail18binary_search_lessEbEEEE10hipError_tPvRmT1_T2_T3_mmT4_T5_P12ihipStream_tbEUlRKsE_EESV_SZ_S10_mS11_S14_bEUlT_E_NS1_11comp_targetILNS1_3genE0ELNS1_11target_archE4294967295ELNS1_3gpuE0ELNS1_3repE0EEENS1_30default_config_static_selectorELNS0_4arch9wavefront6targetE1EEEvSY_.has_dyn_sized_stack, 0
	.set _ZN7rocprim17ROCPRIM_400000_NS6detail17trampoline_kernelINS0_14default_configENS1_27lower_bound_config_selectorIslEEZNS1_14transform_implILb0ES3_S5_N6thrust23THRUST_200600_302600_NS6detail15normal_iteratorINS8_7pointerIsNS8_11hip_rocprim5par_tENS8_11use_defaultESE_EEEENSA_INSB_IlSD_SE_SE_EEEEZNS1_13binary_searchIS3_S5_NSA_INS8_10device_ptrIsEEEESG_SI_NS1_21lower_bound_search_opENS9_16wrapped_functionINS8_6system6detail7generic6detail18binary_search_lessEbEEEE10hipError_tPvRmT1_T2_T3_mmT4_T5_P12ihipStream_tbEUlRKsE_EESV_SZ_S10_mS11_S14_bEUlT_E_NS1_11comp_targetILNS1_3genE0ELNS1_11target_archE4294967295ELNS1_3gpuE0ELNS1_3repE0EEENS1_30default_config_static_selectorELNS0_4arch9wavefront6targetE1EEEvSY_.has_recursion, 0
	.set _ZN7rocprim17ROCPRIM_400000_NS6detail17trampoline_kernelINS0_14default_configENS1_27lower_bound_config_selectorIslEEZNS1_14transform_implILb0ES3_S5_N6thrust23THRUST_200600_302600_NS6detail15normal_iteratorINS8_7pointerIsNS8_11hip_rocprim5par_tENS8_11use_defaultESE_EEEENSA_INSB_IlSD_SE_SE_EEEEZNS1_13binary_searchIS3_S5_NSA_INS8_10device_ptrIsEEEESG_SI_NS1_21lower_bound_search_opENS9_16wrapped_functionINS8_6system6detail7generic6detail18binary_search_lessEbEEEE10hipError_tPvRmT1_T2_T3_mmT4_T5_P12ihipStream_tbEUlRKsE_EESV_SZ_S10_mS11_S14_bEUlT_E_NS1_11comp_targetILNS1_3genE0ELNS1_11target_archE4294967295ELNS1_3gpuE0ELNS1_3repE0EEENS1_30default_config_static_selectorELNS0_4arch9wavefront6targetE1EEEvSY_.has_indirect_call, 0
	.section	.AMDGPU.csdata,"",@progbits
; Kernel info:
; codeLenInByte = 0
; TotalNumSgprs: 4
; NumVgprs: 0
; ScratchSize: 0
; MemoryBound: 0
; FloatMode: 240
; IeeeMode: 1
; LDSByteSize: 0 bytes/workgroup (compile time only)
; SGPRBlocks: 0
; VGPRBlocks: 0
; NumSGPRsForWavesPerEU: 4
; NumVGPRsForWavesPerEU: 1
; Occupancy: 10
; WaveLimiterHint : 0
; COMPUTE_PGM_RSRC2:SCRATCH_EN: 0
; COMPUTE_PGM_RSRC2:USER_SGPR: 6
; COMPUTE_PGM_RSRC2:TRAP_HANDLER: 0
; COMPUTE_PGM_RSRC2:TGID_X_EN: 1
; COMPUTE_PGM_RSRC2:TGID_Y_EN: 0
; COMPUTE_PGM_RSRC2:TGID_Z_EN: 0
; COMPUTE_PGM_RSRC2:TIDIG_COMP_CNT: 0
	.section	.text._ZN7rocprim17ROCPRIM_400000_NS6detail17trampoline_kernelINS0_14default_configENS1_27lower_bound_config_selectorIslEEZNS1_14transform_implILb0ES3_S5_N6thrust23THRUST_200600_302600_NS6detail15normal_iteratorINS8_7pointerIsNS8_11hip_rocprim5par_tENS8_11use_defaultESE_EEEENSA_INSB_IlSD_SE_SE_EEEEZNS1_13binary_searchIS3_S5_NSA_INS8_10device_ptrIsEEEESG_SI_NS1_21lower_bound_search_opENS9_16wrapped_functionINS8_6system6detail7generic6detail18binary_search_lessEbEEEE10hipError_tPvRmT1_T2_T3_mmT4_T5_P12ihipStream_tbEUlRKsE_EESV_SZ_S10_mS11_S14_bEUlT_E_NS1_11comp_targetILNS1_3genE5ELNS1_11target_archE942ELNS1_3gpuE9ELNS1_3repE0EEENS1_30default_config_static_selectorELNS0_4arch9wavefront6targetE1EEEvSY_,"axG",@progbits,_ZN7rocprim17ROCPRIM_400000_NS6detail17trampoline_kernelINS0_14default_configENS1_27lower_bound_config_selectorIslEEZNS1_14transform_implILb0ES3_S5_N6thrust23THRUST_200600_302600_NS6detail15normal_iteratorINS8_7pointerIsNS8_11hip_rocprim5par_tENS8_11use_defaultESE_EEEENSA_INSB_IlSD_SE_SE_EEEEZNS1_13binary_searchIS3_S5_NSA_INS8_10device_ptrIsEEEESG_SI_NS1_21lower_bound_search_opENS9_16wrapped_functionINS8_6system6detail7generic6detail18binary_search_lessEbEEEE10hipError_tPvRmT1_T2_T3_mmT4_T5_P12ihipStream_tbEUlRKsE_EESV_SZ_S10_mS11_S14_bEUlT_E_NS1_11comp_targetILNS1_3genE5ELNS1_11target_archE942ELNS1_3gpuE9ELNS1_3repE0EEENS1_30default_config_static_selectorELNS0_4arch9wavefront6targetE1EEEvSY_,comdat
	.protected	_ZN7rocprim17ROCPRIM_400000_NS6detail17trampoline_kernelINS0_14default_configENS1_27lower_bound_config_selectorIslEEZNS1_14transform_implILb0ES3_S5_N6thrust23THRUST_200600_302600_NS6detail15normal_iteratorINS8_7pointerIsNS8_11hip_rocprim5par_tENS8_11use_defaultESE_EEEENSA_INSB_IlSD_SE_SE_EEEEZNS1_13binary_searchIS3_S5_NSA_INS8_10device_ptrIsEEEESG_SI_NS1_21lower_bound_search_opENS9_16wrapped_functionINS8_6system6detail7generic6detail18binary_search_lessEbEEEE10hipError_tPvRmT1_T2_T3_mmT4_T5_P12ihipStream_tbEUlRKsE_EESV_SZ_S10_mS11_S14_bEUlT_E_NS1_11comp_targetILNS1_3genE5ELNS1_11target_archE942ELNS1_3gpuE9ELNS1_3repE0EEENS1_30default_config_static_selectorELNS0_4arch9wavefront6targetE1EEEvSY_ ; -- Begin function _ZN7rocprim17ROCPRIM_400000_NS6detail17trampoline_kernelINS0_14default_configENS1_27lower_bound_config_selectorIslEEZNS1_14transform_implILb0ES3_S5_N6thrust23THRUST_200600_302600_NS6detail15normal_iteratorINS8_7pointerIsNS8_11hip_rocprim5par_tENS8_11use_defaultESE_EEEENSA_INSB_IlSD_SE_SE_EEEEZNS1_13binary_searchIS3_S5_NSA_INS8_10device_ptrIsEEEESG_SI_NS1_21lower_bound_search_opENS9_16wrapped_functionINS8_6system6detail7generic6detail18binary_search_lessEbEEEE10hipError_tPvRmT1_T2_T3_mmT4_T5_P12ihipStream_tbEUlRKsE_EESV_SZ_S10_mS11_S14_bEUlT_E_NS1_11comp_targetILNS1_3genE5ELNS1_11target_archE942ELNS1_3gpuE9ELNS1_3repE0EEENS1_30default_config_static_selectorELNS0_4arch9wavefront6targetE1EEEvSY_
	.globl	_ZN7rocprim17ROCPRIM_400000_NS6detail17trampoline_kernelINS0_14default_configENS1_27lower_bound_config_selectorIslEEZNS1_14transform_implILb0ES3_S5_N6thrust23THRUST_200600_302600_NS6detail15normal_iteratorINS8_7pointerIsNS8_11hip_rocprim5par_tENS8_11use_defaultESE_EEEENSA_INSB_IlSD_SE_SE_EEEEZNS1_13binary_searchIS3_S5_NSA_INS8_10device_ptrIsEEEESG_SI_NS1_21lower_bound_search_opENS9_16wrapped_functionINS8_6system6detail7generic6detail18binary_search_lessEbEEEE10hipError_tPvRmT1_T2_T3_mmT4_T5_P12ihipStream_tbEUlRKsE_EESV_SZ_S10_mS11_S14_bEUlT_E_NS1_11comp_targetILNS1_3genE5ELNS1_11target_archE942ELNS1_3gpuE9ELNS1_3repE0EEENS1_30default_config_static_selectorELNS0_4arch9wavefront6targetE1EEEvSY_
	.p2align	8
	.type	_ZN7rocprim17ROCPRIM_400000_NS6detail17trampoline_kernelINS0_14default_configENS1_27lower_bound_config_selectorIslEEZNS1_14transform_implILb0ES3_S5_N6thrust23THRUST_200600_302600_NS6detail15normal_iteratorINS8_7pointerIsNS8_11hip_rocprim5par_tENS8_11use_defaultESE_EEEENSA_INSB_IlSD_SE_SE_EEEEZNS1_13binary_searchIS3_S5_NSA_INS8_10device_ptrIsEEEESG_SI_NS1_21lower_bound_search_opENS9_16wrapped_functionINS8_6system6detail7generic6detail18binary_search_lessEbEEEE10hipError_tPvRmT1_T2_T3_mmT4_T5_P12ihipStream_tbEUlRKsE_EESV_SZ_S10_mS11_S14_bEUlT_E_NS1_11comp_targetILNS1_3genE5ELNS1_11target_archE942ELNS1_3gpuE9ELNS1_3repE0EEENS1_30default_config_static_selectorELNS0_4arch9wavefront6targetE1EEEvSY_,@function
_ZN7rocprim17ROCPRIM_400000_NS6detail17trampoline_kernelINS0_14default_configENS1_27lower_bound_config_selectorIslEEZNS1_14transform_implILb0ES3_S5_N6thrust23THRUST_200600_302600_NS6detail15normal_iteratorINS8_7pointerIsNS8_11hip_rocprim5par_tENS8_11use_defaultESE_EEEENSA_INSB_IlSD_SE_SE_EEEEZNS1_13binary_searchIS3_S5_NSA_INS8_10device_ptrIsEEEESG_SI_NS1_21lower_bound_search_opENS9_16wrapped_functionINS8_6system6detail7generic6detail18binary_search_lessEbEEEE10hipError_tPvRmT1_T2_T3_mmT4_T5_P12ihipStream_tbEUlRKsE_EESV_SZ_S10_mS11_S14_bEUlT_E_NS1_11comp_targetILNS1_3genE5ELNS1_11target_archE942ELNS1_3gpuE9ELNS1_3repE0EEENS1_30default_config_static_selectorELNS0_4arch9wavefront6targetE1EEEvSY_: ; @_ZN7rocprim17ROCPRIM_400000_NS6detail17trampoline_kernelINS0_14default_configENS1_27lower_bound_config_selectorIslEEZNS1_14transform_implILb0ES3_S5_N6thrust23THRUST_200600_302600_NS6detail15normal_iteratorINS8_7pointerIsNS8_11hip_rocprim5par_tENS8_11use_defaultESE_EEEENSA_INSB_IlSD_SE_SE_EEEEZNS1_13binary_searchIS3_S5_NSA_INS8_10device_ptrIsEEEESG_SI_NS1_21lower_bound_search_opENS9_16wrapped_functionINS8_6system6detail7generic6detail18binary_search_lessEbEEEE10hipError_tPvRmT1_T2_T3_mmT4_T5_P12ihipStream_tbEUlRKsE_EESV_SZ_S10_mS11_S14_bEUlT_E_NS1_11comp_targetILNS1_3genE5ELNS1_11target_archE942ELNS1_3gpuE9ELNS1_3repE0EEENS1_30default_config_static_selectorELNS0_4arch9wavefront6targetE1EEEvSY_
; %bb.0:
	.section	.rodata,"a",@progbits
	.p2align	6, 0x0
	.amdhsa_kernel _ZN7rocprim17ROCPRIM_400000_NS6detail17trampoline_kernelINS0_14default_configENS1_27lower_bound_config_selectorIslEEZNS1_14transform_implILb0ES3_S5_N6thrust23THRUST_200600_302600_NS6detail15normal_iteratorINS8_7pointerIsNS8_11hip_rocprim5par_tENS8_11use_defaultESE_EEEENSA_INSB_IlSD_SE_SE_EEEEZNS1_13binary_searchIS3_S5_NSA_INS8_10device_ptrIsEEEESG_SI_NS1_21lower_bound_search_opENS9_16wrapped_functionINS8_6system6detail7generic6detail18binary_search_lessEbEEEE10hipError_tPvRmT1_T2_T3_mmT4_T5_P12ihipStream_tbEUlRKsE_EESV_SZ_S10_mS11_S14_bEUlT_E_NS1_11comp_targetILNS1_3genE5ELNS1_11target_archE942ELNS1_3gpuE9ELNS1_3repE0EEENS1_30default_config_static_selectorELNS0_4arch9wavefront6targetE1EEEvSY_
		.amdhsa_group_segment_fixed_size 0
		.amdhsa_private_segment_fixed_size 0
		.amdhsa_kernarg_size 56
		.amdhsa_user_sgpr_count 6
		.amdhsa_user_sgpr_private_segment_buffer 1
		.amdhsa_user_sgpr_dispatch_ptr 0
		.amdhsa_user_sgpr_queue_ptr 0
		.amdhsa_user_sgpr_kernarg_segment_ptr 1
		.amdhsa_user_sgpr_dispatch_id 0
		.amdhsa_user_sgpr_flat_scratch_init 0
		.amdhsa_user_sgpr_private_segment_size 0
		.amdhsa_uses_dynamic_stack 0
		.amdhsa_system_sgpr_private_segment_wavefront_offset 0
		.amdhsa_system_sgpr_workgroup_id_x 1
		.amdhsa_system_sgpr_workgroup_id_y 0
		.amdhsa_system_sgpr_workgroup_id_z 0
		.amdhsa_system_sgpr_workgroup_info 0
		.amdhsa_system_vgpr_workitem_id 0
		.amdhsa_next_free_vgpr 1
		.amdhsa_next_free_sgpr 0
		.amdhsa_reserve_vcc 0
		.amdhsa_reserve_flat_scratch 0
		.amdhsa_float_round_mode_32 0
		.amdhsa_float_round_mode_16_64 0
		.amdhsa_float_denorm_mode_32 3
		.amdhsa_float_denorm_mode_16_64 3
		.amdhsa_dx10_clamp 1
		.amdhsa_ieee_mode 1
		.amdhsa_fp16_overflow 0
		.amdhsa_exception_fp_ieee_invalid_op 0
		.amdhsa_exception_fp_denorm_src 0
		.amdhsa_exception_fp_ieee_div_zero 0
		.amdhsa_exception_fp_ieee_overflow 0
		.amdhsa_exception_fp_ieee_underflow 0
		.amdhsa_exception_fp_ieee_inexact 0
		.amdhsa_exception_int_div_zero 0
	.end_amdhsa_kernel
	.section	.text._ZN7rocprim17ROCPRIM_400000_NS6detail17trampoline_kernelINS0_14default_configENS1_27lower_bound_config_selectorIslEEZNS1_14transform_implILb0ES3_S5_N6thrust23THRUST_200600_302600_NS6detail15normal_iteratorINS8_7pointerIsNS8_11hip_rocprim5par_tENS8_11use_defaultESE_EEEENSA_INSB_IlSD_SE_SE_EEEEZNS1_13binary_searchIS3_S5_NSA_INS8_10device_ptrIsEEEESG_SI_NS1_21lower_bound_search_opENS9_16wrapped_functionINS8_6system6detail7generic6detail18binary_search_lessEbEEEE10hipError_tPvRmT1_T2_T3_mmT4_T5_P12ihipStream_tbEUlRKsE_EESV_SZ_S10_mS11_S14_bEUlT_E_NS1_11comp_targetILNS1_3genE5ELNS1_11target_archE942ELNS1_3gpuE9ELNS1_3repE0EEENS1_30default_config_static_selectorELNS0_4arch9wavefront6targetE1EEEvSY_,"axG",@progbits,_ZN7rocprim17ROCPRIM_400000_NS6detail17trampoline_kernelINS0_14default_configENS1_27lower_bound_config_selectorIslEEZNS1_14transform_implILb0ES3_S5_N6thrust23THRUST_200600_302600_NS6detail15normal_iteratorINS8_7pointerIsNS8_11hip_rocprim5par_tENS8_11use_defaultESE_EEEENSA_INSB_IlSD_SE_SE_EEEEZNS1_13binary_searchIS3_S5_NSA_INS8_10device_ptrIsEEEESG_SI_NS1_21lower_bound_search_opENS9_16wrapped_functionINS8_6system6detail7generic6detail18binary_search_lessEbEEEE10hipError_tPvRmT1_T2_T3_mmT4_T5_P12ihipStream_tbEUlRKsE_EESV_SZ_S10_mS11_S14_bEUlT_E_NS1_11comp_targetILNS1_3genE5ELNS1_11target_archE942ELNS1_3gpuE9ELNS1_3repE0EEENS1_30default_config_static_selectorELNS0_4arch9wavefront6targetE1EEEvSY_,comdat
.Lfunc_end413:
	.size	_ZN7rocprim17ROCPRIM_400000_NS6detail17trampoline_kernelINS0_14default_configENS1_27lower_bound_config_selectorIslEEZNS1_14transform_implILb0ES3_S5_N6thrust23THRUST_200600_302600_NS6detail15normal_iteratorINS8_7pointerIsNS8_11hip_rocprim5par_tENS8_11use_defaultESE_EEEENSA_INSB_IlSD_SE_SE_EEEEZNS1_13binary_searchIS3_S5_NSA_INS8_10device_ptrIsEEEESG_SI_NS1_21lower_bound_search_opENS9_16wrapped_functionINS8_6system6detail7generic6detail18binary_search_lessEbEEEE10hipError_tPvRmT1_T2_T3_mmT4_T5_P12ihipStream_tbEUlRKsE_EESV_SZ_S10_mS11_S14_bEUlT_E_NS1_11comp_targetILNS1_3genE5ELNS1_11target_archE942ELNS1_3gpuE9ELNS1_3repE0EEENS1_30default_config_static_selectorELNS0_4arch9wavefront6targetE1EEEvSY_, .Lfunc_end413-_ZN7rocprim17ROCPRIM_400000_NS6detail17trampoline_kernelINS0_14default_configENS1_27lower_bound_config_selectorIslEEZNS1_14transform_implILb0ES3_S5_N6thrust23THRUST_200600_302600_NS6detail15normal_iteratorINS8_7pointerIsNS8_11hip_rocprim5par_tENS8_11use_defaultESE_EEEENSA_INSB_IlSD_SE_SE_EEEEZNS1_13binary_searchIS3_S5_NSA_INS8_10device_ptrIsEEEESG_SI_NS1_21lower_bound_search_opENS9_16wrapped_functionINS8_6system6detail7generic6detail18binary_search_lessEbEEEE10hipError_tPvRmT1_T2_T3_mmT4_T5_P12ihipStream_tbEUlRKsE_EESV_SZ_S10_mS11_S14_bEUlT_E_NS1_11comp_targetILNS1_3genE5ELNS1_11target_archE942ELNS1_3gpuE9ELNS1_3repE0EEENS1_30default_config_static_selectorELNS0_4arch9wavefront6targetE1EEEvSY_
                                        ; -- End function
	.set _ZN7rocprim17ROCPRIM_400000_NS6detail17trampoline_kernelINS0_14default_configENS1_27lower_bound_config_selectorIslEEZNS1_14transform_implILb0ES3_S5_N6thrust23THRUST_200600_302600_NS6detail15normal_iteratorINS8_7pointerIsNS8_11hip_rocprim5par_tENS8_11use_defaultESE_EEEENSA_INSB_IlSD_SE_SE_EEEEZNS1_13binary_searchIS3_S5_NSA_INS8_10device_ptrIsEEEESG_SI_NS1_21lower_bound_search_opENS9_16wrapped_functionINS8_6system6detail7generic6detail18binary_search_lessEbEEEE10hipError_tPvRmT1_T2_T3_mmT4_T5_P12ihipStream_tbEUlRKsE_EESV_SZ_S10_mS11_S14_bEUlT_E_NS1_11comp_targetILNS1_3genE5ELNS1_11target_archE942ELNS1_3gpuE9ELNS1_3repE0EEENS1_30default_config_static_selectorELNS0_4arch9wavefront6targetE1EEEvSY_.num_vgpr, 0
	.set _ZN7rocprim17ROCPRIM_400000_NS6detail17trampoline_kernelINS0_14default_configENS1_27lower_bound_config_selectorIslEEZNS1_14transform_implILb0ES3_S5_N6thrust23THRUST_200600_302600_NS6detail15normal_iteratorINS8_7pointerIsNS8_11hip_rocprim5par_tENS8_11use_defaultESE_EEEENSA_INSB_IlSD_SE_SE_EEEEZNS1_13binary_searchIS3_S5_NSA_INS8_10device_ptrIsEEEESG_SI_NS1_21lower_bound_search_opENS9_16wrapped_functionINS8_6system6detail7generic6detail18binary_search_lessEbEEEE10hipError_tPvRmT1_T2_T3_mmT4_T5_P12ihipStream_tbEUlRKsE_EESV_SZ_S10_mS11_S14_bEUlT_E_NS1_11comp_targetILNS1_3genE5ELNS1_11target_archE942ELNS1_3gpuE9ELNS1_3repE0EEENS1_30default_config_static_selectorELNS0_4arch9wavefront6targetE1EEEvSY_.num_agpr, 0
	.set _ZN7rocprim17ROCPRIM_400000_NS6detail17trampoline_kernelINS0_14default_configENS1_27lower_bound_config_selectorIslEEZNS1_14transform_implILb0ES3_S5_N6thrust23THRUST_200600_302600_NS6detail15normal_iteratorINS8_7pointerIsNS8_11hip_rocprim5par_tENS8_11use_defaultESE_EEEENSA_INSB_IlSD_SE_SE_EEEEZNS1_13binary_searchIS3_S5_NSA_INS8_10device_ptrIsEEEESG_SI_NS1_21lower_bound_search_opENS9_16wrapped_functionINS8_6system6detail7generic6detail18binary_search_lessEbEEEE10hipError_tPvRmT1_T2_T3_mmT4_T5_P12ihipStream_tbEUlRKsE_EESV_SZ_S10_mS11_S14_bEUlT_E_NS1_11comp_targetILNS1_3genE5ELNS1_11target_archE942ELNS1_3gpuE9ELNS1_3repE0EEENS1_30default_config_static_selectorELNS0_4arch9wavefront6targetE1EEEvSY_.numbered_sgpr, 0
	.set _ZN7rocprim17ROCPRIM_400000_NS6detail17trampoline_kernelINS0_14default_configENS1_27lower_bound_config_selectorIslEEZNS1_14transform_implILb0ES3_S5_N6thrust23THRUST_200600_302600_NS6detail15normal_iteratorINS8_7pointerIsNS8_11hip_rocprim5par_tENS8_11use_defaultESE_EEEENSA_INSB_IlSD_SE_SE_EEEEZNS1_13binary_searchIS3_S5_NSA_INS8_10device_ptrIsEEEESG_SI_NS1_21lower_bound_search_opENS9_16wrapped_functionINS8_6system6detail7generic6detail18binary_search_lessEbEEEE10hipError_tPvRmT1_T2_T3_mmT4_T5_P12ihipStream_tbEUlRKsE_EESV_SZ_S10_mS11_S14_bEUlT_E_NS1_11comp_targetILNS1_3genE5ELNS1_11target_archE942ELNS1_3gpuE9ELNS1_3repE0EEENS1_30default_config_static_selectorELNS0_4arch9wavefront6targetE1EEEvSY_.num_named_barrier, 0
	.set _ZN7rocprim17ROCPRIM_400000_NS6detail17trampoline_kernelINS0_14default_configENS1_27lower_bound_config_selectorIslEEZNS1_14transform_implILb0ES3_S5_N6thrust23THRUST_200600_302600_NS6detail15normal_iteratorINS8_7pointerIsNS8_11hip_rocprim5par_tENS8_11use_defaultESE_EEEENSA_INSB_IlSD_SE_SE_EEEEZNS1_13binary_searchIS3_S5_NSA_INS8_10device_ptrIsEEEESG_SI_NS1_21lower_bound_search_opENS9_16wrapped_functionINS8_6system6detail7generic6detail18binary_search_lessEbEEEE10hipError_tPvRmT1_T2_T3_mmT4_T5_P12ihipStream_tbEUlRKsE_EESV_SZ_S10_mS11_S14_bEUlT_E_NS1_11comp_targetILNS1_3genE5ELNS1_11target_archE942ELNS1_3gpuE9ELNS1_3repE0EEENS1_30default_config_static_selectorELNS0_4arch9wavefront6targetE1EEEvSY_.private_seg_size, 0
	.set _ZN7rocprim17ROCPRIM_400000_NS6detail17trampoline_kernelINS0_14default_configENS1_27lower_bound_config_selectorIslEEZNS1_14transform_implILb0ES3_S5_N6thrust23THRUST_200600_302600_NS6detail15normal_iteratorINS8_7pointerIsNS8_11hip_rocprim5par_tENS8_11use_defaultESE_EEEENSA_INSB_IlSD_SE_SE_EEEEZNS1_13binary_searchIS3_S5_NSA_INS8_10device_ptrIsEEEESG_SI_NS1_21lower_bound_search_opENS9_16wrapped_functionINS8_6system6detail7generic6detail18binary_search_lessEbEEEE10hipError_tPvRmT1_T2_T3_mmT4_T5_P12ihipStream_tbEUlRKsE_EESV_SZ_S10_mS11_S14_bEUlT_E_NS1_11comp_targetILNS1_3genE5ELNS1_11target_archE942ELNS1_3gpuE9ELNS1_3repE0EEENS1_30default_config_static_selectorELNS0_4arch9wavefront6targetE1EEEvSY_.uses_vcc, 0
	.set _ZN7rocprim17ROCPRIM_400000_NS6detail17trampoline_kernelINS0_14default_configENS1_27lower_bound_config_selectorIslEEZNS1_14transform_implILb0ES3_S5_N6thrust23THRUST_200600_302600_NS6detail15normal_iteratorINS8_7pointerIsNS8_11hip_rocprim5par_tENS8_11use_defaultESE_EEEENSA_INSB_IlSD_SE_SE_EEEEZNS1_13binary_searchIS3_S5_NSA_INS8_10device_ptrIsEEEESG_SI_NS1_21lower_bound_search_opENS9_16wrapped_functionINS8_6system6detail7generic6detail18binary_search_lessEbEEEE10hipError_tPvRmT1_T2_T3_mmT4_T5_P12ihipStream_tbEUlRKsE_EESV_SZ_S10_mS11_S14_bEUlT_E_NS1_11comp_targetILNS1_3genE5ELNS1_11target_archE942ELNS1_3gpuE9ELNS1_3repE0EEENS1_30default_config_static_selectorELNS0_4arch9wavefront6targetE1EEEvSY_.uses_flat_scratch, 0
	.set _ZN7rocprim17ROCPRIM_400000_NS6detail17trampoline_kernelINS0_14default_configENS1_27lower_bound_config_selectorIslEEZNS1_14transform_implILb0ES3_S5_N6thrust23THRUST_200600_302600_NS6detail15normal_iteratorINS8_7pointerIsNS8_11hip_rocprim5par_tENS8_11use_defaultESE_EEEENSA_INSB_IlSD_SE_SE_EEEEZNS1_13binary_searchIS3_S5_NSA_INS8_10device_ptrIsEEEESG_SI_NS1_21lower_bound_search_opENS9_16wrapped_functionINS8_6system6detail7generic6detail18binary_search_lessEbEEEE10hipError_tPvRmT1_T2_T3_mmT4_T5_P12ihipStream_tbEUlRKsE_EESV_SZ_S10_mS11_S14_bEUlT_E_NS1_11comp_targetILNS1_3genE5ELNS1_11target_archE942ELNS1_3gpuE9ELNS1_3repE0EEENS1_30default_config_static_selectorELNS0_4arch9wavefront6targetE1EEEvSY_.has_dyn_sized_stack, 0
	.set _ZN7rocprim17ROCPRIM_400000_NS6detail17trampoline_kernelINS0_14default_configENS1_27lower_bound_config_selectorIslEEZNS1_14transform_implILb0ES3_S5_N6thrust23THRUST_200600_302600_NS6detail15normal_iteratorINS8_7pointerIsNS8_11hip_rocprim5par_tENS8_11use_defaultESE_EEEENSA_INSB_IlSD_SE_SE_EEEEZNS1_13binary_searchIS3_S5_NSA_INS8_10device_ptrIsEEEESG_SI_NS1_21lower_bound_search_opENS9_16wrapped_functionINS8_6system6detail7generic6detail18binary_search_lessEbEEEE10hipError_tPvRmT1_T2_T3_mmT4_T5_P12ihipStream_tbEUlRKsE_EESV_SZ_S10_mS11_S14_bEUlT_E_NS1_11comp_targetILNS1_3genE5ELNS1_11target_archE942ELNS1_3gpuE9ELNS1_3repE0EEENS1_30default_config_static_selectorELNS0_4arch9wavefront6targetE1EEEvSY_.has_recursion, 0
	.set _ZN7rocprim17ROCPRIM_400000_NS6detail17trampoline_kernelINS0_14default_configENS1_27lower_bound_config_selectorIslEEZNS1_14transform_implILb0ES3_S5_N6thrust23THRUST_200600_302600_NS6detail15normal_iteratorINS8_7pointerIsNS8_11hip_rocprim5par_tENS8_11use_defaultESE_EEEENSA_INSB_IlSD_SE_SE_EEEEZNS1_13binary_searchIS3_S5_NSA_INS8_10device_ptrIsEEEESG_SI_NS1_21lower_bound_search_opENS9_16wrapped_functionINS8_6system6detail7generic6detail18binary_search_lessEbEEEE10hipError_tPvRmT1_T2_T3_mmT4_T5_P12ihipStream_tbEUlRKsE_EESV_SZ_S10_mS11_S14_bEUlT_E_NS1_11comp_targetILNS1_3genE5ELNS1_11target_archE942ELNS1_3gpuE9ELNS1_3repE0EEENS1_30default_config_static_selectorELNS0_4arch9wavefront6targetE1EEEvSY_.has_indirect_call, 0
	.section	.AMDGPU.csdata,"",@progbits
; Kernel info:
; codeLenInByte = 0
; TotalNumSgprs: 4
; NumVgprs: 0
; ScratchSize: 0
; MemoryBound: 0
; FloatMode: 240
; IeeeMode: 1
; LDSByteSize: 0 bytes/workgroup (compile time only)
; SGPRBlocks: 0
; VGPRBlocks: 0
; NumSGPRsForWavesPerEU: 4
; NumVGPRsForWavesPerEU: 1
; Occupancy: 10
; WaveLimiterHint : 0
; COMPUTE_PGM_RSRC2:SCRATCH_EN: 0
; COMPUTE_PGM_RSRC2:USER_SGPR: 6
; COMPUTE_PGM_RSRC2:TRAP_HANDLER: 0
; COMPUTE_PGM_RSRC2:TGID_X_EN: 1
; COMPUTE_PGM_RSRC2:TGID_Y_EN: 0
; COMPUTE_PGM_RSRC2:TGID_Z_EN: 0
; COMPUTE_PGM_RSRC2:TIDIG_COMP_CNT: 0
	.section	.text._ZN7rocprim17ROCPRIM_400000_NS6detail17trampoline_kernelINS0_14default_configENS1_27lower_bound_config_selectorIslEEZNS1_14transform_implILb0ES3_S5_N6thrust23THRUST_200600_302600_NS6detail15normal_iteratorINS8_7pointerIsNS8_11hip_rocprim5par_tENS8_11use_defaultESE_EEEENSA_INSB_IlSD_SE_SE_EEEEZNS1_13binary_searchIS3_S5_NSA_INS8_10device_ptrIsEEEESG_SI_NS1_21lower_bound_search_opENS9_16wrapped_functionINS8_6system6detail7generic6detail18binary_search_lessEbEEEE10hipError_tPvRmT1_T2_T3_mmT4_T5_P12ihipStream_tbEUlRKsE_EESV_SZ_S10_mS11_S14_bEUlT_E_NS1_11comp_targetILNS1_3genE4ELNS1_11target_archE910ELNS1_3gpuE8ELNS1_3repE0EEENS1_30default_config_static_selectorELNS0_4arch9wavefront6targetE1EEEvSY_,"axG",@progbits,_ZN7rocprim17ROCPRIM_400000_NS6detail17trampoline_kernelINS0_14default_configENS1_27lower_bound_config_selectorIslEEZNS1_14transform_implILb0ES3_S5_N6thrust23THRUST_200600_302600_NS6detail15normal_iteratorINS8_7pointerIsNS8_11hip_rocprim5par_tENS8_11use_defaultESE_EEEENSA_INSB_IlSD_SE_SE_EEEEZNS1_13binary_searchIS3_S5_NSA_INS8_10device_ptrIsEEEESG_SI_NS1_21lower_bound_search_opENS9_16wrapped_functionINS8_6system6detail7generic6detail18binary_search_lessEbEEEE10hipError_tPvRmT1_T2_T3_mmT4_T5_P12ihipStream_tbEUlRKsE_EESV_SZ_S10_mS11_S14_bEUlT_E_NS1_11comp_targetILNS1_3genE4ELNS1_11target_archE910ELNS1_3gpuE8ELNS1_3repE0EEENS1_30default_config_static_selectorELNS0_4arch9wavefront6targetE1EEEvSY_,comdat
	.protected	_ZN7rocprim17ROCPRIM_400000_NS6detail17trampoline_kernelINS0_14default_configENS1_27lower_bound_config_selectorIslEEZNS1_14transform_implILb0ES3_S5_N6thrust23THRUST_200600_302600_NS6detail15normal_iteratorINS8_7pointerIsNS8_11hip_rocprim5par_tENS8_11use_defaultESE_EEEENSA_INSB_IlSD_SE_SE_EEEEZNS1_13binary_searchIS3_S5_NSA_INS8_10device_ptrIsEEEESG_SI_NS1_21lower_bound_search_opENS9_16wrapped_functionINS8_6system6detail7generic6detail18binary_search_lessEbEEEE10hipError_tPvRmT1_T2_T3_mmT4_T5_P12ihipStream_tbEUlRKsE_EESV_SZ_S10_mS11_S14_bEUlT_E_NS1_11comp_targetILNS1_3genE4ELNS1_11target_archE910ELNS1_3gpuE8ELNS1_3repE0EEENS1_30default_config_static_selectorELNS0_4arch9wavefront6targetE1EEEvSY_ ; -- Begin function _ZN7rocprim17ROCPRIM_400000_NS6detail17trampoline_kernelINS0_14default_configENS1_27lower_bound_config_selectorIslEEZNS1_14transform_implILb0ES3_S5_N6thrust23THRUST_200600_302600_NS6detail15normal_iteratorINS8_7pointerIsNS8_11hip_rocprim5par_tENS8_11use_defaultESE_EEEENSA_INSB_IlSD_SE_SE_EEEEZNS1_13binary_searchIS3_S5_NSA_INS8_10device_ptrIsEEEESG_SI_NS1_21lower_bound_search_opENS9_16wrapped_functionINS8_6system6detail7generic6detail18binary_search_lessEbEEEE10hipError_tPvRmT1_T2_T3_mmT4_T5_P12ihipStream_tbEUlRKsE_EESV_SZ_S10_mS11_S14_bEUlT_E_NS1_11comp_targetILNS1_3genE4ELNS1_11target_archE910ELNS1_3gpuE8ELNS1_3repE0EEENS1_30default_config_static_selectorELNS0_4arch9wavefront6targetE1EEEvSY_
	.globl	_ZN7rocprim17ROCPRIM_400000_NS6detail17trampoline_kernelINS0_14default_configENS1_27lower_bound_config_selectorIslEEZNS1_14transform_implILb0ES3_S5_N6thrust23THRUST_200600_302600_NS6detail15normal_iteratorINS8_7pointerIsNS8_11hip_rocprim5par_tENS8_11use_defaultESE_EEEENSA_INSB_IlSD_SE_SE_EEEEZNS1_13binary_searchIS3_S5_NSA_INS8_10device_ptrIsEEEESG_SI_NS1_21lower_bound_search_opENS9_16wrapped_functionINS8_6system6detail7generic6detail18binary_search_lessEbEEEE10hipError_tPvRmT1_T2_T3_mmT4_T5_P12ihipStream_tbEUlRKsE_EESV_SZ_S10_mS11_S14_bEUlT_E_NS1_11comp_targetILNS1_3genE4ELNS1_11target_archE910ELNS1_3gpuE8ELNS1_3repE0EEENS1_30default_config_static_selectorELNS0_4arch9wavefront6targetE1EEEvSY_
	.p2align	8
	.type	_ZN7rocprim17ROCPRIM_400000_NS6detail17trampoline_kernelINS0_14default_configENS1_27lower_bound_config_selectorIslEEZNS1_14transform_implILb0ES3_S5_N6thrust23THRUST_200600_302600_NS6detail15normal_iteratorINS8_7pointerIsNS8_11hip_rocprim5par_tENS8_11use_defaultESE_EEEENSA_INSB_IlSD_SE_SE_EEEEZNS1_13binary_searchIS3_S5_NSA_INS8_10device_ptrIsEEEESG_SI_NS1_21lower_bound_search_opENS9_16wrapped_functionINS8_6system6detail7generic6detail18binary_search_lessEbEEEE10hipError_tPvRmT1_T2_T3_mmT4_T5_P12ihipStream_tbEUlRKsE_EESV_SZ_S10_mS11_S14_bEUlT_E_NS1_11comp_targetILNS1_3genE4ELNS1_11target_archE910ELNS1_3gpuE8ELNS1_3repE0EEENS1_30default_config_static_selectorELNS0_4arch9wavefront6targetE1EEEvSY_,@function
_ZN7rocprim17ROCPRIM_400000_NS6detail17trampoline_kernelINS0_14default_configENS1_27lower_bound_config_selectorIslEEZNS1_14transform_implILb0ES3_S5_N6thrust23THRUST_200600_302600_NS6detail15normal_iteratorINS8_7pointerIsNS8_11hip_rocprim5par_tENS8_11use_defaultESE_EEEENSA_INSB_IlSD_SE_SE_EEEEZNS1_13binary_searchIS3_S5_NSA_INS8_10device_ptrIsEEEESG_SI_NS1_21lower_bound_search_opENS9_16wrapped_functionINS8_6system6detail7generic6detail18binary_search_lessEbEEEE10hipError_tPvRmT1_T2_T3_mmT4_T5_P12ihipStream_tbEUlRKsE_EESV_SZ_S10_mS11_S14_bEUlT_E_NS1_11comp_targetILNS1_3genE4ELNS1_11target_archE910ELNS1_3gpuE8ELNS1_3repE0EEENS1_30default_config_static_selectorELNS0_4arch9wavefront6targetE1EEEvSY_: ; @_ZN7rocprim17ROCPRIM_400000_NS6detail17trampoline_kernelINS0_14default_configENS1_27lower_bound_config_selectorIslEEZNS1_14transform_implILb0ES3_S5_N6thrust23THRUST_200600_302600_NS6detail15normal_iteratorINS8_7pointerIsNS8_11hip_rocprim5par_tENS8_11use_defaultESE_EEEENSA_INSB_IlSD_SE_SE_EEEEZNS1_13binary_searchIS3_S5_NSA_INS8_10device_ptrIsEEEESG_SI_NS1_21lower_bound_search_opENS9_16wrapped_functionINS8_6system6detail7generic6detail18binary_search_lessEbEEEE10hipError_tPvRmT1_T2_T3_mmT4_T5_P12ihipStream_tbEUlRKsE_EESV_SZ_S10_mS11_S14_bEUlT_E_NS1_11comp_targetILNS1_3genE4ELNS1_11target_archE910ELNS1_3gpuE8ELNS1_3repE0EEENS1_30default_config_static_selectorELNS0_4arch9wavefront6targetE1EEEvSY_
; %bb.0:
	.section	.rodata,"a",@progbits
	.p2align	6, 0x0
	.amdhsa_kernel _ZN7rocprim17ROCPRIM_400000_NS6detail17trampoline_kernelINS0_14default_configENS1_27lower_bound_config_selectorIslEEZNS1_14transform_implILb0ES3_S5_N6thrust23THRUST_200600_302600_NS6detail15normal_iteratorINS8_7pointerIsNS8_11hip_rocprim5par_tENS8_11use_defaultESE_EEEENSA_INSB_IlSD_SE_SE_EEEEZNS1_13binary_searchIS3_S5_NSA_INS8_10device_ptrIsEEEESG_SI_NS1_21lower_bound_search_opENS9_16wrapped_functionINS8_6system6detail7generic6detail18binary_search_lessEbEEEE10hipError_tPvRmT1_T2_T3_mmT4_T5_P12ihipStream_tbEUlRKsE_EESV_SZ_S10_mS11_S14_bEUlT_E_NS1_11comp_targetILNS1_3genE4ELNS1_11target_archE910ELNS1_3gpuE8ELNS1_3repE0EEENS1_30default_config_static_selectorELNS0_4arch9wavefront6targetE1EEEvSY_
		.amdhsa_group_segment_fixed_size 0
		.amdhsa_private_segment_fixed_size 0
		.amdhsa_kernarg_size 56
		.amdhsa_user_sgpr_count 6
		.amdhsa_user_sgpr_private_segment_buffer 1
		.amdhsa_user_sgpr_dispatch_ptr 0
		.amdhsa_user_sgpr_queue_ptr 0
		.amdhsa_user_sgpr_kernarg_segment_ptr 1
		.amdhsa_user_sgpr_dispatch_id 0
		.amdhsa_user_sgpr_flat_scratch_init 0
		.amdhsa_user_sgpr_private_segment_size 0
		.amdhsa_uses_dynamic_stack 0
		.amdhsa_system_sgpr_private_segment_wavefront_offset 0
		.amdhsa_system_sgpr_workgroup_id_x 1
		.amdhsa_system_sgpr_workgroup_id_y 0
		.amdhsa_system_sgpr_workgroup_id_z 0
		.amdhsa_system_sgpr_workgroup_info 0
		.amdhsa_system_vgpr_workitem_id 0
		.amdhsa_next_free_vgpr 1
		.amdhsa_next_free_sgpr 0
		.amdhsa_reserve_vcc 0
		.amdhsa_reserve_flat_scratch 0
		.amdhsa_float_round_mode_32 0
		.amdhsa_float_round_mode_16_64 0
		.amdhsa_float_denorm_mode_32 3
		.amdhsa_float_denorm_mode_16_64 3
		.amdhsa_dx10_clamp 1
		.amdhsa_ieee_mode 1
		.amdhsa_fp16_overflow 0
		.amdhsa_exception_fp_ieee_invalid_op 0
		.amdhsa_exception_fp_denorm_src 0
		.amdhsa_exception_fp_ieee_div_zero 0
		.amdhsa_exception_fp_ieee_overflow 0
		.amdhsa_exception_fp_ieee_underflow 0
		.amdhsa_exception_fp_ieee_inexact 0
		.amdhsa_exception_int_div_zero 0
	.end_amdhsa_kernel
	.section	.text._ZN7rocprim17ROCPRIM_400000_NS6detail17trampoline_kernelINS0_14default_configENS1_27lower_bound_config_selectorIslEEZNS1_14transform_implILb0ES3_S5_N6thrust23THRUST_200600_302600_NS6detail15normal_iteratorINS8_7pointerIsNS8_11hip_rocprim5par_tENS8_11use_defaultESE_EEEENSA_INSB_IlSD_SE_SE_EEEEZNS1_13binary_searchIS3_S5_NSA_INS8_10device_ptrIsEEEESG_SI_NS1_21lower_bound_search_opENS9_16wrapped_functionINS8_6system6detail7generic6detail18binary_search_lessEbEEEE10hipError_tPvRmT1_T2_T3_mmT4_T5_P12ihipStream_tbEUlRKsE_EESV_SZ_S10_mS11_S14_bEUlT_E_NS1_11comp_targetILNS1_3genE4ELNS1_11target_archE910ELNS1_3gpuE8ELNS1_3repE0EEENS1_30default_config_static_selectorELNS0_4arch9wavefront6targetE1EEEvSY_,"axG",@progbits,_ZN7rocprim17ROCPRIM_400000_NS6detail17trampoline_kernelINS0_14default_configENS1_27lower_bound_config_selectorIslEEZNS1_14transform_implILb0ES3_S5_N6thrust23THRUST_200600_302600_NS6detail15normal_iteratorINS8_7pointerIsNS8_11hip_rocprim5par_tENS8_11use_defaultESE_EEEENSA_INSB_IlSD_SE_SE_EEEEZNS1_13binary_searchIS3_S5_NSA_INS8_10device_ptrIsEEEESG_SI_NS1_21lower_bound_search_opENS9_16wrapped_functionINS8_6system6detail7generic6detail18binary_search_lessEbEEEE10hipError_tPvRmT1_T2_T3_mmT4_T5_P12ihipStream_tbEUlRKsE_EESV_SZ_S10_mS11_S14_bEUlT_E_NS1_11comp_targetILNS1_3genE4ELNS1_11target_archE910ELNS1_3gpuE8ELNS1_3repE0EEENS1_30default_config_static_selectorELNS0_4arch9wavefront6targetE1EEEvSY_,comdat
.Lfunc_end414:
	.size	_ZN7rocprim17ROCPRIM_400000_NS6detail17trampoline_kernelINS0_14default_configENS1_27lower_bound_config_selectorIslEEZNS1_14transform_implILb0ES3_S5_N6thrust23THRUST_200600_302600_NS6detail15normal_iteratorINS8_7pointerIsNS8_11hip_rocprim5par_tENS8_11use_defaultESE_EEEENSA_INSB_IlSD_SE_SE_EEEEZNS1_13binary_searchIS3_S5_NSA_INS8_10device_ptrIsEEEESG_SI_NS1_21lower_bound_search_opENS9_16wrapped_functionINS8_6system6detail7generic6detail18binary_search_lessEbEEEE10hipError_tPvRmT1_T2_T3_mmT4_T5_P12ihipStream_tbEUlRKsE_EESV_SZ_S10_mS11_S14_bEUlT_E_NS1_11comp_targetILNS1_3genE4ELNS1_11target_archE910ELNS1_3gpuE8ELNS1_3repE0EEENS1_30default_config_static_selectorELNS0_4arch9wavefront6targetE1EEEvSY_, .Lfunc_end414-_ZN7rocprim17ROCPRIM_400000_NS6detail17trampoline_kernelINS0_14default_configENS1_27lower_bound_config_selectorIslEEZNS1_14transform_implILb0ES3_S5_N6thrust23THRUST_200600_302600_NS6detail15normal_iteratorINS8_7pointerIsNS8_11hip_rocprim5par_tENS8_11use_defaultESE_EEEENSA_INSB_IlSD_SE_SE_EEEEZNS1_13binary_searchIS3_S5_NSA_INS8_10device_ptrIsEEEESG_SI_NS1_21lower_bound_search_opENS9_16wrapped_functionINS8_6system6detail7generic6detail18binary_search_lessEbEEEE10hipError_tPvRmT1_T2_T3_mmT4_T5_P12ihipStream_tbEUlRKsE_EESV_SZ_S10_mS11_S14_bEUlT_E_NS1_11comp_targetILNS1_3genE4ELNS1_11target_archE910ELNS1_3gpuE8ELNS1_3repE0EEENS1_30default_config_static_selectorELNS0_4arch9wavefront6targetE1EEEvSY_
                                        ; -- End function
	.set _ZN7rocprim17ROCPRIM_400000_NS6detail17trampoline_kernelINS0_14default_configENS1_27lower_bound_config_selectorIslEEZNS1_14transform_implILb0ES3_S5_N6thrust23THRUST_200600_302600_NS6detail15normal_iteratorINS8_7pointerIsNS8_11hip_rocprim5par_tENS8_11use_defaultESE_EEEENSA_INSB_IlSD_SE_SE_EEEEZNS1_13binary_searchIS3_S5_NSA_INS8_10device_ptrIsEEEESG_SI_NS1_21lower_bound_search_opENS9_16wrapped_functionINS8_6system6detail7generic6detail18binary_search_lessEbEEEE10hipError_tPvRmT1_T2_T3_mmT4_T5_P12ihipStream_tbEUlRKsE_EESV_SZ_S10_mS11_S14_bEUlT_E_NS1_11comp_targetILNS1_3genE4ELNS1_11target_archE910ELNS1_3gpuE8ELNS1_3repE0EEENS1_30default_config_static_selectorELNS0_4arch9wavefront6targetE1EEEvSY_.num_vgpr, 0
	.set _ZN7rocprim17ROCPRIM_400000_NS6detail17trampoline_kernelINS0_14default_configENS1_27lower_bound_config_selectorIslEEZNS1_14transform_implILb0ES3_S5_N6thrust23THRUST_200600_302600_NS6detail15normal_iteratorINS8_7pointerIsNS8_11hip_rocprim5par_tENS8_11use_defaultESE_EEEENSA_INSB_IlSD_SE_SE_EEEEZNS1_13binary_searchIS3_S5_NSA_INS8_10device_ptrIsEEEESG_SI_NS1_21lower_bound_search_opENS9_16wrapped_functionINS8_6system6detail7generic6detail18binary_search_lessEbEEEE10hipError_tPvRmT1_T2_T3_mmT4_T5_P12ihipStream_tbEUlRKsE_EESV_SZ_S10_mS11_S14_bEUlT_E_NS1_11comp_targetILNS1_3genE4ELNS1_11target_archE910ELNS1_3gpuE8ELNS1_3repE0EEENS1_30default_config_static_selectorELNS0_4arch9wavefront6targetE1EEEvSY_.num_agpr, 0
	.set _ZN7rocprim17ROCPRIM_400000_NS6detail17trampoline_kernelINS0_14default_configENS1_27lower_bound_config_selectorIslEEZNS1_14transform_implILb0ES3_S5_N6thrust23THRUST_200600_302600_NS6detail15normal_iteratorINS8_7pointerIsNS8_11hip_rocprim5par_tENS8_11use_defaultESE_EEEENSA_INSB_IlSD_SE_SE_EEEEZNS1_13binary_searchIS3_S5_NSA_INS8_10device_ptrIsEEEESG_SI_NS1_21lower_bound_search_opENS9_16wrapped_functionINS8_6system6detail7generic6detail18binary_search_lessEbEEEE10hipError_tPvRmT1_T2_T3_mmT4_T5_P12ihipStream_tbEUlRKsE_EESV_SZ_S10_mS11_S14_bEUlT_E_NS1_11comp_targetILNS1_3genE4ELNS1_11target_archE910ELNS1_3gpuE8ELNS1_3repE0EEENS1_30default_config_static_selectorELNS0_4arch9wavefront6targetE1EEEvSY_.numbered_sgpr, 0
	.set _ZN7rocprim17ROCPRIM_400000_NS6detail17trampoline_kernelINS0_14default_configENS1_27lower_bound_config_selectorIslEEZNS1_14transform_implILb0ES3_S5_N6thrust23THRUST_200600_302600_NS6detail15normal_iteratorINS8_7pointerIsNS8_11hip_rocprim5par_tENS8_11use_defaultESE_EEEENSA_INSB_IlSD_SE_SE_EEEEZNS1_13binary_searchIS3_S5_NSA_INS8_10device_ptrIsEEEESG_SI_NS1_21lower_bound_search_opENS9_16wrapped_functionINS8_6system6detail7generic6detail18binary_search_lessEbEEEE10hipError_tPvRmT1_T2_T3_mmT4_T5_P12ihipStream_tbEUlRKsE_EESV_SZ_S10_mS11_S14_bEUlT_E_NS1_11comp_targetILNS1_3genE4ELNS1_11target_archE910ELNS1_3gpuE8ELNS1_3repE0EEENS1_30default_config_static_selectorELNS0_4arch9wavefront6targetE1EEEvSY_.num_named_barrier, 0
	.set _ZN7rocprim17ROCPRIM_400000_NS6detail17trampoline_kernelINS0_14default_configENS1_27lower_bound_config_selectorIslEEZNS1_14transform_implILb0ES3_S5_N6thrust23THRUST_200600_302600_NS6detail15normal_iteratorINS8_7pointerIsNS8_11hip_rocprim5par_tENS8_11use_defaultESE_EEEENSA_INSB_IlSD_SE_SE_EEEEZNS1_13binary_searchIS3_S5_NSA_INS8_10device_ptrIsEEEESG_SI_NS1_21lower_bound_search_opENS9_16wrapped_functionINS8_6system6detail7generic6detail18binary_search_lessEbEEEE10hipError_tPvRmT1_T2_T3_mmT4_T5_P12ihipStream_tbEUlRKsE_EESV_SZ_S10_mS11_S14_bEUlT_E_NS1_11comp_targetILNS1_3genE4ELNS1_11target_archE910ELNS1_3gpuE8ELNS1_3repE0EEENS1_30default_config_static_selectorELNS0_4arch9wavefront6targetE1EEEvSY_.private_seg_size, 0
	.set _ZN7rocprim17ROCPRIM_400000_NS6detail17trampoline_kernelINS0_14default_configENS1_27lower_bound_config_selectorIslEEZNS1_14transform_implILb0ES3_S5_N6thrust23THRUST_200600_302600_NS6detail15normal_iteratorINS8_7pointerIsNS8_11hip_rocprim5par_tENS8_11use_defaultESE_EEEENSA_INSB_IlSD_SE_SE_EEEEZNS1_13binary_searchIS3_S5_NSA_INS8_10device_ptrIsEEEESG_SI_NS1_21lower_bound_search_opENS9_16wrapped_functionINS8_6system6detail7generic6detail18binary_search_lessEbEEEE10hipError_tPvRmT1_T2_T3_mmT4_T5_P12ihipStream_tbEUlRKsE_EESV_SZ_S10_mS11_S14_bEUlT_E_NS1_11comp_targetILNS1_3genE4ELNS1_11target_archE910ELNS1_3gpuE8ELNS1_3repE0EEENS1_30default_config_static_selectorELNS0_4arch9wavefront6targetE1EEEvSY_.uses_vcc, 0
	.set _ZN7rocprim17ROCPRIM_400000_NS6detail17trampoline_kernelINS0_14default_configENS1_27lower_bound_config_selectorIslEEZNS1_14transform_implILb0ES3_S5_N6thrust23THRUST_200600_302600_NS6detail15normal_iteratorINS8_7pointerIsNS8_11hip_rocprim5par_tENS8_11use_defaultESE_EEEENSA_INSB_IlSD_SE_SE_EEEEZNS1_13binary_searchIS3_S5_NSA_INS8_10device_ptrIsEEEESG_SI_NS1_21lower_bound_search_opENS9_16wrapped_functionINS8_6system6detail7generic6detail18binary_search_lessEbEEEE10hipError_tPvRmT1_T2_T3_mmT4_T5_P12ihipStream_tbEUlRKsE_EESV_SZ_S10_mS11_S14_bEUlT_E_NS1_11comp_targetILNS1_3genE4ELNS1_11target_archE910ELNS1_3gpuE8ELNS1_3repE0EEENS1_30default_config_static_selectorELNS0_4arch9wavefront6targetE1EEEvSY_.uses_flat_scratch, 0
	.set _ZN7rocprim17ROCPRIM_400000_NS6detail17trampoline_kernelINS0_14default_configENS1_27lower_bound_config_selectorIslEEZNS1_14transform_implILb0ES3_S5_N6thrust23THRUST_200600_302600_NS6detail15normal_iteratorINS8_7pointerIsNS8_11hip_rocprim5par_tENS8_11use_defaultESE_EEEENSA_INSB_IlSD_SE_SE_EEEEZNS1_13binary_searchIS3_S5_NSA_INS8_10device_ptrIsEEEESG_SI_NS1_21lower_bound_search_opENS9_16wrapped_functionINS8_6system6detail7generic6detail18binary_search_lessEbEEEE10hipError_tPvRmT1_T2_T3_mmT4_T5_P12ihipStream_tbEUlRKsE_EESV_SZ_S10_mS11_S14_bEUlT_E_NS1_11comp_targetILNS1_3genE4ELNS1_11target_archE910ELNS1_3gpuE8ELNS1_3repE0EEENS1_30default_config_static_selectorELNS0_4arch9wavefront6targetE1EEEvSY_.has_dyn_sized_stack, 0
	.set _ZN7rocprim17ROCPRIM_400000_NS6detail17trampoline_kernelINS0_14default_configENS1_27lower_bound_config_selectorIslEEZNS1_14transform_implILb0ES3_S5_N6thrust23THRUST_200600_302600_NS6detail15normal_iteratorINS8_7pointerIsNS8_11hip_rocprim5par_tENS8_11use_defaultESE_EEEENSA_INSB_IlSD_SE_SE_EEEEZNS1_13binary_searchIS3_S5_NSA_INS8_10device_ptrIsEEEESG_SI_NS1_21lower_bound_search_opENS9_16wrapped_functionINS8_6system6detail7generic6detail18binary_search_lessEbEEEE10hipError_tPvRmT1_T2_T3_mmT4_T5_P12ihipStream_tbEUlRKsE_EESV_SZ_S10_mS11_S14_bEUlT_E_NS1_11comp_targetILNS1_3genE4ELNS1_11target_archE910ELNS1_3gpuE8ELNS1_3repE0EEENS1_30default_config_static_selectorELNS0_4arch9wavefront6targetE1EEEvSY_.has_recursion, 0
	.set _ZN7rocprim17ROCPRIM_400000_NS6detail17trampoline_kernelINS0_14default_configENS1_27lower_bound_config_selectorIslEEZNS1_14transform_implILb0ES3_S5_N6thrust23THRUST_200600_302600_NS6detail15normal_iteratorINS8_7pointerIsNS8_11hip_rocprim5par_tENS8_11use_defaultESE_EEEENSA_INSB_IlSD_SE_SE_EEEEZNS1_13binary_searchIS3_S5_NSA_INS8_10device_ptrIsEEEESG_SI_NS1_21lower_bound_search_opENS9_16wrapped_functionINS8_6system6detail7generic6detail18binary_search_lessEbEEEE10hipError_tPvRmT1_T2_T3_mmT4_T5_P12ihipStream_tbEUlRKsE_EESV_SZ_S10_mS11_S14_bEUlT_E_NS1_11comp_targetILNS1_3genE4ELNS1_11target_archE910ELNS1_3gpuE8ELNS1_3repE0EEENS1_30default_config_static_selectorELNS0_4arch9wavefront6targetE1EEEvSY_.has_indirect_call, 0
	.section	.AMDGPU.csdata,"",@progbits
; Kernel info:
; codeLenInByte = 0
; TotalNumSgprs: 4
; NumVgprs: 0
; ScratchSize: 0
; MemoryBound: 0
; FloatMode: 240
; IeeeMode: 1
; LDSByteSize: 0 bytes/workgroup (compile time only)
; SGPRBlocks: 0
; VGPRBlocks: 0
; NumSGPRsForWavesPerEU: 4
; NumVGPRsForWavesPerEU: 1
; Occupancy: 10
; WaveLimiterHint : 0
; COMPUTE_PGM_RSRC2:SCRATCH_EN: 0
; COMPUTE_PGM_RSRC2:USER_SGPR: 6
; COMPUTE_PGM_RSRC2:TRAP_HANDLER: 0
; COMPUTE_PGM_RSRC2:TGID_X_EN: 1
; COMPUTE_PGM_RSRC2:TGID_Y_EN: 0
; COMPUTE_PGM_RSRC2:TGID_Z_EN: 0
; COMPUTE_PGM_RSRC2:TIDIG_COMP_CNT: 0
	.section	.text._ZN7rocprim17ROCPRIM_400000_NS6detail17trampoline_kernelINS0_14default_configENS1_27lower_bound_config_selectorIslEEZNS1_14transform_implILb0ES3_S5_N6thrust23THRUST_200600_302600_NS6detail15normal_iteratorINS8_7pointerIsNS8_11hip_rocprim5par_tENS8_11use_defaultESE_EEEENSA_INSB_IlSD_SE_SE_EEEEZNS1_13binary_searchIS3_S5_NSA_INS8_10device_ptrIsEEEESG_SI_NS1_21lower_bound_search_opENS9_16wrapped_functionINS8_6system6detail7generic6detail18binary_search_lessEbEEEE10hipError_tPvRmT1_T2_T3_mmT4_T5_P12ihipStream_tbEUlRKsE_EESV_SZ_S10_mS11_S14_bEUlT_E_NS1_11comp_targetILNS1_3genE3ELNS1_11target_archE908ELNS1_3gpuE7ELNS1_3repE0EEENS1_30default_config_static_selectorELNS0_4arch9wavefront6targetE1EEEvSY_,"axG",@progbits,_ZN7rocprim17ROCPRIM_400000_NS6detail17trampoline_kernelINS0_14default_configENS1_27lower_bound_config_selectorIslEEZNS1_14transform_implILb0ES3_S5_N6thrust23THRUST_200600_302600_NS6detail15normal_iteratorINS8_7pointerIsNS8_11hip_rocprim5par_tENS8_11use_defaultESE_EEEENSA_INSB_IlSD_SE_SE_EEEEZNS1_13binary_searchIS3_S5_NSA_INS8_10device_ptrIsEEEESG_SI_NS1_21lower_bound_search_opENS9_16wrapped_functionINS8_6system6detail7generic6detail18binary_search_lessEbEEEE10hipError_tPvRmT1_T2_T3_mmT4_T5_P12ihipStream_tbEUlRKsE_EESV_SZ_S10_mS11_S14_bEUlT_E_NS1_11comp_targetILNS1_3genE3ELNS1_11target_archE908ELNS1_3gpuE7ELNS1_3repE0EEENS1_30default_config_static_selectorELNS0_4arch9wavefront6targetE1EEEvSY_,comdat
	.protected	_ZN7rocprim17ROCPRIM_400000_NS6detail17trampoline_kernelINS0_14default_configENS1_27lower_bound_config_selectorIslEEZNS1_14transform_implILb0ES3_S5_N6thrust23THRUST_200600_302600_NS6detail15normal_iteratorINS8_7pointerIsNS8_11hip_rocprim5par_tENS8_11use_defaultESE_EEEENSA_INSB_IlSD_SE_SE_EEEEZNS1_13binary_searchIS3_S5_NSA_INS8_10device_ptrIsEEEESG_SI_NS1_21lower_bound_search_opENS9_16wrapped_functionINS8_6system6detail7generic6detail18binary_search_lessEbEEEE10hipError_tPvRmT1_T2_T3_mmT4_T5_P12ihipStream_tbEUlRKsE_EESV_SZ_S10_mS11_S14_bEUlT_E_NS1_11comp_targetILNS1_3genE3ELNS1_11target_archE908ELNS1_3gpuE7ELNS1_3repE0EEENS1_30default_config_static_selectorELNS0_4arch9wavefront6targetE1EEEvSY_ ; -- Begin function _ZN7rocprim17ROCPRIM_400000_NS6detail17trampoline_kernelINS0_14default_configENS1_27lower_bound_config_selectorIslEEZNS1_14transform_implILb0ES3_S5_N6thrust23THRUST_200600_302600_NS6detail15normal_iteratorINS8_7pointerIsNS8_11hip_rocprim5par_tENS8_11use_defaultESE_EEEENSA_INSB_IlSD_SE_SE_EEEEZNS1_13binary_searchIS3_S5_NSA_INS8_10device_ptrIsEEEESG_SI_NS1_21lower_bound_search_opENS9_16wrapped_functionINS8_6system6detail7generic6detail18binary_search_lessEbEEEE10hipError_tPvRmT1_T2_T3_mmT4_T5_P12ihipStream_tbEUlRKsE_EESV_SZ_S10_mS11_S14_bEUlT_E_NS1_11comp_targetILNS1_3genE3ELNS1_11target_archE908ELNS1_3gpuE7ELNS1_3repE0EEENS1_30default_config_static_selectorELNS0_4arch9wavefront6targetE1EEEvSY_
	.globl	_ZN7rocprim17ROCPRIM_400000_NS6detail17trampoline_kernelINS0_14default_configENS1_27lower_bound_config_selectorIslEEZNS1_14transform_implILb0ES3_S5_N6thrust23THRUST_200600_302600_NS6detail15normal_iteratorINS8_7pointerIsNS8_11hip_rocprim5par_tENS8_11use_defaultESE_EEEENSA_INSB_IlSD_SE_SE_EEEEZNS1_13binary_searchIS3_S5_NSA_INS8_10device_ptrIsEEEESG_SI_NS1_21lower_bound_search_opENS9_16wrapped_functionINS8_6system6detail7generic6detail18binary_search_lessEbEEEE10hipError_tPvRmT1_T2_T3_mmT4_T5_P12ihipStream_tbEUlRKsE_EESV_SZ_S10_mS11_S14_bEUlT_E_NS1_11comp_targetILNS1_3genE3ELNS1_11target_archE908ELNS1_3gpuE7ELNS1_3repE0EEENS1_30default_config_static_selectorELNS0_4arch9wavefront6targetE1EEEvSY_
	.p2align	8
	.type	_ZN7rocprim17ROCPRIM_400000_NS6detail17trampoline_kernelINS0_14default_configENS1_27lower_bound_config_selectorIslEEZNS1_14transform_implILb0ES3_S5_N6thrust23THRUST_200600_302600_NS6detail15normal_iteratorINS8_7pointerIsNS8_11hip_rocprim5par_tENS8_11use_defaultESE_EEEENSA_INSB_IlSD_SE_SE_EEEEZNS1_13binary_searchIS3_S5_NSA_INS8_10device_ptrIsEEEESG_SI_NS1_21lower_bound_search_opENS9_16wrapped_functionINS8_6system6detail7generic6detail18binary_search_lessEbEEEE10hipError_tPvRmT1_T2_T3_mmT4_T5_P12ihipStream_tbEUlRKsE_EESV_SZ_S10_mS11_S14_bEUlT_E_NS1_11comp_targetILNS1_3genE3ELNS1_11target_archE908ELNS1_3gpuE7ELNS1_3repE0EEENS1_30default_config_static_selectorELNS0_4arch9wavefront6targetE1EEEvSY_,@function
_ZN7rocprim17ROCPRIM_400000_NS6detail17trampoline_kernelINS0_14default_configENS1_27lower_bound_config_selectorIslEEZNS1_14transform_implILb0ES3_S5_N6thrust23THRUST_200600_302600_NS6detail15normal_iteratorINS8_7pointerIsNS8_11hip_rocprim5par_tENS8_11use_defaultESE_EEEENSA_INSB_IlSD_SE_SE_EEEEZNS1_13binary_searchIS3_S5_NSA_INS8_10device_ptrIsEEEESG_SI_NS1_21lower_bound_search_opENS9_16wrapped_functionINS8_6system6detail7generic6detail18binary_search_lessEbEEEE10hipError_tPvRmT1_T2_T3_mmT4_T5_P12ihipStream_tbEUlRKsE_EESV_SZ_S10_mS11_S14_bEUlT_E_NS1_11comp_targetILNS1_3genE3ELNS1_11target_archE908ELNS1_3gpuE7ELNS1_3repE0EEENS1_30default_config_static_selectorELNS0_4arch9wavefront6targetE1EEEvSY_: ; @_ZN7rocprim17ROCPRIM_400000_NS6detail17trampoline_kernelINS0_14default_configENS1_27lower_bound_config_selectorIslEEZNS1_14transform_implILb0ES3_S5_N6thrust23THRUST_200600_302600_NS6detail15normal_iteratorINS8_7pointerIsNS8_11hip_rocprim5par_tENS8_11use_defaultESE_EEEENSA_INSB_IlSD_SE_SE_EEEEZNS1_13binary_searchIS3_S5_NSA_INS8_10device_ptrIsEEEESG_SI_NS1_21lower_bound_search_opENS9_16wrapped_functionINS8_6system6detail7generic6detail18binary_search_lessEbEEEE10hipError_tPvRmT1_T2_T3_mmT4_T5_P12ihipStream_tbEUlRKsE_EESV_SZ_S10_mS11_S14_bEUlT_E_NS1_11comp_targetILNS1_3genE3ELNS1_11target_archE908ELNS1_3gpuE7ELNS1_3repE0EEENS1_30default_config_static_selectorELNS0_4arch9wavefront6targetE1EEEvSY_
; %bb.0:
	.section	.rodata,"a",@progbits
	.p2align	6, 0x0
	.amdhsa_kernel _ZN7rocprim17ROCPRIM_400000_NS6detail17trampoline_kernelINS0_14default_configENS1_27lower_bound_config_selectorIslEEZNS1_14transform_implILb0ES3_S5_N6thrust23THRUST_200600_302600_NS6detail15normal_iteratorINS8_7pointerIsNS8_11hip_rocprim5par_tENS8_11use_defaultESE_EEEENSA_INSB_IlSD_SE_SE_EEEEZNS1_13binary_searchIS3_S5_NSA_INS8_10device_ptrIsEEEESG_SI_NS1_21lower_bound_search_opENS9_16wrapped_functionINS8_6system6detail7generic6detail18binary_search_lessEbEEEE10hipError_tPvRmT1_T2_T3_mmT4_T5_P12ihipStream_tbEUlRKsE_EESV_SZ_S10_mS11_S14_bEUlT_E_NS1_11comp_targetILNS1_3genE3ELNS1_11target_archE908ELNS1_3gpuE7ELNS1_3repE0EEENS1_30default_config_static_selectorELNS0_4arch9wavefront6targetE1EEEvSY_
		.amdhsa_group_segment_fixed_size 0
		.amdhsa_private_segment_fixed_size 0
		.amdhsa_kernarg_size 56
		.amdhsa_user_sgpr_count 6
		.amdhsa_user_sgpr_private_segment_buffer 1
		.amdhsa_user_sgpr_dispatch_ptr 0
		.amdhsa_user_sgpr_queue_ptr 0
		.amdhsa_user_sgpr_kernarg_segment_ptr 1
		.amdhsa_user_sgpr_dispatch_id 0
		.amdhsa_user_sgpr_flat_scratch_init 0
		.amdhsa_user_sgpr_private_segment_size 0
		.amdhsa_uses_dynamic_stack 0
		.amdhsa_system_sgpr_private_segment_wavefront_offset 0
		.amdhsa_system_sgpr_workgroup_id_x 1
		.amdhsa_system_sgpr_workgroup_id_y 0
		.amdhsa_system_sgpr_workgroup_id_z 0
		.amdhsa_system_sgpr_workgroup_info 0
		.amdhsa_system_vgpr_workitem_id 0
		.amdhsa_next_free_vgpr 1
		.amdhsa_next_free_sgpr 0
		.amdhsa_reserve_vcc 0
		.amdhsa_reserve_flat_scratch 0
		.amdhsa_float_round_mode_32 0
		.amdhsa_float_round_mode_16_64 0
		.amdhsa_float_denorm_mode_32 3
		.amdhsa_float_denorm_mode_16_64 3
		.amdhsa_dx10_clamp 1
		.amdhsa_ieee_mode 1
		.amdhsa_fp16_overflow 0
		.amdhsa_exception_fp_ieee_invalid_op 0
		.amdhsa_exception_fp_denorm_src 0
		.amdhsa_exception_fp_ieee_div_zero 0
		.amdhsa_exception_fp_ieee_overflow 0
		.amdhsa_exception_fp_ieee_underflow 0
		.amdhsa_exception_fp_ieee_inexact 0
		.amdhsa_exception_int_div_zero 0
	.end_amdhsa_kernel
	.section	.text._ZN7rocprim17ROCPRIM_400000_NS6detail17trampoline_kernelINS0_14default_configENS1_27lower_bound_config_selectorIslEEZNS1_14transform_implILb0ES3_S5_N6thrust23THRUST_200600_302600_NS6detail15normal_iteratorINS8_7pointerIsNS8_11hip_rocprim5par_tENS8_11use_defaultESE_EEEENSA_INSB_IlSD_SE_SE_EEEEZNS1_13binary_searchIS3_S5_NSA_INS8_10device_ptrIsEEEESG_SI_NS1_21lower_bound_search_opENS9_16wrapped_functionINS8_6system6detail7generic6detail18binary_search_lessEbEEEE10hipError_tPvRmT1_T2_T3_mmT4_T5_P12ihipStream_tbEUlRKsE_EESV_SZ_S10_mS11_S14_bEUlT_E_NS1_11comp_targetILNS1_3genE3ELNS1_11target_archE908ELNS1_3gpuE7ELNS1_3repE0EEENS1_30default_config_static_selectorELNS0_4arch9wavefront6targetE1EEEvSY_,"axG",@progbits,_ZN7rocprim17ROCPRIM_400000_NS6detail17trampoline_kernelINS0_14default_configENS1_27lower_bound_config_selectorIslEEZNS1_14transform_implILb0ES3_S5_N6thrust23THRUST_200600_302600_NS6detail15normal_iteratorINS8_7pointerIsNS8_11hip_rocprim5par_tENS8_11use_defaultESE_EEEENSA_INSB_IlSD_SE_SE_EEEEZNS1_13binary_searchIS3_S5_NSA_INS8_10device_ptrIsEEEESG_SI_NS1_21lower_bound_search_opENS9_16wrapped_functionINS8_6system6detail7generic6detail18binary_search_lessEbEEEE10hipError_tPvRmT1_T2_T3_mmT4_T5_P12ihipStream_tbEUlRKsE_EESV_SZ_S10_mS11_S14_bEUlT_E_NS1_11comp_targetILNS1_3genE3ELNS1_11target_archE908ELNS1_3gpuE7ELNS1_3repE0EEENS1_30default_config_static_selectorELNS0_4arch9wavefront6targetE1EEEvSY_,comdat
.Lfunc_end415:
	.size	_ZN7rocprim17ROCPRIM_400000_NS6detail17trampoline_kernelINS0_14default_configENS1_27lower_bound_config_selectorIslEEZNS1_14transform_implILb0ES3_S5_N6thrust23THRUST_200600_302600_NS6detail15normal_iteratorINS8_7pointerIsNS8_11hip_rocprim5par_tENS8_11use_defaultESE_EEEENSA_INSB_IlSD_SE_SE_EEEEZNS1_13binary_searchIS3_S5_NSA_INS8_10device_ptrIsEEEESG_SI_NS1_21lower_bound_search_opENS9_16wrapped_functionINS8_6system6detail7generic6detail18binary_search_lessEbEEEE10hipError_tPvRmT1_T2_T3_mmT4_T5_P12ihipStream_tbEUlRKsE_EESV_SZ_S10_mS11_S14_bEUlT_E_NS1_11comp_targetILNS1_3genE3ELNS1_11target_archE908ELNS1_3gpuE7ELNS1_3repE0EEENS1_30default_config_static_selectorELNS0_4arch9wavefront6targetE1EEEvSY_, .Lfunc_end415-_ZN7rocprim17ROCPRIM_400000_NS6detail17trampoline_kernelINS0_14default_configENS1_27lower_bound_config_selectorIslEEZNS1_14transform_implILb0ES3_S5_N6thrust23THRUST_200600_302600_NS6detail15normal_iteratorINS8_7pointerIsNS8_11hip_rocprim5par_tENS8_11use_defaultESE_EEEENSA_INSB_IlSD_SE_SE_EEEEZNS1_13binary_searchIS3_S5_NSA_INS8_10device_ptrIsEEEESG_SI_NS1_21lower_bound_search_opENS9_16wrapped_functionINS8_6system6detail7generic6detail18binary_search_lessEbEEEE10hipError_tPvRmT1_T2_T3_mmT4_T5_P12ihipStream_tbEUlRKsE_EESV_SZ_S10_mS11_S14_bEUlT_E_NS1_11comp_targetILNS1_3genE3ELNS1_11target_archE908ELNS1_3gpuE7ELNS1_3repE0EEENS1_30default_config_static_selectorELNS0_4arch9wavefront6targetE1EEEvSY_
                                        ; -- End function
	.set _ZN7rocprim17ROCPRIM_400000_NS6detail17trampoline_kernelINS0_14default_configENS1_27lower_bound_config_selectorIslEEZNS1_14transform_implILb0ES3_S5_N6thrust23THRUST_200600_302600_NS6detail15normal_iteratorINS8_7pointerIsNS8_11hip_rocprim5par_tENS8_11use_defaultESE_EEEENSA_INSB_IlSD_SE_SE_EEEEZNS1_13binary_searchIS3_S5_NSA_INS8_10device_ptrIsEEEESG_SI_NS1_21lower_bound_search_opENS9_16wrapped_functionINS8_6system6detail7generic6detail18binary_search_lessEbEEEE10hipError_tPvRmT1_T2_T3_mmT4_T5_P12ihipStream_tbEUlRKsE_EESV_SZ_S10_mS11_S14_bEUlT_E_NS1_11comp_targetILNS1_3genE3ELNS1_11target_archE908ELNS1_3gpuE7ELNS1_3repE0EEENS1_30default_config_static_selectorELNS0_4arch9wavefront6targetE1EEEvSY_.num_vgpr, 0
	.set _ZN7rocprim17ROCPRIM_400000_NS6detail17trampoline_kernelINS0_14default_configENS1_27lower_bound_config_selectorIslEEZNS1_14transform_implILb0ES3_S5_N6thrust23THRUST_200600_302600_NS6detail15normal_iteratorINS8_7pointerIsNS8_11hip_rocprim5par_tENS8_11use_defaultESE_EEEENSA_INSB_IlSD_SE_SE_EEEEZNS1_13binary_searchIS3_S5_NSA_INS8_10device_ptrIsEEEESG_SI_NS1_21lower_bound_search_opENS9_16wrapped_functionINS8_6system6detail7generic6detail18binary_search_lessEbEEEE10hipError_tPvRmT1_T2_T3_mmT4_T5_P12ihipStream_tbEUlRKsE_EESV_SZ_S10_mS11_S14_bEUlT_E_NS1_11comp_targetILNS1_3genE3ELNS1_11target_archE908ELNS1_3gpuE7ELNS1_3repE0EEENS1_30default_config_static_selectorELNS0_4arch9wavefront6targetE1EEEvSY_.num_agpr, 0
	.set _ZN7rocprim17ROCPRIM_400000_NS6detail17trampoline_kernelINS0_14default_configENS1_27lower_bound_config_selectorIslEEZNS1_14transform_implILb0ES3_S5_N6thrust23THRUST_200600_302600_NS6detail15normal_iteratorINS8_7pointerIsNS8_11hip_rocprim5par_tENS8_11use_defaultESE_EEEENSA_INSB_IlSD_SE_SE_EEEEZNS1_13binary_searchIS3_S5_NSA_INS8_10device_ptrIsEEEESG_SI_NS1_21lower_bound_search_opENS9_16wrapped_functionINS8_6system6detail7generic6detail18binary_search_lessEbEEEE10hipError_tPvRmT1_T2_T3_mmT4_T5_P12ihipStream_tbEUlRKsE_EESV_SZ_S10_mS11_S14_bEUlT_E_NS1_11comp_targetILNS1_3genE3ELNS1_11target_archE908ELNS1_3gpuE7ELNS1_3repE0EEENS1_30default_config_static_selectorELNS0_4arch9wavefront6targetE1EEEvSY_.numbered_sgpr, 0
	.set _ZN7rocprim17ROCPRIM_400000_NS6detail17trampoline_kernelINS0_14default_configENS1_27lower_bound_config_selectorIslEEZNS1_14transform_implILb0ES3_S5_N6thrust23THRUST_200600_302600_NS6detail15normal_iteratorINS8_7pointerIsNS8_11hip_rocprim5par_tENS8_11use_defaultESE_EEEENSA_INSB_IlSD_SE_SE_EEEEZNS1_13binary_searchIS3_S5_NSA_INS8_10device_ptrIsEEEESG_SI_NS1_21lower_bound_search_opENS9_16wrapped_functionINS8_6system6detail7generic6detail18binary_search_lessEbEEEE10hipError_tPvRmT1_T2_T3_mmT4_T5_P12ihipStream_tbEUlRKsE_EESV_SZ_S10_mS11_S14_bEUlT_E_NS1_11comp_targetILNS1_3genE3ELNS1_11target_archE908ELNS1_3gpuE7ELNS1_3repE0EEENS1_30default_config_static_selectorELNS0_4arch9wavefront6targetE1EEEvSY_.num_named_barrier, 0
	.set _ZN7rocprim17ROCPRIM_400000_NS6detail17trampoline_kernelINS0_14default_configENS1_27lower_bound_config_selectorIslEEZNS1_14transform_implILb0ES3_S5_N6thrust23THRUST_200600_302600_NS6detail15normal_iteratorINS8_7pointerIsNS8_11hip_rocprim5par_tENS8_11use_defaultESE_EEEENSA_INSB_IlSD_SE_SE_EEEEZNS1_13binary_searchIS3_S5_NSA_INS8_10device_ptrIsEEEESG_SI_NS1_21lower_bound_search_opENS9_16wrapped_functionINS8_6system6detail7generic6detail18binary_search_lessEbEEEE10hipError_tPvRmT1_T2_T3_mmT4_T5_P12ihipStream_tbEUlRKsE_EESV_SZ_S10_mS11_S14_bEUlT_E_NS1_11comp_targetILNS1_3genE3ELNS1_11target_archE908ELNS1_3gpuE7ELNS1_3repE0EEENS1_30default_config_static_selectorELNS0_4arch9wavefront6targetE1EEEvSY_.private_seg_size, 0
	.set _ZN7rocprim17ROCPRIM_400000_NS6detail17trampoline_kernelINS0_14default_configENS1_27lower_bound_config_selectorIslEEZNS1_14transform_implILb0ES3_S5_N6thrust23THRUST_200600_302600_NS6detail15normal_iteratorINS8_7pointerIsNS8_11hip_rocprim5par_tENS8_11use_defaultESE_EEEENSA_INSB_IlSD_SE_SE_EEEEZNS1_13binary_searchIS3_S5_NSA_INS8_10device_ptrIsEEEESG_SI_NS1_21lower_bound_search_opENS9_16wrapped_functionINS8_6system6detail7generic6detail18binary_search_lessEbEEEE10hipError_tPvRmT1_T2_T3_mmT4_T5_P12ihipStream_tbEUlRKsE_EESV_SZ_S10_mS11_S14_bEUlT_E_NS1_11comp_targetILNS1_3genE3ELNS1_11target_archE908ELNS1_3gpuE7ELNS1_3repE0EEENS1_30default_config_static_selectorELNS0_4arch9wavefront6targetE1EEEvSY_.uses_vcc, 0
	.set _ZN7rocprim17ROCPRIM_400000_NS6detail17trampoline_kernelINS0_14default_configENS1_27lower_bound_config_selectorIslEEZNS1_14transform_implILb0ES3_S5_N6thrust23THRUST_200600_302600_NS6detail15normal_iteratorINS8_7pointerIsNS8_11hip_rocprim5par_tENS8_11use_defaultESE_EEEENSA_INSB_IlSD_SE_SE_EEEEZNS1_13binary_searchIS3_S5_NSA_INS8_10device_ptrIsEEEESG_SI_NS1_21lower_bound_search_opENS9_16wrapped_functionINS8_6system6detail7generic6detail18binary_search_lessEbEEEE10hipError_tPvRmT1_T2_T3_mmT4_T5_P12ihipStream_tbEUlRKsE_EESV_SZ_S10_mS11_S14_bEUlT_E_NS1_11comp_targetILNS1_3genE3ELNS1_11target_archE908ELNS1_3gpuE7ELNS1_3repE0EEENS1_30default_config_static_selectorELNS0_4arch9wavefront6targetE1EEEvSY_.uses_flat_scratch, 0
	.set _ZN7rocprim17ROCPRIM_400000_NS6detail17trampoline_kernelINS0_14default_configENS1_27lower_bound_config_selectorIslEEZNS1_14transform_implILb0ES3_S5_N6thrust23THRUST_200600_302600_NS6detail15normal_iteratorINS8_7pointerIsNS8_11hip_rocprim5par_tENS8_11use_defaultESE_EEEENSA_INSB_IlSD_SE_SE_EEEEZNS1_13binary_searchIS3_S5_NSA_INS8_10device_ptrIsEEEESG_SI_NS1_21lower_bound_search_opENS9_16wrapped_functionINS8_6system6detail7generic6detail18binary_search_lessEbEEEE10hipError_tPvRmT1_T2_T3_mmT4_T5_P12ihipStream_tbEUlRKsE_EESV_SZ_S10_mS11_S14_bEUlT_E_NS1_11comp_targetILNS1_3genE3ELNS1_11target_archE908ELNS1_3gpuE7ELNS1_3repE0EEENS1_30default_config_static_selectorELNS0_4arch9wavefront6targetE1EEEvSY_.has_dyn_sized_stack, 0
	.set _ZN7rocprim17ROCPRIM_400000_NS6detail17trampoline_kernelINS0_14default_configENS1_27lower_bound_config_selectorIslEEZNS1_14transform_implILb0ES3_S5_N6thrust23THRUST_200600_302600_NS6detail15normal_iteratorINS8_7pointerIsNS8_11hip_rocprim5par_tENS8_11use_defaultESE_EEEENSA_INSB_IlSD_SE_SE_EEEEZNS1_13binary_searchIS3_S5_NSA_INS8_10device_ptrIsEEEESG_SI_NS1_21lower_bound_search_opENS9_16wrapped_functionINS8_6system6detail7generic6detail18binary_search_lessEbEEEE10hipError_tPvRmT1_T2_T3_mmT4_T5_P12ihipStream_tbEUlRKsE_EESV_SZ_S10_mS11_S14_bEUlT_E_NS1_11comp_targetILNS1_3genE3ELNS1_11target_archE908ELNS1_3gpuE7ELNS1_3repE0EEENS1_30default_config_static_selectorELNS0_4arch9wavefront6targetE1EEEvSY_.has_recursion, 0
	.set _ZN7rocprim17ROCPRIM_400000_NS6detail17trampoline_kernelINS0_14default_configENS1_27lower_bound_config_selectorIslEEZNS1_14transform_implILb0ES3_S5_N6thrust23THRUST_200600_302600_NS6detail15normal_iteratorINS8_7pointerIsNS8_11hip_rocprim5par_tENS8_11use_defaultESE_EEEENSA_INSB_IlSD_SE_SE_EEEEZNS1_13binary_searchIS3_S5_NSA_INS8_10device_ptrIsEEEESG_SI_NS1_21lower_bound_search_opENS9_16wrapped_functionINS8_6system6detail7generic6detail18binary_search_lessEbEEEE10hipError_tPvRmT1_T2_T3_mmT4_T5_P12ihipStream_tbEUlRKsE_EESV_SZ_S10_mS11_S14_bEUlT_E_NS1_11comp_targetILNS1_3genE3ELNS1_11target_archE908ELNS1_3gpuE7ELNS1_3repE0EEENS1_30default_config_static_selectorELNS0_4arch9wavefront6targetE1EEEvSY_.has_indirect_call, 0
	.section	.AMDGPU.csdata,"",@progbits
; Kernel info:
; codeLenInByte = 0
; TotalNumSgprs: 4
; NumVgprs: 0
; ScratchSize: 0
; MemoryBound: 0
; FloatMode: 240
; IeeeMode: 1
; LDSByteSize: 0 bytes/workgroup (compile time only)
; SGPRBlocks: 0
; VGPRBlocks: 0
; NumSGPRsForWavesPerEU: 4
; NumVGPRsForWavesPerEU: 1
; Occupancy: 10
; WaveLimiterHint : 0
; COMPUTE_PGM_RSRC2:SCRATCH_EN: 0
; COMPUTE_PGM_RSRC2:USER_SGPR: 6
; COMPUTE_PGM_RSRC2:TRAP_HANDLER: 0
; COMPUTE_PGM_RSRC2:TGID_X_EN: 1
; COMPUTE_PGM_RSRC2:TGID_Y_EN: 0
; COMPUTE_PGM_RSRC2:TGID_Z_EN: 0
; COMPUTE_PGM_RSRC2:TIDIG_COMP_CNT: 0
	.section	.text._ZN7rocprim17ROCPRIM_400000_NS6detail17trampoline_kernelINS0_14default_configENS1_27lower_bound_config_selectorIslEEZNS1_14transform_implILb0ES3_S5_N6thrust23THRUST_200600_302600_NS6detail15normal_iteratorINS8_7pointerIsNS8_11hip_rocprim5par_tENS8_11use_defaultESE_EEEENSA_INSB_IlSD_SE_SE_EEEEZNS1_13binary_searchIS3_S5_NSA_INS8_10device_ptrIsEEEESG_SI_NS1_21lower_bound_search_opENS9_16wrapped_functionINS8_6system6detail7generic6detail18binary_search_lessEbEEEE10hipError_tPvRmT1_T2_T3_mmT4_T5_P12ihipStream_tbEUlRKsE_EESV_SZ_S10_mS11_S14_bEUlT_E_NS1_11comp_targetILNS1_3genE2ELNS1_11target_archE906ELNS1_3gpuE6ELNS1_3repE0EEENS1_30default_config_static_selectorELNS0_4arch9wavefront6targetE1EEEvSY_,"axG",@progbits,_ZN7rocprim17ROCPRIM_400000_NS6detail17trampoline_kernelINS0_14default_configENS1_27lower_bound_config_selectorIslEEZNS1_14transform_implILb0ES3_S5_N6thrust23THRUST_200600_302600_NS6detail15normal_iteratorINS8_7pointerIsNS8_11hip_rocprim5par_tENS8_11use_defaultESE_EEEENSA_INSB_IlSD_SE_SE_EEEEZNS1_13binary_searchIS3_S5_NSA_INS8_10device_ptrIsEEEESG_SI_NS1_21lower_bound_search_opENS9_16wrapped_functionINS8_6system6detail7generic6detail18binary_search_lessEbEEEE10hipError_tPvRmT1_T2_T3_mmT4_T5_P12ihipStream_tbEUlRKsE_EESV_SZ_S10_mS11_S14_bEUlT_E_NS1_11comp_targetILNS1_3genE2ELNS1_11target_archE906ELNS1_3gpuE6ELNS1_3repE0EEENS1_30default_config_static_selectorELNS0_4arch9wavefront6targetE1EEEvSY_,comdat
	.protected	_ZN7rocprim17ROCPRIM_400000_NS6detail17trampoline_kernelINS0_14default_configENS1_27lower_bound_config_selectorIslEEZNS1_14transform_implILb0ES3_S5_N6thrust23THRUST_200600_302600_NS6detail15normal_iteratorINS8_7pointerIsNS8_11hip_rocprim5par_tENS8_11use_defaultESE_EEEENSA_INSB_IlSD_SE_SE_EEEEZNS1_13binary_searchIS3_S5_NSA_INS8_10device_ptrIsEEEESG_SI_NS1_21lower_bound_search_opENS9_16wrapped_functionINS8_6system6detail7generic6detail18binary_search_lessEbEEEE10hipError_tPvRmT1_T2_T3_mmT4_T5_P12ihipStream_tbEUlRKsE_EESV_SZ_S10_mS11_S14_bEUlT_E_NS1_11comp_targetILNS1_3genE2ELNS1_11target_archE906ELNS1_3gpuE6ELNS1_3repE0EEENS1_30default_config_static_selectorELNS0_4arch9wavefront6targetE1EEEvSY_ ; -- Begin function _ZN7rocprim17ROCPRIM_400000_NS6detail17trampoline_kernelINS0_14default_configENS1_27lower_bound_config_selectorIslEEZNS1_14transform_implILb0ES3_S5_N6thrust23THRUST_200600_302600_NS6detail15normal_iteratorINS8_7pointerIsNS8_11hip_rocprim5par_tENS8_11use_defaultESE_EEEENSA_INSB_IlSD_SE_SE_EEEEZNS1_13binary_searchIS3_S5_NSA_INS8_10device_ptrIsEEEESG_SI_NS1_21lower_bound_search_opENS9_16wrapped_functionINS8_6system6detail7generic6detail18binary_search_lessEbEEEE10hipError_tPvRmT1_T2_T3_mmT4_T5_P12ihipStream_tbEUlRKsE_EESV_SZ_S10_mS11_S14_bEUlT_E_NS1_11comp_targetILNS1_3genE2ELNS1_11target_archE906ELNS1_3gpuE6ELNS1_3repE0EEENS1_30default_config_static_selectorELNS0_4arch9wavefront6targetE1EEEvSY_
	.globl	_ZN7rocprim17ROCPRIM_400000_NS6detail17trampoline_kernelINS0_14default_configENS1_27lower_bound_config_selectorIslEEZNS1_14transform_implILb0ES3_S5_N6thrust23THRUST_200600_302600_NS6detail15normal_iteratorINS8_7pointerIsNS8_11hip_rocprim5par_tENS8_11use_defaultESE_EEEENSA_INSB_IlSD_SE_SE_EEEEZNS1_13binary_searchIS3_S5_NSA_INS8_10device_ptrIsEEEESG_SI_NS1_21lower_bound_search_opENS9_16wrapped_functionINS8_6system6detail7generic6detail18binary_search_lessEbEEEE10hipError_tPvRmT1_T2_T3_mmT4_T5_P12ihipStream_tbEUlRKsE_EESV_SZ_S10_mS11_S14_bEUlT_E_NS1_11comp_targetILNS1_3genE2ELNS1_11target_archE906ELNS1_3gpuE6ELNS1_3repE0EEENS1_30default_config_static_selectorELNS0_4arch9wavefront6targetE1EEEvSY_
	.p2align	8
	.type	_ZN7rocprim17ROCPRIM_400000_NS6detail17trampoline_kernelINS0_14default_configENS1_27lower_bound_config_selectorIslEEZNS1_14transform_implILb0ES3_S5_N6thrust23THRUST_200600_302600_NS6detail15normal_iteratorINS8_7pointerIsNS8_11hip_rocprim5par_tENS8_11use_defaultESE_EEEENSA_INSB_IlSD_SE_SE_EEEEZNS1_13binary_searchIS3_S5_NSA_INS8_10device_ptrIsEEEESG_SI_NS1_21lower_bound_search_opENS9_16wrapped_functionINS8_6system6detail7generic6detail18binary_search_lessEbEEEE10hipError_tPvRmT1_T2_T3_mmT4_T5_P12ihipStream_tbEUlRKsE_EESV_SZ_S10_mS11_S14_bEUlT_E_NS1_11comp_targetILNS1_3genE2ELNS1_11target_archE906ELNS1_3gpuE6ELNS1_3repE0EEENS1_30default_config_static_selectorELNS0_4arch9wavefront6targetE1EEEvSY_,@function
_ZN7rocprim17ROCPRIM_400000_NS6detail17trampoline_kernelINS0_14default_configENS1_27lower_bound_config_selectorIslEEZNS1_14transform_implILb0ES3_S5_N6thrust23THRUST_200600_302600_NS6detail15normal_iteratorINS8_7pointerIsNS8_11hip_rocprim5par_tENS8_11use_defaultESE_EEEENSA_INSB_IlSD_SE_SE_EEEEZNS1_13binary_searchIS3_S5_NSA_INS8_10device_ptrIsEEEESG_SI_NS1_21lower_bound_search_opENS9_16wrapped_functionINS8_6system6detail7generic6detail18binary_search_lessEbEEEE10hipError_tPvRmT1_T2_T3_mmT4_T5_P12ihipStream_tbEUlRKsE_EESV_SZ_S10_mS11_S14_bEUlT_E_NS1_11comp_targetILNS1_3genE2ELNS1_11target_archE906ELNS1_3gpuE6ELNS1_3repE0EEENS1_30default_config_static_selectorELNS0_4arch9wavefront6targetE1EEEvSY_: ; @_ZN7rocprim17ROCPRIM_400000_NS6detail17trampoline_kernelINS0_14default_configENS1_27lower_bound_config_selectorIslEEZNS1_14transform_implILb0ES3_S5_N6thrust23THRUST_200600_302600_NS6detail15normal_iteratorINS8_7pointerIsNS8_11hip_rocprim5par_tENS8_11use_defaultESE_EEEENSA_INSB_IlSD_SE_SE_EEEEZNS1_13binary_searchIS3_S5_NSA_INS8_10device_ptrIsEEEESG_SI_NS1_21lower_bound_search_opENS9_16wrapped_functionINS8_6system6detail7generic6detail18binary_search_lessEbEEEE10hipError_tPvRmT1_T2_T3_mmT4_T5_P12ihipStream_tbEUlRKsE_EESV_SZ_S10_mS11_S14_bEUlT_E_NS1_11comp_targetILNS1_3genE2ELNS1_11target_archE906ELNS1_3gpuE6ELNS1_3repE0EEENS1_30default_config_static_selectorELNS0_4arch9wavefront6targetE1EEEvSY_
; %bb.0:
	s_load_dwordx8 s[8:15], s[4:5], 0x0
	s_load_dwordx4 s[16:19], s[4:5], 0x20
	s_load_dword s2, s[4:5], 0x38
	s_waitcnt lgkmcnt(0)
	s_lshl_b64 s[0:1], s[10:11], 1
	s_add_u32 s3, s8, s0
	s_addc_u32 s4, s9, s1
	s_lshl_b64 s[0:1], s[10:11], 3
	s_add_u32 s20, s14, s0
	s_addc_u32 s21, s15, s1
	s_lshl_b32 s8, s6, 10
	s_mov_b32 s9, 0
	s_add_i32 s2, s2, -1
	s_lshl_b64 s[0:1], s[8:9], 1
	s_add_u32 s13, s3, s0
	s_addc_u32 s14, s4, s1
	s_cmp_lg_u32 s6, s2
	s_cbranch_scc0 .LBB416_14
; %bb.1:
	v_lshlrev_b32_e32 v1, 1, v0
	v_mov_b32_e32 v2, s14
	v_add_co_u32_e32 v1, vcc, s13, v1
	v_addc_co_u32_e32 v2, vcc, 0, v2, vcc
	flat_load_ushort v7, v[1:2] offset:512
	flat_load_ushort v9, v[1:2] offset:1024
	;; [unrolled: 1-line block ×3, first 2 shown]
	s_cmp_lg_u64 s[18:19], 0
	s_cselect_b64 s[2:3], -1, 0
	s_cmp_eq_u64 s[18:19], 0
	s_mov_b64 s[0:1], 0
	s_cbranch_scc1 .LBB416_15
; %bb.2:
	flat_load_ushort v5, v[1:2]
	v_mov_b32_e32 v1, 0
	v_mov_b32_e32 v3, s18
	;; [unrolled: 1-line block ×5, first 2 shown]
.LBB416_3:                              ; =>This Inner Loop Header: Depth=1
	v_sub_co_u32_e32 v12, vcc, v3, v1
	v_subb_co_u32_e32 v13, vcc, v4, v2, vcc
	v_lshrrev_b64 v[14:15], 1, v[12:13]
	v_lshrrev_b64 v[12:13], 6, v[12:13]
	v_add_co_u32_e32 v8, vcc, v14, v1
	v_addc_co_u32_e32 v10, vcc, v15, v2, vcc
	v_add_co_u32_e32 v12, vcc, v8, v12
	v_addc_co_u32_e32 v13, vcc, v10, v13, vcc
	v_lshlrev_b64 v[14:15], 1, v[12:13]
	v_add_co_u32_e32 v14, vcc, s16, v14
	v_addc_co_u32_e32 v15, vcc, v6, v15, vcc
	global_load_ushort v8, v[14:15], off
	v_add_co_u32_e32 v10, vcc, 1, v12
	v_addc_co_u32_e32 v14, vcc, 0, v13, vcc
	s_waitcnt vmcnt(0) lgkmcnt(0)
	v_cmp_lt_i16_e32 vcc, v8, v5
	v_cndmask_b32_e32 v4, v13, v4, vcc
	v_cndmask_b32_e32 v3, v12, v3, vcc
	;; [unrolled: 1-line block ×4, first 2 shown]
	v_cmp_ge_u64_e32 vcc, v[1:2], v[3:4]
	s_or_b64 s[0:1], vcc, s[0:1]
	s_andn2_b64 exec, exec, s[0:1]
	s_cbranch_execnz .LBB416_3
; %bb.4:
	s_or_b64 exec, exec, s[0:1]
	v_cndmask_b32_e64 v3, 0, 1, s[2:3]
	v_cmp_ne_u32_e64 s[0:1], 1, v3
	s_andn2_b64 vcc, exec, s[2:3]
	s_cbranch_vccnz .LBB416_16
.LBB416_5:
	v_mov_b32_e32 v3, 0
	v_mov_b32_e32 v5, s18
	s_mov_b64 s[2:3], 0
	v_mov_b32_e32 v4, 0
	v_mov_b32_e32 v6, s19
	;; [unrolled: 1-line block ×3, first 2 shown]
.LBB416_6:                              ; =>This Inner Loop Header: Depth=1
	v_sub_co_u32_e32 v12, vcc, v5, v3
	v_subb_co_u32_e32 v13, vcc, v6, v4, vcc
	v_lshrrev_b64 v[14:15], 1, v[12:13]
	v_lshrrev_b64 v[12:13], 6, v[12:13]
	v_add_co_u32_e32 v10, vcc, v14, v3
	v_addc_co_u32_e32 v14, vcc, v15, v4, vcc
	v_add_co_u32_e32 v12, vcc, v10, v12
	v_addc_co_u32_e32 v13, vcc, v14, v13, vcc
	v_lshlrev_b64 v[14:15], 1, v[12:13]
	v_add_co_u32_e32 v14, vcc, s16, v14
	v_addc_co_u32_e32 v15, vcc, v8, v15, vcc
	global_load_ushort v10, v[14:15], off
	v_add_co_u32_e32 v14, vcc, 1, v12
	v_addc_co_u32_e32 v15, vcc, 0, v13, vcc
	s_waitcnt vmcnt(0) lgkmcnt(0)
	v_cmp_lt_i16_e32 vcc, v10, v7
	v_cndmask_b32_e32 v6, v13, v6, vcc
	v_cndmask_b32_e32 v5, v12, v5, vcc
	;; [unrolled: 1-line block ×4, first 2 shown]
	v_cmp_ge_u64_e32 vcc, v[3:4], v[5:6]
	s_or_b64 s[2:3], vcc, s[2:3]
	s_andn2_b64 exec, exec, s[2:3]
	s_cbranch_execnz .LBB416_6
; %bb.7:
	s_or_b64 exec, exec, s[2:3]
	s_and_b64 vcc, exec, s[0:1]
	s_cbranch_vccnz .LBB416_17
.LBB416_8:
	v_mov_b32_e32 v5, 0
	s_waitcnt vmcnt(0) lgkmcnt(0)
	v_mov_b32_e32 v7, s18
	s_mov_b64 s[2:3], 0
	v_mov_b32_e32 v6, 0
	v_mov_b32_e32 v8, s19
	;; [unrolled: 1-line block ×3, first 2 shown]
.LBB416_9:                              ; =>This Inner Loop Header: Depth=1
	v_sub_co_u32_e32 v12, vcc, v7, v5
	v_subb_co_u32_e32 v13, vcc, v8, v6, vcc
	v_lshrrev_b64 v[14:15], 1, v[12:13]
	v_lshrrev_b64 v[12:13], 6, v[12:13]
	v_add_co_u32_e32 v14, vcc, v14, v5
	v_addc_co_u32_e32 v15, vcc, v15, v6, vcc
	v_add_co_u32_e32 v12, vcc, v14, v12
	v_addc_co_u32_e32 v13, vcc, v15, v13, vcc
	v_lshlrev_b64 v[14:15], 1, v[12:13]
	v_add_co_u32_e32 v14, vcc, s16, v14
	v_addc_co_u32_e32 v15, vcc, v10, v15, vcc
	global_load_ushort v14, v[14:15], off
	v_add_co_u32_e32 v15, vcc, 1, v12
	v_addc_co_u32_e32 v16, vcc, 0, v13, vcc
	s_waitcnt vmcnt(0)
	v_cmp_lt_i16_e32 vcc, v14, v9
	v_cndmask_b32_e32 v8, v13, v8, vcc
	v_cndmask_b32_e32 v7, v12, v7, vcc
	;; [unrolled: 1-line block ×4, first 2 shown]
	v_cmp_ge_u64_e32 vcc, v[5:6], v[7:8]
	s_or_b64 s[2:3], vcc, s[2:3]
	s_andn2_b64 exec, exec, s[2:3]
	s_cbranch_execnz .LBB416_9
; %bb.10:
	s_or_b64 exec, exec, s[2:3]
	s_and_b64 vcc, exec, s[0:1]
	s_cbranch_vccnz .LBB416_18
.LBB416_11:
	s_waitcnt vmcnt(0) lgkmcnt(0)
	v_mov_b32_e32 v7, 0
	v_mov_b32_e32 v9, s18
	s_mov_b64 s[0:1], 0
	v_mov_b32_e32 v8, 0
	v_mov_b32_e32 v10, s19
	v_mov_b32_e32 v12, s17
.LBB416_12:                             ; =>This Inner Loop Header: Depth=1
	v_sub_co_u32_e32 v13, vcc, v9, v7
	v_subb_co_u32_e32 v14, vcc, v10, v8, vcc
	v_lshrrev_b64 v[15:16], 1, v[13:14]
	v_lshrrev_b64 v[13:14], 6, v[13:14]
	v_add_co_u32_e32 v15, vcc, v15, v7
	v_addc_co_u32_e32 v16, vcc, v16, v8, vcc
	v_add_co_u32_e32 v13, vcc, v15, v13
	v_addc_co_u32_e32 v14, vcc, v16, v14, vcc
	v_lshlrev_b64 v[15:16], 1, v[13:14]
	v_add_co_u32_e32 v15, vcc, s16, v15
	v_addc_co_u32_e32 v16, vcc, v12, v16, vcc
	global_load_ushort v15, v[15:16], off
	v_add_co_u32_e32 v16, vcc, 1, v13
	v_addc_co_u32_e32 v17, vcc, 0, v14, vcc
	s_waitcnt vmcnt(0)
	v_cmp_lt_i16_e32 vcc, v15, v11
	v_cndmask_b32_e32 v10, v14, v10, vcc
	v_cndmask_b32_e32 v9, v13, v9, vcc
	;; [unrolled: 1-line block ×4, first 2 shown]
	v_cmp_ge_u64_e32 vcc, v[7:8], v[9:10]
	s_or_b64 s[0:1], vcc, s[0:1]
	s_andn2_b64 exec, exec, s[0:1]
	s_cbranch_execnz .LBB416_12
; %bb.13:
	s_or_b64 exec, exec, s[0:1]
	s_branch .LBB416_19
.LBB416_14:
	s_mov_b64 s[6:7], 0
                                        ; implicit-def: $vgpr7_vgpr8
                                        ; implicit-def: $vgpr11_vgpr12
	s_cbranch_execnz .LBB416_20
	s_branch .LBB416_59
.LBB416_15:
	v_mov_b32_e32 v1, 0
	v_mov_b32_e32 v2, 0
	v_cndmask_b32_e64 v3, 0, 1, s[2:3]
	v_cmp_ne_u32_e64 s[0:1], 1, v3
	s_andn2_b64 vcc, exec, s[2:3]
	s_cbranch_vccz .LBB416_5
.LBB416_16:
	v_mov_b32_e32 v3, 0
	v_mov_b32_e32 v4, 0
	s_and_b64 vcc, exec, s[0:1]
	s_cbranch_vccz .LBB416_8
.LBB416_17:
	v_mov_b32_e32 v5, 0
	v_mov_b32_e32 v6, 0
	s_and_b64 vcc, exec, s[0:1]
	s_cbranch_vccz .LBB416_11
.LBB416_18:
	s_waitcnt vmcnt(0) lgkmcnt(0)
	v_mov_b32_e32 v7, 0
	v_mov_b32_e32 v8, 0
.LBB416_19:
	s_lshl_b64 s[0:1], s[8:9], 3
	s_add_u32 s0, s20, s0
	s_addc_u32 s1, s21, s1
	v_lshlrev_b32_e32 v9, 3, v0
	v_mov_b32_e32 v10, s1
	v_add_co_u32_e32 v11, vcc, s0, v9
	v_addc_co_u32_e32 v12, vcc, 0, v10, vcc
	flat_store_dwordx2 v[11:12], v[1:2]
	flat_store_dwordx2 v[11:12], v[3:4] offset:2048
	v_add_co_u32_e32 v1, vcc, 0x1000, v11
	v_addc_co_u32_e32 v2, vcc, 0, v12, vcc
	flat_store_dwordx2 v[1:2], v[5:6]
	s_mov_b64 s[6:7], -1
	s_branch .LBB416_59
.LBB416_20:
	s_sub_i32 s10, s12, s8
	v_mov_b32_e32 v1, 0
	v_cmp_gt_u32_e64 s[0:1], s10, v0
	v_mov_b32_e32 v2, v1
	s_and_saveexec_b64 s[2:3], s[0:1]
	s_cbranch_execz .LBB416_22
; %bb.21:
	v_lshlrev_b32_e32 v2, 1, v0
	v_mov_b32_e32 v3, s14
	v_add_co_u32_e32 v2, vcc, s13, v2
	v_addc_co_u32_e32 v3, vcc, 0, v3, vcc
	flat_load_ushort v2, v[2:3]
	v_mov_b32_e32 v3, v1
	s_waitcnt vmcnt(0) lgkmcnt(0)
	v_and_b32_e32 v2, 0xffff, v2
	v_mov_b32_e32 v1, v2
	v_mov_b32_e32 v2, v3
.LBB416_22:
	s_or_b64 exec, exec, s[2:3]
	v_or_b32_e32 v3, 0x100, v0
	v_cmp_gt_u32_e64 s[2:3], s10, v3
	s_and_saveexec_b64 s[4:5], s[2:3]
	s_cbranch_execz .LBB416_24
; %bb.23:
	v_lshlrev_b32_e32 v3, 1, v0
	v_mov_b32_e32 v4, s14
	v_add_co_u32_e32 v3, vcc, s13, v3
	v_addc_co_u32_e32 v4, vcc, 0, v4, vcc
	flat_load_ushort v3, v[3:4] offset:512
	s_mov_b32 s6, 0x5040100
	s_waitcnt vmcnt(0) lgkmcnt(0)
	v_perm_b32 v1, v3, v1, s6
.LBB416_24:
	s_or_b64 exec, exec, s[4:5]
	v_or_b32_e32 v3, 0x200, v0
	v_cmp_gt_u32_e64 s[4:5], s10, v3
	s_and_saveexec_b64 s[6:7], s[4:5]
	s_cbranch_execz .LBB416_26
; %bb.25:
	v_lshlrev_b32_e32 v3, 1, v0
	v_mov_b32_e32 v4, s14
	v_add_co_u32_e32 v3, vcc, s13, v3
	v_addc_co_u32_e32 v4, vcc, 0, v4, vcc
	flat_load_ushort v3, v[3:4] offset:1024
	s_mov_b32 s11, 0xffff
	s_waitcnt vmcnt(0) lgkmcnt(0)
	v_bfi_b32 v2, s11, v3, v2
.LBB416_26:
	s_or_b64 exec, exec, s[6:7]
	v_or_b32_e32 v3, 0x300, v0
	v_cmp_gt_u32_e64 s[6:7], s10, v3
	s_and_saveexec_b64 s[10:11], s[6:7]
	s_cbranch_execz .LBB416_28
; %bb.27:
	v_lshlrev_b32_e32 v3, 1, v0
	v_mov_b32_e32 v4, s14
	v_add_co_u32_e32 v3, vcc, s13, v3
	v_addc_co_u32_e32 v4, vcc, 0, v4, vcc
	flat_load_ushort v3, v[3:4] offset:1536
	s_mov_b32 s12, 0x5040100
	s_waitcnt vmcnt(0) lgkmcnt(0)
	v_perm_b32 v2, v3, v2, s12
.LBB416_28:
	s_or_b64 exec, exec, s[10:11]
	s_cmp_lg_u64 s[18:19], 0
	s_cselect_b64 s[10:11], -1, 0
                                        ; implicit-def: $vgpr3_vgpr4
	s_and_saveexec_b64 s[12:13], s[0:1]
	s_cbranch_execnz .LBB416_32
; %bb.29:
	s_or_b64 exec, exec, s[12:13]
                                        ; implicit-def: $vgpr5_vgpr6
	s_and_saveexec_b64 s[12:13], s[2:3]
	s_cbranch_execnz .LBB416_37
.LBB416_30:
	s_or_b64 exec, exec, s[12:13]
                                        ; implicit-def: $vgpr9_vgpr10
	s_and_saveexec_b64 s[12:13], s[4:5]
	s_cbranch_execnz .LBB416_42
.LBB416_31:
	s_or_b64 exec, exec, s[12:13]
                                        ; implicit-def: $vgpr7_vgpr8
	s_and_saveexec_b64 s[12:13], s[6:7]
	s_cbranch_execnz .LBB416_47
	s_branch .LBB416_52
.LBB416_32:
	s_andn2_b64 vcc, exec, s[10:11]
	s_cbranch_vccnz .LBB416_36
; %bb.33:
	v_mov_b32_e32 v3, 0
	v_mov_b32_e32 v5, s18
	s_mov_b64 s[14:15], 0
	v_mov_b32_e32 v4, 0
	v_mov_b32_e32 v6, s19
	;; [unrolled: 1-line block ×3, first 2 shown]
.LBB416_34:                             ; =>This Inner Loop Header: Depth=1
	v_sub_co_u32_e32 v8, vcc, v5, v3
	v_subb_co_u32_e32 v9, vcc, v6, v4, vcc
	v_lshrrev_b64 v[10:11], 1, v[8:9]
	v_lshrrev_b64 v[8:9], 6, v[8:9]
	v_add_co_u32_e32 v10, vcc, v10, v3
	v_addc_co_u32_e32 v11, vcc, v11, v4, vcc
	v_add_co_u32_e32 v8, vcc, v10, v8
	v_addc_co_u32_e32 v9, vcc, v11, v9, vcc
	v_lshlrev_b64 v[10:11], 1, v[8:9]
	v_add_co_u32_e32 v10, vcc, s16, v10
	v_addc_co_u32_e32 v11, vcc, v7, v11, vcc
	global_load_ushort v10, v[10:11], off
	v_add_co_u32_e32 v11, vcc, 1, v8
	v_addc_co_u32_e32 v12, vcc, 0, v9, vcc
	s_waitcnt vmcnt(0)
	v_cmp_lt_i16_e32 vcc, v10, v1
	v_cndmask_b32_e32 v6, v9, v6, vcc
	v_cndmask_b32_e32 v5, v8, v5, vcc
	v_cndmask_b32_e32 v4, v4, v12, vcc
	v_cndmask_b32_e32 v3, v3, v11, vcc
	v_cmp_ge_u64_e32 vcc, v[3:4], v[5:6]
	s_or_b64 s[14:15], vcc, s[14:15]
	s_andn2_b64 exec, exec, s[14:15]
	s_cbranch_execnz .LBB416_34
; %bb.35:
	s_or_b64 exec, exec, s[14:15]
	s_or_b64 exec, exec, s[12:13]
                                        ; implicit-def: $vgpr5_vgpr6
	s_and_saveexec_b64 s[12:13], s[2:3]
	s_cbranch_execz .LBB416_30
	s_branch .LBB416_37
.LBB416_36:
	v_mov_b32_e32 v3, 0
	v_mov_b32_e32 v4, 0
	s_or_b64 exec, exec, s[12:13]
                                        ; implicit-def: $vgpr5_vgpr6
	s_and_saveexec_b64 s[12:13], s[2:3]
	s_cbranch_execz .LBB416_30
.LBB416_37:
	s_andn2_b64 vcc, exec, s[10:11]
	s_cbranch_vccnz .LBB416_41
; %bb.38:
	v_mov_b32_e32 v5, 0
	v_mov_b32_e32 v7, s18
	s_mov_b64 s[14:15], 0
	v_mov_b32_e32 v6, 0
	v_mov_b32_e32 v8, s19
	;; [unrolled: 1-line block ×3, first 2 shown]
.LBB416_39:                             ; =>This Inner Loop Header: Depth=1
	v_sub_co_u32_e32 v10, vcc, v7, v5
	v_subb_co_u32_e32 v11, vcc, v8, v6, vcc
	v_lshrrev_b64 v[12:13], 1, v[10:11]
	v_lshrrev_b64 v[10:11], 6, v[10:11]
	v_add_co_u32_e32 v12, vcc, v12, v5
	v_addc_co_u32_e32 v13, vcc, v13, v6, vcc
	v_add_co_u32_e32 v10, vcc, v12, v10
	v_addc_co_u32_e32 v11, vcc, v13, v11, vcc
	v_lshlrev_b64 v[12:13], 1, v[10:11]
	v_add_co_u32_e32 v12, vcc, s16, v12
	v_addc_co_u32_e32 v13, vcc, v9, v13, vcc
	global_load_ushort v12, v[12:13], off
	v_add_co_u32_e32 v13, vcc, 1, v10
	v_addc_co_u32_e32 v14, vcc, 0, v11, vcc
	s_waitcnt vmcnt(0)
	v_cmp_lt_i16_sdwa vcc, v12, v1 src0_sel:DWORD src1_sel:WORD_1
	v_cndmask_b32_e32 v8, v11, v8, vcc
	v_cndmask_b32_e32 v7, v10, v7, vcc
	;; [unrolled: 1-line block ×4, first 2 shown]
	v_cmp_ge_u64_e32 vcc, v[5:6], v[7:8]
	s_or_b64 s[14:15], vcc, s[14:15]
	s_andn2_b64 exec, exec, s[14:15]
	s_cbranch_execnz .LBB416_39
; %bb.40:
	s_or_b64 exec, exec, s[14:15]
	s_or_b64 exec, exec, s[12:13]
                                        ; implicit-def: $vgpr9_vgpr10
	s_and_saveexec_b64 s[12:13], s[4:5]
	s_cbranch_execz .LBB416_31
	s_branch .LBB416_42
.LBB416_41:
	v_mov_b32_e32 v5, 0
	v_mov_b32_e32 v6, 0
	s_or_b64 exec, exec, s[12:13]
                                        ; implicit-def: $vgpr9_vgpr10
	s_and_saveexec_b64 s[12:13], s[4:5]
	s_cbranch_execz .LBB416_31
.LBB416_42:
	s_andn2_b64 vcc, exec, s[10:11]
	s_cbranch_vccnz .LBB416_46
; %bb.43:
	v_mov_b32_e32 v9, 0
	v_mov_b32_e32 v7, s18
	s_mov_b64 s[14:15], 0
	v_mov_b32_e32 v10, 0
	v_mov_b32_e32 v8, s19
	;; [unrolled: 1-line block ×3, first 2 shown]
.LBB416_44:                             ; =>This Inner Loop Header: Depth=1
	v_sub_co_u32_e32 v11, vcc, v7, v9
	v_subb_co_u32_e32 v12, vcc, v8, v10, vcc
	v_lshrrev_b64 v[13:14], 1, v[11:12]
	v_lshrrev_b64 v[11:12], 6, v[11:12]
	v_add_co_u32_e32 v13, vcc, v13, v9
	v_addc_co_u32_e32 v14, vcc, v14, v10, vcc
	v_add_co_u32_e32 v11, vcc, v13, v11
	v_addc_co_u32_e32 v12, vcc, v14, v12, vcc
	v_lshlrev_b64 v[13:14], 1, v[11:12]
	v_add_co_u32_e32 v13, vcc, s16, v13
	v_addc_co_u32_e32 v14, vcc, v1, v14, vcc
	global_load_ushort v13, v[13:14], off
	v_add_co_u32_e32 v14, vcc, 1, v11
	v_addc_co_u32_e32 v15, vcc, 0, v12, vcc
	s_waitcnt vmcnt(0)
	v_cmp_lt_i16_e32 vcc, v13, v2
	v_cndmask_b32_e32 v8, v12, v8, vcc
	v_cndmask_b32_e32 v7, v11, v7, vcc
	;; [unrolled: 1-line block ×4, first 2 shown]
	v_cmp_ge_u64_e32 vcc, v[9:10], v[7:8]
	s_or_b64 s[14:15], vcc, s[14:15]
	s_andn2_b64 exec, exec, s[14:15]
	s_cbranch_execnz .LBB416_44
; %bb.45:
	s_or_b64 exec, exec, s[14:15]
	s_or_b64 exec, exec, s[12:13]
                                        ; implicit-def: $vgpr7_vgpr8
	s_and_saveexec_b64 s[12:13], s[6:7]
	s_cbranch_execnz .LBB416_47
	s_branch .LBB416_52
.LBB416_46:
	v_mov_b32_e32 v9, 0
	v_mov_b32_e32 v10, 0
	s_or_b64 exec, exec, s[12:13]
                                        ; implicit-def: $vgpr7_vgpr8
	s_and_saveexec_b64 s[12:13], s[6:7]
	s_cbranch_execz .LBB416_52
.LBB416_47:
	s_andn2_b64 vcc, exec, s[10:11]
	s_cbranch_vccnz .LBB416_51
; %bb.48:
	v_mov_b32_e32 v7, 0
	v_mov_b32_e32 v11, s18
	s_mov_b64 s[10:11], 0
	v_mov_b32_e32 v8, 0
	v_mov_b32_e32 v12, s19
	;; [unrolled: 1-line block ×3, first 2 shown]
.LBB416_49:                             ; =>This Inner Loop Header: Depth=1
	v_sub_co_u32_e32 v13, vcc, v11, v7
	v_subb_co_u32_e32 v14, vcc, v12, v8, vcc
	v_lshrrev_b64 v[15:16], 1, v[13:14]
	v_lshrrev_b64 v[13:14], 6, v[13:14]
	v_add_co_u32_e32 v15, vcc, v15, v7
	v_addc_co_u32_e32 v16, vcc, v16, v8, vcc
	v_add_co_u32_e32 v13, vcc, v15, v13
	v_addc_co_u32_e32 v14, vcc, v16, v14, vcc
	v_lshlrev_b64 v[15:16], 1, v[13:14]
	v_add_co_u32_e32 v15, vcc, s16, v15
	v_addc_co_u32_e32 v16, vcc, v1, v16, vcc
	global_load_ushort v15, v[15:16], off
	v_add_co_u32_e32 v16, vcc, 1, v13
	v_addc_co_u32_e32 v17, vcc, 0, v14, vcc
	s_waitcnt vmcnt(0)
	v_cmp_lt_i16_sdwa vcc, v15, v2 src0_sel:DWORD src1_sel:WORD_1
	v_cndmask_b32_e32 v12, v14, v12, vcc
	v_cndmask_b32_e32 v11, v13, v11, vcc
	;; [unrolled: 1-line block ×4, first 2 shown]
	v_cmp_ge_u64_e32 vcc, v[7:8], v[11:12]
	s_or_b64 s[10:11], vcc, s[10:11]
	s_andn2_b64 exec, exec, s[10:11]
	s_cbranch_execnz .LBB416_49
; %bb.50:
	s_or_b64 exec, exec, s[10:11]
	s_branch .LBB416_52
.LBB416_51:
	v_mov_b32_e32 v7, 0
	v_mov_b32_e32 v8, 0
.LBB416_52:
	s_or_b64 exec, exec, s[12:13]
	s_lshl_b64 s[8:9], s[8:9], 3
	s_add_u32 s8, s20, s8
	s_addc_u32 s9, s21, s9
	v_lshlrev_b32_e32 v0, 3, v0
	v_mov_b32_e32 v1, s9
	v_add_co_u32_e32 v11, vcc, s8, v0
	v_addc_co_u32_e32 v12, vcc, 0, v1, vcc
	s_and_saveexec_b64 s[8:9], s[0:1]
	s_xor_b64 s[0:1], exec, s[8:9]
	s_cbranch_execz .LBB416_54
; %bb.53:
	flat_store_dwordx2 v[11:12], v[3:4]
.LBB416_54:
	s_or_b64 exec, exec, s[0:1]
	s_and_saveexec_b64 s[0:1], s[2:3]
	s_cbranch_execz .LBB416_56
; %bb.55:
	flat_store_dwordx2 v[11:12], v[5:6] offset:2048
.LBB416_56:
	s_or_b64 exec, exec, s[0:1]
	s_and_saveexec_b64 s[0:1], s[4:5]
	s_cbranch_execz .LBB416_58
; %bb.57:
	v_add_co_u32_e32 v0, vcc, 0x1000, v11
	v_addc_co_u32_e32 v1, vcc, 0, v12, vcc
	flat_store_dwordx2 v[0:1], v[9:10]
.LBB416_58:
	s_or_b64 exec, exec, s[0:1]
.LBB416_59:
	s_and_saveexec_b64 s[0:1], s[6:7]
	s_cbranch_execnz .LBB416_61
; %bb.60:
	s_endpgm
.LBB416_61:
	v_add_co_u32_e32 v0, vcc, 0x1000, v11
	v_addc_co_u32_e32 v1, vcc, 0, v12, vcc
	flat_store_dwordx2 v[0:1], v[7:8] offset:2048
	s_endpgm
	.section	.rodata,"a",@progbits
	.p2align	6, 0x0
	.amdhsa_kernel _ZN7rocprim17ROCPRIM_400000_NS6detail17trampoline_kernelINS0_14default_configENS1_27lower_bound_config_selectorIslEEZNS1_14transform_implILb0ES3_S5_N6thrust23THRUST_200600_302600_NS6detail15normal_iteratorINS8_7pointerIsNS8_11hip_rocprim5par_tENS8_11use_defaultESE_EEEENSA_INSB_IlSD_SE_SE_EEEEZNS1_13binary_searchIS3_S5_NSA_INS8_10device_ptrIsEEEESG_SI_NS1_21lower_bound_search_opENS9_16wrapped_functionINS8_6system6detail7generic6detail18binary_search_lessEbEEEE10hipError_tPvRmT1_T2_T3_mmT4_T5_P12ihipStream_tbEUlRKsE_EESV_SZ_S10_mS11_S14_bEUlT_E_NS1_11comp_targetILNS1_3genE2ELNS1_11target_archE906ELNS1_3gpuE6ELNS1_3repE0EEENS1_30default_config_static_selectorELNS0_4arch9wavefront6targetE1EEEvSY_
		.amdhsa_group_segment_fixed_size 0
		.amdhsa_private_segment_fixed_size 0
		.amdhsa_kernarg_size 312
		.amdhsa_user_sgpr_count 6
		.amdhsa_user_sgpr_private_segment_buffer 1
		.amdhsa_user_sgpr_dispatch_ptr 0
		.amdhsa_user_sgpr_queue_ptr 0
		.amdhsa_user_sgpr_kernarg_segment_ptr 1
		.amdhsa_user_sgpr_dispatch_id 0
		.amdhsa_user_sgpr_flat_scratch_init 0
		.amdhsa_user_sgpr_private_segment_size 0
		.amdhsa_uses_dynamic_stack 0
		.amdhsa_system_sgpr_private_segment_wavefront_offset 0
		.amdhsa_system_sgpr_workgroup_id_x 1
		.amdhsa_system_sgpr_workgroup_id_y 0
		.amdhsa_system_sgpr_workgroup_id_z 0
		.amdhsa_system_sgpr_workgroup_info 0
		.amdhsa_system_vgpr_workitem_id 0
		.amdhsa_next_free_vgpr 18
		.amdhsa_next_free_sgpr 22
		.amdhsa_reserve_vcc 1
		.amdhsa_reserve_flat_scratch 0
		.amdhsa_float_round_mode_32 0
		.amdhsa_float_round_mode_16_64 0
		.amdhsa_float_denorm_mode_32 3
		.amdhsa_float_denorm_mode_16_64 3
		.amdhsa_dx10_clamp 1
		.amdhsa_ieee_mode 1
		.amdhsa_fp16_overflow 0
		.amdhsa_exception_fp_ieee_invalid_op 0
		.amdhsa_exception_fp_denorm_src 0
		.amdhsa_exception_fp_ieee_div_zero 0
		.amdhsa_exception_fp_ieee_overflow 0
		.amdhsa_exception_fp_ieee_underflow 0
		.amdhsa_exception_fp_ieee_inexact 0
		.amdhsa_exception_int_div_zero 0
	.end_amdhsa_kernel
	.section	.text._ZN7rocprim17ROCPRIM_400000_NS6detail17trampoline_kernelINS0_14default_configENS1_27lower_bound_config_selectorIslEEZNS1_14transform_implILb0ES3_S5_N6thrust23THRUST_200600_302600_NS6detail15normal_iteratorINS8_7pointerIsNS8_11hip_rocprim5par_tENS8_11use_defaultESE_EEEENSA_INSB_IlSD_SE_SE_EEEEZNS1_13binary_searchIS3_S5_NSA_INS8_10device_ptrIsEEEESG_SI_NS1_21lower_bound_search_opENS9_16wrapped_functionINS8_6system6detail7generic6detail18binary_search_lessEbEEEE10hipError_tPvRmT1_T2_T3_mmT4_T5_P12ihipStream_tbEUlRKsE_EESV_SZ_S10_mS11_S14_bEUlT_E_NS1_11comp_targetILNS1_3genE2ELNS1_11target_archE906ELNS1_3gpuE6ELNS1_3repE0EEENS1_30default_config_static_selectorELNS0_4arch9wavefront6targetE1EEEvSY_,"axG",@progbits,_ZN7rocprim17ROCPRIM_400000_NS6detail17trampoline_kernelINS0_14default_configENS1_27lower_bound_config_selectorIslEEZNS1_14transform_implILb0ES3_S5_N6thrust23THRUST_200600_302600_NS6detail15normal_iteratorINS8_7pointerIsNS8_11hip_rocprim5par_tENS8_11use_defaultESE_EEEENSA_INSB_IlSD_SE_SE_EEEEZNS1_13binary_searchIS3_S5_NSA_INS8_10device_ptrIsEEEESG_SI_NS1_21lower_bound_search_opENS9_16wrapped_functionINS8_6system6detail7generic6detail18binary_search_lessEbEEEE10hipError_tPvRmT1_T2_T3_mmT4_T5_P12ihipStream_tbEUlRKsE_EESV_SZ_S10_mS11_S14_bEUlT_E_NS1_11comp_targetILNS1_3genE2ELNS1_11target_archE906ELNS1_3gpuE6ELNS1_3repE0EEENS1_30default_config_static_selectorELNS0_4arch9wavefront6targetE1EEEvSY_,comdat
.Lfunc_end416:
	.size	_ZN7rocprim17ROCPRIM_400000_NS6detail17trampoline_kernelINS0_14default_configENS1_27lower_bound_config_selectorIslEEZNS1_14transform_implILb0ES3_S5_N6thrust23THRUST_200600_302600_NS6detail15normal_iteratorINS8_7pointerIsNS8_11hip_rocprim5par_tENS8_11use_defaultESE_EEEENSA_INSB_IlSD_SE_SE_EEEEZNS1_13binary_searchIS3_S5_NSA_INS8_10device_ptrIsEEEESG_SI_NS1_21lower_bound_search_opENS9_16wrapped_functionINS8_6system6detail7generic6detail18binary_search_lessEbEEEE10hipError_tPvRmT1_T2_T3_mmT4_T5_P12ihipStream_tbEUlRKsE_EESV_SZ_S10_mS11_S14_bEUlT_E_NS1_11comp_targetILNS1_3genE2ELNS1_11target_archE906ELNS1_3gpuE6ELNS1_3repE0EEENS1_30default_config_static_selectorELNS0_4arch9wavefront6targetE1EEEvSY_, .Lfunc_end416-_ZN7rocprim17ROCPRIM_400000_NS6detail17trampoline_kernelINS0_14default_configENS1_27lower_bound_config_selectorIslEEZNS1_14transform_implILb0ES3_S5_N6thrust23THRUST_200600_302600_NS6detail15normal_iteratorINS8_7pointerIsNS8_11hip_rocprim5par_tENS8_11use_defaultESE_EEEENSA_INSB_IlSD_SE_SE_EEEEZNS1_13binary_searchIS3_S5_NSA_INS8_10device_ptrIsEEEESG_SI_NS1_21lower_bound_search_opENS9_16wrapped_functionINS8_6system6detail7generic6detail18binary_search_lessEbEEEE10hipError_tPvRmT1_T2_T3_mmT4_T5_P12ihipStream_tbEUlRKsE_EESV_SZ_S10_mS11_S14_bEUlT_E_NS1_11comp_targetILNS1_3genE2ELNS1_11target_archE906ELNS1_3gpuE6ELNS1_3repE0EEENS1_30default_config_static_selectorELNS0_4arch9wavefront6targetE1EEEvSY_
                                        ; -- End function
	.set _ZN7rocprim17ROCPRIM_400000_NS6detail17trampoline_kernelINS0_14default_configENS1_27lower_bound_config_selectorIslEEZNS1_14transform_implILb0ES3_S5_N6thrust23THRUST_200600_302600_NS6detail15normal_iteratorINS8_7pointerIsNS8_11hip_rocprim5par_tENS8_11use_defaultESE_EEEENSA_INSB_IlSD_SE_SE_EEEEZNS1_13binary_searchIS3_S5_NSA_INS8_10device_ptrIsEEEESG_SI_NS1_21lower_bound_search_opENS9_16wrapped_functionINS8_6system6detail7generic6detail18binary_search_lessEbEEEE10hipError_tPvRmT1_T2_T3_mmT4_T5_P12ihipStream_tbEUlRKsE_EESV_SZ_S10_mS11_S14_bEUlT_E_NS1_11comp_targetILNS1_3genE2ELNS1_11target_archE906ELNS1_3gpuE6ELNS1_3repE0EEENS1_30default_config_static_selectorELNS0_4arch9wavefront6targetE1EEEvSY_.num_vgpr, 18
	.set _ZN7rocprim17ROCPRIM_400000_NS6detail17trampoline_kernelINS0_14default_configENS1_27lower_bound_config_selectorIslEEZNS1_14transform_implILb0ES3_S5_N6thrust23THRUST_200600_302600_NS6detail15normal_iteratorINS8_7pointerIsNS8_11hip_rocprim5par_tENS8_11use_defaultESE_EEEENSA_INSB_IlSD_SE_SE_EEEEZNS1_13binary_searchIS3_S5_NSA_INS8_10device_ptrIsEEEESG_SI_NS1_21lower_bound_search_opENS9_16wrapped_functionINS8_6system6detail7generic6detail18binary_search_lessEbEEEE10hipError_tPvRmT1_T2_T3_mmT4_T5_P12ihipStream_tbEUlRKsE_EESV_SZ_S10_mS11_S14_bEUlT_E_NS1_11comp_targetILNS1_3genE2ELNS1_11target_archE906ELNS1_3gpuE6ELNS1_3repE0EEENS1_30default_config_static_selectorELNS0_4arch9wavefront6targetE1EEEvSY_.num_agpr, 0
	.set _ZN7rocprim17ROCPRIM_400000_NS6detail17trampoline_kernelINS0_14default_configENS1_27lower_bound_config_selectorIslEEZNS1_14transform_implILb0ES3_S5_N6thrust23THRUST_200600_302600_NS6detail15normal_iteratorINS8_7pointerIsNS8_11hip_rocprim5par_tENS8_11use_defaultESE_EEEENSA_INSB_IlSD_SE_SE_EEEEZNS1_13binary_searchIS3_S5_NSA_INS8_10device_ptrIsEEEESG_SI_NS1_21lower_bound_search_opENS9_16wrapped_functionINS8_6system6detail7generic6detail18binary_search_lessEbEEEE10hipError_tPvRmT1_T2_T3_mmT4_T5_P12ihipStream_tbEUlRKsE_EESV_SZ_S10_mS11_S14_bEUlT_E_NS1_11comp_targetILNS1_3genE2ELNS1_11target_archE906ELNS1_3gpuE6ELNS1_3repE0EEENS1_30default_config_static_selectorELNS0_4arch9wavefront6targetE1EEEvSY_.numbered_sgpr, 22
	.set _ZN7rocprim17ROCPRIM_400000_NS6detail17trampoline_kernelINS0_14default_configENS1_27lower_bound_config_selectorIslEEZNS1_14transform_implILb0ES3_S5_N6thrust23THRUST_200600_302600_NS6detail15normal_iteratorINS8_7pointerIsNS8_11hip_rocprim5par_tENS8_11use_defaultESE_EEEENSA_INSB_IlSD_SE_SE_EEEEZNS1_13binary_searchIS3_S5_NSA_INS8_10device_ptrIsEEEESG_SI_NS1_21lower_bound_search_opENS9_16wrapped_functionINS8_6system6detail7generic6detail18binary_search_lessEbEEEE10hipError_tPvRmT1_T2_T3_mmT4_T5_P12ihipStream_tbEUlRKsE_EESV_SZ_S10_mS11_S14_bEUlT_E_NS1_11comp_targetILNS1_3genE2ELNS1_11target_archE906ELNS1_3gpuE6ELNS1_3repE0EEENS1_30default_config_static_selectorELNS0_4arch9wavefront6targetE1EEEvSY_.num_named_barrier, 0
	.set _ZN7rocprim17ROCPRIM_400000_NS6detail17trampoline_kernelINS0_14default_configENS1_27lower_bound_config_selectorIslEEZNS1_14transform_implILb0ES3_S5_N6thrust23THRUST_200600_302600_NS6detail15normal_iteratorINS8_7pointerIsNS8_11hip_rocprim5par_tENS8_11use_defaultESE_EEEENSA_INSB_IlSD_SE_SE_EEEEZNS1_13binary_searchIS3_S5_NSA_INS8_10device_ptrIsEEEESG_SI_NS1_21lower_bound_search_opENS9_16wrapped_functionINS8_6system6detail7generic6detail18binary_search_lessEbEEEE10hipError_tPvRmT1_T2_T3_mmT4_T5_P12ihipStream_tbEUlRKsE_EESV_SZ_S10_mS11_S14_bEUlT_E_NS1_11comp_targetILNS1_3genE2ELNS1_11target_archE906ELNS1_3gpuE6ELNS1_3repE0EEENS1_30default_config_static_selectorELNS0_4arch9wavefront6targetE1EEEvSY_.private_seg_size, 0
	.set _ZN7rocprim17ROCPRIM_400000_NS6detail17trampoline_kernelINS0_14default_configENS1_27lower_bound_config_selectorIslEEZNS1_14transform_implILb0ES3_S5_N6thrust23THRUST_200600_302600_NS6detail15normal_iteratorINS8_7pointerIsNS8_11hip_rocprim5par_tENS8_11use_defaultESE_EEEENSA_INSB_IlSD_SE_SE_EEEEZNS1_13binary_searchIS3_S5_NSA_INS8_10device_ptrIsEEEESG_SI_NS1_21lower_bound_search_opENS9_16wrapped_functionINS8_6system6detail7generic6detail18binary_search_lessEbEEEE10hipError_tPvRmT1_T2_T3_mmT4_T5_P12ihipStream_tbEUlRKsE_EESV_SZ_S10_mS11_S14_bEUlT_E_NS1_11comp_targetILNS1_3genE2ELNS1_11target_archE906ELNS1_3gpuE6ELNS1_3repE0EEENS1_30default_config_static_selectorELNS0_4arch9wavefront6targetE1EEEvSY_.uses_vcc, 1
	.set _ZN7rocprim17ROCPRIM_400000_NS6detail17trampoline_kernelINS0_14default_configENS1_27lower_bound_config_selectorIslEEZNS1_14transform_implILb0ES3_S5_N6thrust23THRUST_200600_302600_NS6detail15normal_iteratorINS8_7pointerIsNS8_11hip_rocprim5par_tENS8_11use_defaultESE_EEEENSA_INSB_IlSD_SE_SE_EEEEZNS1_13binary_searchIS3_S5_NSA_INS8_10device_ptrIsEEEESG_SI_NS1_21lower_bound_search_opENS9_16wrapped_functionINS8_6system6detail7generic6detail18binary_search_lessEbEEEE10hipError_tPvRmT1_T2_T3_mmT4_T5_P12ihipStream_tbEUlRKsE_EESV_SZ_S10_mS11_S14_bEUlT_E_NS1_11comp_targetILNS1_3genE2ELNS1_11target_archE906ELNS1_3gpuE6ELNS1_3repE0EEENS1_30default_config_static_selectorELNS0_4arch9wavefront6targetE1EEEvSY_.uses_flat_scratch, 0
	.set _ZN7rocprim17ROCPRIM_400000_NS6detail17trampoline_kernelINS0_14default_configENS1_27lower_bound_config_selectorIslEEZNS1_14transform_implILb0ES3_S5_N6thrust23THRUST_200600_302600_NS6detail15normal_iteratorINS8_7pointerIsNS8_11hip_rocprim5par_tENS8_11use_defaultESE_EEEENSA_INSB_IlSD_SE_SE_EEEEZNS1_13binary_searchIS3_S5_NSA_INS8_10device_ptrIsEEEESG_SI_NS1_21lower_bound_search_opENS9_16wrapped_functionINS8_6system6detail7generic6detail18binary_search_lessEbEEEE10hipError_tPvRmT1_T2_T3_mmT4_T5_P12ihipStream_tbEUlRKsE_EESV_SZ_S10_mS11_S14_bEUlT_E_NS1_11comp_targetILNS1_3genE2ELNS1_11target_archE906ELNS1_3gpuE6ELNS1_3repE0EEENS1_30default_config_static_selectorELNS0_4arch9wavefront6targetE1EEEvSY_.has_dyn_sized_stack, 0
	.set _ZN7rocprim17ROCPRIM_400000_NS6detail17trampoline_kernelINS0_14default_configENS1_27lower_bound_config_selectorIslEEZNS1_14transform_implILb0ES3_S5_N6thrust23THRUST_200600_302600_NS6detail15normal_iteratorINS8_7pointerIsNS8_11hip_rocprim5par_tENS8_11use_defaultESE_EEEENSA_INSB_IlSD_SE_SE_EEEEZNS1_13binary_searchIS3_S5_NSA_INS8_10device_ptrIsEEEESG_SI_NS1_21lower_bound_search_opENS9_16wrapped_functionINS8_6system6detail7generic6detail18binary_search_lessEbEEEE10hipError_tPvRmT1_T2_T3_mmT4_T5_P12ihipStream_tbEUlRKsE_EESV_SZ_S10_mS11_S14_bEUlT_E_NS1_11comp_targetILNS1_3genE2ELNS1_11target_archE906ELNS1_3gpuE6ELNS1_3repE0EEENS1_30default_config_static_selectorELNS0_4arch9wavefront6targetE1EEEvSY_.has_recursion, 0
	.set _ZN7rocprim17ROCPRIM_400000_NS6detail17trampoline_kernelINS0_14default_configENS1_27lower_bound_config_selectorIslEEZNS1_14transform_implILb0ES3_S5_N6thrust23THRUST_200600_302600_NS6detail15normal_iteratorINS8_7pointerIsNS8_11hip_rocprim5par_tENS8_11use_defaultESE_EEEENSA_INSB_IlSD_SE_SE_EEEEZNS1_13binary_searchIS3_S5_NSA_INS8_10device_ptrIsEEEESG_SI_NS1_21lower_bound_search_opENS9_16wrapped_functionINS8_6system6detail7generic6detail18binary_search_lessEbEEEE10hipError_tPvRmT1_T2_T3_mmT4_T5_P12ihipStream_tbEUlRKsE_EESV_SZ_S10_mS11_S14_bEUlT_E_NS1_11comp_targetILNS1_3genE2ELNS1_11target_archE906ELNS1_3gpuE6ELNS1_3repE0EEENS1_30default_config_static_selectorELNS0_4arch9wavefront6targetE1EEEvSY_.has_indirect_call, 0
	.section	.AMDGPU.csdata,"",@progbits
; Kernel info:
; codeLenInByte = 2136
; TotalNumSgprs: 26
; NumVgprs: 18
; ScratchSize: 0
; MemoryBound: 0
; FloatMode: 240
; IeeeMode: 1
; LDSByteSize: 0 bytes/workgroup (compile time only)
; SGPRBlocks: 3
; VGPRBlocks: 4
; NumSGPRsForWavesPerEU: 26
; NumVGPRsForWavesPerEU: 18
; Occupancy: 10
; WaveLimiterHint : 1
; COMPUTE_PGM_RSRC2:SCRATCH_EN: 0
; COMPUTE_PGM_RSRC2:USER_SGPR: 6
; COMPUTE_PGM_RSRC2:TRAP_HANDLER: 0
; COMPUTE_PGM_RSRC2:TGID_X_EN: 1
; COMPUTE_PGM_RSRC2:TGID_Y_EN: 0
; COMPUTE_PGM_RSRC2:TGID_Z_EN: 0
; COMPUTE_PGM_RSRC2:TIDIG_COMP_CNT: 0
	.section	.text._ZN7rocprim17ROCPRIM_400000_NS6detail17trampoline_kernelINS0_14default_configENS1_27lower_bound_config_selectorIslEEZNS1_14transform_implILb0ES3_S5_N6thrust23THRUST_200600_302600_NS6detail15normal_iteratorINS8_7pointerIsNS8_11hip_rocprim5par_tENS8_11use_defaultESE_EEEENSA_INSB_IlSD_SE_SE_EEEEZNS1_13binary_searchIS3_S5_NSA_INS8_10device_ptrIsEEEESG_SI_NS1_21lower_bound_search_opENS9_16wrapped_functionINS8_6system6detail7generic6detail18binary_search_lessEbEEEE10hipError_tPvRmT1_T2_T3_mmT4_T5_P12ihipStream_tbEUlRKsE_EESV_SZ_S10_mS11_S14_bEUlT_E_NS1_11comp_targetILNS1_3genE10ELNS1_11target_archE1201ELNS1_3gpuE5ELNS1_3repE0EEENS1_30default_config_static_selectorELNS0_4arch9wavefront6targetE1EEEvSY_,"axG",@progbits,_ZN7rocprim17ROCPRIM_400000_NS6detail17trampoline_kernelINS0_14default_configENS1_27lower_bound_config_selectorIslEEZNS1_14transform_implILb0ES3_S5_N6thrust23THRUST_200600_302600_NS6detail15normal_iteratorINS8_7pointerIsNS8_11hip_rocprim5par_tENS8_11use_defaultESE_EEEENSA_INSB_IlSD_SE_SE_EEEEZNS1_13binary_searchIS3_S5_NSA_INS8_10device_ptrIsEEEESG_SI_NS1_21lower_bound_search_opENS9_16wrapped_functionINS8_6system6detail7generic6detail18binary_search_lessEbEEEE10hipError_tPvRmT1_T2_T3_mmT4_T5_P12ihipStream_tbEUlRKsE_EESV_SZ_S10_mS11_S14_bEUlT_E_NS1_11comp_targetILNS1_3genE10ELNS1_11target_archE1201ELNS1_3gpuE5ELNS1_3repE0EEENS1_30default_config_static_selectorELNS0_4arch9wavefront6targetE1EEEvSY_,comdat
	.protected	_ZN7rocprim17ROCPRIM_400000_NS6detail17trampoline_kernelINS0_14default_configENS1_27lower_bound_config_selectorIslEEZNS1_14transform_implILb0ES3_S5_N6thrust23THRUST_200600_302600_NS6detail15normal_iteratorINS8_7pointerIsNS8_11hip_rocprim5par_tENS8_11use_defaultESE_EEEENSA_INSB_IlSD_SE_SE_EEEEZNS1_13binary_searchIS3_S5_NSA_INS8_10device_ptrIsEEEESG_SI_NS1_21lower_bound_search_opENS9_16wrapped_functionINS8_6system6detail7generic6detail18binary_search_lessEbEEEE10hipError_tPvRmT1_T2_T3_mmT4_T5_P12ihipStream_tbEUlRKsE_EESV_SZ_S10_mS11_S14_bEUlT_E_NS1_11comp_targetILNS1_3genE10ELNS1_11target_archE1201ELNS1_3gpuE5ELNS1_3repE0EEENS1_30default_config_static_selectorELNS0_4arch9wavefront6targetE1EEEvSY_ ; -- Begin function _ZN7rocprim17ROCPRIM_400000_NS6detail17trampoline_kernelINS0_14default_configENS1_27lower_bound_config_selectorIslEEZNS1_14transform_implILb0ES3_S5_N6thrust23THRUST_200600_302600_NS6detail15normal_iteratorINS8_7pointerIsNS8_11hip_rocprim5par_tENS8_11use_defaultESE_EEEENSA_INSB_IlSD_SE_SE_EEEEZNS1_13binary_searchIS3_S5_NSA_INS8_10device_ptrIsEEEESG_SI_NS1_21lower_bound_search_opENS9_16wrapped_functionINS8_6system6detail7generic6detail18binary_search_lessEbEEEE10hipError_tPvRmT1_T2_T3_mmT4_T5_P12ihipStream_tbEUlRKsE_EESV_SZ_S10_mS11_S14_bEUlT_E_NS1_11comp_targetILNS1_3genE10ELNS1_11target_archE1201ELNS1_3gpuE5ELNS1_3repE0EEENS1_30default_config_static_selectorELNS0_4arch9wavefront6targetE1EEEvSY_
	.globl	_ZN7rocprim17ROCPRIM_400000_NS6detail17trampoline_kernelINS0_14default_configENS1_27lower_bound_config_selectorIslEEZNS1_14transform_implILb0ES3_S5_N6thrust23THRUST_200600_302600_NS6detail15normal_iteratorINS8_7pointerIsNS8_11hip_rocprim5par_tENS8_11use_defaultESE_EEEENSA_INSB_IlSD_SE_SE_EEEEZNS1_13binary_searchIS3_S5_NSA_INS8_10device_ptrIsEEEESG_SI_NS1_21lower_bound_search_opENS9_16wrapped_functionINS8_6system6detail7generic6detail18binary_search_lessEbEEEE10hipError_tPvRmT1_T2_T3_mmT4_T5_P12ihipStream_tbEUlRKsE_EESV_SZ_S10_mS11_S14_bEUlT_E_NS1_11comp_targetILNS1_3genE10ELNS1_11target_archE1201ELNS1_3gpuE5ELNS1_3repE0EEENS1_30default_config_static_selectorELNS0_4arch9wavefront6targetE1EEEvSY_
	.p2align	8
	.type	_ZN7rocprim17ROCPRIM_400000_NS6detail17trampoline_kernelINS0_14default_configENS1_27lower_bound_config_selectorIslEEZNS1_14transform_implILb0ES3_S5_N6thrust23THRUST_200600_302600_NS6detail15normal_iteratorINS8_7pointerIsNS8_11hip_rocprim5par_tENS8_11use_defaultESE_EEEENSA_INSB_IlSD_SE_SE_EEEEZNS1_13binary_searchIS3_S5_NSA_INS8_10device_ptrIsEEEESG_SI_NS1_21lower_bound_search_opENS9_16wrapped_functionINS8_6system6detail7generic6detail18binary_search_lessEbEEEE10hipError_tPvRmT1_T2_T3_mmT4_T5_P12ihipStream_tbEUlRKsE_EESV_SZ_S10_mS11_S14_bEUlT_E_NS1_11comp_targetILNS1_3genE10ELNS1_11target_archE1201ELNS1_3gpuE5ELNS1_3repE0EEENS1_30default_config_static_selectorELNS0_4arch9wavefront6targetE1EEEvSY_,@function
_ZN7rocprim17ROCPRIM_400000_NS6detail17trampoline_kernelINS0_14default_configENS1_27lower_bound_config_selectorIslEEZNS1_14transform_implILb0ES3_S5_N6thrust23THRUST_200600_302600_NS6detail15normal_iteratorINS8_7pointerIsNS8_11hip_rocprim5par_tENS8_11use_defaultESE_EEEENSA_INSB_IlSD_SE_SE_EEEEZNS1_13binary_searchIS3_S5_NSA_INS8_10device_ptrIsEEEESG_SI_NS1_21lower_bound_search_opENS9_16wrapped_functionINS8_6system6detail7generic6detail18binary_search_lessEbEEEE10hipError_tPvRmT1_T2_T3_mmT4_T5_P12ihipStream_tbEUlRKsE_EESV_SZ_S10_mS11_S14_bEUlT_E_NS1_11comp_targetILNS1_3genE10ELNS1_11target_archE1201ELNS1_3gpuE5ELNS1_3repE0EEENS1_30default_config_static_selectorELNS0_4arch9wavefront6targetE1EEEvSY_: ; @_ZN7rocprim17ROCPRIM_400000_NS6detail17trampoline_kernelINS0_14default_configENS1_27lower_bound_config_selectorIslEEZNS1_14transform_implILb0ES3_S5_N6thrust23THRUST_200600_302600_NS6detail15normal_iteratorINS8_7pointerIsNS8_11hip_rocprim5par_tENS8_11use_defaultESE_EEEENSA_INSB_IlSD_SE_SE_EEEEZNS1_13binary_searchIS3_S5_NSA_INS8_10device_ptrIsEEEESG_SI_NS1_21lower_bound_search_opENS9_16wrapped_functionINS8_6system6detail7generic6detail18binary_search_lessEbEEEE10hipError_tPvRmT1_T2_T3_mmT4_T5_P12ihipStream_tbEUlRKsE_EESV_SZ_S10_mS11_S14_bEUlT_E_NS1_11comp_targetILNS1_3genE10ELNS1_11target_archE1201ELNS1_3gpuE5ELNS1_3repE0EEENS1_30default_config_static_selectorELNS0_4arch9wavefront6targetE1EEEvSY_
; %bb.0:
	.section	.rodata,"a",@progbits
	.p2align	6, 0x0
	.amdhsa_kernel _ZN7rocprim17ROCPRIM_400000_NS6detail17trampoline_kernelINS0_14default_configENS1_27lower_bound_config_selectorIslEEZNS1_14transform_implILb0ES3_S5_N6thrust23THRUST_200600_302600_NS6detail15normal_iteratorINS8_7pointerIsNS8_11hip_rocprim5par_tENS8_11use_defaultESE_EEEENSA_INSB_IlSD_SE_SE_EEEEZNS1_13binary_searchIS3_S5_NSA_INS8_10device_ptrIsEEEESG_SI_NS1_21lower_bound_search_opENS9_16wrapped_functionINS8_6system6detail7generic6detail18binary_search_lessEbEEEE10hipError_tPvRmT1_T2_T3_mmT4_T5_P12ihipStream_tbEUlRKsE_EESV_SZ_S10_mS11_S14_bEUlT_E_NS1_11comp_targetILNS1_3genE10ELNS1_11target_archE1201ELNS1_3gpuE5ELNS1_3repE0EEENS1_30default_config_static_selectorELNS0_4arch9wavefront6targetE1EEEvSY_
		.amdhsa_group_segment_fixed_size 0
		.amdhsa_private_segment_fixed_size 0
		.amdhsa_kernarg_size 56
		.amdhsa_user_sgpr_count 6
		.amdhsa_user_sgpr_private_segment_buffer 1
		.amdhsa_user_sgpr_dispatch_ptr 0
		.amdhsa_user_sgpr_queue_ptr 0
		.amdhsa_user_sgpr_kernarg_segment_ptr 1
		.amdhsa_user_sgpr_dispatch_id 0
		.amdhsa_user_sgpr_flat_scratch_init 0
		.amdhsa_user_sgpr_private_segment_size 0
		.amdhsa_uses_dynamic_stack 0
		.amdhsa_system_sgpr_private_segment_wavefront_offset 0
		.amdhsa_system_sgpr_workgroup_id_x 1
		.amdhsa_system_sgpr_workgroup_id_y 0
		.amdhsa_system_sgpr_workgroup_id_z 0
		.amdhsa_system_sgpr_workgroup_info 0
		.amdhsa_system_vgpr_workitem_id 0
		.amdhsa_next_free_vgpr 1
		.amdhsa_next_free_sgpr 0
		.amdhsa_reserve_vcc 0
		.amdhsa_reserve_flat_scratch 0
		.amdhsa_float_round_mode_32 0
		.amdhsa_float_round_mode_16_64 0
		.amdhsa_float_denorm_mode_32 3
		.amdhsa_float_denorm_mode_16_64 3
		.amdhsa_dx10_clamp 1
		.amdhsa_ieee_mode 1
		.amdhsa_fp16_overflow 0
		.amdhsa_exception_fp_ieee_invalid_op 0
		.amdhsa_exception_fp_denorm_src 0
		.amdhsa_exception_fp_ieee_div_zero 0
		.amdhsa_exception_fp_ieee_overflow 0
		.amdhsa_exception_fp_ieee_underflow 0
		.amdhsa_exception_fp_ieee_inexact 0
		.amdhsa_exception_int_div_zero 0
	.end_amdhsa_kernel
	.section	.text._ZN7rocprim17ROCPRIM_400000_NS6detail17trampoline_kernelINS0_14default_configENS1_27lower_bound_config_selectorIslEEZNS1_14transform_implILb0ES3_S5_N6thrust23THRUST_200600_302600_NS6detail15normal_iteratorINS8_7pointerIsNS8_11hip_rocprim5par_tENS8_11use_defaultESE_EEEENSA_INSB_IlSD_SE_SE_EEEEZNS1_13binary_searchIS3_S5_NSA_INS8_10device_ptrIsEEEESG_SI_NS1_21lower_bound_search_opENS9_16wrapped_functionINS8_6system6detail7generic6detail18binary_search_lessEbEEEE10hipError_tPvRmT1_T2_T3_mmT4_T5_P12ihipStream_tbEUlRKsE_EESV_SZ_S10_mS11_S14_bEUlT_E_NS1_11comp_targetILNS1_3genE10ELNS1_11target_archE1201ELNS1_3gpuE5ELNS1_3repE0EEENS1_30default_config_static_selectorELNS0_4arch9wavefront6targetE1EEEvSY_,"axG",@progbits,_ZN7rocprim17ROCPRIM_400000_NS6detail17trampoline_kernelINS0_14default_configENS1_27lower_bound_config_selectorIslEEZNS1_14transform_implILb0ES3_S5_N6thrust23THRUST_200600_302600_NS6detail15normal_iteratorINS8_7pointerIsNS8_11hip_rocprim5par_tENS8_11use_defaultESE_EEEENSA_INSB_IlSD_SE_SE_EEEEZNS1_13binary_searchIS3_S5_NSA_INS8_10device_ptrIsEEEESG_SI_NS1_21lower_bound_search_opENS9_16wrapped_functionINS8_6system6detail7generic6detail18binary_search_lessEbEEEE10hipError_tPvRmT1_T2_T3_mmT4_T5_P12ihipStream_tbEUlRKsE_EESV_SZ_S10_mS11_S14_bEUlT_E_NS1_11comp_targetILNS1_3genE10ELNS1_11target_archE1201ELNS1_3gpuE5ELNS1_3repE0EEENS1_30default_config_static_selectorELNS0_4arch9wavefront6targetE1EEEvSY_,comdat
.Lfunc_end417:
	.size	_ZN7rocprim17ROCPRIM_400000_NS6detail17trampoline_kernelINS0_14default_configENS1_27lower_bound_config_selectorIslEEZNS1_14transform_implILb0ES3_S5_N6thrust23THRUST_200600_302600_NS6detail15normal_iteratorINS8_7pointerIsNS8_11hip_rocprim5par_tENS8_11use_defaultESE_EEEENSA_INSB_IlSD_SE_SE_EEEEZNS1_13binary_searchIS3_S5_NSA_INS8_10device_ptrIsEEEESG_SI_NS1_21lower_bound_search_opENS9_16wrapped_functionINS8_6system6detail7generic6detail18binary_search_lessEbEEEE10hipError_tPvRmT1_T2_T3_mmT4_T5_P12ihipStream_tbEUlRKsE_EESV_SZ_S10_mS11_S14_bEUlT_E_NS1_11comp_targetILNS1_3genE10ELNS1_11target_archE1201ELNS1_3gpuE5ELNS1_3repE0EEENS1_30default_config_static_selectorELNS0_4arch9wavefront6targetE1EEEvSY_, .Lfunc_end417-_ZN7rocprim17ROCPRIM_400000_NS6detail17trampoline_kernelINS0_14default_configENS1_27lower_bound_config_selectorIslEEZNS1_14transform_implILb0ES3_S5_N6thrust23THRUST_200600_302600_NS6detail15normal_iteratorINS8_7pointerIsNS8_11hip_rocprim5par_tENS8_11use_defaultESE_EEEENSA_INSB_IlSD_SE_SE_EEEEZNS1_13binary_searchIS3_S5_NSA_INS8_10device_ptrIsEEEESG_SI_NS1_21lower_bound_search_opENS9_16wrapped_functionINS8_6system6detail7generic6detail18binary_search_lessEbEEEE10hipError_tPvRmT1_T2_T3_mmT4_T5_P12ihipStream_tbEUlRKsE_EESV_SZ_S10_mS11_S14_bEUlT_E_NS1_11comp_targetILNS1_3genE10ELNS1_11target_archE1201ELNS1_3gpuE5ELNS1_3repE0EEENS1_30default_config_static_selectorELNS0_4arch9wavefront6targetE1EEEvSY_
                                        ; -- End function
	.set _ZN7rocprim17ROCPRIM_400000_NS6detail17trampoline_kernelINS0_14default_configENS1_27lower_bound_config_selectorIslEEZNS1_14transform_implILb0ES3_S5_N6thrust23THRUST_200600_302600_NS6detail15normal_iteratorINS8_7pointerIsNS8_11hip_rocprim5par_tENS8_11use_defaultESE_EEEENSA_INSB_IlSD_SE_SE_EEEEZNS1_13binary_searchIS3_S5_NSA_INS8_10device_ptrIsEEEESG_SI_NS1_21lower_bound_search_opENS9_16wrapped_functionINS8_6system6detail7generic6detail18binary_search_lessEbEEEE10hipError_tPvRmT1_T2_T3_mmT4_T5_P12ihipStream_tbEUlRKsE_EESV_SZ_S10_mS11_S14_bEUlT_E_NS1_11comp_targetILNS1_3genE10ELNS1_11target_archE1201ELNS1_3gpuE5ELNS1_3repE0EEENS1_30default_config_static_selectorELNS0_4arch9wavefront6targetE1EEEvSY_.num_vgpr, 0
	.set _ZN7rocprim17ROCPRIM_400000_NS6detail17trampoline_kernelINS0_14default_configENS1_27lower_bound_config_selectorIslEEZNS1_14transform_implILb0ES3_S5_N6thrust23THRUST_200600_302600_NS6detail15normal_iteratorINS8_7pointerIsNS8_11hip_rocprim5par_tENS8_11use_defaultESE_EEEENSA_INSB_IlSD_SE_SE_EEEEZNS1_13binary_searchIS3_S5_NSA_INS8_10device_ptrIsEEEESG_SI_NS1_21lower_bound_search_opENS9_16wrapped_functionINS8_6system6detail7generic6detail18binary_search_lessEbEEEE10hipError_tPvRmT1_T2_T3_mmT4_T5_P12ihipStream_tbEUlRKsE_EESV_SZ_S10_mS11_S14_bEUlT_E_NS1_11comp_targetILNS1_3genE10ELNS1_11target_archE1201ELNS1_3gpuE5ELNS1_3repE0EEENS1_30default_config_static_selectorELNS0_4arch9wavefront6targetE1EEEvSY_.num_agpr, 0
	.set _ZN7rocprim17ROCPRIM_400000_NS6detail17trampoline_kernelINS0_14default_configENS1_27lower_bound_config_selectorIslEEZNS1_14transform_implILb0ES3_S5_N6thrust23THRUST_200600_302600_NS6detail15normal_iteratorINS8_7pointerIsNS8_11hip_rocprim5par_tENS8_11use_defaultESE_EEEENSA_INSB_IlSD_SE_SE_EEEEZNS1_13binary_searchIS3_S5_NSA_INS8_10device_ptrIsEEEESG_SI_NS1_21lower_bound_search_opENS9_16wrapped_functionINS8_6system6detail7generic6detail18binary_search_lessEbEEEE10hipError_tPvRmT1_T2_T3_mmT4_T5_P12ihipStream_tbEUlRKsE_EESV_SZ_S10_mS11_S14_bEUlT_E_NS1_11comp_targetILNS1_3genE10ELNS1_11target_archE1201ELNS1_3gpuE5ELNS1_3repE0EEENS1_30default_config_static_selectorELNS0_4arch9wavefront6targetE1EEEvSY_.numbered_sgpr, 0
	.set _ZN7rocprim17ROCPRIM_400000_NS6detail17trampoline_kernelINS0_14default_configENS1_27lower_bound_config_selectorIslEEZNS1_14transform_implILb0ES3_S5_N6thrust23THRUST_200600_302600_NS6detail15normal_iteratorINS8_7pointerIsNS8_11hip_rocprim5par_tENS8_11use_defaultESE_EEEENSA_INSB_IlSD_SE_SE_EEEEZNS1_13binary_searchIS3_S5_NSA_INS8_10device_ptrIsEEEESG_SI_NS1_21lower_bound_search_opENS9_16wrapped_functionINS8_6system6detail7generic6detail18binary_search_lessEbEEEE10hipError_tPvRmT1_T2_T3_mmT4_T5_P12ihipStream_tbEUlRKsE_EESV_SZ_S10_mS11_S14_bEUlT_E_NS1_11comp_targetILNS1_3genE10ELNS1_11target_archE1201ELNS1_3gpuE5ELNS1_3repE0EEENS1_30default_config_static_selectorELNS0_4arch9wavefront6targetE1EEEvSY_.num_named_barrier, 0
	.set _ZN7rocprim17ROCPRIM_400000_NS6detail17trampoline_kernelINS0_14default_configENS1_27lower_bound_config_selectorIslEEZNS1_14transform_implILb0ES3_S5_N6thrust23THRUST_200600_302600_NS6detail15normal_iteratorINS8_7pointerIsNS8_11hip_rocprim5par_tENS8_11use_defaultESE_EEEENSA_INSB_IlSD_SE_SE_EEEEZNS1_13binary_searchIS3_S5_NSA_INS8_10device_ptrIsEEEESG_SI_NS1_21lower_bound_search_opENS9_16wrapped_functionINS8_6system6detail7generic6detail18binary_search_lessEbEEEE10hipError_tPvRmT1_T2_T3_mmT4_T5_P12ihipStream_tbEUlRKsE_EESV_SZ_S10_mS11_S14_bEUlT_E_NS1_11comp_targetILNS1_3genE10ELNS1_11target_archE1201ELNS1_3gpuE5ELNS1_3repE0EEENS1_30default_config_static_selectorELNS0_4arch9wavefront6targetE1EEEvSY_.private_seg_size, 0
	.set _ZN7rocprim17ROCPRIM_400000_NS6detail17trampoline_kernelINS0_14default_configENS1_27lower_bound_config_selectorIslEEZNS1_14transform_implILb0ES3_S5_N6thrust23THRUST_200600_302600_NS6detail15normal_iteratorINS8_7pointerIsNS8_11hip_rocprim5par_tENS8_11use_defaultESE_EEEENSA_INSB_IlSD_SE_SE_EEEEZNS1_13binary_searchIS3_S5_NSA_INS8_10device_ptrIsEEEESG_SI_NS1_21lower_bound_search_opENS9_16wrapped_functionINS8_6system6detail7generic6detail18binary_search_lessEbEEEE10hipError_tPvRmT1_T2_T3_mmT4_T5_P12ihipStream_tbEUlRKsE_EESV_SZ_S10_mS11_S14_bEUlT_E_NS1_11comp_targetILNS1_3genE10ELNS1_11target_archE1201ELNS1_3gpuE5ELNS1_3repE0EEENS1_30default_config_static_selectorELNS0_4arch9wavefront6targetE1EEEvSY_.uses_vcc, 0
	.set _ZN7rocprim17ROCPRIM_400000_NS6detail17trampoline_kernelINS0_14default_configENS1_27lower_bound_config_selectorIslEEZNS1_14transform_implILb0ES3_S5_N6thrust23THRUST_200600_302600_NS6detail15normal_iteratorINS8_7pointerIsNS8_11hip_rocprim5par_tENS8_11use_defaultESE_EEEENSA_INSB_IlSD_SE_SE_EEEEZNS1_13binary_searchIS3_S5_NSA_INS8_10device_ptrIsEEEESG_SI_NS1_21lower_bound_search_opENS9_16wrapped_functionINS8_6system6detail7generic6detail18binary_search_lessEbEEEE10hipError_tPvRmT1_T2_T3_mmT4_T5_P12ihipStream_tbEUlRKsE_EESV_SZ_S10_mS11_S14_bEUlT_E_NS1_11comp_targetILNS1_3genE10ELNS1_11target_archE1201ELNS1_3gpuE5ELNS1_3repE0EEENS1_30default_config_static_selectorELNS0_4arch9wavefront6targetE1EEEvSY_.uses_flat_scratch, 0
	.set _ZN7rocprim17ROCPRIM_400000_NS6detail17trampoline_kernelINS0_14default_configENS1_27lower_bound_config_selectorIslEEZNS1_14transform_implILb0ES3_S5_N6thrust23THRUST_200600_302600_NS6detail15normal_iteratorINS8_7pointerIsNS8_11hip_rocprim5par_tENS8_11use_defaultESE_EEEENSA_INSB_IlSD_SE_SE_EEEEZNS1_13binary_searchIS3_S5_NSA_INS8_10device_ptrIsEEEESG_SI_NS1_21lower_bound_search_opENS9_16wrapped_functionINS8_6system6detail7generic6detail18binary_search_lessEbEEEE10hipError_tPvRmT1_T2_T3_mmT4_T5_P12ihipStream_tbEUlRKsE_EESV_SZ_S10_mS11_S14_bEUlT_E_NS1_11comp_targetILNS1_3genE10ELNS1_11target_archE1201ELNS1_3gpuE5ELNS1_3repE0EEENS1_30default_config_static_selectorELNS0_4arch9wavefront6targetE1EEEvSY_.has_dyn_sized_stack, 0
	.set _ZN7rocprim17ROCPRIM_400000_NS6detail17trampoline_kernelINS0_14default_configENS1_27lower_bound_config_selectorIslEEZNS1_14transform_implILb0ES3_S5_N6thrust23THRUST_200600_302600_NS6detail15normal_iteratorINS8_7pointerIsNS8_11hip_rocprim5par_tENS8_11use_defaultESE_EEEENSA_INSB_IlSD_SE_SE_EEEEZNS1_13binary_searchIS3_S5_NSA_INS8_10device_ptrIsEEEESG_SI_NS1_21lower_bound_search_opENS9_16wrapped_functionINS8_6system6detail7generic6detail18binary_search_lessEbEEEE10hipError_tPvRmT1_T2_T3_mmT4_T5_P12ihipStream_tbEUlRKsE_EESV_SZ_S10_mS11_S14_bEUlT_E_NS1_11comp_targetILNS1_3genE10ELNS1_11target_archE1201ELNS1_3gpuE5ELNS1_3repE0EEENS1_30default_config_static_selectorELNS0_4arch9wavefront6targetE1EEEvSY_.has_recursion, 0
	.set _ZN7rocprim17ROCPRIM_400000_NS6detail17trampoline_kernelINS0_14default_configENS1_27lower_bound_config_selectorIslEEZNS1_14transform_implILb0ES3_S5_N6thrust23THRUST_200600_302600_NS6detail15normal_iteratorINS8_7pointerIsNS8_11hip_rocprim5par_tENS8_11use_defaultESE_EEEENSA_INSB_IlSD_SE_SE_EEEEZNS1_13binary_searchIS3_S5_NSA_INS8_10device_ptrIsEEEESG_SI_NS1_21lower_bound_search_opENS9_16wrapped_functionINS8_6system6detail7generic6detail18binary_search_lessEbEEEE10hipError_tPvRmT1_T2_T3_mmT4_T5_P12ihipStream_tbEUlRKsE_EESV_SZ_S10_mS11_S14_bEUlT_E_NS1_11comp_targetILNS1_3genE10ELNS1_11target_archE1201ELNS1_3gpuE5ELNS1_3repE0EEENS1_30default_config_static_selectorELNS0_4arch9wavefront6targetE1EEEvSY_.has_indirect_call, 0
	.section	.AMDGPU.csdata,"",@progbits
; Kernel info:
; codeLenInByte = 0
; TotalNumSgprs: 4
; NumVgprs: 0
; ScratchSize: 0
; MemoryBound: 0
; FloatMode: 240
; IeeeMode: 1
; LDSByteSize: 0 bytes/workgroup (compile time only)
; SGPRBlocks: 0
; VGPRBlocks: 0
; NumSGPRsForWavesPerEU: 4
; NumVGPRsForWavesPerEU: 1
; Occupancy: 10
; WaveLimiterHint : 0
; COMPUTE_PGM_RSRC2:SCRATCH_EN: 0
; COMPUTE_PGM_RSRC2:USER_SGPR: 6
; COMPUTE_PGM_RSRC2:TRAP_HANDLER: 0
; COMPUTE_PGM_RSRC2:TGID_X_EN: 1
; COMPUTE_PGM_RSRC2:TGID_Y_EN: 0
; COMPUTE_PGM_RSRC2:TGID_Z_EN: 0
; COMPUTE_PGM_RSRC2:TIDIG_COMP_CNT: 0
	.section	.text._ZN7rocprim17ROCPRIM_400000_NS6detail17trampoline_kernelINS0_14default_configENS1_27lower_bound_config_selectorIslEEZNS1_14transform_implILb0ES3_S5_N6thrust23THRUST_200600_302600_NS6detail15normal_iteratorINS8_7pointerIsNS8_11hip_rocprim5par_tENS8_11use_defaultESE_EEEENSA_INSB_IlSD_SE_SE_EEEEZNS1_13binary_searchIS3_S5_NSA_INS8_10device_ptrIsEEEESG_SI_NS1_21lower_bound_search_opENS9_16wrapped_functionINS8_6system6detail7generic6detail18binary_search_lessEbEEEE10hipError_tPvRmT1_T2_T3_mmT4_T5_P12ihipStream_tbEUlRKsE_EESV_SZ_S10_mS11_S14_bEUlT_E_NS1_11comp_targetILNS1_3genE10ELNS1_11target_archE1200ELNS1_3gpuE4ELNS1_3repE0EEENS1_30default_config_static_selectorELNS0_4arch9wavefront6targetE1EEEvSY_,"axG",@progbits,_ZN7rocprim17ROCPRIM_400000_NS6detail17trampoline_kernelINS0_14default_configENS1_27lower_bound_config_selectorIslEEZNS1_14transform_implILb0ES3_S5_N6thrust23THRUST_200600_302600_NS6detail15normal_iteratorINS8_7pointerIsNS8_11hip_rocprim5par_tENS8_11use_defaultESE_EEEENSA_INSB_IlSD_SE_SE_EEEEZNS1_13binary_searchIS3_S5_NSA_INS8_10device_ptrIsEEEESG_SI_NS1_21lower_bound_search_opENS9_16wrapped_functionINS8_6system6detail7generic6detail18binary_search_lessEbEEEE10hipError_tPvRmT1_T2_T3_mmT4_T5_P12ihipStream_tbEUlRKsE_EESV_SZ_S10_mS11_S14_bEUlT_E_NS1_11comp_targetILNS1_3genE10ELNS1_11target_archE1200ELNS1_3gpuE4ELNS1_3repE0EEENS1_30default_config_static_selectorELNS0_4arch9wavefront6targetE1EEEvSY_,comdat
	.protected	_ZN7rocprim17ROCPRIM_400000_NS6detail17trampoline_kernelINS0_14default_configENS1_27lower_bound_config_selectorIslEEZNS1_14transform_implILb0ES3_S5_N6thrust23THRUST_200600_302600_NS6detail15normal_iteratorINS8_7pointerIsNS8_11hip_rocprim5par_tENS8_11use_defaultESE_EEEENSA_INSB_IlSD_SE_SE_EEEEZNS1_13binary_searchIS3_S5_NSA_INS8_10device_ptrIsEEEESG_SI_NS1_21lower_bound_search_opENS9_16wrapped_functionINS8_6system6detail7generic6detail18binary_search_lessEbEEEE10hipError_tPvRmT1_T2_T3_mmT4_T5_P12ihipStream_tbEUlRKsE_EESV_SZ_S10_mS11_S14_bEUlT_E_NS1_11comp_targetILNS1_3genE10ELNS1_11target_archE1200ELNS1_3gpuE4ELNS1_3repE0EEENS1_30default_config_static_selectorELNS0_4arch9wavefront6targetE1EEEvSY_ ; -- Begin function _ZN7rocprim17ROCPRIM_400000_NS6detail17trampoline_kernelINS0_14default_configENS1_27lower_bound_config_selectorIslEEZNS1_14transform_implILb0ES3_S5_N6thrust23THRUST_200600_302600_NS6detail15normal_iteratorINS8_7pointerIsNS8_11hip_rocprim5par_tENS8_11use_defaultESE_EEEENSA_INSB_IlSD_SE_SE_EEEEZNS1_13binary_searchIS3_S5_NSA_INS8_10device_ptrIsEEEESG_SI_NS1_21lower_bound_search_opENS9_16wrapped_functionINS8_6system6detail7generic6detail18binary_search_lessEbEEEE10hipError_tPvRmT1_T2_T3_mmT4_T5_P12ihipStream_tbEUlRKsE_EESV_SZ_S10_mS11_S14_bEUlT_E_NS1_11comp_targetILNS1_3genE10ELNS1_11target_archE1200ELNS1_3gpuE4ELNS1_3repE0EEENS1_30default_config_static_selectorELNS0_4arch9wavefront6targetE1EEEvSY_
	.globl	_ZN7rocprim17ROCPRIM_400000_NS6detail17trampoline_kernelINS0_14default_configENS1_27lower_bound_config_selectorIslEEZNS1_14transform_implILb0ES3_S5_N6thrust23THRUST_200600_302600_NS6detail15normal_iteratorINS8_7pointerIsNS8_11hip_rocprim5par_tENS8_11use_defaultESE_EEEENSA_INSB_IlSD_SE_SE_EEEEZNS1_13binary_searchIS3_S5_NSA_INS8_10device_ptrIsEEEESG_SI_NS1_21lower_bound_search_opENS9_16wrapped_functionINS8_6system6detail7generic6detail18binary_search_lessEbEEEE10hipError_tPvRmT1_T2_T3_mmT4_T5_P12ihipStream_tbEUlRKsE_EESV_SZ_S10_mS11_S14_bEUlT_E_NS1_11comp_targetILNS1_3genE10ELNS1_11target_archE1200ELNS1_3gpuE4ELNS1_3repE0EEENS1_30default_config_static_selectorELNS0_4arch9wavefront6targetE1EEEvSY_
	.p2align	8
	.type	_ZN7rocprim17ROCPRIM_400000_NS6detail17trampoline_kernelINS0_14default_configENS1_27lower_bound_config_selectorIslEEZNS1_14transform_implILb0ES3_S5_N6thrust23THRUST_200600_302600_NS6detail15normal_iteratorINS8_7pointerIsNS8_11hip_rocprim5par_tENS8_11use_defaultESE_EEEENSA_INSB_IlSD_SE_SE_EEEEZNS1_13binary_searchIS3_S5_NSA_INS8_10device_ptrIsEEEESG_SI_NS1_21lower_bound_search_opENS9_16wrapped_functionINS8_6system6detail7generic6detail18binary_search_lessEbEEEE10hipError_tPvRmT1_T2_T3_mmT4_T5_P12ihipStream_tbEUlRKsE_EESV_SZ_S10_mS11_S14_bEUlT_E_NS1_11comp_targetILNS1_3genE10ELNS1_11target_archE1200ELNS1_3gpuE4ELNS1_3repE0EEENS1_30default_config_static_selectorELNS0_4arch9wavefront6targetE1EEEvSY_,@function
_ZN7rocprim17ROCPRIM_400000_NS6detail17trampoline_kernelINS0_14default_configENS1_27lower_bound_config_selectorIslEEZNS1_14transform_implILb0ES3_S5_N6thrust23THRUST_200600_302600_NS6detail15normal_iteratorINS8_7pointerIsNS8_11hip_rocprim5par_tENS8_11use_defaultESE_EEEENSA_INSB_IlSD_SE_SE_EEEEZNS1_13binary_searchIS3_S5_NSA_INS8_10device_ptrIsEEEESG_SI_NS1_21lower_bound_search_opENS9_16wrapped_functionINS8_6system6detail7generic6detail18binary_search_lessEbEEEE10hipError_tPvRmT1_T2_T3_mmT4_T5_P12ihipStream_tbEUlRKsE_EESV_SZ_S10_mS11_S14_bEUlT_E_NS1_11comp_targetILNS1_3genE10ELNS1_11target_archE1200ELNS1_3gpuE4ELNS1_3repE0EEENS1_30default_config_static_selectorELNS0_4arch9wavefront6targetE1EEEvSY_: ; @_ZN7rocprim17ROCPRIM_400000_NS6detail17trampoline_kernelINS0_14default_configENS1_27lower_bound_config_selectorIslEEZNS1_14transform_implILb0ES3_S5_N6thrust23THRUST_200600_302600_NS6detail15normal_iteratorINS8_7pointerIsNS8_11hip_rocprim5par_tENS8_11use_defaultESE_EEEENSA_INSB_IlSD_SE_SE_EEEEZNS1_13binary_searchIS3_S5_NSA_INS8_10device_ptrIsEEEESG_SI_NS1_21lower_bound_search_opENS9_16wrapped_functionINS8_6system6detail7generic6detail18binary_search_lessEbEEEE10hipError_tPvRmT1_T2_T3_mmT4_T5_P12ihipStream_tbEUlRKsE_EESV_SZ_S10_mS11_S14_bEUlT_E_NS1_11comp_targetILNS1_3genE10ELNS1_11target_archE1200ELNS1_3gpuE4ELNS1_3repE0EEENS1_30default_config_static_selectorELNS0_4arch9wavefront6targetE1EEEvSY_
; %bb.0:
	.section	.rodata,"a",@progbits
	.p2align	6, 0x0
	.amdhsa_kernel _ZN7rocprim17ROCPRIM_400000_NS6detail17trampoline_kernelINS0_14default_configENS1_27lower_bound_config_selectorIslEEZNS1_14transform_implILb0ES3_S5_N6thrust23THRUST_200600_302600_NS6detail15normal_iteratorINS8_7pointerIsNS8_11hip_rocprim5par_tENS8_11use_defaultESE_EEEENSA_INSB_IlSD_SE_SE_EEEEZNS1_13binary_searchIS3_S5_NSA_INS8_10device_ptrIsEEEESG_SI_NS1_21lower_bound_search_opENS9_16wrapped_functionINS8_6system6detail7generic6detail18binary_search_lessEbEEEE10hipError_tPvRmT1_T2_T3_mmT4_T5_P12ihipStream_tbEUlRKsE_EESV_SZ_S10_mS11_S14_bEUlT_E_NS1_11comp_targetILNS1_3genE10ELNS1_11target_archE1200ELNS1_3gpuE4ELNS1_3repE0EEENS1_30default_config_static_selectorELNS0_4arch9wavefront6targetE1EEEvSY_
		.amdhsa_group_segment_fixed_size 0
		.amdhsa_private_segment_fixed_size 0
		.amdhsa_kernarg_size 56
		.amdhsa_user_sgpr_count 6
		.amdhsa_user_sgpr_private_segment_buffer 1
		.amdhsa_user_sgpr_dispatch_ptr 0
		.amdhsa_user_sgpr_queue_ptr 0
		.amdhsa_user_sgpr_kernarg_segment_ptr 1
		.amdhsa_user_sgpr_dispatch_id 0
		.amdhsa_user_sgpr_flat_scratch_init 0
		.amdhsa_user_sgpr_private_segment_size 0
		.amdhsa_uses_dynamic_stack 0
		.amdhsa_system_sgpr_private_segment_wavefront_offset 0
		.amdhsa_system_sgpr_workgroup_id_x 1
		.amdhsa_system_sgpr_workgroup_id_y 0
		.amdhsa_system_sgpr_workgroup_id_z 0
		.amdhsa_system_sgpr_workgroup_info 0
		.amdhsa_system_vgpr_workitem_id 0
		.amdhsa_next_free_vgpr 1
		.amdhsa_next_free_sgpr 0
		.amdhsa_reserve_vcc 0
		.amdhsa_reserve_flat_scratch 0
		.amdhsa_float_round_mode_32 0
		.amdhsa_float_round_mode_16_64 0
		.amdhsa_float_denorm_mode_32 3
		.amdhsa_float_denorm_mode_16_64 3
		.amdhsa_dx10_clamp 1
		.amdhsa_ieee_mode 1
		.amdhsa_fp16_overflow 0
		.amdhsa_exception_fp_ieee_invalid_op 0
		.amdhsa_exception_fp_denorm_src 0
		.amdhsa_exception_fp_ieee_div_zero 0
		.amdhsa_exception_fp_ieee_overflow 0
		.amdhsa_exception_fp_ieee_underflow 0
		.amdhsa_exception_fp_ieee_inexact 0
		.amdhsa_exception_int_div_zero 0
	.end_amdhsa_kernel
	.section	.text._ZN7rocprim17ROCPRIM_400000_NS6detail17trampoline_kernelINS0_14default_configENS1_27lower_bound_config_selectorIslEEZNS1_14transform_implILb0ES3_S5_N6thrust23THRUST_200600_302600_NS6detail15normal_iteratorINS8_7pointerIsNS8_11hip_rocprim5par_tENS8_11use_defaultESE_EEEENSA_INSB_IlSD_SE_SE_EEEEZNS1_13binary_searchIS3_S5_NSA_INS8_10device_ptrIsEEEESG_SI_NS1_21lower_bound_search_opENS9_16wrapped_functionINS8_6system6detail7generic6detail18binary_search_lessEbEEEE10hipError_tPvRmT1_T2_T3_mmT4_T5_P12ihipStream_tbEUlRKsE_EESV_SZ_S10_mS11_S14_bEUlT_E_NS1_11comp_targetILNS1_3genE10ELNS1_11target_archE1200ELNS1_3gpuE4ELNS1_3repE0EEENS1_30default_config_static_selectorELNS0_4arch9wavefront6targetE1EEEvSY_,"axG",@progbits,_ZN7rocprim17ROCPRIM_400000_NS6detail17trampoline_kernelINS0_14default_configENS1_27lower_bound_config_selectorIslEEZNS1_14transform_implILb0ES3_S5_N6thrust23THRUST_200600_302600_NS6detail15normal_iteratorINS8_7pointerIsNS8_11hip_rocprim5par_tENS8_11use_defaultESE_EEEENSA_INSB_IlSD_SE_SE_EEEEZNS1_13binary_searchIS3_S5_NSA_INS8_10device_ptrIsEEEESG_SI_NS1_21lower_bound_search_opENS9_16wrapped_functionINS8_6system6detail7generic6detail18binary_search_lessEbEEEE10hipError_tPvRmT1_T2_T3_mmT4_T5_P12ihipStream_tbEUlRKsE_EESV_SZ_S10_mS11_S14_bEUlT_E_NS1_11comp_targetILNS1_3genE10ELNS1_11target_archE1200ELNS1_3gpuE4ELNS1_3repE0EEENS1_30default_config_static_selectorELNS0_4arch9wavefront6targetE1EEEvSY_,comdat
.Lfunc_end418:
	.size	_ZN7rocprim17ROCPRIM_400000_NS6detail17trampoline_kernelINS0_14default_configENS1_27lower_bound_config_selectorIslEEZNS1_14transform_implILb0ES3_S5_N6thrust23THRUST_200600_302600_NS6detail15normal_iteratorINS8_7pointerIsNS8_11hip_rocprim5par_tENS8_11use_defaultESE_EEEENSA_INSB_IlSD_SE_SE_EEEEZNS1_13binary_searchIS3_S5_NSA_INS8_10device_ptrIsEEEESG_SI_NS1_21lower_bound_search_opENS9_16wrapped_functionINS8_6system6detail7generic6detail18binary_search_lessEbEEEE10hipError_tPvRmT1_T2_T3_mmT4_T5_P12ihipStream_tbEUlRKsE_EESV_SZ_S10_mS11_S14_bEUlT_E_NS1_11comp_targetILNS1_3genE10ELNS1_11target_archE1200ELNS1_3gpuE4ELNS1_3repE0EEENS1_30default_config_static_selectorELNS0_4arch9wavefront6targetE1EEEvSY_, .Lfunc_end418-_ZN7rocprim17ROCPRIM_400000_NS6detail17trampoline_kernelINS0_14default_configENS1_27lower_bound_config_selectorIslEEZNS1_14transform_implILb0ES3_S5_N6thrust23THRUST_200600_302600_NS6detail15normal_iteratorINS8_7pointerIsNS8_11hip_rocprim5par_tENS8_11use_defaultESE_EEEENSA_INSB_IlSD_SE_SE_EEEEZNS1_13binary_searchIS3_S5_NSA_INS8_10device_ptrIsEEEESG_SI_NS1_21lower_bound_search_opENS9_16wrapped_functionINS8_6system6detail7generic6detail18binary_search_lessEbEEEE10hipError_tPvRmT1_T2_T3_mmT4_T5_P12ihipStream_tbEUlRKsE_EESV_SZ_S10_mS11_S14_bEUlT_E_NS1_11comp_targetILNS1_3genE10ELNS1_11target_archE1200ELNS1_3gpuE4ELNS1_3repE0EEENS1_30default_config_static_selectorELNS0_4arch9wavefront6targetE1EEEvSY_
                                        ; -- End function
	.set _ZN7rocprim17ROCPRIM_400000_NS6detail17trampoline_kernelINS0_14default_configENS1_27lower_bound_config_selectorIslEEZNS1_14transform_implILb0ES3_S5_N6thrust23THRUST_200600_302600_NS6detail15normal_iteratorINS8_7pointerIsNS8_11hip_rocprim5par_tENS8_11use_defaultESE_EEEENSA_INSB_IlSD_SE_SE_EEEEZNS1_13binary_searchIS3_S5_NSA_INS8_10device_ptrIsEEEESG_SI_NS1_21lower_bound_search_opENS9_16wrapped_functionINS8_6system6detail7generic6detail18binary_search_lessEbEEEE10hipError_tPvRmT1_T2_T3_mmT4_T5_P12ihipStream_tbEUlRKsE_EESV_SZ_S10_mS11_S14_bEUlT_E_NS1_11comp_targetILNS1_3genE10ELNS1_11target_archE1200ELNS1_3gpuE4ELNS1_3repE0EEENS1_30default_config_static_selectorELNS0_4arch9wavefront6targetE1EEEvSY_.num_vgpr, 0
	.set _ZN7rocprim17ROCPRIM_400000_NS6detail17trampoline_kernelINS0_14default_configENS1_27lower_bound_config_selectorIslEEZNS1_14transform_implILb0ES3_S5_N6thrust23THRUST_200600_302600_NS6detail15normal_iteratorINS8_7pointerIsNS8_11hip_rocprim5par_tENS8_11use_defaultESE_EEEENSA_INSB_IlSD_SE_SE_EEEEZNS1_13binary_searchIS3_S5_NSA_INS8_10device_ptrIsEEEESG_SI_NS1_21lower_bound_search_opENS9_16wrapped_functionINS8_6system6detail7generic6detail18binary_search_lessEbEEEE10hipError_tPvRmT1_T2_T3_mmT4_T5_P12ihipStream_tbEUlRKsE_EESV_SZ_S10_mS11_S14_bEUlT_E_NS1_11comp_targetILNS1_3genE10ELNS1_11target_archE1200ELNS1_3gpuE4ELNS1_3repE0EEENS1_30default_config_static_selectorELNS0_4arch9wavefront6targetE1EEEvSY_.num_agpr, 0
	.set _ZN7rocprim17ROCPRIM_400000_NS6detail17trampoline_kernelINS0_14default_configENS1_27lower_bound_config_selectorIslEEZNS1_14transform_implILb0ES3_S5_N6thrust23THRUST_200600_302600_NS6detail15normal_iteratorINS8_7pointerIsNS8_11hip_rocprim5par_tENS8_11use_defaultESE_EEEENSA_INSB_IlSD_SE_SE_EEEEZNS1_13binary_searchIS3_S5_NSA_INS8_10device_ptrIsEEEESG_SI_NS1_21lower_bound_search_opENS9_16wrapped_functionINS8_6system6detail7generic6detail18binary_search_lessEbEEEE10hipError_tPvRmT1_T2_T3_mmT4_T5_P12ihipStream_tbEUlRKsE_EESV_SZ_S10_mS11_S14_bEUlT_E_NS1_11comp_targetILNS1_3genE10ELNS1_11target_archE1200ELNS1_3gpuE4ELNS1_3repE0EEENS1_30default_config_static_selectorELNS0_4arch9wavefront6targetE1EEEvSY_.numbered_sgpr, 0
	.set _ZN7rocprim17ROCPRIM_400000_NS6detail17trampoline_kernelINS0_14default_configENS1_27lower_bound_config_selectorIslEEZNS1_14transform_implILb0ES3_S5_N6thrust23THRUST_200600_302600_NS6detail15normal_iteratorINS8_7pointerIsNS8_11hip_rocprim5par_tENS8_11use_defaultESE_EEEENSA_INSB_IlSD_SE_SE_EEEEZNS1_13binary_searchIS3_S5_NSA_INS8_10device_ptrIsEEEESG_SI_NS1_21lower_bound_search_opENS9_16wrapped_functionINS8_6system6detail7generic6detail18binary_search_lessEbEEEE10hipError_tPvRmT1_T2_T3_mmT4_T5_P12ihipStream_tbEUlRKsE_EESV_SZ_S10_mS11_S14_bEUlT_E_NS1_11comp_targetILNS1_3genE10ELNS1_11target_archE1200ELNS1_3gpuE4ELNS1_3repE0EEENS1_30default_config_static_selectorELNS0_4arch9wavefront6targetE1EEEvSY_.num_named_barrier, 0
	.set _ZN7rocprim17ROCPRIM_400000_NS6detail17trampoline_kernelINS0_14default_configENS1_27lower_bound_config_selectorIslEEZNS1_14transform_implILb0ES3_S5_N6thrust23THRUST_200600_302600_NS6detail15normal_iteratorINS8_7pointerIsNS8_11hip_rocprim5par_tENS8_11use_defaultESE_EEEENSA_INSB_IlSD_SE_SE_EEEEZNS1_13binary_searchIS3_S5_NSA_INS8_10device_ptrIsEEEESG_SI_NS1_21lower_bound_search_opENS9_16wrapped_functionINS8_6system6detail7generic6detail18binary_search_lessEbEEEE10hipError_tPvRmT1_T2_T3_mmT4_T5_P12ihipStream_tbEUlRKsE_EESV_SZ_S10_mS11_S14_bEUlT_E_NS1_11comp_targetILNS1_3genE10ELNS1_11target_archE1200ELNS1_3gpuE4ELNS1_3repE0EEENS1_30default_config_static_selectorELNS0_4arch9wavefront6targetE1EEEvSY_.private_seg_size, 0
	.set _ZN7rocprim17ROCPRIM_400000_NS6detail17trampoline_kernelINS0_14default_configENS1_27lower_bound_config_selectorIslEEZNS1_14transform_implILb0ES3_S5_N6thrust23THRUST_200600_302600_NS6detail15normal_iteratorINS8_7pointerIsNS8_11hip_rocprim5par_tENS8_11use_defaultESE_EEEENSA_INSB_IlSD_SE_SE_EEEEZNS1_13binary_searchIS3_S5_NSA_INS8_10device_ptrIsEEEESG_SI_NS1_21lower_bound_search_opENS9_16wrapped_functionINS8_6system6detail7generic6detail18binary_search_lessEbEEEE10hipError_tPvRmT1_T2_T3_mmT4_T5_P12ihipStream_tbEUlRKsE_EESV_SZ_S10_mS11_S14_bEUlT_E_NS1_11comp_targetILNS1_3genE10ELNS1_11target_archE1200ELNS1_3gpuE4ELNS1_3repE0EEENS1_30default_config_static_selectorELNS0_4arch9wavefront6targetE1EEEvSY_.uses_vcc, 0
	.set _ZN7rocprim17ROCPRIM_400000_NS6detail17trampoline_kernelINS0_14default_configENS1_27lower_bound_config_selectorIslEEZNS1_14transform_implILb0ES3_S5_N6thrust23THRUST_200600_302600_NS6detail15normal_iteratorINS8_7pointerIsNS8_11hip_rocprim5par_tENS8_11use_defaultESE_EEEENSA_INSB_IlSD_SE_SE_EEEEZNS1_13binary_searchIS3_S5_NSA_INS8_10device_ptrIsEEEESG_SI_NS1_21lower_bound_search_opENS9_16wrapped_functionINS8_6system6detail7generic6detail18binary_search_lessEbEEEE10hipError_tPvRmT1_T2_T3_mmT4_T5_P12ihipStream_tbEUlRKsE_EESV_SZ_S10_mS11_S14_bEUlT_E_NS1_11comp_targetILNS1_3genE10ELNS1_11target_archE1200ELNS1_3gpuE4ELNS1_3repE0EEENS1_30default_config_static_selectorELNS0_4arch9wavefront6targetE1EEEvSY_.uses_flat_scratch, 0
	.set _ZN7rocprim17ROCPRIM_400000_NS6detail17trampoline_kernelINS0_14default_configENS1_27lower_bound_config_selectorIslEEZNS1_14transform_implILb0ES3_S5_N6thrust23THRUST_200600_302600_NS6detail15normal_iteratorINS8_7pointerIsNS8_11hip_rocprim5par_tENS8_11use_defaultESE_EEEENSA_INSB_IlSD_SE_SE_EEEEZNS1_13binary_searchIS3_S5_NSA_INS8_10device_ptrIsEEEESG_SI_NS1_21lower_bound_search_opENS9_16wrapped_functionINS8_6system6detail7generic6detail18binary_search_lessEbEEEE10hipError_tPvRmT1_T2_T3_mmT4_T5_P12ihipStream_tbEUlRKsE_EESV_SZ_S10_mS11_S14_bEUlT_E_NS1_11comp_targetILNS1_3genE10ELNS1_11target_archE1200ELNS1_3gpuE4ELNS1_3repE0EEENS1_30default_config_static_selectorELNS0_4arch9wavefront6targetE1EEEvSY_.has_dyn_sized_stack, 0
	.set _ZN7rocprim17ROCPRIM_400000_NS6detail17trampoline_kernelINS0_14default_configENS1_27lower_bound_config_selectorIslEEZNS1_14transform_implILb0ES3_S5_N6thrust23THRUST_200600_302600_NS6detail15normal_iteratorINS8_7pointerIsNS8_11hip_rocprim5par_tENS8_11use_defaultESE_EEEENSA_INSB_IlSD_SE_SE_EEEEZNS1_13binary_searchIS3_S5_NSA_INS8_10device_ptrIsEEEESG_SI_NS1_21lower_bound_search_opENS9_16wrapped_functionINS8_6system6detail7generic6detail18binary_search_lessEbEEEE10hipError_tPvRmT1_T2_T3_mmT4_T5_P12ihipStream_tbEUlRKsE_EESV_SZ_S10_mS11_S14_bEUlT_E_NS1_11comp_targetILNS1_3genE10ELNS1_11target_archE1200ELNS1_3gpuE4ELNS1_3repE0EEENS1_30default_config_static_selectorELNS0_4arch9wavefront6targetE1EEEvSY_.has_recursion, 0
	.set _ZN7rocprim17ROCPRIM_400000_NS6detail17trampoline_kernelINS0_14default_configENS1_27lower_bound_config_selectorIslEEZNS1_14transform_implILb0ES3_S5_N6thrust23THRUST_200600_302600_NS6detail15normal_iteratorINS8_7pointerIsNS8_11hip_rocprim5par_tENS8_11use_defaultESE_EEEENSA_INSB_IlSD_SE_SE_EEEEZNS1_13binary_searchIS3_S5_NSA_INS8_10device_ptrIsEEEESG_SI_NS1_21lower_bound_search_opENS9_16wrapped_functionINS8_6system6detail7generic6detail18binary_search_lessEbEEEE10hipError_tPvRmT1_T2_T3_mmT4_T5_P12ihipStream_tbEUlRKsE_EESV_SZ_S10_mS11_S14_bEUlT_E_NS1_11comp_targetILNS1_3genE10ELNS1_11target_archE1200ELNS1_3gpuE4ELNS1_3repE0EEENS1_30default_config_static_selectorELNS0_4arch9wavefront6targetE1EEEvSY_.has_indirect_call, 0
	.section	.AMDGPU.csdata,"",@progbits
; Kernel info:
; codeLenInByte = 0
; TotalNumSgprs: 4
; NumVgprs: 0
; ScratchSize: 0
; MemoryBound: 0
; FloatMode: 240
; IeeeMode: 1
; LDSByteSize: 0 bytes/workgroup (compile time only)
; SGPRBlocks: 0
; VGPRBlocks: 0
; NumSGPRsForWavesPerEU: 4
; NumVGPRsForWavesPerEU: 1
; Occupancy: 10
; WaveLimiterHint : 0
; COMPUTE_PGM_RSRC2:SCRATCH_EN: 0
; COMPUTE_PGM_RSRC2:USER_SGPR: 6
; COMPUTE_PGM_RSRC2:TRAP_HANDLER: 0
; COMPUTE_PGM_RSRC2:TGID_X_EN: 1
; COMPUTE_PGM_RSRC2:TGID_Y_EN: 0
; COMPUTE_PGM_RSRC2:TGID_Z_EN: 0
; COMPUTE_PGM_RSRC2:TIDIG_COMP_CNT: 0
	.section	.text._ZN7rocprim17ROCPRIM_400000_NS6detail17trampoline_kernelINS0_14default_configENS1_27lower_bound_config_selectorIslEEZNS1_14transform_implILb0ES3_S5_N6thrust23THRUST_200600_302600_NS6detail15normal_iteratorINS8_7pointerIsNS8_11hip_rocprim5par_tENS8_11use_defaultESE_EEEENSA_INSB_IlSD_SE_SE_EEEEZNS1_13binary_searchIS3_S5_NSA_INS8_10device_ptrIsEEEESG_SI_NS1_21lower_bound_search_opENS9_16wrapped_functionINS8_6system6detail7generic6detail18binary_search_lessEbEEEE10hipError_tPvRmT1_T2_T3_mmT4_T5_P12ihipStream_tbEUlRKsE_EESV_SZ_S10_mS11_S14_bEUlT_E_NS1_11comp_targetILNS1_3genE9ELNS1_11target_archE1100ELNS1_3gpuE3ELNS1_3repE0EEENS1_30default_config_static_selectorELNS0_4arch9wavefront6targetE1EEEvSY_,"axG",@progbits,_ZN7rocprim17ROCPRIM_400000_NS6detail17trampoline_kernelINS0_14default_configENS1_27lower_bound_config_selectorIslEEZNS1_14transform_implILb0ES3_S5_N6thrust23THRUST_200600_302600_NS6detail15normal_iteratorINS8_7pointerIsNS8_11hip_rocprim5par_tENS8_11use_defaultESE_EEEENSA_INSB_IlSD_SE_SE_EEEEZNS1_13binary_searchIS3_S5_NSA_INS8_10device_ptrIsEEEESG_SI_NS1_21lower_bound_search_opENS9_16wrapped_functionINS8_6system6detail7generic6detail18binary_search_lessEbEEEE10hipError_tPvRmT1_T2_T3_mmT4_T5_P12ihipStream_tbEUlRKsE_EESV_SZ_S10_mS11_S14_bEUlT_E_NS1_11comp_targetILNS1_3genE9ELNS1_11target_archE1100ELNS1_3gpuE3ELNS1_3repE0EEENS1_30default_config_static_selectorELNS0_4arch9wavefront6targetE1EEEvSY_,comdat
	.protected	_ZN7rocprim17ROCPRIM_400000_NS6detail17trampoline_kernelINS0_14default_configENS1_27lower_bound_config_selectorIslEEZNS1_14transform_implILb0ES3_S5_N6thrust23THRUST_200600_302600_NS6detail15normal_iteratorINS8_7pointerIsNS8_11hip_rocprim5par_tENS8_11use_defaultESE_EEEENSA_INSB_IlSD_SE_SE_EEEEZNS1_13binary_searchIS3_S5_NSA_INS8_10device_ptrIsEEEESG_SI_NS1_21lower_bound_search_opENS9_16wrapped_functionINS8_6system6detail7generic6detail18binary_search_lessEbEEEE10hipError_tPvRmT1_T2_T3_mmT4_T5_P12ihipStream_tbEUlRKsE_EESV_SZ_S10_mS11_S14_bEUlT_E_NS1_11comp_targetILNS1_3genE9ELNS1_11target_archE1100ELNS1_3gpuE3ELNS1_3repE0EEENS1_30default_config_static_selectorELNS0_4arch9wavefront6targetE1EEEvSY_ ; -- Begin function _ZN7rocprim17ROCPRIM_400000_NS6detail17trampoline_kernelINS0_14default_configENS1_27lower_bound_config_selectorIslEEZNS1_14transform_implILb0ES3_S5_N6thrust23THRUST_200600_302600_NS6detail15normal_iteratorINS8_7pointerIsNS8_11hip_rocprim5par_tENS8_11use_defaultESE_EEEENSA_INSB_IlSD_SE_SE_EEEEZNS1_13binary_searchIS3_S5_NSA_INS8_10device_ptrIsEEEESG_SI_NS1_21lower_bound_search_opENS9_16wrapped_functionINS8_6system6detail7generic6detail18binary_search_lessEbEEEE10hipError_tPvRmT1_T2_T3_mmT4_T5_P12ihipStream_tbEUlRKsE_EESV_SZ_S10_mS11_S14_bEUlT_E_NS1_11comp_targetILNS1_3genE9ELNS1_11target_archE1100ELNS1_3gpuE3ELNS1_3repE0EEENS1_30default_config_static_selectorELNS0_4arch9wavefront6targetE1EEEvSY_
	.globl	_ZN7rocprim17ROCPRIM_400000_NS6detail17trampoline_kernelINS0_14default_configENS1_27lower_bound_config_selectorIslEEZNS1_14transform_implILb0ES3_S5_N6thrust23THRUST_200600_302600_NS6detail15normal_iteratorINS8_7pointerIsNS8_11hip_rocprim5par_tENS8_11use_defaultESE_EEEENSA_INSB_IlSD_SE_SE_EEEEZNS1_13binary_searchIS3_S5_NSA_INS8_10device_ptrIsEEEESG_SI_NS1_21lower_bound_search_opENS9_16wrapped_functionINS8_6system6detail7generic6detail18binary_search_lessEbEEEE10hipError_tPvRmT1_T2_T3_mmT4_T5_P12ihipStream_tbEUlRKsE_EESV_SZ_S10_mS11_S14_bEUlT_E_NS1_11comp_targetILNS1_3genE9ELNS1_11target_archE1100ELNS1_3gpuE3ELNS1_3repE0EEENS1_30default_config_static_selectorELNS0_4arch9wavefront6targetE1EEEvSY_
	.p2align	8
	.type	_ZN7rocprim17ROCPRIM_400000_NS6detail17trampoline_kernelINS0_14default_configENS1_27lower_bound_config_selectorIslEEZNS1_14transform_implILb0ES3_S5_N6thrust23THRUST_200600_302600_NS6detail15normal_iteratorINS8_7pointerIsNS8_11hip_rocprim5par_tENS8_11use_defaultESE_EEEENSA_INSB_IlSD_SE_SE_EEEEZNS1_13binary_searchIS3_S5_NSA_INS8_10device_ptrIsEEEESG_SI_NS1_21lower_bound_search_opENS9_16wrapped_functionINS8_6system6detail7generic6detail18binary_search_lessEbEEEE10hipError_tPvRmT1_T2_T3_mmT4_T5_P12ihipStream_tbEUlRKsE_EESV_SZ_S10_mS11_S14_bEUlT_E_NS1_11comp_targetILNS1_3genE9ELNS1_11target_archE1100ELNS1_3gpuE3ELNS1_3repE0EEENS1_30default_config_static_selectorELNS0_4arch9wavefront6targetE1EEEvSY_,@function
_ZN7rocprim17ROCPRIM_400000_NS6detail17trampoline_kernelINS0_14default_configENS1_27lower_bound_config_selectorIslEEZNS1_14transform_implILb0ES3_S5_N6thrust23THRUST_200600_302600_NS6detail15normal_iteratorINS8_7pointerIsNS8_11hip_rocprim5par_tENS8_11use_defaultESE_EEEENSA_INSB_IlSD_SE_SE_EEEEZNS1_13binary_searchIS3_S5_NSA_INS8_10device_ptrIsEEEESG_SI_NS1_21lower_bound_search_opENS9_16wrapped_functionINS8_6system6detail7generic6detail18binary_search_lessEbEEEE10hipError_tPvRmT1_T2_T3_mmT4_T5_P12ihipStream_tbEUlRKsE_EESV_SZ_S10_mS11_S14_bEUlT_E_NS1_11comp_targetILNS1_3genE9ELNS1_11target_archE1100ELNS1_3gpuE3ELNS1_3repE0EEENS1_30default_config_static_selectorELNS0_4arch9wavefront6targetE1EEEvSY_: ; @_ZN7rocprim17ROCPRIM_400000_NS6detail17trampoline_kernelINS0_14default_configENS1_27lower_bound_config_selectorIslEEZNS1_14transform_implILb0ES3_S5_N6thrust23THRUST_200600_302600_NS6detail15normal_iteratorINS8_7pointerIsNS8_11hip_rocprim5par_tENS8_11use_defaultESE_EEEENSA_INSB_IlSD_SE_SE_EEEEZNS1_13binary_searchIS3_S5_NSA_INS8_10device_ptrIsEEEESG_SI_NS1_21lower_bound_search_opENS9_16wrapped_functionINS8_6system6detail7generic6detail18binary_search_lessEbEEEE10hipError_tPvRmT1_T2_T3_mmT4_T5_P12ihipStream_tbEUlRKsE_EESV_SZ_S10_mS11_S14_bEUlT_E_NS1_11comp_targetILNS1_3genE9ELNS1_11target_archE1100ELNS1_3gpuE3ELNS1_3repE0EEENS1_30default_config_static_selectorELNS0_4arch9wavefront6targetE1EEEvSY_
; %bb.0:
	.section	.rodata,"a",@progbits
	.p2align	6, 0x0
	.amdhsa_kernel _ZN7rocprim17ROCPRIM_400000_NS6detail17trampoline_kernelINS0_14default_configENS1_27lower_bound_config_selectorIslEEZNS1_14transform_implILb0ES3_S5_N6thrust23THRUST_200600_302600_NS6detail15normal_iteratorINS8_7pointerIsNS8_11hip_rocprim5par_tENS8_11use_defaultESE_EEEENSA_INSB_IlSD_SE_SE_EEEEZNS1_13binary_searchIS3_S5_NSA_INS8_10device_ptrIsEEEESG_SI_NS1_21lower_bound_search_opENS9_16wrapped_functionINS8_6system6detail7generic6detail18binary_search_lessEbEEEE10hipError_tPvRmT1_T2_T3_mmT4_T5_P12ihipStream_tbEUlRKsE_EESV_SZ_S10_mS11_S14_bEUlT_E_NS1_11comp_targetILNS1_3genE9ELNS1_11target_archE1100ELNS1_3gpuE3ELNS1_3repE0EEENS1_30default_config_static_selectorELNS0_4arch9wavefront6targetE1EEEvSY_
		.amdhsa_group_segment_fixed_size 0
		.amdhsa_private_segment_fixed_size 0
		.amdhsa_kernarg_size 56
		.amdhsa_user_sgpr_count 6
		.amdhsa_user_sgpr_private_segment_buffer 1
		.amdhsa_user_sgpr_dispatch_ptr 0
		.amdhsa_user_sgpr_queue_ptr 0
		.amdhsa_user_sgpr_kernarg_segment_ptr 1
		.amdhsa_user_sgpr_dispatch_id 0
		.amdhsa_user_sgpr_flat_scratch_init 0
		.amdhsa_user_sgpr_private_segment_size 0
		.amdhsa_uses_dynamic_stack 0
		.amdhsa_system_sgpr_private_segment_wavefront_offset 0
		.amdhsa_system_sgpr_workgroup_id_x 1
		.amdhsa_system_sgpr_workgroup_id_y 0
		.amdhsa_system_sgpr_workgroup_id_z 0
		.amdhsa_system_sgpr_workgroup_info 0
		.amdhsa_system_vgpr_workitem_id 0
		.amdhsa_next_free_vgpr 1
		.amdhsa_next_free_sgpr 0
		.amdhsa_reserve_vcc 0
		.amdhsa_reserve_flat_scratch 0
		.amdhsa_float_round_mode_32 0
		.amdhsa_float_round_mode_16_64 0
		.amdhsa_float_denorm_mode_32 3
		.amdhsa_float_denorm_mode_16_64 3
		.amdhsa_dx10_clamp 1
		.amdhsa_ieee_mode 1
		.amdhsa_fp16_overflow 0
		.amdhsa_exception_fp_ieee_invalid_op 0
		.amdhsa_exception_fp_denorm_src 0
		.amdhsa_exception_fp_ieee_div_zero 0
		.amdhsa_exception_fp_ieee_overflow 0
		.amdhsa_exception_fp_ieee_underflow 0
		.amdhsa_exception_fp_ieee_inexact 0
		.amdhsa_exception_int_div_zero 0
	.end_amdhsa_kernel
	.section	.text._ZN7rocprim17ROCPRIM_400000_NS6detail17trampoline_kernelINS0_14default_configENS1_27lower_bound_config_selectorIslEEZNS1_14transform_implILb0ES3_S5_N6thrust23THRUST_200600_302600_NS6detail15normal_iteratorINS8_7pointerIsNS8_11hip_rocprim5par_tENS8_11use_defaultESE_EEEENSA_INSB_IlSD_SE_SE_EEEEZNS1_13binary_searchIS3_S5_NSA_INS8_10device_ptrIsEEEESG_SI_NS1_21lower_bound_search_opENS9_16wrapped_functionINS8_6system6detail7generic6detail18binary_search_lessEbEEEE10hipError_tPvRmT1_T2_T3_mmT4_T5_P12ihipStream_tbEUlRKsE_EESV_SZ_S10_mS11_S14_bEUlT_E_NS1_11comp_targetILNS1_3genE9ELNS1_11target_archE1100ELNS1_3gpuE3ELNS1_3repE0EEENS1_30default_config_static_selectorELNS0_4arch9wavefront6targetE1EEEvSY_,"axG",@progbits,_ZN7rocprim17ROCPRIM_400000_NS6detail17trampoline_kernelINS0_14default_configENS1_27lower_bound_config_selectorIslEEZNS1_14transform_implILb0ES3_S5_N6thrust23THRUST_200600_302600_NS6detail15normal_iteratorINS8_7pointerIsNS8_11hip_rocprim5par_tENS8_11use_defaultESE_EEEENSA_INSB_IlSD_SE_SE_EEEEZNS1_13binary_searchIS3_S5_NSA_INS8_10device_ptrIsEEEESG_SI_NS1_21lower_bound_search_opENS9_16wrapped_functionINS8_6system6detail7generic6detail18binary_search_lessEbEEEE10hipError_tPvRmT1_T2_T3_mmT4_T5_P12ihipStream_tbEUlRKsE_EESV_SZ_S10_mS11_S14_bEUlT_E_NS1_11comp_targetILNS1_3genE9ELNS1_11target_archE1100ELNS1_3gpuE3ELNS1_3repE0EEENS1_30default_config_static_selectorELNS0_4arch9wavefront6targetE1EEEvSY_,comdat
.Lfunc_end419:
	.size	_ZN7rocprim17ROCPRIM_400000_NS6detail17trampoline_kernelINS0_14default_configENS1_27lower_bound_config_selectorIslEEZNS1_14transform_implILb0ES3_S5_N6thrust23THRUST_200600_302600_NS6detail15normal_iteratorINS8_7pointerIsNS8_11hip_rocprim5par_tENS8_11use_defaultESE_EEEENSA_INSB_IlSD_SE_SE_EEEEZNS1_13binary_searchIS3_S5_NSA_INS8_10device_ptrIsEEEESG_SI_NS1_21lower_bound_search_opENS9_16wrapped_functionINS8_6system6detail7generic6detail18binary_search_lessEbEEEE10hipError_tPvRmT1_T2_T3_mmT4_T5_P12ihipStream_tbEUlRKsE_EESV_SZ_S10_mS11_S14_bEUlT_E_NS1_11comp_targetILNS1_3genE9ELNS1_11target_archE1100ELNS1_3gpuE3ELNS1_3repE0EEENS1_30default_config_static_selectorELNS0_4arch9wavefront6targetE1EEEvSY_, .Lfunc_end419-_ZN7rocprim17ROCPRIM_400000_NS6detail17trampoline_kernelINS0_14default_configENS1_27lower_bound_config_selectorIslEEZNS1_14transform_implILb0ES3_S5_N6thrust23THRUST_200600_302600_NS6detail15normal_iteratorINS8_7pointerIsNS8_11hip_rocprim5par_tENS8_11use_defaultESE_EEEENSA_INSB_IlSD_SE_SE_EEEEZNS1_13binary_searchIS3_S5_NSA_INS8_10device_ptrIsEEEESG_SI_NS1_21lower_bound_search_opENS9_16wrapped_functionINS8_6system6detail7generic6detail18binary_search_lessEbEEEE10hipError_tPvRmT1_T2_T3_mmT4_T5_P12ihipStream_tbEUlRKsE_EESV_SZ_S10_mS11_S14_bEUlT_E_NS1_11comp_targetILNS1_3genE9ELNS1_11target_archE1100ELNS1_3gpuE3ELNS1_3repE0EEENS1_30default_config_static_selectorELNS0_4arch9wavefront6targetE1EEEvSY_
                                        ; -- End function
	.set _ZN7rocprim17ROCPRIM_400000_NS6detail17trampoline_kernelINS0_14default_configENS1_27lower_bound_config_selectorIslEEZNS1_14transform_implILb0ES3_S5_N6thrust23THRUST_200600_302600_NS6detail15normal_iteratorINS8_7pointerIsNS8_11hip_rocprim5par_tENS8_11use_defaultESE_EEEENSA_INSB_IlSD_SE_SE_EEEEZNS1_13binary_searchIS3_S5_NSA_INS8_10device_ptrIsEEEESG_SI_NS1_21lower_bound_search_opENS9_16wrapped_functionINS8_6system6detail7generic6detail18binary_search_lessEbEEEE10hipError_tPvRmT1_T2_T3_mmT4_T5_P12ihipStream_tbEUlRKsE_EESV_SZ_S10_mS11_S14_bEUlT_E_NS1_11comp_targetILNS1_3genE9ELNS1_11target_archE1100ELNS1_3gpuE3ELNS1_3repE0EEENS1_30default_config_static_selectorELNS0_4arch9wavefront6targetE1EEEvSY_.num_vgpr, 0
	.set _ZN7rocprim17ROCPRIM_400000_NS6detail17trampoline_kernelINS0_14default_configENS1_27lower_bound_config_selectorIslEEZNS1_14transform_implILb0ES3_S5_N6thrust23THRUST_200600_302600_NS6detail15normal_iteratorINS8_7pointerIsNS8_11hip_rocprim5par_tENS8_11use_defaultESE_EEEENSA_INSB_IlSD_SE_SE_EEEEZNS1_13binary_searchIS3_S5_NSA_INS8_10device_ptrIsEEEESG_SI_NS1_21lower_bound_search_opENS9_16wrapped_functionINS8_6system6detail7generic6detail18binary_search_lessEbEEEE10hipError_tPvRmT1_T2_T3_mmT4_T5_P12ihipStream_tbEUlRKsE_EESV_SZ_S10_mS11_S14_bEUlT_E_NS1_11comp_targetILNS1_3genE9ELNS1_11target_archE1100ELNS1_3gpuE3ELNS1_3repE0EEENS1_30default_config_static_selectorELNS0_4arch9wavefront6targetE1EEEvSY_.num_agpr, 0
	.set _ZN7rocprim17ROCPRIM_400000_NS6detail17trampoline_kernelINS0_14default_configENS1_27lower_bound_config_selectorIslEEZNS1_14transform_implILb0ES3_S5_N6thrust23THRUST_200600_302600_NS6detail15normal_iteratorINS8_7pointerIsNS8_11hip_rocprim5par_tENS8_11use_defaultESE_EEEENSA_INSB_IlSD_SE_SE_EEEEZNS1_13binary_searchIS3_S5_NSA_INS8_10device_ptrIsEEEESG_SI_NS1_21lower_bound_search_opENS9_16wrapped_functionINS8_6system6detail7generic6detail18binary_search_lessEbEEEE10hipError_tPvRmT1_T2_T3_mmT4_T5_P12ihipStream_tbEUlRKsE_EESV_SZ_S10_mS11_S14_bEUlT_E_NS1_11comp_targetILNS1_3genE9ELNS1_11target_archE1100ELNS1_3gpuE3ELNS1_3repE0EEENS1_30default_config_static_selectorELNS0_4arch9wavefront6targetE1EEEvSY_.numbered_sgpr, 0
	.set _ZN7rocprim17ROCPRIM_400000_NS6detail17trampoline_kernelINS0_14default_configENS1_27lower_bound_config_selectorIslEEZNS1_14transform_implILb0ES3_S5_N6thrust23THRUST_200600_302600_NS6detail15normal_iteratorINS8_7pointerIsNS8_11hip_rocprim5par_tENS8_11use_defaultESE_EEEENSA_INSB_IlSD_SE_SE_EEEEZNS1_13binary_searchIS3_S5_NSA_INS8_10device_ptrIsEEEESG_SI_NS1_21lower_bound_search_opENS9_16wrapped_functionINS8_6system6detail7generic6detail18binary_search_lessEbEEEE10hipError_tPvRmT1_T2_T3_mmT4_T5_P12ihipStream_tbEUlRKsE_EESV_SZ_S10_mS11_S14_bEUlT_E_NS1_11comp_targetILNS1_3genE9ELNS1_11target_archE1100ELNS1_3gpuE3ELNS1_3repE0EEENS1_30default_config_static_selectorELNS0_4arch9wavefront6targetE1EEEvSY_.num_named_barrier, 0
	.set _ZN7rocprim17ROCPRIM_400000_NS6detail17trampoline_kernelINS0_14default_configENS1_27lower_bound_config_selectorIslEEZNS1_14transform_implILb0ES3_S5_N6thrust23THRUST_200600_302600_NS6detail15normal_iteratorINS8_7pointerIsNS8_11hip_rocprim5par_tENS8_11use_defaultESE_EEEENSA_INSB_IlSD_SE_SE_EEEEZNS1_13binary_searchIS3_S5_NSA_INS8_10device_ptrIsEEEESG_SI_NS1_21lower_bound_search_opENS9_16wrapped_functionINS8_6system6detail7generic6detail18binary_search_lessEbEEEE10hipError_tPvRmT1_T2_T3_mmT4_T5_P12ihipStream_tbEUlRKsE_EESV_SZ_S10_mS11_S14_bEUlT_E_NS1_11comp_targetILNS1_3genE9ELNS1_11target_archE1100ELNS1_3gpuE3ELNS1_3repE0EEENS1_30default_config_static_selectorELNS0_4arch9wavefront6targetE1EEEvSY_.private_seg_size, 0
	.set _ZN7rocprim17ROCPRIM_400000_NS6detail17trampoline_kernelINS0_14default_configENS1_27lower_bound_config_selectorIslEEZNS1_14transform_implILb0ES3_S5_N6thrust23THRUST_200600_302600_NS6detail15normal_iteratorINS8_7pointerIsNS8_11hip_rocprim5par_tENS8_11use_defaultESE_EEEENSA_INSB_IlSD_SE_SE_EEEEZNS1_13binary_searchIS3_S5_NSA_INS8_10device_ptrIsEEEESG_SI_NS1_21lower_bound_search_opENS9_16wrapped_functionINS8_6system6detail7generic6detail18binary_search_lessEbEEEE10hipError_tPvRmT1_T2_T3_mmT4_T5_P12ihipStream_tbEUlRKsE_EESV_SZ_S10_mS11_S14_bEUlT_E_NS1_11comp_targetILNS1_3genE9ELNS1_11target_archE1100ELNS1_3gpuE3ELNS1_3repE0EEENS1_30default_config_static_selectorELNS0_4arch9wavefront6targetE1EEEvSY_.uses_vcc, 0
	.set _ZN7rocprim17ROCPRIM_400000_NS6detail17trampoline_kernelINS0_14default_configENS1_27lower_bound_config_selectorIslEEZNS1_14transform_implILb0ES3_S5_N6thrust23THRUST_200600_302600_NS6detail15normal_iteratorINS8_7pointerIsNS8_11hip_rocprim5par_tENS8_11use_defaultESE_EEEENSA_INSB_IlSD_SE_SE_EEEEZNS1_13binary_searchIS3_S5_NSA_INS8_10device_ptrIsEEEESG_SI_NS1_21lower_bound_search_opENS9_16wrapped_functionINS8_6system6detail7generic6detail18binary_search_lessEbEEEE10hipError_tPvRmT1_T2_T3_mmT4_T5_P12ihipStream_tbEUlRKsE_EESV_SZ_S10_mS11_S14_bEUlT_E_NS1_11comp_targetILNS1_3genE9ELNS1_11target_archE1100ELNS1_3gpuE3ELNS1_3repE0EEENS1_30default_config_static_selectorELNS0_4arch9wavefront6targetE1EEEvSY_.uses_flat_scratch, 0
	.set _ZN7rocprim17ROCPRIM_400000_NS6detail17trampoline_kernelINS0_14default_configENS1_27lower_bound_config_selectorIslEEZNS1_14transform_implILb0ES3_S5_N6thrust23THRUST_200600_302600_NS6detail15normal_iteratorINS8_7pointerIsNS8_11hip_rocprim5par_tENS8_11use_defaultESE_EEEENSA_INSB_IlSD_SE_SE_EEEEZNS1_13binary_searchIS3_S5_NSA_INS8_10device_ptrIsEEEESG_SI_NS1_21lower_bound_search_opENS9_16wrapped_functionINS8_6system6detail7generic6detail18binary_search_lessEbEEEE10hipError_tPvRmT1_T2_T3_mmT4_T5_P12ihipStream_tbEUlRKsE_EESV_SZ_S10_mS11_S14_bEUlT_E_NS1_11comp_targetILNS1_3genE9ELNS1_11target_archE1100ELNS1_3gpuE3ELNS1_3repE0EEENS1_30default_config_static_selectorELNS0_4arch9wavefront6targetE1EEEvSY_.has_dyn_sized_stack, 0
	.set _ZN7rocprim17ROCPRIM_400000_NS6detail17trampoline_kernelINS0_14default_configENS1_27lower_bound_config_selectorIslEEZNS1_14transform_implILb0ES3_S5_N6thrust23THRUST_200600_302600_NS6detail15normal_iteratorINS8_7pointerIsNS8_11hip_rocprim5par_tENS8_11use_defaultESE_EEEENSA_INSB_IlSD_SE_SE_EEEEZNS1_13binary_searchIS3_S5_NSA_INS8_10device_ptrIsEEEESG_SI_NS1_21lower_bound_search_opENS9_16wrapped_functionINS8_6system6detail7generic6detail18binary_search_lessEbEEEE10hipError_tPvRmT1_T2_T3_mmT4_T5_P12ihipStream_tbEUlRKsE_EESV_SZ_S10_mS11_S14_bEUlT_E_NS1_11comp_targetILNS1_3genE9ELNS1_11target_archE1100ELNS1_3gpuE3ELNS1_3repE0EEENS1_30default_config_static_selectorELNS0_4arch9wavefront6targetE1EEEvSY_.has_recursion, 0
	.set _ZN7rocprim17ROCPRIM_400000_NS6detail17trampoline_kernelINS0_14default_configENS1_27lower_bound_config_selectorIslEEZNS1_14transform_implILb0ES3_S5_N6thrust23THRUST_200600_302600_NS6detail15normal_iteratorINS8_7pointerIsNS8_11hip_rocprim5par_tENS8_11use_defaultESE_EEEENSA_INSB_IlSD_SE_SE_EEEEZNS1_13binary_searchIS3_S5_NSA_INS8_10device_ptrIsEEEESG_SI_NS1_21lower_bound_search_opENS9_16wrapped_functionINS8_6system6detail7generic6detail18binary_search_lessEbEEEE10hipError_tPvRmT1_T2_T3_mmT4_T5_P12ihipStream_tbEUlRKsE_EESV_SZ_S10_mS11_S14_bEUlT_E_NS1_11comp_targetILNS1_3genE9ELNS1_11target_archE1100ELNS1_3gpuE3ELNS1_3repE0EEENS1_30default_config_static_selectorELNS0_4arch9wavefront6targetE1EEEvSY_.has_indirect_call, 0
	.section	.AMDGPU.csdata,"",@progbits
; Kernel info:
; codeLenInByte = 0
; TotalNumSgprs: 4
; NumVgprs: 0
; ScratchSize: 0
; MemoryBound: 0
; FloatMode: 240
; IeeeMode: 1
; LDSByteSize: 0 bytes/workgroup (compile time only)
; SGPRBlocks: 0
; VGPRBlocks: 0
; NumSGPRsForWavesPerEU: 4
; NumVGPRsForWavesPerEU: 1
; Occupancy: 10
; WaveLimiterHint : 0
; COMPUTE_PGM_RSRC2:SCRATCH_EN: 0
; COMPUTE_PGM_RSRC2:USER_SGPR: 6
; COMPUTE_PGM_RSRC2:TRAP_HANDLER: 0
; COMPUTE_PGM_RSRC2:TGID_X_EN: 1
; COMPUTE_PGM_RSRC2:TGID_Y_EN: 0
; COMPUTE_PGM_RSRC2:TGID_Z_EN: 0
; COMPUTE_PGM_RSRC2:TIDIG_COMP_CNT: 0
	.section	.text._ZN7rocprim17ROCPRIM_400000_NS6detail17trampoline_kernelINS0_14default_configENS1_27lower_bound_config_selectorIslEEZNS1_14transform_implILb0ES3_S5_N6thrust23THRUST_200600_302600_NS6detail15normal_iteratorINS8_7pointerIsNS8_11hip_rocprim5par_tENS8_11use_defaultESE_EEEENSA_INSB_IlSD_SE_SE_EEEEZNS1_13binary_searchIS3_S5_NSA_INS8_10device_ptrIsEEEESG_SI_NS1_21lower_bound_search_opENS9_16wrapped_functionINS8_6system6detail7generic6detail18binary_search_lessEbEEEE10hipError_tPvRmT1_T2_T3_mmT4_T5_P12ihipStream_tbEUlRKsE_EESV_SZ_S10_mS11_S14_bEUlT_E_NS1_11comp_targetILNS1_3genE8ELNS1_11target_archE1030ELNS1_3gpuE2ELNS1_3repE0EEENS1_30default_config_static_selectorELNS0_4arch9wavefront6targetE1EEEvSY_,"axG",@progbits,_ZN7rocprim17ROCPRIM_400000_NS6detail17trampoline_kernelINS0_14default_configENS1_27lower_bound_config_selectorIslEEZNS1_14transform_implILb0ES3_S5_N6thrust23THRUST_200600_302600_NS6detail15normal_iteratorINS8_7pointerIsNS8_11hip_rocprim5par_tENS8_11use_defaultESE_EEEENSA_INSB_IlSD_SE_SE_EEEEZNS1_13binary_searchIS3_S5_NSA_INS8_10device_ptrIsEEEESG_SI_NS1_21lower_bound_search_opENS9_16wrapped_functionINS8_6system6detail7generic6detail18binary_search_lessEbEEEE10hipError_tPvRmT1_T2_T3_mmT4_T5_P12ihipStream_tbEUlRKsE_EESV_SZ_S10_mS11_S14_bEUlT_E_NS1_11comp_targetILNS1_3genE8ELNS1_11target_archE1030ELNS1_3gpuE2ELNS1_3repE0EEENS1_30default_config_static_selectorELNS0_4arch9wavefront6targetE1EEEvSY_,comdat
	.protected	_ZN7rocprim17ROCPRIM_400000_NS6detail17trampoline_kernelINS0_14default_configENS1_27lower_bound_config_selectorIslEEZNS1_14transform_implILb0ES3_S5_N6thrust23THRUST_200600_302600_NS6detail15normal_iteratorINS8_7pointerIsNS8_11hip_rocprim5par_tENS8_11use_defaultESE_EEEENSA_INSB_IlSD_SE_SE_EEEEZNS1_13binary_searchIS3_S5_NSA_INS8_10device_ptrIsEEEESG_SI_NS1_21lower_bound_search_opENS9_16wrapped_functionINS8_6system6detail7generic6detail18binary_search_lessEbEEEE10hipError_tPvRmT1_T2_T3_mmT4_T5_P12ihipStream_tbEUlRKsE_EESV_SZ_S10_mS11_S14_bEUlT_E_NS1_11comp_targetILNS1_3genE8ELNS1_11target_archE1030ELNS1_3gpuE2ELNS1_3repE0EEENS1_30default_config_static_selectorELNS0_4arch9wavefront6targetE1EEEvSY_ ; -- Begin function _ZN7rocprim17ROCPRIM_400000_NS6detail17trampoline_kernelINS0_14default_configENS1_27lower_bound_config_selectorIslEEZNS1_14transform_implILb0ES3_S5_N6thrust23THRUST_200600_302600_NS6detail15normal_iteratorINS8_7pointerIsNS8_11hip_rocprim5par_tENS8_11use_defaultESE_EEEENSA_INSB_IlSD_SE_SE_EEEEZNS1_13binary_searchIS3_S5_NSA_INS8_10device_ptrIsEEEESG_SI_NS1_21lower_bound_search_opENS9_16wrapped_functionINS8_6system6detail7generic6detail18binary_search_lessEbEEEE10hipError_tPvRmT1_T2_T3_mmT4_T5_P12ihipStream_tbEUlRKsE_EESV_SZ_S10_mS11_S14_bEUlT_E_NS1_11comp_targetILNS1_3genE8ELNS1_11target_archE1030ELNS1_3gpuE2ELNS1_3repE0EEENS1_30default_config_static_selectorELNS0_4arch9wavefront6targetE1EEEvSY_
	.globl	_ZN7rocprim17ROCPRIM_400000_NS6detail17trampoline_kernelINS0_14default_configENS1_27lower_bound_config_selectorIslEEZNS1_14transform_implILb0ES3_S5_N6thrust23THRUST_200600_302600_NS6detail15normal_iteratorINS8_7pointerIsNS8_11hip_rocprim5par_tENS8_11use_defaultESE_EEEENSA_INSB_IlSD_SE_SE_EEEEZNS1_13binary_searchIS3_S5_NSA_INS8_10device_ptrIsEEEESG_SI_NS1_21lower_bound_search_opENS9_16wrapped_functionINS8_6system6detail7generic6detail18binary_search_lessEbEEEE10hipError_tPvRmT1_T2_T3_mmT4_T5_P12ihipStream_tbEUlRKsE_EESV_SZ_S10_mS11_S14_bEUlT_E_NS1_11comp_targetILNS1_3genE8ELNS1_11target_archE1030ELNS1_3gpuE2ELNS1_3repE0EEENS1_30default_config_static_selectorELNS0_4arch9wavefront6targetE1EEEvSY_
	.p2align	8
	.type	_ZN7rocprim17ROCPRIM_400000_NS6detail17trampoline_kernelINS0_14default_configENS1_27lower_bound_config_selectorIslEEZNS1_14transform_implILb0ES3_S5_N6thrust23THRUST_200600_302600_NS6detail15normal_iteratorINS8_7pointerIsNS8_11hip_rocprim5par_tENS8_11use_defaultESE_EEEENSA_INSB_IlSD_SE_SE_EEEEZNS1_13binary_searchIS3_S5_NSA_INS8_10device_ptrIsEEEESG_SI_NS1_21lower_bound_search_opENS9_16wrapped_functionINS8_6system6detail7generic6detail18binary_search_lessEbEEEE10hipError_tPvRmT1_T2_T3_mmT4_T5_P12ihipStream_tbEUlRKsE_EESV_SZ_S10_mS11_S14_bEUlT_E_NS1_11comp_targetILNS1_3genE8ELNS1_11target_archE1030ELNS1_3gpuE2ELNS1_3repE0EEENS1_30default_config_static_selectorELNS0_4arch9wavefront6targetE1EEEvSY_,@function
_ZN7rocprim17ROCPRIM_400000_NS6detail17trampoline_kernelINS0_14default_configENS1_27lower_bound_config_selectorIslEEZNS1_14transform_implILb0ES3_S5_N6thrust23THRUST_200600_302600_NS6detail15normal_iteratorINS8_7pointerIsNS8_11hip_rocprim5par_tENS8_11use_defaultESE_EEEENSA_INSB_IlSD_SE_SE_EEEEZNS1_13binary_searchIS3_S5_NSA_INS8_10device_ptrIsEEEESG_SI_NS1_21lower_bound_search_opENS9_16wrapped_functionINS8_6system6detail7generic6detail18binary_search_lessEbEEEE10hipError_tPvRmT1_T2_T3_mmT4_T5_P12ihipStream_tbEUlRKsE_EESV_SZ_S10_mS11_S14_bEUlT_E_NS1_11comp_targetILNS1_3genE8ELNS1_11target_archE1030ELNS1_3gpuE2ELNS1_3repE0EEENS1_30default_config_static_selectorELNS0_4arch9wavefront6targetE1EEEvSY_: ; @_ZN7rocprim17ROCPRIM_400000_NS6detail17trampoline_kernelINS0_14default_configENS1_27lower_bound_config_selectorIslEEZNS1_14transform_implILb0ES3_S5_N6thrust23THRUST_200600_302600_NS6detail15normal_iteratorINS8_7pointerIsNS8_11hip_rocprim5par_tENS8_11use_defaultESE_EEEENSA_INSB_IlSD_SE_SE_EEEEZNS1_13binary_searchIS3_S5_NSA_INS8_10device_ptrIsEEEESG_SI_NS1_21lower_bound_search_opENS9_16wrapped_functionINS8_6system6detail7generic6detail18binary_search_lessEbEEEE10hipError_tPvRmT1_T2_T3_mmT4_T5_P12ihipStream_tbEUlRKsE_EESV_SZ_S10_mS11_S14_bEUlT_E_NS1_11comp_targetILNS1_3genE8ELNS1_11target_archE1030ELNS1_3gpuE2ELNS1_3repE0EEENS1_30default_config_static_selectorELNS0_4arch9wavefront6targetE1EEEvSY_
; %bb.0:
	.section	.rodata,"a",@progbits
	.p2align	6, 0x0
	.amdhsa_kernel _ZN7rocprim17ROCPRIM_400000_NS6detail17trampoline_kernelINS0_14default_configENS1_27lower_bound_config_selectorIslEEZNS1_14transform_implILb0ES3_S5_N6thrust23THRUST_200600_302600_NS6detail15normal_iteratorINS8_7pointerIsNS8_11hip_rocprim5par_tENS8_11use_defaultESE_EEEENSA_INSB_IlSD_SE_SE_EEEEZNS1_13binary_searchIS3_S5_NSA_INS8_10device_ptrIsEEEESG_SI_NS1_21lower_bound_search_opENS9_16wrapped_functionINS8_6system6detail7generic6detail18binary_search_lessEbEEEE10hipError_tPvRmT1_T2_T3_mmT4_T5_P12ihipStream_tbEUlRKsE_EESV_SZ_S10_mS11_S14_bEUlT_E_NS1_11comp_targetILNS1_3genE8ELNS1_11target_archE1030ELNS1_3gpuE2ELNS1_3repE0EEENS1_30default_config_static_selectorELNS0_4arch9wavefront6targetE1EEEvSY_
		.amdhsa_group_segment_fixed_size 0
		.amdhsa_private_segment_fixed_size 0
		.amdhsa_kernarg_size 56
		.amdhsa_user_sgpr_count 6
		.amdhsa_user_sgpr_private_segment_buffer 1
		.amdhsa_user_sgpr_dispatch_ptr 0
		.amdhsa_user_sgpr_queue_ptr 0
		.amdhsa_user_sgpr_kernarg_segment_ptr 1
		.amdhsa_user_sgpr_dispatch_id 0
		.amdhsa_user_sgpr_flat_scratch_init 0
		.amdhsa_user_sgpr_private_segment_size 0
		.amdhsa_uses_dynamic_stack 0
		.amdhsa_system_sgpr_private_segment_wavefront_offset 0
		.amdhsa_system_sgpr_workgroup_id_x 1
		.amdhsa_system_sgpr_workgroup_id_y 0
		.amdhsa_system_sgpr_workgroup_id_z 0
		.amdhsa_system_sgpr_workgroup_info 0
		.amdhsa_system_vgpr_workitem_id 0
		.amdhsa_next_free_vgpr 1
		.amdhsa_next_free_sgpr 0
		.amdhsa_reserve_vcc 0
		.amdhsa_reserve_flat_scratch 0
		.amdhsa_float_round_mode_32 0
		.amdhsa_float_round_mode_16_64 0
		.amdhsa_float_denorm_mode_32 3
		.amdhsa_float_denorm_mode_16_64 3
		.amdhsa_dx10_clamp 1
		.amdhsa_ieee_mode 1
		.amdhsa_fp16_overflow 0
		.amdhsa_exception_fp_ieee_invalid_op 0
		.amdhsa_exception_fp_denorm_src 0
		.amdhsa_exception_fp_ieee_div_zero 0
		.amdhsa_exception_fp_ieee_overflow 0
		.amdhsa_exception_fp_ieee_underflow 0
		.amdhsa_exception_fp_ieee_inexact 0
		.amdhsa_exception_int_div_zero 0
	.end_amdhsa_kernel
	.section	.text._ZN7rocprim17ROCPRIM_400000_NS6detail17trampoline_kernelINS0_14default_configENS1_27lower_bound_config_selectorIslEEZNS1_14transform_implILb0ES3_S5_N6thrust23THRUST_200600_302600_NS6detail15normal_iteratorINS8_7pointerIsNS8_11hip_rocprim5par_tENS8_11use_defaultESE_EEEENSA_INSB_IlSD_SE_SE_EEEEZNS1_13binary_searchIS3_S5_NSA_INS8_10device_ptrIsEEEESG_SI_NS1_21lower_bound_search_opENS9_16wrapped_functionINS8_6system6detail7generic6detail18binary_search_lessEbEEEE10hipError_tPvRmT1_T2_T3_mmT4_T5_P12ihipStream_tbEUlRKsE_EESV_SZ_S10_mS11_S14_bEUlT_E_NS1_11comp_targetILNS1_3genE8ELNS1_11target_archE1030ELNS1_3gpuE2ELNS1_3repE0EEENS1_30default_config_static_selectorELNS0_4arch9wavefront6targetE1EEEvSY_,"axG",@progbits,_ZN7rocprim17ROCPRIM_400000_NS6detail17trampoline_kernelINS0_14default_configENS1_27lower_bound_config_selectorIslEEZNS1_14transform_implILb0ES3_S5_N6thrust23THRUST_200600_302600_NS6detail15normal_iteratorINS8_7pointerIsNS8_11hip_rocprim5par_tENS8_11use_defaultESE_EEEENSA_INSB_IlSD_SE_SE_EEEEZNS1_13binary_searchIS3_S5_NSA_INS8_10device_ptrIsEEEESG_SI_NS1_21lower_bound_search_opENS9_16wrapped_functionINS8_6system6detail7generic6detail18binary_search_lessEbEEEE10hipError_tPvRmT1_T2_T3_mmT4_T5_P12ihipStream_tbEUlRKsE_EESV_SZ_S10_mS11_S14_bEUlT_E_NS1_11comp_targetILNS1_3genE8ELNS1_11target_archE1030ELNS1_3gpuE2ELNS1_3repE0EEENS1_30default_config_static_selectorELNS0_4arch9wavefront6targetE1EEEvSY_,comdat
.Lfunc_end420:
	.size	_ZN7rocprim17ROCPRIM_400000_NS6detail17trampoline_kernelINS0_14default_configENS1_27lower_bound_config_selectorIslEEZNS1_14transform_implILb0ES3_S5_N6thrust23THRUST_200600_302600_NS6detail15normal_iteratorINS8_7pointerIsNS8_11hip_rocprim5par_tENS8_11use_defaultESE_EEEENSA_INSB_IlSD_SE_SE_EEEEZNS1_13binary_searchIS3_S5_NSA_INS8_10device_ptrIsEEEESG_SI_NS1_21lower_bound_search_opENS9_16wrapped_functionINS8_6system6detail7generic6detail18binary_search_lessEbEEEE10hipError_tPvRmT1_T2_T3_mmT4_T5_P12ihipStream_tbEUlRKsE_EESV_SZ_S10_mS11_S14_bEUlT_E_NS1_11comp_targetILNS1_3genE8ELNS1_11target_archE1030ELNS1_3gpuE2ELNS1_3repE0EEENS1_30default_config_static_selectorELNS0_4arch9wavefront6targetE1EEEvSY_, .Lfunc_end420-_ZN7rocprim17ROCPRIM_400000_NS6detail17trampoline_kernelINS0_14default_configENS1_27lower_bound_config_selectorIslEEZNS1_14transform_implILb0ES3_S5_N6thrust23THRUST_200600_302600_NS6detail15normal_iteratorINS8_7pointerIsNS8_11hip_rocprim5par_tENS8_11use_defaultESE_EEEENSA_INSB_IlSD_SE_SE_EEEEZNS1_13binary_searchIS3_S5_NSA_INS8_10device_ptrIsEEEESG_SI_NS1_21lower_bound_search_opENS9_16wrapped_functionINS8_6system6detail7generic6detail18binary_search_lessEbEEEE10hipError_tPvRmT1_T2_T3_mmT4_T5_P12ihipStream_tbEUlRKsE_EESV_SZ_S10_mS11_S14_bEUlT_E_NS1_11comp_targetILNS1_3genE8ELNS1_11target_archE1030ELNS1_3gpuE2ELNS1_3repE0EEENS1_30default_config_static_selectorELNS0_4arch9wavefront6targetE1EEEvSY_
                                        ; -- End function
	.set _ZN7rocprim17ROCPRIM_400000_NS6detail17trampoline_kernelINS0_14default_configENS1_27lower_bound_config_selectorIslEEZNS1_14transform_implILb0ES3_S5_N6thrust23THRUST_200600_302600_NS6detail15normal_iteratorINS8_7pointerIsNS8_11hip_rocprim5par_tENS8_11use_defaultESE_EEEENSA_INSB_IlSD_SE_SE_EEEEZNS1_13binary_searchIS3_S5_NSA_INS8_10device_ptrIsEEEESG_SI_NS1_21lower_bound_search_opENS9_16wrapped_functionINS8_6system6detail7generic6detail18binary_search_lessEbEEEE10hipError_tPvRmT1_T2_T3_mmT4_T5_P12ihipStream_tbEUlRKsE_EESV_SZ_S10_mS11_S14_bEUlT_E_NS1_11comp_targetILNS1_3genE8ELNS1_11target_archE1030ELNS1_3gpuE2ELNS1_3repE0EEENS1_30default_config_static_selectorELNS0_4arch9wavefront6targetE1EEEvSY_.num_vgpr, 0
	.set _ZN7rocprim17ROCPRIM_400000_NS6detail17trampoline_kernelINS0_14default_configENS1_27lower_bound_config_selectorIslEEZNS1_14transform_implILb0ES3_S5_N6thrust23THRUST_200600_302600_NS6detail15normal_iteratorINS8_7pointerIsNS8_11hip_rocprim5par_tENS8_11use_defaultESE_EEEENSA_INSB_IlSD_SE_SE_EEEEZNS1_13binary_searchIS3_S5_NSA_INS8_10device_ptrIsEEEESG_SI_NS1_21lower_bound_search_opENS9_16wrapped_functionINS8_6system6detail7generic6detail18binary_search_lessEbEEEE10hipError_tPvRmT1_T2_T3_mmT4_T5_P12ihipStream_tbEUlRKsE_EESV_SZ_S10_mS11_S14_bEUlT_E_NS1_11comp_targetILNS1_3genE8ELNS1_11target_archE1030ELNS1_3gpuE2ELNS1_3repE0EEENS1_30default_config_static_selectorELNS0_4arch9wavefront6targetE1EEEvSY_.num_agpr, 0
	.set _ZN7rocprim17ROCPRIM_400000_NS6detail17trampoline_kernelINS0_14default_configENS1_27lower_bound_config_selectorIslEEZNS1_14transform_implILb0ES3_S5_N6thrust23THRUST_200600_302600_NS6detail15normal_iteratorINS8_7pointerIsNS8_11hip_rocprim5par_tENS8_11use_defaultESE_EEEENSA_INSB_IlSD_SE_SE_EEEEZNS1_13binary_searchIS3_S5_NSA_INS8_10device_ptrIsEEEESG_SI_NS1_21lower_bound_search_opENS9_16wrapped_functionINS8_6system6detail7generic6detail18binary_search_lessEbEEEE10hipError_tPvRmT1_T2_T3_mmT4_T5_P12ihipStream_tbEUlRKsE_EESV_SZ_S10_mS11_S14_bEUlT_E_NS1_11comp_targetILNS1_3genE8ELNS1_11target_archE1030ELNS1_3gpuE2ELNS1_3repE0EEENS1_30default_config_static_selectorELNS0_4arch9wavefront6targetE1EEEvSY_.numbered_sgpr, 0
	.set _ZN7rocprim17ROCPRIM_400000_NS6detail17trampoline_kernelINS0_14default_configENS1_27lower_bound_config_selectorIslEEZNS1_14transform_implILb0ES3_S5_N6thrust23THRUST_200600_302600_NS6detail15normal_iteratorINS8_7pointerIsNS8_11hip_rocprim5par_tENS8_11use_defaultESE_EEEENSA_INSB_IlSD_SE_SE_EEEEZNS1_13binary_searchIS3_S5_NSA_INS8_10device_ptrIsEEEESG_SI_NS1_21lower_bound_search_opENS9_16wrapped_functionINS8_6system6detail7generic6detail18binary_search_lessEbEEEE10hipError_tPvRmT1_T2_T3_mmT4_T5_P12ihipStream_tbEUlRKsE_EESV_SZ_S10_mS11_S14_bEUlT_E_NS1_11comp_targetILNS1_3genE8ELNS1_11target_archE1030ELNS1_3gpuE2ELNS1_3repE0EEENS1_30default_config_static_selectorELNS0_4arch9wavefront6targetE1EEEvSY_.num_named_barrier, 0
	.set _ZN7rocprim17ROCPRIM_400000_NS6detail17trampoline_kernelINS0_14default_configENS1_27lower_bound_config_selectorIslEEZNS1_14transform_implILb0ES3_S5_N6thrust23THRUST_200600_302600_NS6detail15normal_iteratorINS8_7pointerIsNS8_11hip_rocprim5par_tENS8_11use_defaultESE_EEEENSA_INSB_IlSD_SE_SE_EEEEZNS1_13binary_searchIS3_S5_NSA_INS8_10device_ptrIsEEEESG_SI_NS1_21lower_bound_search_opENS9_16wrapped_functionINS8_6system6detail7generic6detail18binary_search_lessEbEEEE10hipError_tPvRmT1_T2_T3_mmT4_T5_P12ihipStream_tbEUlRKsE_EESV_SZ_S10_mS11_S14_bEUlT_E_NS1_11comp_targetILNS1_3genE8ELNS1_11target_archE1030ELNS1_3gpuE2ELNS1_3repE0EEENS1_30default_config_static_selectorELNS0_4arch9wavefront6targetE1EEEvSY_.private_seg_size, 0
	.set _ZN7rocprim17ROCPRIM_400000_NS6detail17trampoline_kernelINS0_14default_configENS1_27lower_bound_config_selectorIslEEZNS1_14transform_implILb0ES3_S5_N6thrust23THRUST_200600_302600_NS6detail15normal_iteratorINS8_7pointerIsNS8_11hip_rocprim5par_tENS8_11use_defaultESE_EEEENSA_INSB_IlSD_SE_SE_EEEEZNS1_13binary_searchIS3_S5_NSA_INS8_10device_ptrIsEEEESG_SI_NS1_21lower_bound_search_opENS9_16wrapped_functionINS8_6system6detail7generic6detail18binary_search_lessEbEEEE10hipError_tPvRmT1_T2_T3_mmT4_T5_P12ihipStream_tbEUlRKsE_EESV_SZ_S10_mS11_S14_bEUlT_E_NS1_11comp_targetILNS1_3genE8ELNS1_11target_archE1030ELNS1_3gpuE2ELNS1_3repE0EEENS1_30default_config_static_selectorELNS0_4arch9wavefront6targetE1EEEvSY_.uses_vcc, 0
	.set _ZN7rocprim17ROCPRIM_400000_NS6detail17trampoline_kernelINS0_14default_configENS1_27lower_bound_config_selectorIslEEZNS1_14transform_implILb0ES3_S5_N6thrust23THRUST_200600_302600_NS6detail15normal_iteratorINS8_7pointerIsNS8_11hip_rocprim5par_tENS8_11use_defaultESE_EEEENSA_INSB_IlSD_SE_SE_EEEEZNS1_13binary_searchIS3_S5_NSA_INS8_10device_ptrIsEEEESG_SI_NS1_21lower_bound_search_opENS9_16wrapped_functionINS8_6system6detail7generic6detail18binary_search_lessEbEEEE10hipError_tPvRmT1_T2_T3_mmT4_T5_P12ihipStream_tbEUlRKsE_EESV_SZ_S10_mS11_S14_bEUlT_E_NS1_11comp_targetILNS1_3genE8ELNS1_11target_archE1030ELNS1_3gpuE2ELNS1_3repE0EEENS1_30default_config_static_selectorELNS0_4arch9wavefront6targetE1EEEvSY_.uses_flat_scratch, 0
	.set _ZN7rocprim17ROCPRIM_400000_NS6detail17trampoline_kernelINS0_14default_configENS1_27lower_bound_config_selectorIslEEZNS1_14transform_implILb0ES3_S5_N6thrust23THRUST_200600_302600_NS6detail15normal_iteratorINS8_7pointerIsNS8_11hip_rocprim5par_tENS8_11use_defaultESE_EEEENSA_INSB_IlSD_SE_SE_EEEEZNS1_13binary_searchIS3_S5_NSA_INS8_10device_ptrIsEEEESG_SI_NS1_21lower_bound_search_opENS9_16wrapped_functionINS8_6system6detail7generic6detail18binary_search_lessEbEEEE10hipError_tPvRmT1_T2_T3_mmT4_T5_P12ihipStream_tbEUlRKsE_EESV_SZ_S10_mS11_S14_bEUlT_E_NS1_11comp_targetILNS1_3genE8ELNS1_11target_archE1030ELNS1_3gpuE2ELNS1_3repE0EEENS1_30default_config_static_selectorELNS0_4arch9wavefront6targetE1EEEvSY_.has_dyn_sized_stack, 0
	.set _ZN7rocprim17ROCPRIM_400000_NS6detail17trampoline_kernelINS0_14default_configENS1_27lower_bound_config_selectorIslEEZNS1_14transform_implILb0ES3_S5_N6thrust23THRUST_200600_302600_NS6detail15normal_iteratorINS8_7pointerIsNS8_11hip_rocprim5par_tENS8_11use_defaultESE_EEEENSA_INSB_IlSD_SE_SE_EEEEZNS1_13binary_searchIS3_S5_NSA_INS8_10device_ptrIsEEEESG_SI_NS1_21lower_bound_search_opENS9_16wrapped_functionINS8_6system6detail7generic6detail18binary_search_lessEbEEEE10hipError_tPvRmT1_T2_T3_mmT4_T5_P12ihipStream_tbEUlRKsE_EESV_SZ_S10_mS11_S14_bEUlT_E_NS1_11comp_targetILNS1_3genE8ELNS1_11target_archE1030ELNS1_3gpuE2ELNS1_3repE0EEENS1_30default_config_static_selectorELNS0_4arch9wavefront6targetE1EEEvSY_.has_recursion, 0
	.set _ZN7rocprim17ROCPRIM_400000_NS6detail17trampoline_kernelINS0_14default_configENS1_27lower_bound_config_selectorIslEEZNS1_14transform_implILb0ES3_S5_N6thrust23THRUST_200600_302600_NS6detail15normal_iteratorINS8_7pointerIsNS8_11hip_rocprim5par_tENS8_11use_defaultESE_EEEENSA_INSB_IlSD_SE_SE_EEEEZNS1_13binary_searchIS3_S5_NSA_INS8_10device_ptrIsEEEESG_SI_NS1_21lower_bound_search_opENS9_16wrapped_functionINS8_6system6detail7generic6detail18binary_search_lessEbEEEE10hipError_tPvRmT1_T2_T3_mmT4_T5_P12ihipStream_tbEUlRKsE_EESV_SZ_S10_mS11_S14_bEUlT_E_NS1_11comp_targetILNS1_3genE8ELNS1_11target_archE1030ELNS1_3gpuE2ELNS1_3repE0EEENS1_30default_config_static_selectorELNS0_4arch9wavefront6targetE1EEEvSY_.has_indirect_call, 0
	.section	.AMDGPU.csdata,"",@progbits
; Kernel info:
; codeLenInByte = 0
; TotalNumSgprs: 4
; NumVgprs: 0
; ScratchSize: 0
; MemoryBound: 0
; FloatMode: 240
; IeeeMode: 1
; LDSByteSize: 0 bytes/workgroup (compile time only)
; SGPRBlocks: 0
; VGPRBlocks: 0
; NumSGPRsForWavesPerEU: 4
; NumVGPRsForWavesPerEU: 1
; Occupancy: 10
; WaveLimiterHint : 0
; COMPUTE_PGM_RSRC2:SCRATCH_EN: 0
; COMPUTE_PGM_RSRC2:USER_SGPR: 6
; COMPUTE_PGM_RSRC2:TRAP_HANDLER: 0
; COMPUTE_PGM_RSRC2:TGID_X_EN: 1
; COMPUTE_PGM_RSRC2:TGID_Y_EN: 0
; COMPUTE_PGM_RSRC2:TGID_Z_EN: 0
; COMPUTE_PGM_RSRC2:TIDIG_COMP_CNT: 0
	.section	.text._ZN6thrust23THRUST_200600_302600_NS11hip_rocprim14__parallel_for6kernelILj256ENS1_10for_each_fINS0_10device_ptrINS0_5tupleIiiNS0_9null_typeES7_S7_S7_S7_S7_S7_S7_EEEENS0_6detail16wrapped_functionINSA_23allocator_traits_detail24construct1_via_allocatorINS0_16device_allocatorIS8_EEEEvEEEEmLj1EEEvT0_T1_SK_,"axG",@progbits,_ZN6thrust23THRUST_200600_302600_NS11hip_rocprim14__parallel_for6kernelILj256ENS1_10for_each_fINS0_10device_ptrINS0_5tupleIiiNS0_9null_typeES7_S7_S7_S7_S7_S7_S7_EEEENS0_6detail16wrapped_functionINSA_23allocator_traits_detail24construct1_via_allocatorINS0_16device_allocatorIS8_EEEEvEEEEmLj1EEEvT0_T1_SK_,comdat
	.protected	_ZN6thrust23THRUST_200600_302600_NS11hip_rocprim14__parallel_for6kernelILj256ENS1_10for_each_fINS0_10device_ptrINS0_5tupleIiiNS0_9null_typeES7_S7_S7_S7_S7_S7_S7_EEEENS0_6detail16wrapped_functionINSA_23allocator_traits_detail24construct1_via_allocatorINS0_16device_allocatorIS8_EEEEvEEEEmLj1EEEvT0_T1_SK_ ; -- Begin function _ZN6thrust23THRUST_200600_302600_NS11hip_rocprim14__parallel_for6kernelILj256ENS1_10for_each_fINS0_10device_ptrINS0_5tupleIiiNS0_9null_typeES7_S7_S7_S7_S7_S7_S7_EEEENS0_6detail16wrapped_functionINSA_23allocator_traits_detail24construct1_via_allocatorINS0_16device_allocatorIS8_EEEEvEEEEmLj1EEEvT0_T1_SK_
	.globl	_ZN6thrust23THRUST_200600_302600_NS11hip_rocprim14__parallel_for6kernelILj256ENS1_10for_each_fINS0_10device_ptrINS0_5tupleIiiNS0_9null_typeES7_S7_S7_S7_S7_S7_S7_EEEENS0_6detail16wrapped_functionINSA_23allocator_traits_detail24construct1_via_allocatorINS0_16device_allocatorIS8_EEEEvEEEEmLj1EEEvT0_T1_SK_
	.p2align	8
	.type	_ZN6thrust23THRUST_200600_302600_NS11hip_rocprim14__parallel_for6kernelILj256ENS1_10for_each_fINS0_10device_ptrINS0_5tupleIiiNS0_9null_typeES7_S7_S7_S7_S7_S7_S7_EEEENS0_6detail16wrapped_functionINSA_23allocator_traits_detail24construct1_via_allocatorINS0_16device_allocatorIS8_EEEEvEEEEmLj1EEEvT0_T1_SK_,@function
_ZN6thrust23THRUST_200600_302600_NS11hip_rocprim14__parallel_for6kernelILj256ENS1_10for_each_fINS0_10device_ptrINS0_5tupleIiiNS0_9null_typeES7_S7_S7_S7_S7_S7_S7_EEEENS0_6detail16wrapped_functionINSA_23allocator_traits_detail24construct1_via_allocatorINS0_16device_allocatorIS8_EEEEvEEEEmLj1EEEvT0_T1_SK_: ; @_ZN6thrust23THRUST_200600_302600_NS11hip_rocprim14__parallel_for6kernelILj256ENS1_10for_each_fINS0_10device_ptrINS0_5tupleIiiNS0_9null_typeES7_S7_S7_S7_S7_S7_S7_EEEENS0_6detail16wrapped_functionINSA_23allocator_traits_detail24construct1_via_allocatorINS0_16device_allocatorIS8_EEEEvEEEEmLj1EEEvT0_T1_SK_
; %bb.0:
	s_load_dwordx4 s[8:11], s[4:5], 0x10
	s_load_dwordx2 s[0:1], s[4:5], 0x0
	s_lshl_b32 s2, s6, 8
	v_mov_b32_e32 v1, 0xff
	v_mov_b32_e32 v2, 0
	s_waitcnt lgkmcnt(0)
	s_add_u32 s2, s10, s2
	s_addc_u32 s3, s11, 0
	s_sub_u32 s4, s8, s2
	s_subb_u32 s5, s9, s3
	v_cmp_gt_u64_e32 vcc, s[4:5], v[1:2]
	s_mov_b64 s[6:7], -1
	s_cbranch_vccz .LBB421_3
; %bb.1:
	s_andn2_b64 vcc, exec, s[6:7]
	s_cbranch_vccz .LBB421_6
.LBB421_2:
	s_endpgm
.LBB421_3:
	v_cmp_gt_u32_e32 vcc, s4, v0
	s_and_saveexec_b64 s[4:5], vcc
	s_cbranch_execz .LBB421_5
; %bb.4:
	s_lshl_b64 s[6:7], s[2:3], 3
	s_add_u32 s6, s0, s6
	s_addc_u32 s7, s1, s7
	v_lshlrev_b32_e32 v1, 3, v0
	v_mov_b32_e32 v2, s7
	v_add_co_u32_e32 v1, vcc, s6, v1
	v_mov_b32_e32 v3, 0
	v_addc_co_u32_e32 v2, vcc, 0, v2, vcc
	v_mov_b32_e32 v4, v3
	flat_store_dwordx2 v[1:2], v[3:4]
.LBB421_5:
	s_or_b64 exec, exec, s[4:5]
	s_cbranch_execnz .LBB421_2
.LBB421_6:
	s_lshl_b64 s[2:3], s[2:3], 3
	s_add_u32 s0, s0, s2
	s_addc_u32 s1, s1, s3
	v_lshlrev_b32_e32 v0, 3, v0
	v_mov_b32_e32 v1, s1
	v_add_co_u32_e32 v0, vcc, s0, v0
	v_mov_b32_e32 v2, 0
	v_addc_co_u32_e32 v1, vcc, 0, v1, vcc
	v_mov_b32_e32 v3, v2
	flat_store_dwordx2 v[0:1], v[2:3]
	s_endpgm
	.section	.rodata,"a",@progbits
	.p2align	6, 0x0
	.amdhsa_kernel _ZN6thrust23THRUST_200600_302600_NS11hip_rocprim14__parallel_for6kernelILj256ENS1_10for_each_fINS0_10device_ptrINS0_5tupleIiiNS0_9null_typeES7_S7_S7_S7_S7_S7_S7_EEEENS0_6detail16wrapped_functionINSA_23allocator_traits_detail24construct1_via_allocatorINS0_16device_allocatorIS8_EEEEvEEEEmLj1EEEvT0_T1_SK_
		.amdhsa_group_segment_fixed_size 0
		.amdhsa_private_segment_fixed_size 0
		.amdhsa_kernarg_size 32
		.amdhsa_user_sgpr_count 6
		.amdhsa_user_sgpr_private_segment_buffer 1
		.amdhsa_user_sgpr_dispatch_ptr 0
		.amdhsa_user_sgpr_queue_ptr 0
		.amdhsa_user_sgpr_kernarg_segment_ptr 1
		.amdhsa_user_sgpr_dispatch_id 0
		.amdhsa_user_sgpr_flat_scratch_init 0
		.amdhsa_user_sgpr_private_segment_size 0
		.amdhsa_uses_dynamic_stack 0
		.amdhsa_system_sgpr_private_segment_wavefront_offset 0
		.amdhsa_system_sgpr_workgroup_id_x 1
		.amdhsa_system_sgpr_workgroup_id_y 0
		.amdhsa_system_sgpr_workgroup_id_z 0
		.amdhsa_system_sgpr_workgroup_info 0
		.amdhsa_system_vgpr_workitem_id 0
		.amdhsa_next_free_vgpr 5
		.amdhsa_next_free_sgpr 12
		.amdhsa_reserve_vcc 1
		.amdhsa_reserve_flat_scratch 0
		.amdhsa_float_round_mode_32 0
		.amdhsa_float_round_mode_16_64 0
		.amdhsa_float_denorm_mode_32 3
		.amdhsa_float_denorm_mode_16_64 3
		.amdhsa_dx10_clamp 1
		.amdhsa_ieee_mode 1
		.amdhsa_fp16_overflow 0
		.amdhsa_exception_fp_ieee_invalid_op 0
		.amdhsa_exception_fp_denorm_src 0
		.amdhsa_exception_fp_ieee_div_zero 0
		.amdhsa_exception_fp_ieee_overflow 0
		.amdhsa_exception_fp_ieee_underflow 0
		.amdhsa_exception_fp_ieee_inexact 0
		.amdhsa_exception_int_div_zero 0
	.end_amdhsa_kernel
	.section	.text._ZN6thrust23THRUST_200600_302600_NS11hip_rocprim14__parallel_for6kernelILj256ENS1_10for_each_fINS0_10device_ptrINS0_5tupleIiiNS0_9null_typeES7_S7_S7_S7_S7_S7_S7_EEEENS0_6detail16wrapped_functionINSA_23allocator_traits_detail24construct1_via_allocatorINS0_16device_allocatorIS8_EEEEvEEEEmLj1EEEvT0_T1_SK_,"axG",@progbits,_ZN6thrust23THRUST_200600_302600_NS11hip_rocprim14__parallel_for6kernelILj256ENS1_10for_each_fINS0_10device_ptrINS0_5tupleIiiNS0_9null_typeES7_S7_S7_S7_S7_S7_S7_EEEENS0_6detail16wrapped_functionINSA_23allocator_traits_detail24construct1_via_allocatorINS0_16device_allocatorIS8_EEEEvEEEEmLj1EEEvT0_T1_SK_,comdat
.Lfunc_end421:
	.size	_ZN6thrust23THRUST_200600_302600_NS11hip_rocprim14__parallel_for6kernelILj256ENS1_10for_each_fINS0_10device_ptrINS0_5tupleIiiNS0_9null_typeES7_S7_S7_S7_S7_S7_S7_EEEENS0_6detail16wrapped_functionINSA_23allocator_traits_detail24construct1_via_allocatorINS0_16device_allocatorIS8_EEEEvEEEEmLj1EEEvT0_T1_SK_, .Lfunc_end421-_ZN6thrust23THRUST_200600_302600_NS11hip_rocprim14__parallel_for6kernelILj256ENS1_10for_each_fINS0_10device_ptrINS0_5tupleIiiNS0_9null_typeES7_S7_S7_S7_S7_S7_S7_EEEENS0_6detail16wrapped_functionINSA_23allocator_traits_detail24construct1_via_allocatorINS0_16device_allocatorIS8_EEEEvEEEEmLj1EEEvT0_T1_SK_
                                        ; -- End function
	.set _ZN6thrust23THRUST_200600_302600_NS11hip_rocprim14__parallel_for6kernelILj256ENS1_10for_each_fINS0_10device_ptrINS0_5tupleIiiNS0_9null_typeES7_S7_S7_S7_S7_S7_S7_EEEENS0_6detail16wrapped_functionINSA_23allocator_traits_detail24construct1_via_allocatorINS0_16device_allocatorIS8_EEEEvEEEEmLj1EEEvT0_T1_SK_.num_vgpr, 5
	.set _ZN6thrust23THRUST_200600_302600_NS11hip_rocprim14__parallel_for6kernelILj256ENS1_10for_each_fINS0_10device_ptrINS0_5tupleIiiNS0_9null_typeES7_S7_S7_S7_S7_S7_S7_EEEENS0_6detail16wrapped_functionINSA_23allocator_traits_detail24construct1_via_allocatorINS0_16device_allocatorIS8_EEEEvEEEEmLj1EEEvT0_T1_SK_.num_agpr, 0
	.set _ZN6thrust23THRUST_200600_302600_NS11hip_rocprim14__parallel_for6kernelILj256ENS1_10for_each_fINS0_10device_ptrINS0_5tupleIiiNS0_9null_typeES7_S7_S7_S7_S7_S7_S7_EEEENS0_6detail16wrapped_functionINSA_23allocator_traits_detail24construct1_via_allocatorINS0_16device_allocatorIS8_EEEEvEEEEmLj1EEEvT0_T1_SK_.numbered_sgpr, 12
	.set _ZN6thrust23THRUST_200600_302600_NS11hip_rocprim14__parallel_for6kernelILj256ENS1_10for_each_fINS0_10device_ptrINS0_5tupleIiiNS0_9null_typeES7_S7_S7_S7_S7_S7_S7_EEEENS0_6detail16wrapped_functionINSA_23allocator_traits_detail24construct1_via_allocatorINS0_16device_allocatorIS8_EEEEvEEEEmLj1EEEvT0_T1_SK_.num_named_barrier, 0
	.set _ZN6thrust23THRUST_200600_302600_NS11hip_rocprim14__parallel_for6kernelILj256ENS1_10for_each_fINS0_10device_ptrINS0_5tupleIiiNS0_9null_typeES7_S7_S7_S7_S7_S7_S7_EEEENS0_6detail16wrapped_functionINSA_23allocator_traits_detail24construct1_via_allocatorINS0_16device_allocatorIS8_EEEEvEEEEmLj1EEEvT0_T1_SK_.private_seg_size, 0
	.set _ZN6thrust23THRUST_200600_302600_NS11hip_rocprim14__parallel_for6kernelILj256ENS1_10for_each_fINS0_10device_ptrINS0_5tupleIiiNS0_9null_typeES7_S7_S7_S7_S7_S7_S7_EEEENS0_6detail16wrapped_functionINSA_23allocator_traits_detail24construct1_via_allocatorINS0_16device_allocatorIS8_EEEEvEEEEmLj1EEEvT0_T1_SK_.uses_vcc, 1
	.set _ZN6thrust23THRUST_200600_302600_NS11hip_rocprim14__parallel_for6kernelILj256ENS1_10for_each_fINS0_10device_ptrINS0_5tupleIiiNS0_9null_typeES7_S7_S7_S7_S7_S7_S7_EEEENS0_6detail16wrapped_functionINSA_23allocator_traits_detail24construct1_via_allocatorINS0_16device_allocatorIS8_EEEEvEEEEmLj1EEEvT0_T1_SK_.uses_flat_scratch, 0
	.set _ZN6thrust23THRUST_200600_302600_NS11hip_rocprim14__parallel_for6kernelILj256ENS1_10for_each_fINS0_10device_ptrINS0_5tupleIiiNS0_9null_typeES7_S7_S7_S7_S7_S7_S7_EEEENS0_6detail16wrapped_functionINSA_23allocator_traits_detail24construct1_via_allocatorINS0_16device_allocatorIS8_EEEEvEEEEmLj1EEEvT0_T1_SK_.has_dyn_sized_stack, 0
	.set _ZN6thrust23THRUST_200600_302600_NS11hip_rocprim14__parallel_for6kernelILj256ENS1_10for_each_fINS0_10device_ptrINS0_5tupleIiiNS0_9null_typeES7_S7_S7_S7_S7_S7_S7_EEEENS0_6detail16wrapped_functionINSA_23allocator_traits_detail24construct1_via_allocatorINS0_16device_allocatorIS8_EEEEvEEEEmLj1EEEvT0_T1_SK_.has_recursion, 0
	.set _ZN6thrust23THRUST_200600_302600_NS11hip_rocprim14__parallel_for6kernelILj256ENS1_10for_each_fINS0_10device_ptrINS0_5tupleIiiNS0_9null_typeES7_S7_S7_S7_S7_S7_S7_EEEENS0_6detail16wrapped_functionINSA_23allocator_traits_detail24construct1_via_allocatorINS0_16device_allocatorIS8_EEEEvEEEEmLj1EEEvT0_T1_SK_.has_indirect_call, 0
	.section	.AMDGPU.csdata,"",@progbits
; Kernel info:
; codeLenInByte = 188
; TotalNumSgprs: 16
; NumVgprs: 5
; ScratchSize: 0
; MemoryBound: 0
; FloatMode: 240
; IeeeMode: 1
; LDSByteSize: 0 bytes/workgroup (compile time only)
; SGPRBlocks: 1
; VGPRBlocks: 1
; NumSGPRsForWavesPerEU: 16
; NumVGPRsForWavesPerEU: 5
; Occupancy: 10
; WaveLimiterHint : 0
; COMPUTE_PGM_RSRC2:SCRATCH_EN: 0
; COMPUTE_PGM_RSRC2:USER_SGPR: 6
; COMPUTE_PGM_RSRC2:TRAP_HANDLER: 0
; COMPUTE_PGM_RSRC2:TGID_X_EN: 1
; COMPUTE_PGM_RSRC2:TGID_Y_EN: 0
; COMPUTE_PGM_RSRC2:TGID_Z_EN: 0
; COMPUTE_PGM_RSRC2:TIDIG_COMP_CNT: 0
	.section	.text._ZN6thrust23THRUST_200600_302600_NS11hip_rocprim14__parallel_for6kernelILj256ENS1_10for_each_fINS0_10device_ptrINS0_5tupleIiiNS0_9null_typeES7_S7_S7_S7_S7_S7_S7_EEEENS0_6detail16wrapped_functionINSA_23allocator_traits_detail5gozerEvEEEElLj1EEEvT0_T1_SH_,"axG",@progbits,_ZN6thrust23THRUST_200600_302600_NS11hip_rocprim14__parallel_for6kernelILj256ENS1_10for_each_fINS0_10device_ptrINS0_5tupleIiiNS0_9null_typeES7_S7_S7_S7_S7_S7_S7_EEEENS0_6detail16wrapped_functionINSA_23allocator_traits_detail5gozerEvEEEElLj1EEEvT0_T1_SH_,comdat
	.protected	_ZN6thrust23THRUST_200600_302600_NS11hip_rocprim14__parallel_for6kernelILj256ENS1_10for_each_fINS0_10device_ptrINS0_5tupleIiiNS0_9null_typeES7_S7_S7_S7_S7_S7_S7_EEEENS0_6detail16wrapped_functionINSA_23allocator_traits_detail5gozerEvEEEElLj1EEEvT0_T1_SH_ ; -- Begin function _ZN6thrust23THRUST_200600_302600_NS11hip_rocprim14__parallel_for6kernelILj256ENS1_10for_each_fINS0_10device_ptrINS0_5tupleIiiNS0_9null_typeES7_S7_S7_S7_S7_S7_S7_EEEENS0_6detail16wrapped_functionINSA_23allocator_traits_detail5gozerEvEEEElLj1EEEvT0_T1_SH_
	.globl	_ZN6thrust23THRUST_200600_302600_NS11hip_rocprim14__parallel_for6kernelILj256ENS1_10for_each_fINS0_10device_ptrINS0_5tupleIiiNS0_9null_typeES7_S7_S7_S7_S7_S7_S7_EEEENS0_6detail16wrapped_functionINSA_23allocator_traits_detail5gozerEvEEEElLj1EEEvT0_T1_SH_
	.p2align	8
	.type	_ZN6thrust23THRUST_200600_302600_NS11hip_rocprim14__parallel_for6kernelILj256ENS1_10for_each_fINS0_10device_ptrINS0_5tupleIiiNS0_9null_typeES7_S7_S7_S7_S7_S7_S7_EEEENS0_6detail16wrapped_functionINSA_23allocator_traits_detail5gozerEvEEEElLj1EEEvT0_T1_SH_,@function
_ZN6thrust23THRUST_200600_302600_NS11hip_rocprim14__parallel_for6kernelILj256ENS1_10for_each_fINS0_10device_ptrINS0_5tupleIiiNS0_9null_typeES7_S7_S7_S7_S7_S7_S7_EEEENS0_6detail16wrapped_functionINSA_23allocator_traits_detail5gozerEvEEEElLj1EEEvT0_T1_SH_: ; @_ZN6thrust23THRUST_200600_302600_NS11hip_rocprim14__parallel_for6kernelILj256ENS1_10for_each_fINS0_10device_ptrINS0_5tupleIiiNS0_9null_typeES7_S7_S7_S7_S7_S7_S7_EEEENS0_6detail16wrapped_functionINSA_23allocator_traits_detail5gozerEvEEEElLj1EEEvT0_T1_SH_
; %bb.0:
	s_endpgm
	.section	.rodata,"a",@progbits
	.p2align	6, 0x0
	.amdhsa_kernel _ZN6thrust23THRUST_200600_302600_NS11hip_rocprim14__parallel_for6kernelILj256ENS1_10for_each_fINS0_10device_ptrINS0_5tupleIiiNS0_9null_typeES7_S7_S7_S7_S7_S7_S7_EEEENS0_6detail16wrapped_functionINSA_23allocator_traits_detail5gozerEvEEEElLj1EEEvT0_T1_SH_
		.amdhsa_group_segment_fixed_size 0
		.amdhsa_private_segment_fixed_size 0
		.amdhsa_kernarg_size 32
		.amdhsa_user_sgpr_count 6
		.amdhsa_user_sgpr_private_segment_buffer 1
		.amdhsa_user_sgpr_dispatch_ptr 0
		.amdhsa_user_sgpr_queue_ptr 0
		.amdhsa_user_sgpr_kernarg_segment_ptr 1
		.amdhsa_user_sgpr_dispatch_id 0
		.amdhsa_user_sgpr_flat_scratch_init 0
		.amdhsa_user_sgpr_private_segment_size 0
		.amdhsa_uses_dynamic_stack 0
		.amdhsa_system_sgpr_private_segment_wavefront_offset 0
		.amdhsa_system_sgpr_workgroup_id_x 1
		.amdhsa_system_sgpr_workgroup_id_y 0
		.amdhsa_system_sgpr_workgroup_id_z 0
		.amdhsa_system_sgpr_workgroup_info 0
		.amdhsa_system_vgpr_workitem_id 0
		.amdhsa_next_free_vgpr 1
		.amdhsa_next_free_sgpr 0
		.amdhsa_reserve_vcc 0
		.amdhsa_reserve_flat_scratch 0
		.amdhsa_float_round_mode_32 0
		.amdhsa_float_round_mode_16_64 0
		.amdhsa_float_denorm_mode_32 3
		.amdhsa_float_denorm_mode_16_64 3
		.amdhsa_dx10_clamp 1
		.amdhsa_ieee_mode 1
		.amdhsa_fp16_overflow 0
		.amdhsa_exception_fp_ieee_invalid_op 0
		.amdhsa_exception_fp_denorm_src 0
		.amdhsa_exception_fp_ieee_div_zero 0
		.amdhsa_exception_fp_ieee_overflow 0
		.amdhsa_exception_fp_ieee_underflow 0
		.amdhsa_exception_fp_ieee_inexact 0
		.amdhsa_exception_int_div_zero 0
	.end_amdhsa_kernel
	.section	.text._ZN6thrust23THRUST_200600_302600_NS11hip_rocprim14__parallel_for6kernelILj256ENS1_10for_each_fINS0_10device_ptrINS0_5tupleIiiNS0_9null_typeES7_S7_S7_S7_S7_S7_S7_EEEENS0_6detail16wrapped_functionINSA_23allocator_traits_detail5gozerEvEEEElLj1EEEvT0_T1_SH_,"axG",@progbits,_ZN6thrust23THRUST_200600_302600_NS11hip_rocprim14__parallel_for6kernelILj256ENS1_10for_each_fINS0_10device_ptrINS0_5tupleIiiNS0_9null_typeES7_S7_S7_S7_S7_S7_S7_EEEENS0_6detail16wrapped_functionINSA_23allocator_traits_detail5gozerEvEEEElLj1EEEvT0_T1_SH_,comdat
.Lfunc_end422:
	.size	_ZN6thrust23THRUST_200600_302600_NS11hip_rocprim14__parallel_for6kernelILj256ENS1_10for_each_fINS0_10device_ptrINS0_5tupleIiiNS0_9null_typeES7_S7_S7_S7_S7_S7_S7_EEEENS0_6detail16wrapped_functionINSA_23allocator_traits_detail5gozerEvEEEElLj1EEEvT0_T1_SH_, .Lfunc_end422-_ZN6thrust23THRUST_200600_302600_NS11hip_rocprim14__parallel_for6kernelILj256ENS1_10for_each_fINS0_10device_ptrINS0_5tupleIiiNS0_9null_typeES7_S7_S7_S7_S7_S7_S7_EEEENS0_6detail16wrapped_functionINSA_23allocator_traits_detail5gozerEvEEEElLj1EEEvT0_T1_SH_
                                        ; -- End function
	.set _ZN6thrust23THRUST_200600_302600_NS11hip_rocprim14__parallel_for6kernelILj256ENS1_10for_each_fINS0_10device_ptrINS0_5tupleIiiNS0_9null_typeES7_S7_S7_S7_S7_S7_S7_EEEENS0_6detail16wrapped_functionINSA_23allocator_traits_detail5gozerEvEEEElLj1EEEvT0_T1_SH_.num_vgpr, 0
	.set _ZN6thrust23THRUST_200600_302600_NS11hip_rocprim14__parallel_for6kernelILj256ENS1_10for_each_fINS0_10device_ptrINS0_5tupleIiiNS0_9null_typeES7_S7_S7_S7_S7_S7_S7_EEEENS0_6detail16wrapped_functionINSA_23allocator_traits_detail5gozerEvEEEElLj1EEEvT0_T1_SH_.num_agpr, 0
	.set _ZN6thrust23THRUST_200600_302600_NS11hip_rocprim14__parallel_for6kernelILj256ENS1_10for_each_fINS0_10device_ptrINS0_5tupleIiiNS0_9null_typeES7_S7_S7_S7_S7_S7_S7_EEEENS0_6detail16wrapped_functionINSA_23allocator_traits_detail5gozerEvEEEElLj1EEEvT0_T1_SH_.numbered_sgpr, 0
	.set _ZN6thrust23THRUST_200600_302600_NS11hip_rocprim14__parallel_for6kernelILj256ENS1_10for_each_fINS0_10device_ptrINS0_5tupleIiiNS0_9null_typeES7_S7_S7_S7_S7_S7_S7_EEEENS0_6detail16wrapped_functionINSA_23allocator_traits_detail5gozerEvEEEElLj1EEEvT0_T1_SH_.num_named_barrier, 0
	.set _ZN6thrust23THRUST_200600_302600_NS11hip_rocprim14__parallel_for6kernelILj256ENS1_10for_each_fINS0_10device_ptrINS0_5tupleIiiNS0_9null_typeES7_S7_S7_S7_S7_S7_S7_EEEENS0_6detail16wrapped_functionINSA_23allocator_traits_detail5gozerEvEEEElLj1EEEvT0_T1_SH_.private_seg_size, 0
	.set _ZN6thrust23THRUST_200600_302600_NS11hip_rocprim14__parallel_for6kernelILj256ENS1_10for_each_fINS0_10device_ptrINS0_5tupleIiiNS0_9null_typeES7_S7_S7_S7_S7_S7_S7_EEEENS0_6detail16wrapped_functionINSA_23allocator_traits_detail5gozerEvEEEElLj1EEEvT0_T1_SH_.uses_vcc, 0
	.set _ZN6thrust23THRUST_200600_302600_NS11hip_rocprim14__parallel_for6kernelILj256ENS1_10for_each_fINS0_10device_ptrINS0_5tupleIiiNS0_9null_typeES7_S7_S7_S7_S7_S7_S7_EEEENS0_6detail16wrapped_functionINSA_23allocator_traits_detail5gozerEvEEEElLj1EEEvT0_T1_SH_.uses_flat_scratch, 0
	.set _ZN6thrust23THRUST_200600_302600_NS11hip_rocprim14__parallel_for6kernelILj256ENS1_10for_each_fINS0_10device_ptrINS0_5tupleIiiNS0_9null_typeES7_S7_S7_S7_S7_S7_S7_EEEENS0_6detail16wrapped_functionINSA_23allocator_traits_detail5gozerEvEEEElLj1EEEvT0_T1_SH_.has_dyn_sized_stack, 0
	.set _ZN6thrust23THRUST_200600_302600_NS11hip_rocprim14__parallel_for6kernelILj256ENS1_10for_each_fINS0_10device_ptrINS0_5tupleIiiNS0_9null_typeES7_S7_S7_S7_S7_S7_S7_EEEENS0_6detail16wrapped_functionINSA_23allocator_traits_detail5gozerEvEEEElLj1EEEvT0_T1_SH_.has_recursion, 0
	.set _ZN6thrust23THRUST_200600_302600_NS11hip_rocprim14__parallel_for6kernelILj256ENS1_10for_each_fINS0_10device_ptrINS0_5tupleIiiNS0_9null_typeES7_S7_S7_S7_S7_S7_S7_EEEENS0_6detail16wrapped_functionINSA_23allocator_traits_detail5gozerEvEEEElLj1EEEvT0_T1_SH_.has_indirect_call, 0
	.section	.AMDGPU.csdata,"",@progbits
; Kernel info:
; codeLenInByte = 4
; TotalNumSgprs: 4
; NumVgprs: 0
; ScratchSize: 0
; MemoryBound: 0
; FloatMode: 240
; IeeeMode: 1
; LDSByteSize: 0 bytes/workgroup (compile time only)
; SGPRBlocks: 0
; VGPRBlocks: 0
; NumSGPRsForWavesPerEU: 4
; NumVGPRsForWavesPerEU: 1
; Occupancy: 10
; WaveLimiterHint : 0
; COMPUTE_PGM_RSRC2:SCRATCH_EN: 0
; COMPUTE_PGM_RSRC2:USER_SGPR: 6
; COMPUTE_PGM_RSRC2:TRAP_HANDLER: 0
; COMPUTE_PGM_RSRC2:TGID_X_EN: 1
; COMPUTE_PGM_RSRC2:TGID_Y_EN: 0
; COMPUTE_PGM_RSRC2:TGID_Z_EN: 0
; COMPUTE_PGM_RSRC2:TIDIG_COMP_CNT: 0
	.section	.text._ZN6thrust23THRUST_200600_302600_NS11hip_rocprim14__parallel_for6kernelILj256ENS1_10for_each_fINS0_7pointerINS0_5tupleIiiNS0_9null_typeES7_S7_S7_S7_S7_S7_S7_EENS1_3tagENS0_11use_defaultESA_EENS0_6detail16wrapped_functionINSC_23allocator_traits_detail24construct1_via_allocatorINSC_18no_throw_allocatorINSC_19temporary_allocatorIS8_S9_EEEEEEvEEEEmLj1EEEvT0_T1_SO_,"axG",@progbits,_ZN6thrust23THRUST_200600_302600_NS11hip_rocprim14__parallel_for6kernelILj256ENS1_10for_each_fINS0_7pointerINS0_5tupleIiiNS0_9null_typeES7_S7_S7_S7_S7_S7_S7_EENS1_3tagENS0_11use_defaultESA_EENS0_6detail16wrapped_functionINSC_23allocator_traits_detail24construct1_via_allocatorINSC_18no_throw_allocatorINSC_19temporary_allocatorIS8_S9_EEEEEEvEEEEmLj1EEEvT0_T1_SO_,comdat
	.protected	_ZN6thrust23THRUST_200600_302600_NS11hip_rocprim14__parallel_for6kernelILj256ENS1_10for_each_fINS0_7pointerINS0_5tupleIiiNS0_9null_typeES7_S7_S7_S7_S7_S7_S7_EENS1_3tagENS0_11use_defaultESA_EENS0_6detail16wrapped_functionINSC_23allocator_traits_detail24construct1_via_allocatorINSC_18no_throw_allocatorINSC_19temporary_allocatorIS8_S9_EEEEEEvEEEEmLj1EEEvT0_T1_SO_ ; -- Begin function _ZN6thrust23THRUST_200600_302600_NS11hip_rocprim14__parallel_for6kernelILj256ENS1_10for_each_fINS0_7pointerINS0_5tupleIiiNS0_9null_typeES7_S7_S7_S7_S7_S7_S7_EENS1_3tagENS0_11use_defaultESA_EENS0_6detail16wrapped_functionINSC_23allocator_traits_detail24construct1_via_allocatorINSC_18no_throw_allocatorINSC_19temporary_allocatorIS8_S9_EEEEEEvEEEEmLj1EEEvT0_T1_SO_
	.globl	_ZN6thrust23THRUST_200600_302600_NS11hip_rocprim14__parallel_for6kernelILj256ENS1_10for_each_fINS0_7pointerINS0_5tupleIiiNS0_9null_typeES7_S7_S7_S7_S7_S7_S7_EENS1_3tagENS0_11use_defaultESA_EENS0_6detail16wrapped_functionINSC_23allocator_traits_detail24construct1_via_allocatorINSC_18no_throw_allocatorINSC_19temporary_allocatorIS8_S9_EEEEEEvEEEEmLj1EEEvT0_T1_SO_
	.p2align	8
	.type	_ZN6thrust23THRUST_200600_302600_NS11hip_rocprim14__parallel_for6kernelILj256ENS1_10for_each_fINS0_7pointerINS0_5tupleIiiNS0_9null_typeES7_S7_S7_S7_S7_S7_S7_EENS1_3tagENS0_11use_defaultESA_EENS0_6detail16wrapped_functionINSC_23allocator_traits_detail24construct1_via_allocatorINSC_18no_throw_allocatorINSC_19temporary_allocatorIS8_S9_EEEEEEvEEEEmLj1EEEvT0_T1_SO_,@function
_ZN6thrust23THRUST_200600_302600_NS11hip_rocprim14__parallel_for6kernelILj256ENS1_10for_each_fINS0_7pointerINS0_5tupleIiiNS0_9null_typeES7_S7_S7_S7_S7_S7_S7_EENS1_3tagENS0_11use_defaultESA_EENS0_6detail16wrapped_functionINSC_23allocator_traits_detail24construct1_via_allocatorINSC_18no_throw_allocatorINSC_19temporary_allocatorIS8_S9_EEEEEEvEEEEmLj1EEEvT0_T1_SO_: ; @_ZN6thrust23THRUST_200600_302600_NS11hip_rocprim14__parallel_for6kernelILj256ENS1_10for_each_fINS0_7pointerINS0_5tupleIiiNS0_9null_typeES7_S7_S7_S7_S7_S7_S7_EENS1_3tagENS0_11use_defaultESA_EENS0_6detail16wrapped_functionINSC_23allocator_traits_detail24construct1_via_allocatorINSC_18no_throw_allocatorINSC_19temporary_allocatorIS8_S9_EEEEEEvEEEEmLj1EEEvT0_T1_SO_
; %bb.0:
	s_load_dwordx4 s[8:11], s[4:5], 0x10
	s_load_dwordx2 s[0:1], s[4:5], 0x0
	s_lshl_b32 s2, s6, 8
	v_mov_b32_e32 v1, 0xff
	v_mov_b32_e32 v2, 0
	s_waitcnt lgkmcnt(0)
	s_add_u32 s2, s10, s2
	s_addc_u32 s3, s11, 0
	s_sub_u32 s4, s8, s2
	s_subb_u32 s5, s9, s3
	v_cmp_gt_u64_e32 vcc, s[4:5], v[1:2]
	s_mov_b64 s[6:7], -1
	s_cbranch_vccz .LBB423_3
; %bb.1:
	s_andn2_b64 vcc, exec, s[6:7]
	s_cbranch_vccz .LBB423_6
.LBB423_2:
	s_endpgm
.LBB423_3:
	v_cmp_gt_u32_e32 vcc, s4, v0
	s_and_saveexec_b64 s[4:5], vcc
	s_cbranch_execz .LBB423_5
; %bb.4:
	s_lshl_b64 s[6:7], s[2:3], 3
	s_add_u32 s6, s0, s6
	s_addc_u32 s7, s1, s7
	v_lshlrev_b32_e32 v1, 3, v0
	v_mov_b32_e32 v2, s7
	v_add_co_u32_e32 v1, vcc, s6, v1
	v_mov_b32_e32 v3, 0
	v_addc_co_u32_e32 v2, vcc, 0, v2, vcc
	v_mov_b32_e32 v4, v3
	flat_store_dwordx2 v[1:2], v[3:4]
.LBB423_5:
	s_or_b64 exec, exec, s[4:5]
	s_cbranch_execnz .LBB423_2
.LBB423_6:
	s_lshl_b64 s[2:3], s[2:3], 3
	s_add_u32 s0, s0, s2
	s_addc_u32 s1, s1, s3
	v_lshlrev_b32_e32 v0, 3, v0
	v_mov_b32_e32 v1, s1
	v_add_co_u32_e32 v0, vcc, s0, v0
	v_mov_b32_e32 v2, 0
	v_addc_co_u32_e32 v1, vcc, 0, v1, vcc
	v_mov_b32_e32 v3, v2
	flat_store_dwordx2 v[0:1], v[2:3]
	s_endpgm
	.section	.rodata,"a",@progbits
	.p2align	6, 0x0
	.amdhsa_kernel _ZN6thrust23THRUST_200600_302600_NS11hip_rocprim14__parallel_for6kernelILj256ENS1_10for_each_fINS0_7pointerINS0_5tupleIiiNS0_9null_typeES7_S7_S7_S7_S7_S7_S7_EENS1_3tagENS0_11use_defaultESA_EENS0_6detail16wrapped_functionINSC_23allocator_traits_detail24construct1_via_allocatorINSC_18no_throw_allocatorINSC_19temporary_allocatorIS8_S9_EEEEEEvEEEEmLj1EEEvT0_T1_SO_
		.amdhsa_group_segment_fixed_size 0
		.amdhsa_private_segment_fixed_size 0
		.amdhsa_kernarg_size 32
		.amdhsa_user_sgpr_count 6
		.amdhsa_user_sgpr_private_segment_buffer 1
		.amdhsa_user_sgpr_dispatch_ptr 0
		.amdhsa_user_sgpr_queue_ptr 0
		.amdhsa_user_sgpr_kernarg_segment_ptr 1
		.amdhsa_user_sgpr_dispatch_id 0
		.amdhsa_user_sgpr_flat_scratch_init 0
		.amdhsa_user_sgpr_private_segment_size 0
		.amdhsa_uses_dynamic_stack 0
		.amdhsa_system_sgpr_private_segment_wavefront_offset 0
		.amdhsa_system_sgpr_workgroup_id_x 1
		.amdhsa_system_sgpr_workgroup_id_y 0
		.amdhsa_system_sgpr_workgroup_id_z 0
		.amdhsa_system_sgpr_workgroup_info 0
		.amdhsa_system_vgpr_workitem_id 0
		.amdhsa_next_free_vgpr 5
		.amdhsa_next_free_sgpr 12
		.amdhsa_reserve_vcc 1
		.amdhsa_reserve_flat_scratch 0
		.amdhsa_float_round_mode_32 0
		.amdhsa_float_round_mode_16_64 0
		.amdhsa_float_denorm_mode_32 3
		.amdhsa_float_denorm_mode_16_64 3
		.amdhsa_dx10_clamp 1
		.amdhsa_ieee_mode 1
		.amdhsa_fp16_overflow 0
		.amdhsa_exception_fp_ieee_invalid_op 0
		.amdhsa_exception_fp_denorm_src 0
		.amdhsa_exception_fp_ieee_div_zero 0
		.amdhsa_exception_fp_ieee_overflow 0
		.amdhsa_exception_fp_ieee_underflow 0
		.amdhsa_exception_fp_ieee_inexact 0
		.amdhsa_exception_int_div_zero 0
	.end_amdhsa_kernel
	.section	.text._ZN6thrust23THRUST_200600_302600_NS11hip_rocprim14__parallel_for6kernelILj256ENS1_10for_each_fINS0_7pointerINS0_5tupleIiiNS0_9null_typeES7_S7_S7_S7_S7_S7_S7_EENS1_3tagENS0_11use_defaultESA_EENS0_6detail16wrapped_functionINSC_23allocator_traits_detail24construct1_via_allocatorINSC_18no_throw_allocatorINSC_19temporary_allocatorIS8_S9_EEEEEEvEEEEmLj1EEEvT0_T1_SO_,"axG",@progbits,_ZN6thrust23THRUST_200600_302600_NS11hip_rocprim14__parallel_for6kernelILj256ENS1_10for_each_fINS0_7pointerINS0_5tupleIiiNS0_9null_typeES7_S7_S7_S7_S7_S7_S7_EENS1_3tagENS0_11use_defaultESA_EENS0_6detail16wrapped_functionINSC_23allocator_traits_detail24construct1_via_allocatorINSC_18no_throw_allocatorINSC_19temporary_allocatorIS8_S9_EEEEEEvEEEEmLj1EEEvT0_T1_SO_,comdat
.Lfunc_end423:
	.size	_ZN6thrust23THRUST_200600_302600_NS11hip_rocprim14__parallel_for6kernelILj256ENS1_10for_each_fINS0_7pointerINS0_5tupleIiiNS0_9null_typeES7_S7_S7_S7_S7_S7_S7_EENS1_3tagENS0_11use_defaultESA_EENS0_6detail16wrapped_functionINSC_23allocator_traits_detail24construct1_via_allocatorINSC_18no_throw_allocatorINSC_19temporary_allocatorIS8_S9_EEEEEEvEEEEmLj1EEEvT0_T1_SO_, .Lfunc_end423-_ZN6thrust23THRUST_200600_302600_NS11hip_rocprim14__parallel_for6kernelILj256ENS1_10for_each_fINS0_7pointerINS0_5tupleIiiNS0_9null_typeES7_S7_S7_S7_S7_S7_S7_EENS1_3tagENS0_11use_defaultESA_EENS0_6detail16wrapped_functionINSC_23allocator_traits_detail24construct1_via_allocatorINSC_18no_throw_allocatorINSC_19temporary_allocatorIS8_S9_EEEEEEvEEEEmLj1EEEvT0_T1_SO_
                                        ; -- End function
	.set _ZN6thrust23THRUST_200600_302600_NS11hip_rocprim14__parallel_for6kernelILj256ENS1_10for_each_fINS0_7pointerINS0_5tupleIiiNS0_9null_typeES7_S7_S7_S7_S7_S7_S7_EENS1_3tagENS0_11use_defaultESA_EENS0_6detail16wrapped_functionINSC_23allocator_traits_detail24construct1_via_allocatorINSC_18no_throw_allocatorINSC_19temporary_allocatorIS8_S9_EEEEEEvEEEEmLj1EEEvT0_T1_SO_.num_vgpr, 5
	.set _ZN6thrust23THRUST_200600_302600_NS11hip_rocprim14__parallel_for6kernelILj256ENS1_10for_each_fINS0_7pointerINS0_5tupleIiiNS0_9null_typeES7_S7_S7_S7_S7_S7_S7_EENS1_3tagENS0_11use_defaultESA_EENS0_6detail16wrapped_functionINSC_23allocator_traits_detail24construct1_via_allocatorINSC_18no_throw_allocatorINSC_19temporary_allocatorIS8_S9_EEEEEEvEEEEmLj1EEEvT0_T1_SO_.num_agpr, 0
	.set _ZN6thrust23THRUST_200600_302600_NS11hip_rocprim14__parallel_for6kernelILj256ENS1_10for_each_fINS0_7pointerINS0_5tupleIiiNS0_9null_typeES7_S7_S7_S7_S7_S7_S7_EENS1_3tagENS0_11use_defaultESA_EENS0_6detail16wrapped_functionINSC_23allocator_traits_detail24construct1_via_allocatorINSC_18no_throw_allocatorINSC_19temporary_allocatorIS8_S9_EEEEEEvEEEEmLj1EEEvT0_T1_SO_.numbered_sgpr, 12
	.set _ZN6thrust23THRUST_200600_302600_NS11hip_rocprim14__parallel_for6kernelILj256ENS1_10for_each_fINS0_7pointerINS0_5tupleIiiNS0_9null_typeES7_S7_S7_S7_S7_S7_S7_EENS1_3tagENS0_11use_defaultESA_EENS0_6detail16wrapped_functionINSC_23allocator_traits_detail24construct1_via_allocatorINSC_18no_throw_allocatorINSC_19temporary_allocatorIS8_S9_EEEEEEvEEEEmLj1EEEvT0_T1_SO_.num_named_barrier, 0
	.set _ZN6thrust23THRUST_200600_302600_NS11hip_rocprim14__parallel_for6kernelILj256ENS1_10for_each_fINS0_7pointerINS0_5tupleIiiNS0_9null_typeES7_S7_S7_S7_S7_S7_S7_EENS1_3tagENS0_11use_defaultESA_EENS0_6detail16wrapped_functionINSC_23allocator_traits_detail24construct1_via_allocatorINSC_18no_throw_allocatorINSC_19temporary_allocatorIS8_S9_EEEEEEvEEEEmLj1EEEvT0_T1_SO_.private_seg_size, 0
	.set _ZN6thrust23THRUST_200600_302600_NS11hip_rocprim14__parallel_for6kernelILj256ENS1_10for_each_fINS0_7pointerINS0_5tupleIiiNS0_9null_typeES7_S7_S7_S7_S7_S7_S7_EENS1_3tagENS0_11use_defaultESA_EENS0_6detail16wrapped_functionINSC_23allocator_traits_detail24construct1_via_allocatorINSC_18no_throw_allocatorINSC_19temporary_allocatorIS8_S9_EEEEEEvEEEEmLj1EEEvT0_T1_SO_.uses_vcc, 1
	.set _ZN6thrust23THRUST_200600_302600_NS11hip_rocprim14__parallel_for6kernelILj256ENS1_10for_each_fINS0_7pointerINS0_5tupleIiiNS0_9null_typeES7_S7_S7_S7_S7_S7_S7_EENS1_3tagENS0_11use_defaultESA_EENS0_6detail16wrapped_functionINSC_23allocator_traits_detail24construct1_via_allocatorINSC_18no_throw_allocatorINSC_19temporary_allocatorIS8_S9_EEEEEEvEEEEmLj1EEEvT0_T1_SO_.uses_flat_scratch, 0
	.set _ZN6thrust23THRUST_200600_302600_NS11hip_rocprim14__parallel_for6kernelILj256ENS1_10for_each_fINS0_7pointerINS0_5tupleIiiNS0_9null_typeES7_S7_S7_S7_S7_S7_S7_EENS1_3tagENS0_11use_defaultESA_EENS0_6detail16wrapped_functionINSC_23allocator_traits_detail24construct1_via_allocatorINSC_18no_throw_allocatorINSC_19temporary_allocatorIS8_S9_EEEEEEvEEEEmLj1EEEvT0_T1_SO_.has_dyn_sized_stack, 0
	.set _ZN6thrust23THRUST_200600_302600_NS11hip_rocprim14__parallel_for6kernelILj256ENS1_10for_each_fINS0_7pointerINS0_5tupleIiiNS0_9null_typeES7_S7_S7_S7_S7_S7_S7_EENS1_3tagENS0_11use_defaultESA_EENS0_6detail16wrapped_functionINSC_23allocator_traits_detail24construct1_via_allocatorINSC_18no_throw_allocatorINSC_19temporary_allocatorIS8_S9_EEEEEEvEEEEmLj1EEEvT0_T1_SO_.has_recursion, 0
	.set _ZN6thrust23THRUST_200600_302600_NS11hip_rocprim14__parallel_for6kernelILj256ENS1_10for_each_fINS0_7pointerINS0_5tupleIiiNS0_9null_typeES7_S7_S7_S7_S7_S7_S7_EENS1_3tagENS0_11use_defaultESA_EENS0_6detail16wrapped_functionINSC_23allocator_traits_detail24construct1_via_allocatorINSC_18no_throw_allocatorINSC_19temporary_allocatorIS8_S9_EEEEEEvEEEEmLj1EEEvT0_T1_SO_.has_indirect_call, 0
	.section	.AMDGPU.csdata,"",@progbits
; Kernel info:
; codeLenInByte = 188
; TotalNumSgprs: 16
; NumVgprs: 5
; ScratchSize: 0
; MemoryBound: 0
; FloatMode: 240
; IeeeMode: 1
; LDSByteSize: 0 bytes/workgroup (compile time only)
; SGPRBlocks: 1
; VGPRBlocks: 1
; NumSGPRsForWavesPerEU: 16
; NumVGPRsForWavesPerEU: 5
; Occupancy: 10
; WaveLimiterHint : 0
; COMPUTE_PGM_RSRC2:SCRATCH_EN: 0
; COMPUTE_PGM_RSRC2:USER_SGPR: 6
; COMPUTE_PGM_RSRC2:TRAP_HANDLER: 0
; COMPUTE_PGM_RSRC2:TGID_X_EN: 1
; COMPUTE_PGM_RSRC2:TGID_Y_EN: 0
; COMPUTE_PGM_RSRC2:TGID_Z_EN: 0
; COMPUTE_PGM_RSRC2:TIDIG_COMP_CNT: 0
	.section	.text._ZN6thrust23THRUST_200600_302600_NS11hip_rocprim14__parallel_for6kernelILj256ENS1_10for_each_fINS0_7pointerINS0_5tupleIiiNS0_9null_typeES7_S7_S7_S7_S7_S7_S7_EENS1_3tagENS0_11use_defaultESA_EENS0_6detail16wrapped_functionINSC_23allocator_traits_detail5gozerEvEEEElLj1EEEvT0_T1_SJ_,"axG",@progbits,_ZN6thrust23THRUST_200600_302600_NS11hip_rocprim14__parallel_for6kernelILj256ENS1_10for_each_fINS0_7pointerINS0_5tupleIiiNS0_9null_typeES7_S7_S7_S7_S7_S7_S7_EENS1_3tagENS0_11use_defaultESA_EENS0_6detail16wrapped_functionINSC_23allocator_traits_detail5gozerEvEEEElLj1EEEvT0_T1_SJ_,comdat
	.protected	_ZN6thrust23THRUST_200600_302600_NS11hip_rocprim14__parallel_for6kernelILj256ENS1_10for_each_fINS0_7pointerINS0_5tupleIiiNS0_9null_typeES7_S7_S7_S7_S7_S7_S7_EENS1_3tagENS0_11use_defaultESA_EENS0_6detail16wrapped_functionINSC_23allocator_traits_detail5gozerEvEEEElLj1EEEvT0_T1_SJ_ ; -- Begin function _ZN6thrust23THRUST_200600_302600_NS11hip_rocprim14__parallel_for6kernelILj256ENS1_10for_each_fINS0_7pointerINS0_5tupleIiiNS0_9null_typeES7_S7_S7_S7_S7_S7_S7_EENS1_3tagENS0_11use_defaultESA_EENS0_6detail16wrapped_functionINSC_23allocator_traits_detail5gozerEvEEEElLj1EEEvT0_T1_SJ_
	.globl	_ZN6thrust23THRUST_200600_302600_NS11hip_rocprim14__parallel_for6kernelILj256ENS1_10for_each_fINS0_7pointerINS0_5tupleIiiNS0_9null_typeES7_S7_S7_S7_S7_S7_S7_EENS1_3tagENS0_11use_defaultESA_EENS0_6detail16wrapped_functionINSC_23allocator_traits_detail5gozerEvEEEElLj1EEEvT0_T1_SJ_
	.p2align	8
	.type	_ZN6thrust23THRUST_200600_302600_NS11hip_rocprim14__parallel_for6kernelILj256ENS1_10for_each_fINS0_7pointerINS0_5tupleIiiNS0_9null_typeES7_S7_S7_S7_S7_S7_S7_EENS1_3tagENS0_11use_defaultESA_EENS0_6detail16wrapped_functionINSC_23allocator_traits_detail5gozerEvEEEElLj1EEEvT0_T1_SJ_,@function
_ZN6thrust23THRUST_200600_302600_NS11hip_rocprim14__parallel_for6kernelILj256ENS1_10for_each_fINS0_7pointerINS0_5tupleIiiNS0_9null_typeES7_S7_S7_S7_S7_S7_S7_EENS1_3tagENS0_11use_defaultESA_EENS0_6detail16wrapped_functionINSC_23allocator_traits_detail5gozerEvEEEElLj1EEEvT0_T1_SJ_: ; @_ZN6thrust23THRUST_200600_302600_NS11hip_rocprim14__parallel_for6kernelILj256ENS1_10for_each_fINS0_7pointerINS0_5tupleIiiNS0_9null_typeES7_S7_S7_S7_S7_S7_S7_EENS1_3tagENS0_11use_defaultESA_EENS0_6detail16wrapped_functionINSC_23allocator_traits_detail5gozerEvEEEElLj1EEEvT0_T1_SJ_
; %bb.0:
	s_endpgm
	.section	.rodata,"a",@progbits
	.p2align	6, 0x0
	.amdhsa_kernel _ZN6thrust23THRUST_200600_302600_NS11hip_rocprim14__parallel_for6kernelILj256ENS1_10for_each_fINS0_7pointerINS0_5tupleIiiNS0_9null_typeES7_S7_S7_S7_S7_S7_S7_EENS1_3tagENS0_11use_defaultESA_EENS0_6detail16wrapped_functionINSC_23allocator_traits_detail5gozerEvEEEElLj1EEEvT0_T1_SJ_
		.amdhsa_group_segment_fixed_size 0
		.amdhsa_private_segment_fixed_size 0
		.amdhsa_kernarg_size 32
		.amdhsa_user_sgpr_count 6
		.amdhsa_user_sgpr_private_segment_buffer 1
		.amdhsa_user_sgpr_dispatch_ptr 0
		.amdhsa_user_sgpr_queue_ptr 0
		.amdhsa_user_sgpr_kernarg_segment_ptr 1
		.amdhsa_user_sgpr_dispatch_id 0
		.amdhsa_user_sgpr_flat_scratch_init 0
		.amdhsa_user_sgpr_private_segment_size 0
		.amdhsa_uses_dynamic_stack 0
		.amdhsa_system_sgpr_private_segment_wavefront_offset 0
		.amdhsa_system_sgpr_workgroup_id_x 1
		.amdhsa_system_sgpr_workgroup_id_y 0
		.amdhsa_system_sgpr_workgroup_id_z 0
		.amdhsa_system_sgpr_workgroup_info 0
		.amdhsa_system_vgpr_workitem_id 0
		.amdhsa_next_free_vgpr 1
		.amdhsa_next_free_sgpr 0
		.amdhsa_reserve_vcc 0
		.amdhsa_reserve_flat_scratch 0
		.amdhsa_float_round_mode_32 0
		.amdhsa_float_round_mode_16_64 0
		.amdhsa_float_denorm_mode_32 3
		.amdhsa_float_denorm_mode_16_64 3
		.amdhsa_dx10_clamp 1
		.amdhsa_ieee_mode 1
		.amdhsa_fp16_overflow 0
		.amdhsa_exception_fp_ieee_invalid_op 0
		.amdhsa_exception_fp_denorm_src 0
		.amdhsa_exception_fp_ieee_div_zero 0
		.amdhsa_exception_fp_ieee_overflow 0
		.amdhsa_exception_fp_ieee_underflow 0
		.amdhsa_exception_fp_ieee_inexact 0
		.amdhsa_exception_int_div_zero 0
	.end_amdhsa_kernel
	.section	.text._ZN6thrust23THRUST_200600_302600_NS11hip_rocprim14__parallel_for6kernelILj256ENS1_10for_each_fINS0_7pointerINS0_5tupleIiiNS0_9null_typeES7_S7_S7_S7_S7_S7_S7_EENS1_3tagENS0_11use_defaultESA_EENS0_6detail16wrapped_functionINSC_23allocator_traits_detail5gozerEvEEEElLj1EEEvT0_T1_SJ_,"axG",@progbits,_ZN6thrust23THRUST_200600_302600_NS11hip_rocprim14__parallel_for6kernelILj256ENS1_10for_each_fINS0_7pointerINS0_5tupleIiiNS0_9null_typeES7_S7_S7_S7_S7_S7_S7_EENS1_3tagENS0_11use_defaultESA_EENS0_6detail16wrapped_functionINSC_23allocator_traits_detail5gozerEvEEEElLj1EEEvT0_T1_SJ_,comdat
.Lfunc_end424:
	.size	_ZN6thrust23THRUST_200600_302600_NS11hip_rocprim14__parallel_for6kernelILj256ENS1_10for_each_fINS0_7pointerINS0_5tupleIiiNS0_9null_typeES7_S7_S7_S7_S7_S7_S7_EENS1_3tagENS0_11use_defaultESA_EENS0_6detail16wrapped_functionINSC_23allocator_traits_detail5gozerEvEEEElLj1EEEvT0_T1_SJ_, .Lfunc_end424-_ZN6thrust23THRUST_200600_302600_NS11hip_rocprim14__parallel_for6kernelILj256ENS1_10for_each_fINS0_7pointerINS0_5tupleIiiNS0_9null_typeES7_S7_S7_S7_S7_S7_S7_EENS1_3tagENS0_11use_defaultESA_EENS0_6detail16wrapped_functionINSC_23allocator_traits_detail5gozerEvEEEElLj1EEEvT0_T1_SJ_
                                        ; -- End function
	.set _ZN6thrust23THRUST_200600_302600_NS11hip_rocprim14__parallel_for6kernelILj256ENS1_10for_each_fINS0_7pointerINS0_5tupleIiiNS0_9null_typeES7_S7_S7_S7_S7_S7_S7_EENS1_3tagENS0_11use_defaultESA_EENS0_6detail16wrapped_functionINSC_23allocator_traits_detail5gozerEvEEEElLj1EEEvT0_T1_SJ_.num_vgpr, 0
	.set _ZN6thrust23THRUST_200600_302600_NS11hip_rocprim14__parallel_for6kernelILj256ENS1_10for_each_fINS0_7pointerINS0_5tupleIiiNS0_9null_typeES7_S7_S7_S7_S7_S7_S7_EENS1_3tagENS0_11use_defaultESA_EENS0_6detail16wrapped_functionINSC_23allocator_traits_detail5gozerEvEEEElLj1EEEvT0_T1_SJ_.num_agpr, 0
	.set _ZN6thrust23THRUST_200600_302600_NS11hip_rocprim14__parallel_for6kernelILj256ENS1_10for_each_fINS0_7pointerINS0_5tupleIiiNS0_9null_typeES7_S7_S7_S7_S7_S7_S7_EENS1_3tagENS0_11use_defaultESA_EENS0_6detail16wrapped_functionINSC_23allocator_traits_detail5gozerEvEEEElLj1EEEvT0_T1_SJ_.numbered_sgpr, 0
	.set _ZN6thrust23THRUST_200600_302600_NS11hip_rocprim14__parallel_for6kernelILj256ENS1_10for_each_fINS0_7pointerINS0_5tupleIiiNS0_9null_typeES7_S7_S7_S7_S7_S7_S7_EENS1_3tagENS0_11use_defaultESA_EENS0_6detail16wrapped_functionINSC_23allocator_traits_detail5gozerEvEEEElLj1EEEvT0_T1_SJ_.num_named_barrier, 0
	.set _ZN6thrust23THRUST_200600_302600_NS11hip_rocprim14__parallel_for6kernelILj256ENS1_10for_each_fINS0_7pointerINS0_5tupleIiiNS0_9null_typeES7_S7_S7_S7_S7_S7_S7_EENS1_3tagENS0_11use_defaultESA_EENS0_6detail16wrapped_functionINSC_23allocator_traits_detail5gozerEvEEEElLj1EEEvT0_T1_SJ_.private_seg_size, 0
	.set _ZN6thrust23THRUST_200600_302600_NS11hip_rocprim14__parallel_for6kernelILj256ENS1_10for_each_fINS0_7pointerINS0_5tupleIiiNS0_9null_typeES7_S7_S7_S7_S7_S7_S7_EENS1_3tagENS0_11use_defaultESA_EENS0_6detail16wrapped_functionINSC_23allocator_traits_detail5gozerEvEEEElLj1EEEvT0_T1_SJ_.uses_vcc, 0
	.set _ZN6thrust23THRUST_200600_302600_NS11hip_rocprim14__parallel_for6kernelILj256ENS1_10for_each_fINS0_7pointerINS0_5tupleIiiNS0_9null_typeES7_S7_S7_S7_S7_S7_S7_EENS1_3tagENS0_11use_defaultESA_EENS0_6detail16wrapped_functionINSC_23allocator_traits_detail5gozerEvEEEElLj1EEEvT0_T1_SJ_.uses_flat_scratch, 0
	.set _ZN6thrust23THRUST_200600_302600_NS11hip_rocprim14__parallel_for6kernelILj256ENS1_10for_each_fINS0_7pointerINS0_5tupleIiiNS0_9null_typeES7_S7_S7_S7_S7_S7_S7_EENS1_3tagENS0_11use_defaultESA_EENS0_6detail16wrapped_functionINSC_23allocator_traits_detail5gozerEvEEEElLj1EEEvT0_T1_SJ_.has_dyn_sized_stack, 0
	.set _ZN6thrust23THRUST_200600_302600_NS11hip_rocprim14__parallel_for6kernelILj256ENS1_10for_each_fINS0_7pointerINS0_5tupleIiiNS0_9null_typeES7_S7_S7_S7_S7_S7_S7_EENS1_3tagENS0_11use_defaultESA_EENS0_6detail16wrapped_functionINSC_23allocator_traits_detail5gozerEvEEEElLj1EEEvT0_T1_SJ_.has_recursion, 0
	.set _ZN6thrust23THRUST_200600_302600_NS11hip_rocprim14__parallel_for6kernelILj256ENS1_10for_each_fINS0_7pointerINS0_5tupleIiiNS0_9null_typeES7_S7_S7_S7_S7_S7_S7_EENS1_3tagENS0_11use_defaultESA_EENS0_6detail16wrapped_functionINSC_23allocator_traits_detail5gozerEvEEEElLj1EEEvT0_T1_SJ_.has_indirect_call, 0
	.section	.AMDGPU.csdata,"",@progbits
; Kernel info:
; codeLenInByte = 4
; TotalNumSgprs: 4
; NumVgprs: 0
; ScratchSize: 0
; MemoryBound: 0
; FloatMode: 240
; IeeeMode: 1
; LDSByteSize: 0 bytes/workgroup (compile time only)
; SGPRBlocks: 0
; VGPRBlocks: 0
; NumSGPRsForWavesPerEU: 4
; NumVGPRsForWavesPerEU: 1
; Occupancy: 10
; WaveLimiterHint : 0
; COMPUTE_PGM_RSRC2:SCRATCH_EN: 0
; COMPUTE_PGM_RSRC2:USER_SGPR: 6
; COMPUTE_PGM_RSRC2:TRAP_HANDLER: 0
; COMPUTE_PGM_RSRC2:TGID_X_EN: 1
; COMPUTE_PGM_RSRC2:TGID_Y_EN: 0
; COMPUTE_PGM_RSRC2:TGID_Z_EN: 0
; COMPUTE_PGM_RSRC2:TIDIG_COMP_CNT: 0
	.section	.text._ZN6thrust23THRUST_200600_302600_NS11hip_rocprim14__parallel_for6kernelILj256ENS1_11__transform17unary_transform_fINS0_7pointerINS0_5tupleIiiNS0_9null_typeES8_S8_S8_S8_S8_S8_S8_EENS1_3tagENS0_11use_defaultESB_EENS0_10device_ptrIS9_EENS4_14no_stencil_tagENS0_8identityIS9_EENS4_21always_true_predicateEEElLj1EEEvT0_T1_SL_,"axG",@progbits,_ZN6thrust23THRUST_200600_302600_NS11hip_rocprim14__parallel_for6kernelILj256ENS1_11__transform17unary_transform_fINS0_7pointerINS0_5tupleIiiNS0_9null_typeES8_S8_S8_S8_S8_S8_S8_EENS1_3tagENS0_11use_defaultESB_EENS0_10device_ptrIS9_EENS4_14no_stencil_tagENS0_8identityIS9_EENS4_21always_true_predicateEEElLj1EEEvT0_T1_SL_,comdat
	.protected	_ZN6thrust23THRUST_200600_302600_NS11hip_rocprim14__parallel_for6kernelILj256ENS1_11__transform17unary_transform_fINS0_7pointerINS0_5tupleIiiNS0_9null_typeES8_S8_S8_S8_S8_S8_S8_EENS1_3tagENS0_11use_defaultESB_EENS0_10device_ptrIS9_EENS4_14no_stencil_tagENS0_8identityIS9_EENS4_21always_true_predicateEEElLj1EEEvT0_T1_SL_ ; -- Begin function _ZN6thrust23THRUST_200600_302600_NS11hip_rocprim14__parallel_for6kernelILj256ENS1_11__transform17unary_transform_fINS0_7pointerINS0_5tupleIiiNS0_9null_typeES8_S8_S8_S8_S8_S8_S8_EENS1_3tagENS0_11use_defaultESB_EENS0_10device_ptrIS9_EENS4_14no_stencil_tagENS0_8identityIS9_EENS4_21always_true_predicateEEElLj1EEEvT0_T1_SL_
	.globl	_ZN6thrust23THRUST_200600_302600_NS11hip_rocprim14__parallel_for6kernelILj256ENS1_11__transform17unary_transform_fINS0_7pointerINS0_5tupleIiiNS0_9null_typeES8_S8_S8_S8_S8_S8_S8_EENS1_3tagENS0_11use_defaultESB_EENS0_10device_ptrIS9_EENS4_14no_stencil_tagENS0_8identityIS9_EENS4_21always_true_predicateEEElLj1EEEvT0_T1_SL_
	.p2align	8
	.type	_ZN6thrust23THRUST_200600_302600_NS11hip_rocprim14__parallel_for6kernelILj256ENS1_11__transform17unary_transform_fINS0_7pointerINS0_5tupleIiiNS0_9null_typeES8_S8_S8_S8_S8_S8_S8_EENS1_3tagENS0_11use_defaultESB_EENS0_10device_ptrIS9_EENS4_14no_stencil_tagENS0_8identityIS9_EENS4_21always_true_predicateEEElLj1EEEvT0_T1_SL_,@function
_ZN6thrust23THRUST_200600_302600_NS11hip_rocprim14__parallel_for6kernelILj256ENS1_11__transform17unary_transform_fINS0_7pointerINS0_5tupleIiiNS0_9null_typeES8_S8_S8_S8_S8_S8_S8_EENS1_3tagENS0_11use_defaultESB_EENS0_10device_ptrIS9_EENS4_14no_stencil_tagENS0_8identityIS9_EENS4_21always_true_predicateEEElLj1EEEvT0_T1_SL_: ; @_ZN6thrust23THRUST_200600_302600_NS11hip_rocprim14__parallel_for6kernelILj256ENS1_11__transform17unary_transform_fINS0_7pointerINS0_5tupleIiiNS0_9null_typeES8_S8_S8_S8_S8_S8_S8_EENS1_3tagENS0_11use_defaultESB_EENS0_10device_ptrIS9_EENS4_14no_stencil_tagENS0_8identityIS9_EENS4_21always_true_predicateEEElLj1EEEvT0_T1_SL_
; %bb.0:
	s_load_dwordx4 s[0:3], s[4:5], 0x18
	s_lshl_b32 s6, s6, 8
	v_mov_b32_e32 v1, 0x100
	v_mov_b32_e32 v2, 0
	s_waitcnt lgkmcnt(0)
	s_add_u32 s6, s2, s6
	s_addc_u32 s7, s3, 0
	s_sub_u32 s8, s0, s6
	s_subb_u32 s9, s1, s7
	v_cmp_lt_i64_e32 vcc, s[8:9], v[1:2]
	s_load_dwordx4 s[0:3], s[4:5], 0x0
	s_and_b64 s[4:5], vcc, exec
	s_cselect_b32 s8, s8, 0x100
	s_cmpk_eq_i32 s8, 0x100
	s_mov_b64 s[4:5], -1
	s_cbranch_scc0 .LBB425_3
; %bb.1:
	s_andn2_b64 vcc, exec, s[4:5]
	s_cbranch_vccz .LBB425_6
.LBB425_2:
	s_endpgm
.LBB425_3:
	v_cmp_gt_u32_e32 vcc, s8, v0
	s_and_saveexec_b64 s[4:5], vcc
	s_cbranch_execz .LBB425_5
; %bb.4:
	v_mov_b32_e32 v2, s7
	v_add_co_u32_e32 v1, vcc, s6, v0
	v_addc_co_u32_e32 v2, vcc, 0, v2, vcc
	v_lshlrev_b64 v[1:2], 3, v[1:2]
	s_waitcnt lgkmcnt(0)
	v_mov_b32_e32 v4, s1
	v_add_co_u32_e32 v3, vcc, s0, v1
	v_addc_co_u32_e32 v4, vcc, v4, v2, vcc
	flat_load_dwordx2 v[3:4], v[3:4]
	v_mov_b32_e32 v5, s3
	v_add_co_u32_e32 v1, vcc, s2, v1
	v_addc_co_u32_e32 v2, vcc, v5, v2, vcc
	s_waitcnt vmcnt(0) lgkmcnt(0)
	flat_store_dwordx2 v[1:2], v[3:4]
.LBB425_5:
	s_or_b64 exec, exec, s[4:5]
	s_cbranch_execnz .LBB425_2
.LBB425_6:
	v_mov_b32_e32 v1, s7
	v_add_co_u32_e32 v0, vcc, s6, v0
	v_addc_co_u32_e32 v1, vcc, 0, v1, vcc
	v_lshlrev_b64 v[0:1], 3, v[0:1]
	s_waitcnt lgkmcnt(0)
	v_mov_b32_e32 v3, s1
	v_add_co_u32_e32 v2, vcc, s0, v0
	v_addc_co_u32_e32 v3, vcc, v3, v1, vcc
	flat_load_dwordx2 v[2:3], v[2:3]
	v_mov_b32_e32 v4, s3
	v_add_co_u32_e32 v0, vcc, s2, v0
	v_addc_co_u32_e32 v1, vcc, v4, v1, vcc
	s_waitcnt vmcnt(0) lgkmcnt(0)
	flat_store_dwordx2 v[0:1], v[2:3]
	s_endpgm
	.section	.rodata,"a",@progbits
	.p2align	6, 0x0
	.amdhsa_kernel _ZN6thrust23THRUST_200600_302600_NS11hip_rocprim14__parallel_for6kernelILj256ENS1_11__transform17unary_transform_fINS0_7pointerINS0_5tupleIiiNS0_9null_typeES8_S8_S8_S8_S8_S8_S8_EENS1_3tagENS0_11use_defaultESB_EENS0_10device_ptrIS9_EENS4_14no_stencil_tagENS0_8identityIS9_EENS4_21always_true_predicateEEElLj1EEEvT0_T1_SL_
		.amdhsa_group_segment_fixed_size 0
		.amdhsa_private_segment_fixed_size 0
		.amdhsa_kernarg_size 40
		.amdhsa_user_sgpr_count 6
		.amdhsa_user_sgpr_private_segment_buffer 1
		.amdhsa_user_sgpr_dispatch_ptr 0
		.amdhsa_user_sgpr_queue_ptr 0
		.amdhsa_user_sgpr_kernarg_segment_ptr 1
		.amdhsa_user_sgpr_dispatch_id 0
		.amdhsa_user_sgpr_flat_scratch_init 0
		.amdhsa_user_sgpr_private_segment_size 0
		.amdhsa_uses_dynamic_stack 0
		.amdhsa_system_sgpr_private_segment_wavefront_offset 0
		.amdhsa_system_sgpr_workgroup_id_x 1
		.amdhsa_system_sgpr_workgroup_id_y 0
		.amdhsa_system_sgpr_workgroup_id_z 0
		.amdhsa_system_sgpr_workgroup_info 0
		.amdhsa_system_vgpr_workitem_id 0
		.amdhsa_next_free_vgpr 6
		.amdhsa_next_free_sgpr 10
		.amdhsa_reserve_vcc 1
		.amdhsa_reserve_flat_scratch 0
		.amdhsa_float_round_mode_32 0
		.amdhsa_float_round_mode_16_64 0
		.amdhsa_float_denorm_mode_32 3
		.amdhsa_float_denorm_mode_16_64 3
		.amdhsa_dx10_clamp 1
		.amdhsa_ieee_mode 1
		.amdhsa_fp16_overflow 0
		.amdhsa_exception_fp_ieee_invalid_op 0
		.amdhsa_exception_fp_denorm_src 0
		.amdhsa_exception_fp_ieee_div_zero 0
		.amdhsa_exception_fp_ieee_overflow 0
		.amdhsa_exception_fp_ieee_underflow 0
		.amdhsa_exception_fp_ieee_inexact 0
		.amdhsa_exception_int_div_zero 0
	.end_amdhsa_kernel
	.section	.text._ZN6thrust23THRUST_200600_302600_NS11hip_rocprim14__parallel_for6kernelILj256ENS1_11__transform17unary_transform_fINS0_7pointerINS0_5tupleIiiNS0_9null_typeES8_S8_S8_S8_S8_S8_S8_EENS1_3tagENS0_11use_defaultESB_EENS0_10device_ptrIS9_EENS4_14no_stencil_tagENS0_8identityIS9_EENS4_21always_true_predicateEEElLj1EEEvT0_T1_SL_,"axG",@progbits,_ZN6thrust23THRUST_200600_302600_NS11hip_rocprim14__parallel_for6kernelILj256ENS1_11__transform17unary_transform_fINS0_7pointerINS0_5tupleIiiNS0_9null_typeES8_S8_S8_S8_S8_S8_S8_EENS1_3tagENS0_11use_defaultESB_EENS0_10device_ptrIS9_EENS4_14no_stencil_tagENS0_8identityIS9_EENS4_21always_true_predicateEEElLj1EEEvT0_T1_SL_,comdat
.Lfunc_end425:
	.size	_ZN6thrust23THRUST_200600_302600_NS11hip_rocprim14__parallel_for6kernelILj256ENS1_11__transform17unary_transform_fINS0_7pointerINS0_5tupleIiiNS0_9null_typeES8_S8_S8_S8_S8_S8_S8_EENS1_3tagENS0_11use_defaultESB_EENS0_10device_ptrIS9_EENS4_14no_stencil_tagENS0_8identityIS9_EENS4_21always_true_predicateEEElLj1EEEvT0_T1_SL_, .Lfunc_end425-_ZN6thrust23THRUST_200600_302600_NS11hip_rocprim14__parallel_for6kernelILj256ENS1_11__transform17unary_transform_fINS0_7pointerINS0_5tupleIiiNS0_9null_typeES8_S8_S8_S8_S8_S8_S8_EENS1_3tagENS0_11use_defaultESB_EENS0_10device_ptrIS9_EENS4_14no_stencil_tagENS0_8identityIS9_EENS4_21always_true_predicateEEElLj1EEEvT0_T1_SL_
                                        ; -- End function
	.set _ZN6thrust23THRUST_200600_302600_NS11hip_rocprim14__parallel_for6kernelILj256ENS1_11__transform17unary_transform_fINS0_7pointerINS0_5tupleIiiNS0_9null_typeES8_S8_S8_S8_S8_S8_S8_EENS1_3tagENS0_11use_defaultESB_EENS0_10device_ptrIS9_EENS4_14no_stencil_tagENS0_8identityIS9_EENS4_21always_true_predicateEEElLj1EEEvT0_T1_SL_.num_vgpr, 6
	.set _ZN6thrust23THRUST_200600_302600_NS11hip_rocprim14__parallel_for6kernelILj256ENS1_11__transform17unary_transform_fINS0_7pointerINS0_5tupleIiiNS0_9null_typeES8_S8_S8_S8_S8_S8_S8_EENS1_3tagENS0_11use_defaultESB_EENS0_10device_ptrIS9_EENS4_14no_stencil_tagENS0_8identityIS9_EENS4_21always_true_predicateEEElLj1EEEvT0_T1_SL_.num_agpr, 0
	.set _ZN6thrust23THRUST_200600_302600_NS11hip_rocprim14__parallel_for6kernelILj256ENS1_11__transform17unary_transform_fINS0_7pointerINS0_5tupleIiiNS0_9null_typeES8_S8_S8_S8_S8_S8_S8_EENS1_3tagENS0_11use_defaultESB_EENS0_10device_ptrIS9_EENS4_14no_stencil_tagENS0_8identityIS9_EENS4_21always_true_predicateEEElLj1EEEvT0_T1_SL_.numbered_sgpr, 10
	.set _ZN6thrust23THRUST_200600_302600_NS11hip_rocprim14__parallel_for6kernelILj256ENS1_11__transform17unary_transform_fINS0_7pointerINS0_5tupleIiiNS0_9null_typeES8_S8_S8_S8_S8_S8_S8_EENS1_3tagENS0_11use_defaultESB_EENS0_10device_ptrIS9_EENS4_14no_stencil_tagENS0_8identityIS9_EENS4_21always_true_predicateEEElLj1EEEvT0_T1_SL_.num_named_barrier, 0
	.set _ZN6thrust23THRUST_200600_302600_NS11hip_rocprim14__parallel_for6kernelILj256ENS1_11__transform17unary_transform_fINS0_7pointerINS0_5tupleIiiNS0_9null_typeES8_S8_S8_S8_S8_S8_S8_EENS1_3tagENS0_11use_defaultESB_EENS0_10device_ptrIS9_EENS4_14no_stencil_tagENS0_8identityIS9_EENS4_21always_true_predicateEEElLj1EEEvT0_T1_SL_.private_seg_size, 0
	.set _ZN6thrust23THRUST_200600_302600_NS11hip_rocprim14__parallel_for6kernelILj256ENS1_11__transform17unary_transform_fINS0_7pointerINS0_5tupleIiiNS0_9null_typeES8_S8_S8_S8_S8_S8_S8_EENS1_3tagENS0_11use_defaultESB_EENS0_10device_ptrIS9_EENS4_14no_stencil_tagENS0_8identityIS9_EENS4_21always_true_predicateEEElLj1EEEvT0_T1_SL_.uses_vcc, 1
	.set _ZN6thrust23THRUST_200600_302600_NS11hip_rocprim14__parallel_for6kernelILj256ENS1_11__transform17unary_transform_fINS0_7pointerINS0_5tupleIiiNS0_9null_typeES8_S8_S8_S8_S8_S8_S8_EENS1_3tagENS0_11use_defaultESB_EENS0_10device_ptrIS9_EENS4_14no_stencil_tagENS0_8identityIS9_EENS4_21always_true_predicateEEElLj1EEEvT0_T1_SL_.uses_flat_scratch, 0
	.set _ZN6thrust23THRUST_200600_302600_NS11hip_rocprim14__parallel_for6kernelILj256ENS1_11__transform17unary_transform_fINS0_7pointerINS0_5tupleIiiNS0_9null_typeES8_S8_S8_S8_S8_S8_S8_EENS1_3tagENS0_11use_defaultESB_EENS0_10device_ptrIS9_EENS4_14no_stencil_tagENS0_8identityIS9_EENS4_21always_true_predicateEEElLj1EEEvT0_T1_SL_.has_dyn_sized_stack, 0
	.set _ZN6thrust23THRUST_200600_302600_NS11hip_rocprim14__parallel_for6kernelILj256ENS1_11__transform17unary_transform_fINS0_7pointerINS0_5tupleIiiNS0_9null_typeES8_S8_S8_S8_S8_S8_S8_EENS1_3tagENS0_11use_defaultESB_EENS0_10device_ptrIS9_EENS4_14no_stencil_tagENS0_8identityIS9_EENS4_21always_true_predicateEEElLj1EEEvT0_T1_SL_.has_recursion, 0
	.set _ZN6thrust23THRUST_200600_302600_NS11hip_rocprim14__parallel_for6kernelILj256ENS1_11__transform17unary_transform_fINS0_7pointerINS0_5tupleIiiNS0_9null_typeES8_S8_S8_S8_S8_S8_S8_EENS1_3tagENS0_11use_defaultESB_EENS0_10device_ptrIS9_EENS4_14no_stencil_tagENS0_8identityIS9_EENS4_21always_true_predicateEEElLj1EEEvT0_T1_SL_.has_indirect_call, 0
	.section	.AMDGPU.csdata,"",@progbits
; Kernel info:
; codeLenInByte = 252
; TotalNumSgprs: 14
; NumVgprs: 6
; ScratchSize: 0
; MemoryBound: 0
; FloatMode: 240
; IeeeMode: 1
; LDSByteSize: 0 bytes/workgroup (compile time only)
; SGPRBlocks: 1
; VGPRBlocks: 1
; NumSGPRsForWavesPerEU: 14
; NumVGPRsForWavesPerEU: 6
; Occupancy: 10
; WaveLimiterHint : 0
; COMPUTE_PGM_RSRC2:SCRATCH_EN: 0
; COMPUTE_PGM_RSRC2:USER_SGPR: 6
; COMPUTE_PGM_RSRC2:TRAP_HANDLER: 0
; COMPUTE_PGM_RSRC2:TGID_X_EN: 1
; COMPUTE_PGM_RSRC2:TGID_Y_EN: 0
; COMPUTE_PGM_RSRC2:TGID_Z_EN: 0
; COMPUTE_PGM_RSRC2:TIDIG_COMP_CNT: 0
	.section	.text._ZN6thrust23THRUST_200600_302600_NS11hip_rocprim14__parallel_for6kernelILj256ENS1_20__uninitialized_copy7functorINS0_7pointerINS0_5tupleIiiNS0_9null_typeES8_S8_S8_S8_S8_S8_S8_EENS1_3tagENS0_11use_defaultESB_EESC_EEmLj1EEEvT0_T1_SF_,"axG",@progbits,_ZN6thrust23THRUST_200600_302600_NS11hip_rocprim14__parallel_for6kernelILj256ENS1_20__uninitialized_copy7functorINS0_7pointerINS0_5tupleIiiNS0_9null_typeES8_S8_S8_S8_S8_S8_S8_EENS1_3tagENS0_11use_defaultESB_EESC_EEmLj1EEEvT0_T1_SF_,comdat
	.protected	_ZN6thrust23THRUST_200600_302600_NS11hip_rocprim14__parallel_for6kernelILj256ENS1_20__uninitialized_copy7functorINS0_7pointerINS0_5tupleIiiNS0_9null_typeES8_S8_S8_S8_S8_S8_S8_EENS1_3tagENS0_11use_defaultESB_EESC_EEmLj1EEEvT0_T1_SF_ ; -- Begin function _ZN6thrust23THRUST_200600_302600_NS11hip_rocprim14__parallel_for6kernelILj256ENS1_20__uninitialized_copy7functorINS0_7pointerINS0_5tupleIiiNS0_9null_typeES8_S8_S8_S8_S8_S8_S8_EENS1_3tagENS0_11use_defaultESB_EESC_EEmLj1EEEvT0_T1_SF_
	.globl	_ZN6thrust23THRUST_200600_302600_NS11hip_rocprim14__parallel_for6kernelILj256ENS1_20__uninitialized_copy7functorINS0_7pointerINS0_5tupleIiiNS0_9null_typeES8_S8_S8_S8_S8_S8_S8_EENS1_3tagENS0_11use_defaultESB_EESC_EEmLj1EEEvT0_T1_SF_
	.p2align	8
	.type	_ZN6thrust23THRUST_200600_302600_NS11hip_rocprim14__parallel_for6kernelILj256ENS1_20__uninitialized_copy7functorINS0_7pointerINS0_5tupleIiiNS0_9null_typeES8_S8_S8_S8_S8_S8_S8_EENS1_3tagENS0_11use_defaultESB_EESC_EEmLj1EEEvT0_T1_SF_,@function
_ZN6thrust23THRUST_200600_302600_NS11hip_rocprim14__parallel_for6kernelILj256ENS1_20__uninitialized_copy7functorINS0_7pointerINS0_5tupleIiiNS0_9null_typeES8_S8_S8_S8_S8_S8_S8_EENS1_3tagENS0_11use_defaultESB_EESC_EEmLj1EEEvT0_T1_SF_: ; @_ZN6thrust23THRUST_200600_302600_NS11hip_rocprim14__parallel_for6kernelILj256ENS1_20__uninitialized_copy7functorINS0_7pointerINS0_5tupleIiiNS0_9null_typeES8_S8_S8_S8_S8_S8_S8_EENS1_3tagENS0_11use_defaultESB_EESC_EEmLj1EEEvT0_T1_SF_
; %bb.0:
	s_load_dwordx8 s[8:15], s[4:5], 0x0
	s_lshl_b32 s0, s6, 8
	v_mov_b32_e32 v1, 0xff
	v_mov_b32_e32 v2, 0
	s_mov_b64 s[2:3], -1
	s_waitcnt lgkmcnt(0)
	s_add_u32 s4, s14, s0
	s_addc_u32 s5, s15, 0
	s_sub_u32 s0, s12, s4
	s_subb_u32 s1, s13, s5
	v_cmp_gt_u64_e32 vcc, s[0:1], v[1:2]
	s_cbranch_vccz .LBB426_3
; %bb.1:
	s_andn2_b64 vcc, exec, s[2:3]
	s_cbranch_vccz .LBB426_6
.LBB426_2:
	s_endpgm
.LBB426_3:
	v_cmp_gt_u32_e32 vcc, s0, v0
	s_and_saveexec_b64 s[0:1], vcc
	s_cbranch_execz .LBB426_5
; %bb.4:
	v_mov_b32_e32 v2, s5
	v_add_co_u32_e32 v1, vcc, s4, v0
	v_addc_co_u32_e32 v2, vcc, 0, v2, vcc
	v_lshlrev_b64 v[1:2], 3, v[1:2]
	v_mov_b32_e32 v4, s9
	v_add_co_u32_e32 v3, vcc, s8, v1
	v_addc_co_u32_e32 v4, vcc, v4, v2, vcc
	flat_load_dwordx2 v[3:4], v[3:4]
	v_mov_b32_e32 v5, s11
	v_add_co_u32_e32 v1, vcc, s10, v1
	v_addc_co_u32_e32 v2, vcc, v5, v2, vcc
	s_waitcnt vmcnt(0) lgkmcnt(0)
	flat_store_dwordx2 v[1:2], v[3:4]
.LBB426_5:
	s_or_b64 exec, exec, s[0:1]
	s_cbranch_execnz .LBB426_2
.LBB426_6:
	v_mov_b32_e32 v1, s5
	v_add_co_u32_e32 v0, vcc, s4, v0
	v_addc_co_u32_e32 v1, vcc, 0, v1, vcc
	v_lshlrev_b64 v[0:1], 3, v[0:1]
	v_mov_b32_e32 v3, s9
	v_add_co_u32_e32 v2, vcc, s8, v0
	v_addc_co_u32_e32 v3, vcc, v3, v1, vcc
	flat_load_dwordx2 v[2:3], v[2:3]
	v_mov_b32_e32 v4, s11
	v_add_co_u32_e32 v0, vcc, s10, v0
	v_addc_co_u32_e32 v1, vcc, v4, v1, vcc
	s_waitcnt vmcnt(0) lgkmcnt(0)
	flat_store_dwordx2 v[0:1], v[2:3]
	s_endpgm
	.section	.rodata,"a",@progbits
	.p2align	6, 0x0
	.amdhsa_kernel _ZN6thrust23THRUST_200600_302600_NS11hip_rocprim14__parallel_for6kernelILj256ENS1_20__uninitialized_copy7functorINS0_7pointerINS0_5tupleIiiNS0_9null_typeES8_S8_S8_S8_S8_S8_S8_EENS1_3tagENS0_11use_defaultESB_EESC_EEmLj1EEEvT0_T1_SF_
		.amdhsa_group_segment_fixed_size 0
		.amdhsa_private_segment_fixed_size 0
		.amdhsa_kernarg_size 32
		.amdhsa_user_sgpr_count 6
		.amdhsa_user_sgpr_private_segment_buffer 1
		.amdhsa_user_sgpr_dispatch_ptr 0
		.amdhsa_user_sgpr_queue_ptr 0
		.amdhsa_user_sgpr_kernarg_segment_ptr 1
		.amdhsa_user_sgpr_dispatch_id 0
		.amdhsa_user_sgpr_flat_scratch_init 0
		.amdhsa_user_sgpr_private_segment_size 0
		.amdhsa_uses_dynamic_stack 0
		.amdhsa_system_sgpr_private_segment_wavefront_offset 0
		.amdhsa_system_sgpr_workgroup_id_x 1
		.amdhsa_system_sgpr_workgroup_id_y 0
		.amdhsa_system_sgpr_workgroup_id_z 0
		.amdhsa_system_sgpr_workgroup_info 0
		.amdhsa_system_vgpr_workitem_id 0
		.amdhsa_next_free_vgpr 6
		.amdhsa_next_free_sgpr 16
		.amdhsa_reserve_vcc 1
		.amdhsa_reserve_flat_scratch 0
		.amdhsa_float_round_mode_32 0
		.amdhsa_float_round_mode_16_64 0
		.amdhsa_float_denorm_mode_32 3
		.amdhsa_float_denorm_mode_16_64 3
		.amdhsa_dx10_clamp 1
		.amdhsa_ieee_mode 1
		.amdhsa_fp16_overflow 0
		.amdhsa_exception_fp_ieee_invalid_op 0
		.amdhsa_exception_fp_denorm_src 0
		.amdhsa_exception_fp_ieee_div_zero 0
		.amdhsa_exception_fp_ieee_overflow 0
		.amdhsa_exception_fp_ieee_underflow 0
		.amdhsa_exception_fp_ieee_inexact 0
		.amdhsa_exception_int_div_zero 0
	.end_amdhsa_kernel
	.section	.text._ZN6thrust23THRUST_200600_302600_NS11hip_rocprim14__parallel_for6kernelILj256ENS1_20__uninitialized_copy7functorINS0_7pointerINS0_5tupleIiiNS0_9null_typeES8_S8_S8_S8_S8_S8_S8_EENS1_3tagENS0_11use_defaultESB_EESC_EEmLj1EEEvT0_T1_SF_,"axG",@progbits,_ZN6thrust23THRUST_200600_302600_NS11hip_rocprim14__parallel_for6kernelILj256ENS1_20__uninitialized_copy7functorINS0_7pointerINS0_5tupleIiiNS0_9null_typeES8_S8_S8_S8_S8_S8_S8_EENS1_3tagENS0_11use_defaultESB_EESC_EEmLj1EEEvT0_T1_SF_,comdat
.Lfunc_end426:
	.size	_ZN6thrust23THRUST_200600_302600_NS11hip_rocprim14__parallel_for6kernelILj256ENS1_20__uninitialized_copy7functorINS0_7pointerINS0_5tupleIiiNS0_9null_typeES8_S8_S8_S8_S8_S8_S8_EENS1_3tagENS0_11use_defaultESB_EESC_EEmLj1EEEvT0_T1_SF_, .Lfunc_end426-_ZN6thrust23THRUST_200600_302600_NS11hip_rocprim14__parallel_for6kernelILj256ENS1_20__uninitialized_copy7functorINS0_7pointerINS0_5tupleIiiNS0_9null_typeES8_S8_S8_S8_S8_S8_S8_EENS1_3tagENS0_11use_defaultESB_EESC_EEmLj1EEEvT0_T1_SF_
                                        ; -- End function
	.set _ZN6thrust23THRUST_200600_302600_NS11hip_rocprim14__parallel_for6kernelILj256ENS1_20__uninitialized_copy7functorINS0_7pointerINS0_5tupleIiiNS0_9null_typeES8_S8_S8_S8_S8_S8_S8_EENS1_3tagENS0_11use_defaultESB_EESC_EEmLj1EEEvT0_T1_SF_.num_vgpr, 6
	.set _ZN6thrust23THRUST_200600_302600_NS11hip_rocprim14__parallel_for6kernelILj256ENS1_20__uninitialized_copy7functorINS0_7pointerINS0_5tupleIiiNS0_9null_typeES8_S8_S8_S8_S8_S8_S8_EENS1_3tagENS0_11use_defaultESB_EESC_EEmLj1EEEvT0_T1_SF_.num_agpr, 0
	.set _ZN6thrust23THRUST_200600_302600_NS11hip_rocprim14__parallel_for6kernelILj256ENS1_20__uninitialized_copy7functorINS0_7pointerINS0_5tupleIiiNS0_9null_typeES8_S8_S8_S8_S8_S8_S8_EENS1_3tagENS0_11use_defaultESB_EESC_EEmLj1EEEvT0_T1_SF_.numbered_sgpr, 16
	.set _ZN6thrust23THRUST_200600_302600_NS11hip_rocprim14__parallel_for6kernelILj256ENS1_20__uninitialized_copy7functorINS0_7pointerINS0_5tupleIiiNS0_9null_typeES8_S8_S8_S8_S8_S8_S8_EENS1_3tagENS0_11use_defaultESB_EESC_EEmLj1EEEvT0_T1_SF_.num_named_barrier, 0
	.set _ZN6thrust23THRUST_200600_302600_NS11hip_rocprim14__parallel_for6kernelILj256ENS1_20__uninitialized_copy7functorINS0_7pointerINS0_5tupleIiiNS0_9null_typeES8_S8_S8_S8_S8_S8_S8_EENS1_3tagENS0_11use_defaultESB_EESC_EEmLj1EEEvT0_T1_SF_.private_seg_size, 0
	.set _ZN6thrust23THRUST_200600_302600_NS11hip_rocprim14__parallel_for6kernelILj256ENS1_20__uninitialized_copy7functorINS0_7pointerINS0_5tupleIiiNS0_9null_typeES8_S8_S8_S8_S8_S8_S8_EENS1_3tagENS0_11use_defaultESB_EESC_EEmLj1EEEvT0_T1_SF_.uses_vcc, 1
	.set _ZN6thrust23THRUST_200600_302600_NS11hip_rocprim14__parallel_for6kernelILj256ENS1_20__uninitialized_copy7functorINS0_7pointerINS0_5tupleIiiNS0_9null_typeES8_S8_S8_S8_S8_S8_S8_EENS1_3tagENS0_11use_defaultESB_EESC_EEmLj1EEEvT0_T1_SF_.uses_flat_scratch, 0
	.set _ZN6thrust23THRUST_200600_302600_NS11hip_rocprim14__parallel_for6kernelILj256ENS1_20__uninitialized_copy7functorINS0_7pointerINS0_5tupleIiiNS0_9null_typeES8_S8_S8_S8_S8_S8_S8_EENS1_3tagENS0_11use_defaultESB_EESC_EEmLj1EEEvT0_T1_SF_.has_dyn_sized_stack, 0
	.set _ZN6thrust23THRUST_200600_302600_NS11hip_rocprim14__parallel_for6kernelILj256ENS1_20__uninitialized_copy7functorINS0_7pointerINS0_5tupleIiiNS0_9null_typeES8_S8_S8_S8_S8_S8_S8_EENS1_3tagENS0_11use_defaultESB_EESC_EEmLj1EEEvT0_T1_SF_.has_recursion, 0
	.set _ZN6thrust23THRUST_200600_302600_NS11hip_rocprim14__parallel_for6kernelILj256ENS1_20__uninitialized_copy7functorINS0_7pointerINS0_5tupleIiiNS0_9null_typeES8_S8_S8_S8_S8_S8_S8_EENS1_3tagENS0_11use_defaultESB_EESC_EEmLj1EEEvT0_T1_SF_.has_indirect_call, 0
	.section	.AMDGPU.csdata,"",@progbits
; Kernel info:
; codeLenInByte = 220
; TotalNumSgprs: 20
; NumVgprs: 6
; ScratchSize: 0
; MemoryBound: 0
; FloatMode: 240
; IeeeMode: 1
; LDSByteSize: 0 bytes/workgroup (compile time only)
; SGPRBlocks: 2
; VGPRBlocks: 1
; NumSGPRsForWavesPerEU: 20
; NumVGPRsForWavesPerEU: 6
; Occupancy: 10
; WaveLimiterHint : 0
; COMPUTE_PGM_RSRC2:SCRATCH_EN: 0
; COMPUTE_PGM_RSRC2:USER_SGPR: 6
; COMPUTE_PGM_RSRC2:TRAP_HANDLER: 0
; COMPUTE_PGM_RSRC2:TGID_X_EN: 1
; COMPUTE_PGM_RSRC2:TGID_Y_EN: 0
; COMPUTE_PGM_RSRC2:TGID_Z_EN: 0
; COMPUTE_PGM_RSRC2:TIDIG_COMP_CNT: 0
	.section	.text._ZN6thrust23THRUST_200600_302600_NS11hip_rocprim14__parallel_for6kernelILj256ENS1_10for_each_fINS0_7pointerINS0_5tupleIiiNS0_9null_typeES7_S7_S7_S7_S7_S7_S7_EENS1_5par_tENS0_11use_defaultESA_EENS0_6detail16wrapped_functionINSC_23allocator_traits_detail24construct1_via_allocatorINSC_18no_throw_allocatorINSC_19temporary_allocatorIS8_S9_EEEEEEvEEEEmLj1EEEvT0_T1_SO_,"axG",@progbits,_ZN6thrust23THRUST_200600_302600_NS11hip_rocprim14__parallel_for6kernelILj256ENS1_10for_each_fINS0_7pointerINS0_5tupleIiiNS0_9null_typeES7_S7_S7_S7_S7_S7_S7_EENS1_5par_tENS0_11use_defaultESA_EENS0_6detail16wrapped_functionINSC_23allocator_traits_detail24construct1_via_allocatorINSC_18no_throw_allocatorINSC_19temporary_allocatorIS8_S9_EEEEEEvEEEEmLj1EEEvT0_T1_SO_,comdat
	.protected	_ZN6thrust23THRUST_200600_302600_NS11hip_rocprim14__parallel_for6kernelILj256ENS1_10for_each_fINS0_7pointerINS0_5tupleIiiNS0_9null_typeES7_S7_S7_S7_S7_S7_S7_EENS1_5par_tENS0_11use_defaultESA_EENS0_6detail16wrapped_functionINSC_23allocator_traits_detail24construct1_via_allocatorINSC_18no_throw_allocatorINSC_19temporary_allocatorIS8_S9_EEEEEEvEEEEmLj1EEEvT0_T1_SO_ ; -- Begin function _ZN6thrust23THRUST_200600_302600_NS11hip_rocprim14__parallel_for6kernelILj256ENS1_10for_each_fINS0_7pointerINS0_5tupleIiiNS0_9null_typeES7_S7_S7_S7_S7_S7_S7_EENS1_5par_tENS0_11use_defaultESA_EENS0_6detail16wrapped_functionINSC_23allocator_traits_detail24construct1_via_allocatorINSC_18no_throw_allocatorINSC_19temporary_allocatorIS8_S9_EEEEEEvEEEEmLj1EEEvT0_T1_SO_
	.globl	_ZN6thrust23THRUST_200600_302600_NS11hip_rocprim14__parallel_for6kernelILj256ENS1_10for_each_fINS0_7pointerINS0_5tupleIiiNS0_9null_typeES7_S7_S7_S7_S7_S7_S7_EENS1_5par_tENS0_11use_defaultESA_EENS0_6detail16wrapped_functionINSC_23allocator_traits_detail24construct1_via_allocatorINSC_18no_throw_allocatorINSC_19temporary_allocatorIS8_S9_EEEEEEvEEEEmLj1EEEvT0_T1_SO_
	.p2align	8
	.type	_ZN6thrust23THRUST_200600_302600_NS11hip_rocprim14__parallel_for6kernelILj256ENS1_10for_each_fINS0_7pointerINS0_5tupleIiiNS0_9null_typeES7_S7_S7_S7_S7_S7_S7_EENS1_5par_tENS0_11use_defaultESA_EENS0_6detail16wrapped_functionINSC_23allocator_traits_detail24construct1_via_allocatorINSC_18no_throw_allocatorINSC_19temporary_allocatorIS8_S9_EEEEEEvEEEEmLj1EEEvT0_T1_SO_,@function
_ZN6thrust23THRUST_200600_302600_NS11hip_rocprim14__parallel_for6kernelILj256ENS1_10for_each_fINS0_7pointerINS0_5tupleIiiNS0_9null_typeES7_S7_S7_S7_S7_S7_S7_EENS1_5par_tENS0_11use_defaultESA_EENS0_6detail16wrapped_functionINSC_23allocator_traits_detail24construct1_via_allocatorINSC_18no_throw_allocatorINSC_19temporary_allocatorIS8_S9_EEEEEEvEEEEmLj1EEEvT0_T1_SO_: ; @_ZN6thrust23THRUST_200600_302600_NS11hip_rocprim14__parallel_for6kernelILj256ENS1_10for_each_fINS0_7pointerINS0_5tupleIiiNS0_9null_typeES7_S7_S7_S7_S7_S7_S7_EENS1_5par_tENS0_11use_defaultESA_EENS0_6detail16wrapped_functionINSC_23allocator_traits_detail24construct1_via_allocatorINSC_18no_throw_allocatorINSC_19temporary_allocatorIS8_S9_EEEEEEvEEEEmLj1EEEvT0_T1_SO_
; %bb.0:
	s_load_dwordx4 s[8:11], s[4:5], 0x10
	s_load_dwordx2 s[0:1], s[4:5], 0x0
	s_lshl_b32 s2, s6, 8
	v_mov_b32_e32 v1, 0xff
	v_mov_b32_e32 v2, 0
	s_waitcnt lgkmcnt(0)
	s_add_u32 s2, s10, s2
	s_addc_u32 s3, s11, 0
	s_sub_u32 s4, s8, s2
	s_subb_u32 s5, s9, s3
	v_cmp_gt_u64_e32 vcc, s[4:5], v[1:2]
	s_mov_b64 s[6:7], -1
	s_cbranch_vccz .LBB427_3
; %bb.1:
	s_andn2_b64 vcc, exec, s[6:7]
	s_cbranch_vccz .LBB427_6
.LBB427_2:
	s_endpgm
.LBB427_3:
	v_cmp_gt_u32_e32 vcc, s4, v0
	s_and_saveexec_b64 s[4:5], vcc
	s_cbranch_execz .LBB427_5
; %bb.4:
	s_lshl_b64 s[6:7], s[2:3], 3
	s_add_u32 s6, s0, s6
	s_addc_u32 s7, s1, s7
	v_lshlrev_b32_e32 v1, 3, v0
	v_mov_b32_e32 v2, s7
	v_add_co_u32_e32 v1, vcc, s6, v1
	v_mov_b32_e32 v3, 0
	v_addc_co_u32_e32 v2, vcc, 0, v2, vcc
	v_mov_b32_e32 v4, v3
	flat_store_dwordx2 v[1:2], v[3:4]
.LBB427_5:
	s_or_b64 exec, exec, s[4:5]
	s_cbranch_execnz .LBB427_2
.LBB427_6:
	s_lshl_b64 s[2:3], s[2:3], 3
	s_add_u32 s0, s0, s2
	s_addc_u32 s1, s1, s3
	v_lshlrev_b32_e32 v0, 3, v0
	v_mov_b32_e32 v1, s1
	v_add_co_u32_e32 v0, vcc, s0, v0
	v_mov_b32_e32 v2, 0
	v_addc_co_u32_e32 v1, vcc, 0, v1, vcc
	v_mov_b32_e32 v3, v2
	flat_store_dwordx2 v[0:1], v[2:3]
	s_endpgm
	.section	.rodata,"a",@progbits
	.p2align	6, 0x0
	.amdhsa_kernel _ZN6thrust23THRUST_200600_302600_NS11hip_rocprim14__parallel_for6kernelILj256ENS1_10for_each_fINS0_7pointerINS0_5tupleIiiNS0_9null_typeES7_S7_S7_S7_S7_S7_S7_EENS1_5par_tENS0_11use_defaultESA_EENS0_6detail16wrapped_functionINSC_23allocator_traits_detail24construct1_via_allocatorINSC_18no_throw_allocatorINSC_19temporary_allocatorIS8_S9_EEEEEEvEEEEmLj1EEEvT0_T1_SO_
		.amdhsa_group_segment_fixed_size 0
		.amdhsa_private_segment_fixed_size 0
		.amdhsa_kernarg_size 32
		.amdhsa_user_sgpr_count 6
		.amdhsa_user_sgpr_private_segment_buffer 1
		.amdhsa_user_sgpr_dispatch_ptr 0
		.amdhsa_user_sgpr_queue_ptr 0
		.amdhsa_user_sgpr_kernarg_segment_ptr 1
		.amdhsa_user_sgpr_dispatch_id 0
		.amdhsa_user_sgpr_flat_scratch_init 0
		.amdhsa_user_sgpr_private_segment_size 0
		.amdhsa_uses_dynamic_stack 0
		.amdhsa_system_sgpr_private_segment_wavefront_offset 0
		.amdhsa_system_sgpr_workgroup_id_x 1
		.amdhsa_system_sgpr_workgroup_id_y 0
		.amdhsa_system_sgpr_workgroup_id_z 0
		.amdhsa_system_sgpr_workgroup_info 0
		.amdhsa_system_vgpr_workitem_id 0
		.amdhsa_next_free_vgpr 5
		.amdhsa_next_free_sgpr 12
		.amdhsa_reserve_vcc 1
		.amdhsa_reserve_flat_scratch 0
		.amdhsa_float_round_mode_32 0
		.amdhsa_float_round_mode_16_64 0
		.amdhsa_float_denorm_mode_32 3
		.amdhsa_float_denorm_mode_16_64 3
		.amdhsa_dx10_clamp 1
		.amdhsa_ieee_mode 1
		.amdhsa_fp16_overflow 0
		.amdhsa_exception_fp_ieee_invalid_op 0
		.amdhsa_exception_fp_denorm_src 0
		.amdhsa_exception_fp_ieee_div_zero 0
		.amdhsa_exception_fp_ieee_overflow 0
		.amdhsa_exception_fp_ieee_underflow 0
		.amdhsa_exception_fp_ieee_inexact 0
		.amdhsa_exception_int_div_zero 0
	.end_amdhsa_kernel
	.section	.text._ZN6thrust23THRUST_200600_302600_NS11hip_rocprim14__parallel_for6kernelILj256ENS1_10for_each_fINS0_7pointerINS0_5tupleIiiNS0_9null_typeES7_S7_S7_S7_S7_S7_S7_EENS1_5par_tENS0_11use_defaultESA_EENS0_6detail16wrapped_functionINSC_23allocator_traits_detail24construct1_via_allocatorINSC_18no_throw_allocatorINSC_19temporary_allocatorIS8_S9_EEEEEEvEEEEmLj1EEEvT0_T1_SO_,"axG",@progbits,_ZN6thrust23THRUST_200600_302600_NS11hip_rocprim14__parallel_for6kernelILj256ENS1_10for_each_fINS0_7pointerINS0_5tupleIiiNS0_9null_typeES7_S7_S7_S7_S7_S7_S7_EENS1_5par_tENS0_11use_defaultESA_EENS0_6detail16wrapped_functionINSC_23allocator_traits_detail24construct1_via_allocatorINSC_18no_throw_allocatorINSC_19temporary_allocatorIS8_S9_EEEEEEvEEEEmLj1EEEvT0_T1_SO_,comdat
.Lfunc_end427:
	.size	_ZN6thrust23THRUST_200600_302600_NS11hip_rocprim14__parallel_for6kernelILj256ENS1_10for_each_fINS0_7pointerINS0_5tupleIiiNS0_9null_typeES7_S7_S7_S7_S7_S7_S7_EENS1_5par_tENS0_11use_defaultESA_EENS0_6detail16wrapped_functionINSC_23allocator_traits_detail24construct1_via_allocatorINSC_18no_throw_allocatorINSC_19temporary_allocatorIS8_S9_EEEEEEvEEEEmLj1EEEvT0_T1_SO_, .Lfunc_end427-_ZN6thrust23THRUST_200600_302600_NS11hip_rocprim14__parallel_for6kernelILj256ENS1_10for_each_fINS0_7pointerINS0_5tupleIiiNS0_9null_typeES7_S7_S7_S7_S7_S7_S7_EENS1_5par_tENS0_11use_defaultESA_EENS0_6detail16wrapped_functionINSC_23allocator_traits_detail24construct1_via_allocatorINSC_18no_throw_allocatorINSC_19temporary_allocatorIS8_S9_EEEEEEvEEEEmLj1EEEvT0_T1_SO_
                                        ; -- End function
	.set _ZN6thrust23THRUST_200600_302600_NS11hip_rocprim14__parallel_for6kernelILj256ENS1_10for_each_fINS0_7pointerINS0_5tupleIiiNS0_9null_typeES7_S7_S7_S7_S7_S7_S7_EENS1_5par_tENS0_11use_defaultESA_EENS0_6detail16wrapped_functionINSC_23allocator_traits_detail24construct1_via_allocatorINSC_18no_throw_allocatorINSC_19temporary_allocatorIS8_S9_EEEEEEvEEEEmLj1EEEvT0_T1_SO_.num_vgpr, 5
	.set _ZN6thrust23THRUST_200600_302600_NS11hip_rocprim14__parallel_for6kernelILj256ENS1_10for_each_fINS0_7pointerINS0_5tupleIiiNS0_9null_typeES7_S7_S7_S7_S7_S7_S7_EENS1_5par_tENS0_11use_defaultESA_EENS0_6detail16wrapped_functionINSC_23allocator_traits_detail24construct1_via_allocatorINSC_18no_throw_allocatorINSC_19temporary_allocatorIS8_S9_EEEEEEvEEEEmLj1EEEvT0_T1_SO_.num_agpr, 0
	.set _ZN6thrust23THRUST_200600_302600_NS11hip_rocprim14__parallel_for6kernelILj256ENS1_10for_each_fINS0_7pointerINS0_5tupleIiiNS0_9null_typeES7_S7_S7_S7_S7_S7_S7_EENS1_5par_tENS0_11use_defaultESA_EENS0_6detail16wrapped_functionINSC_23allocator_traits_detail24construct1_via_allocatorINSC_18no_throw_allocatorINSC_19temporary_allocatorIS8_S9_EEEEEEvEEEEmLj1EEEvT0_T1_SO_.numbered_sgpr, 12
	.set _ZN6thrust23THRUST_200600_302600_NS11hip_rocprim14__parallel_for6kernelILj256ENS1_10for_each_fINS0_7pointerINS0_5tupleIiiNS0_9null_typeES7_S7_S7_S7_S7_S7_S7_EENS1_5par_tENS0_11use_defaultESA_EENS0_6detail16wrapped_functionINSC_23allocator_traits_detail24construct1_via_allocatorINSC_18no_throw_allocatorINSC_19temporary_allocatorIS8_S9_EEEEEEvEEEEmLj1EEEvT0_T1_SO_.num_named_barrier, 0
	.set _ZN6thrust23THRUST_200600_302600_NS11hip_rocprim14__parallel_for6kernelILj256ENS1_10for_each_fINS0_7pointerINS0_5tupleIiiNS0_9null_typeES7_S7_S7_S7_S7_S7_S7_EENS1_5par_tENS0_11use_defaultESA_EENS0_6detail16wrapped_functionINSC_23allocator_traits_detail24construct1_via_allocatorINSC_18no_throw_allocatorINSC_19temporary_allocatorIS8_S9_EEEEEEvEEEEmLj1EEEvT0_T1_SO_.private_seg_size, 0
	.set _ZN6thrust23THRUST_200600_302600_NS11hip_rocprim14__parallel_for6kernelILj256ENS1_10for_each_fINS0_7pointerINS0_5tupleIiiNS0_9null_typeES7_S7_S7_S7_S7_S7_S7_EENS1_5par_tENS0_11use_defaultESA_EENS0_6detail16wrapped_functionINSC_23allocator_traits_detail24construct1_via_allocatorINSC_18no_throw_allocatorINSC_19temporary_allocatorIS8_S9_EEEEEEvEEEEmLj1EEEvT0_T1_SO_.uses_vcc, 1
	.set _ZN6thrust23THRUST_200600_302600_NS11hip_rocprim14__parallel_for6kernelILj256ENS1_10for_each_fINS0_7pointerINS0_5tupleIiiNS0_9null_typeES7_S7_S7_S7_S7_S7_S7_EENS1_5par_tENS0_11use_defaultESA_EENS0_6detail16wrapped_functionINSC_23allocator_traits_detail24construct1_via_allocatorINSC_18no_throw_allocatorINSC_19temporary_allocatorIS8_S9_EEEEEEvEEEEmLj1EEEvT0_T1_SO_.uses_flat_scratch, 0
	.set _ZN6thrust23THRUST_200600_302600_NS11hip_rocprim14__parallel_for6kernelILj256ENS1_10for_each_fINS0_7pointerINS0_5tupleIiiNS0_9null_typeES7_S7_S7_S7_S7_S7_S7_EENS1_5par_tENS0_11use_defaultESA_EENS0_6detail16wrapped_functionINSC_23allocator_traits_detail24construct1_via_allocatorINSC_18no_throw_allocatorINSC_19temporary_allocatorIS8_S9_EEEEEEvEEEEmLj1EEEvT0_T1_SO_.has_dyn_sized_stack, 0
	.set _ZN6thrust23THRUST_200600_302600_NS11hip_rocprim14__parallel_for6kernelILj256ENS1_10for_each_fINS0_7pointerINS0_5tupleIiiNS0_9null_typeES7_S7_S7_S7_S7_S7_S7_EENS1_5par_tENS0_11use_defaultESA_EENS0_6detail16wrapped_functionINSC_23allocator_traits_detail24construct1_via_allocatorINSC_18no_throw_allocatorINSC_19temporary_allocatorIS8_S9_EEEEEEvEEEEmLj1EEEvT0_T1_SO_.has_recursion, 0
	.set _ZN6thrust23THRUST_200600_302600_NS11hip_rocprim14__parallel_for6kernelILj256ENS1_10for_each_fINS0_7pointerINS0_5tupleIiiNS0_9null_typeES7_S7_S7_S7_S7_S7_S7_EENS1_5par_tENS0_11use_defaultESA_EENS0_6detail16wrapped_functionINSC_23allocator_traits_detail24construct1_via_allocatorINSC_18no_throw_allocatorINSC_19temporary_allocatorIS8_S9_EEEEEEvEEEEmLj1EEEvT0_T1_SO_.has_indirect_call, 0
	.section	.AMDGPU.csdata,"",@progbits
; Kernel info:
; codeLenInByte = 188
; TotalNumSgprs: 16
; NumVgprs: 5
; ScratchSize: 0
; MemoryBound: 0
; FloatMode: 240
; IeeeMode: 1
; LDSByteSize: 0 bytes/workgroup (compile time only)
; SGPRBlocks: 1
; VGPRBlocks: 1
; NumSGPRsForWavesPerEU: 16
; NumVGPRsForWavesPerEU: 5
; Occupancy: 10
; WaveLimiterHint : 0
; COMPUTE_PGM_RSRC2:SCRATCH_EN: 0
; COMPUTE_PGM_RSRC2:USER_SGPR: 6
; COMPUTE_PGM_RSRC2:TRAP_HANDLER: 0
; COMPUTE_PGM_RSRC2:TGID_X_EN: 1
; COMPUTE_PGM_RSRC2:TGID_Y_EN: 0
; COMPUTE_PGM_RSRC2:TGID_Z_EN: 0
; COMPUTE_PGM_RSRC2:TIDIG_COMP_CNT: 0
	.section	.text._ZN6thrust23THRUST_200600_302600_NS11hip_rocprim14__parallel_for6kernelILj256ENS1_10for_each_fINS0_7pointerINS0_5tupleIiiNS0_9null_typeES7_S7_S7_S7_S7_S7_S7_EENS1_5par_tENS0_11use_defaultESA_EENS0_6detail16wrapped_functionINSC_23allocator_traits_detail5gozerEvEEEElLj1EEEvT0_T1_SJ_,"axG",@progbits,_ZN6thrust23THRUST_200600_302600_NS11hip_rocprim14__parallel_for6kernelILj256ENS1_10for_each_fINS0_7pointerINS0_5tupleIiiNS0_9null_typeES7_S7_S7_S7_S7_S7_S7_EENS1_5par_tENS0_11use_defaultESA_EENS0_6detail16wrapped_functionINSC_23allocator_traits_detail5gozerEvEEEElLj1EEEvT0_T1_SJ_,comdat
	.protected	_ZN6thrust23THRUST_200600_302600_NS11hip_rocprim14__parallel_for6kernelILj256ENS1_10for_each_fINS0_7pointerINS0_5tupleIiiNS0_9null_typeES7_S7_S7_S7_S7_S7_S7_EENS1_5par_tENS0_11use_defaultESA_EENS0_6detail16wrapped_functionINSC_23allocator_traits_detail5gozerEvEEEElLj1EEEvT0_T1_SJ_ ; -- Begin function _ZN6thrust23THRUST_200600_302600_NS11hip_rocprim14__parallel_for6kernelILj256ENS1_10for_each_fINS0_7pointerINS0_5tupleIiiNS0_9null_typeES7_S7_S7_S7_S7_S7_S7_EENS1_5par_tENS0_11use_defaultESA_EENS0_6detail16wrapped_functionINSC_23allocator_traits_detail5gozerEvEEEElLj1EEEvT0_T1_SJ_
	.globl	_ZN6thrust23THRUST_200600_302600_NS11hip_rocprim14__parallel_for6kernelILj256ENS1_10for_each_fINS0_7pointerINS0_5tupleIiiNS0_9null_typeES7_S7_S7_S7_S7_S7_S7_EENS1_5par_tENS0_11use_defaultESA_EENS0_6detail16wrapped_functionINSC_23allocator_traits_detail5gozerEvEEEElLj1EEEvT0_T1_SJ_
	.p2align	8
	.type	_ZN6thrust23THRUST_200600_302600_NS11hip_rocprim14__parallel_for6kernelILj256ENS1_10for_each_fINS0_7pointerINS0_5tupleIiiNS0_9null_typeES7_S7_S7_S7_S7_S7_S7_EENS1_5par_tENS0_11use_defaultESA_EENS0_6detail16wrapped_functionINSC_23allocator_traits_detail5gozerEvEEEElLj1EEEvT0_T1_SJ_,@function
_ZN6thrust23THRUST_200600_302600_NS11hip_rocprim14__parallel_for6kernelILj256ENS1_10for_each_fINS0_7pointerINS0_5tupleIiiNS0_9null_typeES7_S7_S7_S7_S7_S7_S7_EENS1_5par_tENS0_11use_defaultESA_EENS0_6detail16wrapped_functionINSC_23allocator_traits_detail5gozerEvEEEElLj1EEEvT0_T1_SJ_: ; @_ZN6thrust23THRUST_200600_302600_NS11hip_rocprim14__parallel_for6kernelILj256ENS1_10for_each_fINS0_7pointerINS0_5tupleIiiNS0_9null_typeES7_S7_S7_S7_S7_S7_S7_EENS1_5par_tENS0_11use_defaultESA_EENS0_6detail16wrapped_functionINSC_23allocator_traits_detail5gozerEvEEEElLj1EEEvT0_T1_SJ_
; %bb.0:
	s_endpgm
	.section	.rodata,"a",@progbits
	.p2align	6, 0x0
	.amdhsa_kernel _ZN6thrust23THRUST_200600_302600_NS11hip_rocprim14__parallel_for6kernelILj256ENS1_10for_each_fINS0_7pointerINS0_5tupleIiiNS0_9null_typeES7_S7_S7_S7_S7_S7_S7_EENS1_5par_tENS0_11use_defaultESA_EENS0_6detail16wrapped_functionINSC_23allocator_traits_detail5gozerEvEEEElLj1EEEvT0_T1_SJ_
		.amdhsa_group_segment_fixed_size 0
		.amdhsa_private_segment_fixed_size 0
		.amdhsa_kernarg_size 32
		.amdhsa_user_sgpr_count 6
		.amdhsa_user_sgpr_private_segment_buffer 1
		.amdhsa_user_sgpr_dispatch_ptr 0
		.amdhsa_user_sgpr_queue_ptr 0
		.amdhsa_user_sgpr_kernarg_segment_ptr 1
		.amdhsa_user_sgpr_dispatch_id 0
		.amdhsa_user_sgpr_flat_scratch_init 0
		.amdhsa_user_sgpr_private_segment_size 0
		.amdhsa_uses_dynamic_stack 0
		.amdhsa_system_sgpr_private_segment_wavefront_offset 0
		.amdhsa_system_sgpr_workgroup_id_x 1
		.amdhsa_system_sgpr_workgroup_id_y 0
		.amdhsa_system_sgpr_workgroup_id_z 0
		.amdhsa_system_sgpr_workgroup_info 0
		.amdhsa_system_vgpr_workitem_id 0
		.amdhsa_next_free_vgpr 1
		.amdhsa_next_free_sgpr 0
		.amdhsa_reserve_vcc 0
		.amdhsa_reserve_flat_scratch 0
		.amdhsa_float_round_mode_32 0
		.amdhsa_float_round_mode_16_64 0
		.amdhsa_float_denorm_mode_32 3
		.amdhsa_float_denorm_mode_16_64 3
		.amdhsa_dx10_clamp 1
		.amdhsa_ieee_mode 1
		.amdhsa_fp16_overflow 0
		.amdhsa_exception_fp_ieee_invalid_op 0
		.amdhsa_exception_fp_denorm_src 0
		.amdhsa_exception_fp_ieee_div_zero 0
		.amdhsa_exception_fp_ieee_overflow 0
		.amdhsa_exception_fp_ieee_underflow 0
		.amdhsa_exception_fp_ieee_inexact 0
		.amdhsa_exception_int_div_zero 0
	.end_amdhsa_kernel
	.section	.text._ZN6thrust23THRUST_200600_302600_NS11hip_rocprim14__parallel_for6kernelILj256ENS1_10for_each_fINS0_7pointerINS0_5tupleIiiNS0_9null_typeES7_S7_S7_S7_S7_S7_S7_EENS1_5par_tENS0_11use_defaultESA_EENS0_6detail16wrapped_functionINSC_23allocator_traits_detail5gozerEvEEEElLj1EEEvT0_T1_SJ_,"axG",@progbits,_ZN6thrust23THRUST_200600_302600_NS11hip_rocprim14__parallel_for6kernelILj256ENS1_10for_each_fINS0_7pointerINS0_5tupleIiiNS0_9null_typeES7_S7_S7_S7_S7_S7_S7_EENS1_5par_tENS0_11use_defaultESA_EENS0_6detail16wrapped_functionINSC_23allocator_traits_detail5gozerEvEEEElLj1EEEvT0_T1_SJ_,comdat
.Lfunc_end428:
	.size	_ZN6thrust23THRUST_200600_302600_NS11hip_rocprim14__parallel_for6kernelILj256ENS1_10for_each_fINS0_7pointerINS0_5tupleIiiNS0_9null_typeES7_S7_S7_S7_S7_S7_S7_EENS1_5par_tENS0_11use_defaultESA_EENS0_6detail16wrapped_functionINSC_23allocator_traits_detail5gozerEvEEEElLj1EEEvT0_T1_SJ_, .Lfunc_end428-_ZN6thrust23THRUST_200600_302600_NS11hip_rocprim14__parallel_for6kernelILj256ENS1_10for_each_fINS0_7pointerINS0_5tupleIiiNS0_9null_typeES7_S7_S7_S7_S7_S7_S7_EENS1_5par_tENS0_11use_defaultESA_EENS0_6detail16wrapped_functionINSC_23allocator_traits_detail5gozerEvEEEElLj1EEEvT0_T1_SJ_
                                        ; -- End function
	.set _ZN6thrust23THRUST_200600_302600_NS11hip_rocprim14__parallel_for6kernelILj256ENS1_10for_each_fINS0_7pointerINS0_5tupleIiiNS0_9null_typeES7_S7_S7_S7_S7_S7_S7_EENS1_5par_tENS0_11use_defaultESA_EENS0_6detail16wrapped_functionINSC_23allocator_traits_detail5gozerEvEEEElLj1EEEvT0_T1_SJ_.num_vgpr, 0
	.set _ZN6thrust23THRUST_200600_302600_NS11hip_rocprim14__parallel_for6kernelILj256ENS1_10for_each_fINS0_7pointerINS0_5tupleIiiNS0_9null_typeES7_S7_S7_S7_S7_S7_S7_EENS1_5par_tENS0_11use_defaultESA_EENS0_6detail16wrapped_functionINSC_23allocator_traits_detail5gozerEvEEEElLj1EEEvT0_T1_SJ_.num_agpr, 0
	.set _ZN6thrust23THRUST_200600_302600_NS11hip_rocprim14__parallel_for6kernelILj256ENS1_10for_each_fINS0_7pointerINS0_5tupleIiiNS0_9null_typeES7_S7_S7_S7_S7_S7_S7_EENS1_5par_tENS0_11use_defaultESA_EENS0_6detail16wrapped_functionINSC_23allocator_traits_detail5gozerEvEEEElLj1EEEvT0_T1_SJ_.numbered_sgpr, 0
	.set _ZN6thrust23THRUST_200600_302600_NS11hip_rocprim14__parallel_for6kernelILj256ENS1_10for_each_fINS0_7pointerINS0_5tupleIiiNS0_9null_typeES7_S7_S7_S7_S7_S7_S7_EENS1_5par_tENS0_11use_defaultESA_EENS0_6detail16wrapped_functionINSC_23allocator_traits_detail5gozerEvEEEElLj1EEEvT0_T1_SJ_.num_named_barrier, 0
	.set _ZN6thrust23THRUST_200600_302600_NS11hip_rocprim14__parallel_for6kernelILj256ENS1_10for_each_fINS0_7pointerINS0_5tupleIiiNS0_9null_typeES7_S7_S7_S7_S7_S7_S7_EENS1_5par_tENS0_11use_defaultESA_EENS0_6detail16wrapped_functionINSC_23allocator_traits_detail5gozerEvEEEElLj1EEEvT0_T1_SJ_.private_seg_size, 0
	.set _ZN6thrust23THRUST_200600_302600_NS11hip_rocprim14__parallel_for6kernelILj256ENS1_10for_each_fINS0_7pointerINS0_5tupleIiiNS0_9null_typeES7_S7_S7_S7_S7_S7_S7_EENS1_5par_tENS0_11use_defaultESA_EENS0_6detail16wrapped_functionINSC_23allocator_traits_detail5gozerEvEEEElLj1EEEvT0_T1_SJ_.uses_vcc, 0
	.set _ZN6thrust23THRUST_200600_302600_NS11hip_rocprim14__parallel_for6kernelILj256ENS1_10for_each_fINS0_7pointerINS0_5tupleIiiNS0_9null_typeES7_S7_S7_S7_S7_S7_S7_EENS1_5par_tENS0_11use_defaultESA_EENS0_6detail16wrapped_functionINSC_23allocator_traits_detail5gozerEvEEEElLj1EEEvT0_T1_SJ_.uses_flat_scratch, 0
	.set _ZN6thrust23THRUST_200600_302600_NS11hip_rocprim14__parallel_for6kernelILj256ENS1_10for_each_fINS0_7pointerINS0_5tupleIiiNS0_9null_typeES7_S7_S7_S7_S7_S7_S7_EENS1_5par_tENS0_11use_defaultESA_EENS0_6detail16wrapped_functionINSC_23allocator_traits_detail5gozerEvEEEElLj1EEEvT0_T1_SJ_.has_dyn_sized_stack, 0
	.set _ZN6thrust23THRUST_200600_302600_NS11hip_rocprim14__parallel_for6kernelILj256ENS1_10for_each_fINS0_7pointerINS0_5tupleIiiNS0_9null_typeES7_S7_S7_S7_S7_S7_S7_EENS1_5par_tENS0_11use_defaultESA_EENS0_6detail16wrapped_functionINSC_23allocator_traits_detail5gozerEvEEEElLj1EEEvT0_T1_SJ_.has_recursion, 0
	.set _ZN6thrust23THRUST_200600_302600_NS11hip_rocprim14__parallel_for6kernelILj256ENS1_10for_each_fINS0_7pointerINS0_5tupleIiiNS0_9null_typeES7_S7_S7_S7_S7_S7_S7_EENS1_5par_tENS0_11use_defaultESA_EENS0_6detail16wrapped_functionINSC_23allocator_traits_detail5gozerEvEEEElLj1EEEvT0_T1_SJ_.has_indirect_call, 0
	.section	.AMDGPU.csdata,"",@progbits
; Kernel info:
; codeLenInByte = 4
; TotalNumSgprs: 4
; NumVgprs: 0
; ScratchSize: 0
; MemoryBound: 0
; FloatMode: 240
; IeeeMode: 1
; LDSByteSize: 0 bytes/workgroup (compile time only)
; SGPRBlocks: 0
; VGPRBlocks: 0
; NumSGPRsForWavesPerEU: 4
; NumVGPRsForWavesPerEU: 1
; Occupancy: 10
; WaveLimiterHint : 0
; COMPUTE_PGM_RSRC2:SCRATCH_EN: 0
; COMPUTE_PGM_RSRC2:USER_SGPR: 6
; COMPUTE_PGM_RSRC2:TRAP_HANDLER: 0
; COMPUTE_PGM_RSRC2:TGID_X_EN: 1
; COMPUTE_PGM_RSRC2:TGID_Y_EN: 0
; COMPUTE_PGM_RSRC2:TGID_Z_EN: 0
; COMPUTE_PGM_RSRC2:TIDIG_COMP_CNT: 0
	.section	.text._ZN6thrust23THRUST_200600_302600_NS11hip_rocprim14__parallel_for6kernelILj256ENS1_11__transform17unary_transform_fINS0_7pointerINS0_5tupleIiiNS0_9null_typeES8_S8_S8_S8_S8_S8_S8_EENS1_5par_tENS0_11use_defaultESB_EENS0_6detail15normal_iteratorISC_EENS4_14no_stencil_tagENS0_8identityIS9_EENS4_21always_true_predicateEEElLj1EEEvT0_T1_SM_,"axG",@progbits,_ZN6thrust23THRUST_200600_302600_NS11hip_rocprim14__parallel_for6kernelILj256ENS1_11__transform17unary_transform_fINS0_7pointerINS0_5tupleIiiNS0_9null_typeES8_S8_S8_S8_S8_S8_S8_EENS1_5par_tENS0_11use_defaultESB_EENS0_6detail15normal_iteratorISC_EENS4_14no_stencil_tagENS0_8identityIS9_EENS4_21always_true_predicateEEElLj1EEEvT0_T1_SM_,comdat
	.protected	_ZN6thrust23THRUST_200600_302600_NS11hip_rocprim14__parallel_for6kernelILj256ENS1_11__transform17unary_transform_fINS0_7pointerINS0_5tupleIiiNS0_9null_typeES8_S8_S8_S8_S8_S8_S8_EENS1_5par_tENS0_11use_defaultESB_EENS0_6detail15normal_iteratorISC_EENS4_14no_stencil_tagENS0_8identityIS9_EENS4_21always_true_predicateEEElLj1EEEvT0_T1_SM_ ; -- Begin function _ZN6thrust23THRUST_200600_302600_NS11hip_rocprim14__parallel_for6kernelILj256ENS1_11__transform17unary_transform_fINS0_7pointerINS0_5tupleIiiNS0_9null_typeES8_S8_S8_S8_S8_S8_S8_EENS1_5par_tENS0_11use_defaultESB_EENS0_6detail15normal_iteratorISC_EENS4_14no_stencil_tagENS0_8identityIS9_EENS4_21always_true_predicateEEElLj1EEEvT0_T1_SM_
	.globl	_ZN6thrust23THRUST_200600_302600_NS11hip_rocprim14__parallel_for6kernelILj256ENS1_11__transform17unary_transform_fINS0_7pointerINS0_5tupleIiiNS0_9null_typeES8_S8_S8_S8_S8_S8_S8_EENS1_5par_tENS0_11use_defaultESB_EENS0_6detail15normal_iteratorISC_EENS4_14no_stencil_tagENS0_8identityIS9_EENS4_21always_true_predicateEEElLj1EEEvT0_T1_SM_
	.p2align	8
	.type	_ZN6thrust23THRUST_200600_302600_NS11hip_rocprim14__parallel_for6kernelILj256ENS1_11__transform17unary_transform_fINS0_7pointerINS0_5tupleIiiNS0_9null_typeES8_S8_S8_S8_S8_S8_S8_EENS1_5par_tENS0_11use_defaultESB_EENS0_6detail15normal_iteratorISC_EENS4_14no_stencil_tagENS0_8identityIS9_EENS4_21always_true_predicateEEElLj1EEEvT0_T1_SM_,@function
_ZN6thrust23THRUST_200600_302600_NS11hip_rocprim14__parallel_for6kernelILj256ENS1_11__transform17unary_transform_fINS0_7pointerINS0_5tupleIiiNS0_9null_typeES8_S8_S8_S8_S8_S8_S8_EENS1_5par_tENS0_11use_defaultESB_EENS0_6detail15normal_iteratorISC_EENS4_14no_stencil_tagENS0_8identityIS9_EENS4_21always_true_predicateEEElLj1EEEvT0_T1_SM_: ; @_ZN6thrust23THRUST_200600_302600_NS11hip_rocprim14__parallel_for6kernelILj256ENS1_11__transform17unary_transform_fINS0_7pointerINS0_5tupleIiiNS0_9null_typeES8_S8_S8_S8_S8_S8_S8_EENS1_5par_tENS0_11use_defaultESB_EENS0_6detail15normal_iteratorISC_EENS4_14no_stencil_tagENS0_8identityIS9_EENS4_21always_true_predicateEEElLj1EEEvT0_T1_SM_
; %bb.0:
	s_load_dwordx4 s[0:3], s[4:5], 0x18
	s_lshl_b32 s6, s6, 8
	v_mov_b32_e32 v1, 0x100
	v_mov_b32_e32 v2, 0
	s_waitcnt lgkmcnt(0)
	s_add_u32 s6, s2, s6
	s_addc_u32 s7, s3, 0
	s_sub_u32 s8, s0, s6
	s_subb_u32 s9, s1, s7
	v_cmp_lt_i64_e32 vcc, s[8:9], v[1:2]
	s_load_dwordx4 s[0:3], s[4:5], 0x0
	s_and_b64 s[4:5], vcc, exec
	s_cselect_b32 s8, s8, 0x100
	s_cmpk_eq_i32 s8, 0x100
	s_mov_b64 s[4:5], -1
	s_cbranch_scc0 .LBB429_3
; %bb.1:
	s_andn2_b64 vcc, exec, s[4:5]
	s_cbranch_vccz .LBB429_6
.LBB429_2:
	s_endpgm
.LBB429_3:
	v_cmp_gt_u32_e32 vcc, s8, v0
	s_and_saveexec_b64 s[4:5], vcc
	s_cbranch_execz .LBB429_5
; %bb.4:
	v_mov_b32_e32 v2, s7
	v_add_co_u32_e32 v1, vcc, s6, v0
	v_addc_co_u32_e32 v2, vcc, 0, v2, vcc
	v_lshlrev_b64 v[1:2], 3, v[1:2]
	s_waitcnt lgkmcnt(0)
	v_mov_b32_e32 v4, s1
	v_add_co_u32_e32 v3, vcc, s0, v1
	v_addc_co_u32_e32 v4, vcc, v4, v2, vcc
	flat_load_dwordx2 v[3:4], v[3:4]
	v_mov_b32_e32 v5, s3
	v_add_co_u32_e32 v1, vcc, s2, v1
	v_addc_co_u32_e32 v2, vcc, v5, v2, vcc
	s_waitcnt vmcnt(0) lgkmcnt(0)
	flat_store_dwordx2 v[1:2], v[3:4]
.LBB429_5:
	s_or_b64 exec, exec, s[4:5]
	s_cbranch_execnz .LBB429_2
.LBB429_6:
	v_mov_b32_e32 v1, s7
	v_add_co_u32_e32 v0, vcc, s6, v0
	v_addc_co_u32_e32 v1, vcc, 0, v1, vcc
	v_lshlrev_b64 v[0:1], 3, v[0:1]
	s_waitcnt lgkmcnt(0)
	v_mov_b32_e32 v3, s1
	v_add_co_u32_e32 v2, vcc, s0, v0
	v_addc_co_u32_e32 v3, vcc, v3, v1, vcc
	flat_load_dwordx2 v[2:3], v[2:3]
	v_mov_b32_e32 v4, s3
	v_add_co_u32_e32 v0, vcc, s2, v0
	v_addc_co_u32_e32 v1, vcc, v4, v1, vcc
	s_waitcnt vmcnt(0) lgkmcnt(0)
	flat_store_dwordx2 v[0:1], v[2:3]
	s_endpgm
	.section	.rodata,"a",@progbits
	.p2align	6, 0x0
	.amdhsa_kernel _ZN6thrust23THRUST_200600_302600_NS11hip_rocprim14__parallel_for6kernelILj256ENS1_11__transform17unary_transform_fINS0_7pointerINS0_5tupleIiiNS0_9null_typeES8_S8_S8_S8_S8_S8_S8_EENS1_5par_tENS0_11use_defaultESB_EENS0_6detail15normal_iteratorISC_EENS4_14no_stencil_tagENS0_8identityIS9_EENS4_21always_true_predicateEEElLj1EEEvT0_T1_SM_
		.amdhsa_group_segment_fixed_size 0
		.amdhsa_private_segment_fixed_size 0
		.amdhsa_kernarg_size 40
		.amdhsa_user_sgpr_count 6
		.amdhsa_user_sgpr_private_segment_buffer 1
		.amdhsa_user_sgpr_dispatch_ptr 0
		.amdhsa_user_sgpr_queue_ptr 0
		.amdhsa_user_sgpr_kernarg_segment_ptr 1
		.amdhsa_user_sgpr_dispatch_id 0
		.amdhsa_user_sgpr_flat_scratch_init 0
		.amdhsa_user_sgpr_private_segment_size 0
		.amdhsa_uses_dynamic_stack 0
		.amdhsa_system_sgpr_private_segment_wavefront_offset 0
		.amdhsa_system_sgpr_workgroup_id_x 1
		.amdhsa_system_sgpr_workgroup_id_y 0
		.amdhsa_system_sgpr_workgroup_id_z 0
		.amdhsa_system_sgpr_workgroup_info 0
		.amdhsa_system_vgpr_workitem_id 0
		.amdhsa_next_free_vgpr 6
		.amdhsa_next_free_sgpr 10
		.amdhsa_reserve_vcc 1
		.amdhsa_reserve_flat_scratch 0
		.amdhsa_float_round_mode_32 0
		.amdhsa_float_round_mode_16_64 0
		.amdhsa_float_denorm_mode_32 3
		.amdhsa_float_denorm_mode_16_64 3
		.amdhsa_dx10_clamp 1
		.amdhsa_ieee_mode 1
		.amdhsa_fp16_overflow 0
		.amdhsa_exception_fp_ieee_invalid_op 0
		.amdhsa_exception_fp_denorm_src 0
		.amdhsa_exception_fp_ieee_div_zero 0
		.amdhsa_exception_fp_ieee_overflow 0
		.amdhsa_exception_fp_ieee_underflow 0
		.amdhsa_exception_fp_ieee_inexact 0
		.amdhsa_exception_int_div_zero 0
	.end_amdhsa_kernel
	.section	.text._ZN6thrust23THRUST_200600_302600_NS11hip_rocprim14__parallel_for6kernelILj256ENS1_11__transform17unary_transform_fINS0_7pointerINS0_5tupleIiiNS0_9null_typeES8_S8_S8_S8_S8_S8_S8_EENS1_5par_tENS0_11use_defaultESB_EENS0_6detail15normal_iteratorISC_EENS4_14no_stencil_tagENS0_8identityIS9_EENS4_21always_true_predicateEEElLj1EEEvT0_T1_SM_,"axG",@progbits,_ZN6thrust23THRUST_200600_302600_NS11hip_rocprim14__parallel_for6kernelILj256ENS1_11__transform17unary_transform_fINS0_7pointerINS0_5tupleIiiNS0_9null_typeES8_S8_S8_S8_S8_S8_S8_EENS1_5par_tENS0_11use_defaultESB_EENS0_6detail15normal_iteratorISC_EENS4_14no_stencil_tagENS0_8identityIS9_EENS4_21always_true_predicateEEElLj1EEEvT0_T1_SM_,comdat
.Lfunc_end429:
	.size	_ZN6thrust23THRUST_200600_302600_NS11hip_rocprim14__parallel_for6kernelILj256ENS1_11__transform17unary_transform_fINS0_7pointerINS0_5tupleIiiNS0_9null_typeES8_S8_S8_S8_S8_S8_S8_EENS1_5par_tENS0_11use_defaultESB_EENS0_6detail15normal_iteratorISC_EENS4_14no_stencil_tagENS0_8identityIS9_EENS4_21always_true_predicateEEElLj1EEEvT0_T1_SM_, .Lfunc_end429-_ZN6thrust23THRUST_200600_302600_NS11hip_rocprim14__parallel_for6kernelILj256ENS1_11__transform17unary_transform_fINS0_7pointerINS0_5tupleIiiNS0_9null_typeES8_S8_S8_S8_S8_S8_S8_EENS1_5par_tENS0_11use_defaultESB_EENS0_6detail15normal_iteratorISC_EENS4_14no_stencil_tagENS0_8identityIS9_EENS4_21always_true_predicateEEElLj1EEEvT0_T1_SM_
                                        ; -- End function
	.set _ZN6thrust23THRUST_200600_302600_NS11hip_rocprim14__parallel_for6kernelILj256ENS1_11__transform17unary_transform_fINS0_7pointerINS0_5tupleIiiNS0_9null_typeES8_S8_S8_S8_S8_S8_S8_EENS1_5par_tENS0_11use_defaultESB_EENS0_6detail15normal_iteratorISC_EENS4_14no_stencil_tagENS0_8identityIS9_EENS4_21always_true_predicateEEElLj1EEEvT0_T1_SM_.num_vgpr, 6
	.set _ZN6thrust23THRUST_200600_302600_NS11hip_rocprim14__parallel_for6kernelILj256ENS1_11__transform17unary_transform_fINS0_7pointerINS0_5tupleIiiNS0_9null_typeES8_S8_S8_S8_S8_S8_S8_EENS1_5par_tENS0_11use_defaultESB_EENS0_6detail15normal_iteratorISC_EENS4_14no_stencil_tagENS0_8identityIS9_EENS4_21always_true_predicateEEElLj1EEEvT0_T1_SM_.num_agpr, 0
	.set _ZN6thrust23THRUST_200600_302600_NS11hip_rocprim14__parallel_for6kernelILj256ENS1_11__transform17unary_transform_fINS0_7pointerINS0_5tupleIiiNS0_9null_typeES8_S8_S8_S8_S8_S8_S8_EENS1_5par_tENS0_11use_defaultESB_EENS0_6detail15normal_iteratorISC_EENS4_14no_stencil_tagENS0_8identityIS9_EENS4_21always_true_predicateEEElLj1EEEvT0_T1_SM_.numbered_sgpr, 10
	.set _ZN6thrust23THRUST_200600_302600_NS11hip_rocprim14__parallel_for6kernelILj256ENS1_11__transform17unary_transform_fINS0_7pointerINS0_5tupleIiiNS0_9null_typeES8_S8_S8_S8_S8_S8_S8_EENS1_5par_tENS0_11use_defaultESB_EENS0_6detail15normal_iteratorISC_EENS4_14no_stencil_tagENS0_8identityIS9_EENS4_21always_true_predicateEEElLj1EEEvT0_T1_SM_.num_named_barrier, 0
	.set _ZN6thrust23THRUST_200600_302600_NS11hip_rocprim14__parallel_for6kernelILj256ENS1_11__transform17unary_transform_fINS0_7pointerINS0_5tupleIiiNS0_9null_typeES8_S8_S8_S8_S8_S8_S8_EENS1_5par_tENS0_11use_defaultESB_EENS0_6detail15normal_iteratorISC_EENS4_14no_stencil_tagENS0_8identityIS9_EENS4_21always_true_predicateEEElLj1EEEvT0_T1_SM_.private_seg_size, 0
	.set _ZN6thrust23THRUST_200600_302600_NS11hip_rocprim14__parallel_for6kernelILj256ENS1_11__transform17unary_transform_fINS0_7pointerINS0_5tupleIiiNS0_9null_typeES8_S8_S8_S8_S8_S8_S8_EENS1_5par_tENS0_11use_defaultESB_EENS0_6detail15normal_iteratorISC_EENS4_14no_stencil_tagENS0_8identityIS9_EENS4_21always_true_predicateEEElLj1EEEvT0_T1_SM_.uses_vcc, 1
	.set _ZN6thrust23THRUST_200600_302600_NS11hip_rocprim14__parallel_for6kernelILj256ENS1_11__transform17unary_transform_fINS0_7pointerINS0_5tupleIiiNS0_9null_typeES8_S8_S8_S8_S8_S8_S8_EENS1_5par_tENS0_11use_defaultESB_EENS0_6detail15normal_iteratorISC_EENS4_14no_stencil_tagENS0_8identityIS9_EENS4_21always_true_predicateEEElLj1EEEvT0_T1_SM_.uses_flat_scratch, 0
	.set _ZN6thrust23THRUST_200600_302600_NS11hip_rocprim14__parallel_for6kernelILj256ENS1_11__transform17unary_transform_fINS0_7pointerINS0_5tupleIiiNS0_9null_typeES8_S8_S8_S8_S8_S8_S8_EENS1_5par_tENS0_11use_defaultESB_EENS0_6detail15normal_iteratorISC_EENS4_14no_stencil_tagENS0_8identityIS9_EENS4_21always_true_predicateEEElLj1EEEvT0_T1_SM_.has_dyn_sized_stack, 0
	.set _ZN6thrust23THRUST_200600_302600_NS11hip_rocprim14__parallel_for6kernelILj256ENS1_11__transform17unary_transform_fINS0_7pointerINS0_5tupleIiiNS0_9null_typeES8_S8_S8_S8_S8_S8_S8_EENS1_5par_tENS0_11use_defaultESB_EENS0_6detail15normal_iteratorISC_EENS4_14no_stencil_tagENS0_8identityIS9_EENS4_21always_true_predicateEEElLj1EEEvT0_T1_SM_.has_recursion, 0
	.set _ZN6thrust23THRUST_200600_302600_NS11hip_rocprim14__parallel_for6kernelILj256ENS1_11__transform17unary_transform_fINS0_7pointerINS0_5tupleIiiNS0_9null_typeES8_S8_S8_S8_S8_S8_S8_EENS1_5par_tENS0_11use_defaultESB_EENS0_6detail15normal_iteratorISC_EENS4_14no_stencil_tagENS0_8identityIS9_EENS4_21always_true_predicateEEElLj1EEEvT0_T1_SM_.has_indirect_call, 0
	.section	.AMDGPU.csdata,"",@progbits
; Kernel info:
; codeLenInByte = 252
; TotalNumSgprs: 14
; NumVgprs: 6
; ScratchSize: 0
; MemoryBound: 0
; FloatMode: 240
; IeeeMode: 1
; LDSByteSize: 0 bytes/workgroup (compile time only)
; SGPRBlocks: 1
; VGPRBlocks: 1
; NumSGPRsForWavesPerEU: 14
; NumVGPRsForWavesPerEU: 6
; Occupancy: 10
; WaveLimiterHint : 0
; COMPUTE_PGM_RSRC2:SCRATCH_EN: 0
; COMPUTE_PGM_RSRC2:USER_SGPR: 6
; COMPUTE_PGM_RSRC2:TRAP_HANDLER: 0
; COMPUTE_PGM_RSRC2:TGID_X_EN: 1
; COMPUTE_PGM_RSRC2:TGID_Y_EN: 0
; COMPUTE_PGM_RSRC2:TGID_Z_EN: 0
; COMPUTE_PGM_RSRC2:TIDIG_COMP_CNT: 0
	.section	.text._ZN6thrust23THRUST_200600_302600_NS11hip_rocprim14__parallel_for6kernelILj256ENS1_11__transform17unary_transform_fINS0_7pointerINS0_5tupleIiiNS0_9null_typeES8_S8_S8_S8_S8_S8_S8_EENS1_5par_tENS0_11use_defaultESB_EESC_NS4_14no_stencil_tagENS0_8identityIS9_EENS4_21always_true_predicateEEElLj1EEEvT0_T1_SJ_,"axG",@progbits,_ZN6thrust23THRUST_200600_302600_NS11hip_rocprim14__parallel_for6kernelILj256ENS1_11__transform17unary_transform_fINS0_7pointerINS0_5tupleIiiNS0_9null_typeES8_S8_S8_S8_S8_S8_S8_EENS1_5par_tENS0_11use_defaultESB_EESC_NS4_14no_stencil_tagENS0_8identityIS9_EENS4_21always_true_predicateEEElLj1EEEvT0_T1_SJ_,comdat
	.protected	_ZN6thrust23THRUST_200600_302600_NS11hip_rocprim14__parallel_for6kernelILj256ENS1_11__transform17unary_transform_fINS0_7pointerINS0_5tupleIiiNS0_9null_typeES8_S8_S8_S8_S8_S8_S8_EENS1_5par_tENS0_11use_defaultESB_EESC_NS4_14no_stencil_tagENS0_8identityIS9_EENS4_21always_true_predicateEEElLj1EEEvT0_T1_SJ_ ; -- Begin function _ZN6thrust23THRUST_200600_302600_NS11hip_rocprim14__parallel_for6kernelILj256ENS1_11__transform17unary_transform_fINS0_7pointerINS0_5tupleIiiNS0_9null_typeES8_S8_S8_S8_S8_S8_S8_EENS1_5par_tENS0_11use_defaultESB_EESC_NS4_14no_stencil_tagENS0_8identityIS9_EENS4_21always_true_predicateEEElLj1EEEvT0_T1_SJ_
	.globl	_ZN6thrust23THRUST_200600_302600_NS11hip_rocprim14__parallel_for6kernelILj256ENS1_11__transform17unary_transform_fINS0_7pointerINS0_5tupleIiiNS0_9null_typeES8_S8_S8_S8_S8_S8_S8_EENS1_5par_tENS0_11use_defaultESB_EESC_NS4_14no_stencil_tagENS0_8identityIS9_EENS4_21always_true_predicateEEElLj1EEEvT0_T1_SJ_
	.p2align	8
	.type	_ZN6thrust23THRUST_200600_302600_NS11hip_rocprim14__parallel_for6kernelILj256ENS1_11__transform17unary_transform_fINS0_7pointerINS0_5tupleIiiNS0_9null_typeES8_S8_S8_S8_S8_S8_S8_EENS1_5par_tENS0_11use_defaultESB_EESC_NS4_14no_stencil_tagENS0_8identityIS9_EENS4_21always_true_predicateEEElLj1EEEvT0_T1_SJ_,@function
_ZN6thrust23THRUST_200600_302600_NS11hip_rocprim14__parallel_for6kernelILj256ENS1_11__transform17unary_transform_fINS0_7pointerINS0_5tupleIiiNS0_9null_typeES8_S8_S8_S8_S8_S8_S8_EENS1_5par_tENS0_11use_defaultESB_EESC_NS4_14no_stencil_tagENS0_8identityIS9_EENS4_21always_true_predicateEEElLj1EEEvT0_T1_SJ_: ; @_ZN6thrust23THRUST_200600_302600_NS11hip_rocprim14__parallel_for6kernelILj256ENS1_11__transform17unary_transform_fINS0_7pointerINS0_5tupleIiiNS0_9null_typeES8_S8_S8_S8_S8_S8_S8_EENS1_5par_tENS0_11use_defaultESB_EESC_NS4_14no_stencil_tagENS0_8identityIS9_EENS4_21always_true_predicateEEElLj1EEEvT0_T1_SJ_
; %bb.0:
	s_load_dwordx4 s[0:3], s[4:5], 0x18
	s_lshl_b32 s6, s6, 8
	v_mov_b32_e32 v1, 0x100
	v_mov_b32_e32 v2, 0
	s_waitcnt lgkmcnt(0)
	s_add_u32 s6, s2, s6
	s_addc_u32 s7, s3, 0
	s_sub_u32 s8, s0, s6
	s_subb_u32 s9, s1, s7
	v_cmp_lt_i64_e32 vcc, s[8:9], v[1:2]
	s_load_dwordx4 s[0:3], s[4:5], 0x0
	s_and_b64 s[4:5], vcc, exec
	s_cselect_b32 s8, s8, 0x100
	s_cmpk_eq_i32 s8, 0x100
	s_mov_b64 s[4:5], -1
	s_cbranch_scc0 .LBB430_3
; %bb.1:
	s_andn2_b64 vcc, exec, s[4:5]
	s_cbranch_vccz .LBB430_6
.LBB430_2:
	s_endpgm
.LBB430_3:
	v_cmp_gt_u32_e32 vcc, s8, v0
	s_and_saveexec_b64 s[4:5], vcc
	s_cbranch_execz .LBB430_5
; %bb.4:
	v_mov_b32_e32 v2, s7
	v_add_co_u32_e32 v1, vcc, s6, v0
	v_addc_co_u32_e32 v2, vcc, 0, v2, vcc
	v_lshlrev_b64 v[1:2], 3, v[1:2]
	s_waitcnt lgkmcnt(0)
	v_mov_b32_e32 v4, s1
	v_add_co_u32_e32 v3, vcc, s0, v1
	v_addc_co_u32_e32 v4, vcc, v4, v2, vcc
	flat_load_dwordx2 v[3:4], v[3:4]
	v_mov_b32_e32 v5, s3
	v_add_co_u32_e32 v1, vcc, s2, v1
	v_addc_co_u32_e32 v2, vcc, v5, v2, vcc
	s_waitcnt vmcnt(0) lgkmcnt(0)
	flat_store_dwordx2 v[1:2], v[3:4]
.LBB430_5:
	s_or_b64 exec, exec, s[4:5]
	s_cbranch_execnz .LBB430_2
.LBB430_6:
	v_mov_b32_e32 v1, s7
	v_add_co_u32_e32 v0, vcc, s6, v0
	v_addc_co_u32_e32 v1, vcc, 0, v1, vcc
	v_lshlrev_b64 v[0:1], 3, v[0:1]
	s_waitcnt lgkmcnt(0)
	v_mov_b32_e32 v3, s1
	v_add_co_u32_e32 v2, vcc, s0, v0
	v_addc_co_u32_e32 v3, vcc, v3, v1, vcc
	flat_load_dwordx2 v[2:3], v[2:3]
	v_mov_b32_e32 v4, s3
	v_add_co_u32_e32 v0, vcc, s2, v0
	v_addc_co_u32_e32 v1, vcc, v4, v1, vcc
	s_waitcnt vmcnt(0) lgkmcnt(0)
	flat_store_dwordx2 v[0:1], v[2:3]
	s_endpgm
	.section	.rodata,"a",@progbits
	.p2align	6, 0x0
	.amdhsa_kernel _ZN6thrust23THRUST_200600_302600_NS11hip_rocprim14__parallel_for6kernelILj256ENS1_11__transform17unary_transform_fINS0_7pointerINS0_5tupleIiiNS0_9null_typeES8_S8_S8_S8_S8_S8_S8_EENS1_5par_tENS0_11use_defaultESB_EESC_NS4_14no_stencil_tagENS0_8identityIS9_EENS4_21always_true_predicateEEElLj1EEEvT0_T1_SJ_
		.amdhsa_group_segment_fixed_size 0
		.amdhsa_private_segment_fixed_size 0
		.amdhsa_kernarg_size 40
		.amdhsa_user_sgpr_count 6
		.amdhsa_user_sgpr_private_segment_buffer 1
		.amdhsa_user_sgpr_dispatch_ptr 0
		.amdhsa_user_sgpr_queue_ptr 0
		.amdhsa_user_sgpr_kernarg_segment_ptr 1
		.amdhsa_user_sgpr_dispatch_id 0
		.amdhsa_user_sgpr_flat_scratch_init 0
		.amdhsa_user_sgpr_private_segment_size 0
		.amdhsa_uses_dynamic_stack 0
		.amdhsa_system_sgpr_private_segment_wavefront_offset 0
		.amdhsa_system_sgpr_workgroup_id_x 1
		.amdhsa_system_sgpr_workgroup_id_y 0
		.amdhsa_system_sgpr_workgroup_id_z 0
		.amdhsa_system_sgpr_workgroup_info 0
		.amdhsa_system_vgpr_workitem_id 0
		.amdhsa_next_free_vgpr 6
		.amdhsa_next_free_sgpr 10
		.amdhsa_reserve_vcc 1
		.amdhsa_reserve_flat_scratch 0
		.amdhsa_float_round_mode_32 0
		.amdhsa_float_round_mode_16_64 0
		.amdhsa_float_denorm_mode_32 3
		.amdhsa_float_denorm_mode_16_64 3
		.amdhsa_dx10_clamp 1
		.amdhsa_ieee_mode 1
		.amdhsa_fp16_overflow 0
		.amdhsa_exception_fp_ieee_invalid_op 0
		.amdhsa_exception_fp_denorm_src 0
		.amdhsa_exception_fp_ieee_div_zero 0
		.amdhsa_exception_fp_ieee_overflow 0
		.amdhsa_exception_fp_ieee_underflow 0
		.amdhsa_exception_fp_ieee_inexact 0
		.amdhsa_exception_int_div_zero 0
	.end_amdhsa_kernel
	.section	.text._ZN6thrust23THRUST_200600_302600_NS11hip_rocprim14__parallel_for6kernelILj256ENS1_11__transform17unary_transform_fINS0_7pointerINS0_5tupleIiiNS0_9null_typeES8_S8_S8_S8_S8_S8_S8_EENS1_5par_tENS0_11use_defaultESB_EESC_NS4_14no_stencil_tagENS0_8identityIS9_EENS4_21always_true_predicateEEElLj1EEEvT0_T1_SJ_,"axG",@progbits,_ZN6thrust23THRUST_200600_302600_NS11hip_rocprim14__parallel_for6kernelILj256ENS1_11__transform17unary_transform_fINS0_7pointerINS0_5tupleIiiNS0_9null_typeES8_S8_S8_S8_S8_S8_S8_EENS1_5par_tENS0_11use_defaultESB_EESC_NS4_14no_stencil_tagENS0_8identityIS9_EENS4_21always_true_predicateEEElLj1EEEvT0_T1_SJ_,comdat
.Lfunc_end430:
	.size	_ZN6thrust23THRUST_200600_302600_NS11hip_rocprim14__parallel_for6kernelILj256ENS1_11__transform17unary_transform_fINS0_7pointerINS0_5tupleIiiNS0_9null_typeES8_S8_S8_S8_S8_S8_S8_EENS1_5par_tENS0_11use_defaultESB_EESC_NS4_14no_stencil_tagENS0_8identityIS9_EENS4_21always_true_predicateEEElLj1EEEvT0_T1_SJ_, .Lfunc_end430-_ZN6thrust23THRUST_200600_302600_NS11hip_rocprim14__parallel_for6kernelILj256ENS1_11__transform17unary_transform_fINS0_7pointerINS0_5tupleIiiNS0_9null_typeES8_S8_S8_S8_S8_S8_S8_EENS1_5par_tENS0_11use_defaultESB_EESC_NS4_14no_stencil_tagENS0_8identityIS9_EENS4_21always_true_predicateEEElLj1EEEvT0_T1_SJ_
                                        ; -- End function
	.set _ZN6thrust23THRUST_200600_302600_NS11hip_rocprim14__parallel_for6kernelILj256ENS1_11__transform17unary_transform_fINS0_7pointerINS0_5tupleIiiNS0_9null_typeES8_S8_S8_S8_S8_S8_S8_EENS1_5par_tENS0_11use_defaultESB_EESC_NS4_14no_stencil_tagENS0_8identityIS9_EENS4_21always_true_predicateEEElLj1EEEvT0_T1_SJ_.num_vgpr, 6
	.set _ZN6thrust23THRUST_200600_302600_NS11hip_rocprim14__parallel_for6kernelILj256ENS1_11__transform17unary_transform_fINS0_7pointerINS0_5tupleIiiNS0_9null_typeES8_S8_S8_S8_S8_S8_S8_EENS1_5par_tENS0_11use_defaultESB_EESC_NS4_14no_stencil_tagENS0_8identityIS9_EENS4_21always_true_predicateEEElLj1EEEvT0_T1_SJ_.num_agpr, 0
	.set _ZN6thrust23THRUST_200600_302600_NS11hip_rocprim14__parallel_for6kernelILj256ENS1_11__transform17unary_transform_fINS0_7pointerINS0_5tupleIiiNS0_9null_typeES8_S8_S8_S8_S8_S8_S8_EENS1_5par_tENS0_11use_defaultESB_EESC_NS4_14no_stencil_tagENS0_8identityIS9_EENS4_21always_true_predicateEEElLj1EEEvT0_T1_SJ_.numbered_sgpr, 10
	.set _ZN6thrust23THRUST_200600_302600_NS11hip_rocprim14__parallel_for6kernelILj256ENS1_11__transform17unary_transform_fINS0_7pointerINS0_5tupleIiiNS0_9null_typeES8_S8_S8_S8_S8_S8_S8_EENS1_5par_tENS0_11use_defaultESB_EESC_NS4_14no_stencil_tagENS0_8identityIS9_EENS4_21always_true_predicateEEElLj1EEEvT0_T1_SJ_.num_named_barrier, 0
	.set _ZN6thrust23THRUST_200600_302600_NS11hip_rocprim14__parallel_for6kernelILj256ENS1_11__transform17unary_transform_fINS0_7pointerINS0_5tupleIiiNS0_9null_typeES8_S8_S8_S8_S8_S8_S8_EENS1_5par_tENS0_11use_defaultESB_EESC_NS4_14no_stencil_tagENS0_8identityIS9_EENS4_21always_true_predicateEEElLj1EEEvT0_T1_SJ_.private_seg_size, 0
	.set _ZN6thrust23THRUST_200600_302600_NS11hip_rocprim14__parallel_for6kernelILj256ENS1_11__transform17unary_transform_fINS0_7pointerINS0_5tupleIiiNS0_9null_typeES8_S8_S8_S8_S8_S8_S8_EENS1_5par_tENS0_11use_defaultESB_EESC_NS4_14no_stencil_tagENS0_8identityIS9_EENS4_21always_true_predicateEEElLj1EEEvT0_T1_SJ_.uses_vcc, 1
	.set _ZN6thrust23THRUST_200600_302600_NS11hip_rocprim14__parallel_for6kernelILj256ENS1_11__transform17unary_transform_fINS0_7pointerINS0_5tupleIiiNS0_9null_typeES8_S8_S8_S8_S8_S8_S8_EENS1_5par_tENS0_11use_defaultESB_EESC_NS4_14no_stencil_tagENS0_8identityIS9_EENS4_21always_true_predicateEEElLj1EEEvT0_T1_SJ_.uses_flat_scratch, 0
	.set _ZN6thrust23THRUST_200600_302600_NS11hip_rocprim14__parallel_for6kernelILj256ENS1_11__transform17unary_transform_fINS0_7pointerINS0_5tupleIiiNS0_9null_typeES8_S8_S8_S8_S8_S8_S8_EENS1_5par_tENS0_11use_defaultESB_EESC_NS4_14no_stencil_tagENS0_8identityIS9_EENS4_21always_true_predicateEEElLj1EEEvT0_T1_SJ_.has_dyn_sized_stack, 0
	.set _ZN6thrust23THRUST_200600_302600_NS11hip_rocprim14__parallel_for6kernelILj256ENS1_11__transform17unary_transform_fINS0_7pointerINS0_5tupleIiiNS0_9null_typeES8_S8_S8_S8_S8_S8_S8_EENS1_5par_tENS0_11use_defaultESB_EESC_NS4_14no_stencil_tagENS0_8identityIS9_EENS4_21always_true_predicateEEElLj1EEEvT0_T1_SJ_.has_recursion, 0
	.set _ZN6thrust23THRUST_200600_302600_NS11hip_rocprim14__parallel_for6kernelILj256ENS1_11__transform17unary_transform_fINS0_7pointerINS0_5tupleIiiNS0_9null_typeES8_S8_S8_S8_S8_S8_S8_EENS1_5par_tENS0_11use_defaultESB_EESC_NS4_14no_stencil_tagENS0_8identityIS9_EENS4_21always_true_predicateEEElLj1EEEvT0_T1_SJ_.has_indirect_call, 0
	.section	.AMDGPU.csdata,"",@progbits
; Kernel info:
; codeLenInByte = 252
; TotalNumSgprs: 14
; NumVgprs: 6
; ScratchSize: 0
; MemoryBound: 0
; FloatMode: 240
; IeeeMode: 1
; LDSByteSize: 0 bytes/workgroup (compile time only)
; SGPRBlocks: 1
; VGPRBlocks: 1
; NumSGPRsForWavesPerEU: 14
; NumVGPRsForWavesPerEU: 6
; Occupancy: 10
; WaveLimiterHint : 0
; COMPUTE_PGM_RSRC2:SCRATCH_EN: 0
; COMPUTE_PGM_RSRC2:USER_SGPR: 6
; COMPUTE_PGM_RSRC2:TRAP_HANDLER: 0
; COMPUTE_PGM_RSRC2:TGID_X_EN: 1
; COMPUTE_PGM_RSRC2:TGID_Y_EN: 0
; COMPUTE_PGM_RSRC2:TGID_Z_EN: 0
; COMPUTE_PGM_RSRC2:TIDIG_COMP_CNT: 0
	.section	.text._ZN7rocprim17ROCPRIM_400000_NS6detail17trampoline_kernelINS0_14default_configENS1_27lower_bound_config_selectorIN6thrust23THRUST_200600_302600_NS5tupleIiiNS6_9null_typeES8_S8_S8_S8_S8_S8_S8_EElEEZNS1_14transform_implILb0ES3_SA_NS6_6detail15normal_iteratorINS6_7pointerIS9_NS6_11hip_rocprim5par_tENS6_11use_defaultESH_EEEENSD_INSE_IlSG_SH_SH_EEEEZNS1_13binary_searchIS3_SA_NSD_INS6_10device_ptrIS9_EEEESJ_SL_NS1_21lower_bound_search_opENSC_16wrapped_functionINS6_6system6detail7generic6detail18binary_search_lessEbEEEE10hipError_tPvRmT1_T2_T3_mmT4_T5_P12ihipStream_tbEUlRKS9_E_EESY_S12_S13_mS14_S17_bEUlT_E_NS1_11comp_targetILNS1_3genE0ELNS1_11target_archE4294967295ELNS1_3gpuE0ELNS1_3repE0EEENS1_30default_config_static_selectorELNS0_4arch9wavefront6targetE1EEEvS11_,"axG",@progbits,_ZN7rocprim17ROCPRIM_400000_NS6detail17trampoline_kernelINS0_14default_configENS1_27lower_bound_config_selectorIN6thrust23THRUST_200600_302600_NS5tupleIiiNS6_9null_typeES8_S8_S8_S8_S8_S8_S8_EElEEZNS1_14transform_implILb0ES3_SA_NS6_6detail15normal_iteratorINS6_7pointerIS9_NS6_11hip_rocprim5par_tENS6_11use_defaultESH_EEEENSD_INSE_IlSG_SH_SH_EEEEZNS1_13binary_searchIS3_SA_NSD_INS6_10device_ptrIS9_EEEESJ_SL_NS1_21lower_bound_search_opENSC_16wrapped_functionINS6_6system6detail7generic6detail18binary_search_lessEbEEEE10hipError_tPvRmT1_T2_T3_mmT4_T5_P12ihipStream_tbEUlRKS9_E_EESY_S12_S13_mS14_S17_bEUlT_E_NS1_11comp_targetILNS1_3genE0ELNS1_11target_archE4294967295ELNS1_3gpuE0ELNS1_3repE0EEENS1_30default_config_static_selectorELNS0_4arch9wavefront6targetE1EEEvS11_,comdat
	.protected	_ZN7rocprim17ROCPRIM_400000_NS6detail17trampoline_kernelINS0_14default_configENS1_27lower_bound_config_selectorIN6thrust23THRUST_200600_302600_NS5tupleIiiNS6_9null_typeES8_S8_S8_S8_S8_S8_S8_EElEEZNS1_14transform_implILb0ES3_SA_NS6_6detail15normal_iteratorINS6_7pointerIS9_NS6_11hip_rocprim5par_tENS6_11use_defaultESH_EEEENSD_INSE_IlSG_SH_SH_EEEEZNS1_13binary_searchIS3_SA_NSD_INS6_10device_ptrIS9_EEEESJ_SL_NS1_21lower_bound_search_opENSC_16wrapped_functionINS6_6system6detail7generic6detail18binary_search_lessEbEEEE10hipError_tPvRmT1_T2_T3_mmT4_T5_P12ihipStream_tbEUlRKS9_E_EESY_S12_S13_mS14_S17_bEUlT_E_NS1_11comp_targetILNS1_3genE0ELNS1_11target_archE4294967295ELNS1_3gpuE0ELNS1_3repE0EEENS1_30default_config_static_selectorELNS0_4arch9wavefront6targetE1EEEvS11_ ; -- Begin function _ZN7rocprim17ROCPRIM_400000_NS6detail17trampoline_kernelINS0_14default_configENS1_27lower_bound_config_selectorIN6thrust23THRUST_200600_302600_NS5tupleIiiNS6_9null_typeES8_S8_S8_S8_S8_S8_S8_EElEEZNS1_14transform_implILb0ES3_SA_NS6_6detail15normal_iteratorINS6_7pointerIS9_NS6_11hip_rocprim5par_tENS6_11use_defaultESH_EEEENSD_INSE_IlSG_SH_SH_EEEEZNS1_13binary_searchIS3_SA_NSD_INS6_10device_ptrIS9_EEEESJ_SL_NS1_21lower_bound_search_opENSC_16wrapped_functionINS6_6system6detail7generic6detail18binary_search_lessEbEEEE10hipError_tPvRmT1_T2_T3_mmT4_T5_P12ihipStream_tbEUlRKS9_E_EESY_S12_S13_mS14_S17_bEUlT_E_NS1_11comp_targetILNS1_3genE0ELNS1_11target_archE4294967295ELNS1_3gpuE0ELNS1_3repE0EEENS1_30default_config_static_selectorELNS0_4arch9wavefront6targetE1EEEvS11_
	.globl	_ZN7rocprim17ROCPRIM_400000_NS6detail17trampoline_kernelINS0_14default_configENS1_27lower_bound_config_selectorIN6thrust23THRUST_200600_302600_NS5tupleIiiNS6_9null_typeES8_S8_S8_S8_S8_S8_S8_EElEEZNS1_14transform_implILb0ES3_SA_NS6_6detail15normal_iteratorINS6_7pointerIS9_NS6_11hip_rocprim5par_tENS6_11use_defaultESH_EEEENSD_INSE_IlSG_SH_SH_EEEEZNS1_13binary_searchIS3_SA_NSD_INS6_10device_ptrIS9_EEEESJ_SL_NS1_21lower_bound_search_opENSC_16wrapped_functionINS6_6system6detail7generic6detail18binary_search_lessEbEEEE10hipError_tPvRmT1_T2_T3_mmT4_T5_P12ihipStream_tbEUlRKS9_E_EESY_S12_S13_mS14_S17_bEUlT_E_NS1_11comp_targetILNS1_3genE0ELNS1_11target_archE4294967295ELNS1_3gpuE0ELNS1_3repE0EEENS1_30default_config_static_selectorELNS0_4arch9wavefront6targetE1EEEvS11_
	.p2align	8
	.type	_ZN7rocprim17ROCPRIM_400000_NS6detail17trampoline_kernelINS0_14default_configENS1_27lower_bound_config_selectorIN6thrust23THRUST_200600_302600_NS5tupleIiiNS6_9null_typeES8_S8_S8_S8_S8_S8_S8_EElEEZNS1_14transform_implILb0ES3_SA_NS6_6detail15normal_iteratorINS6_7pointerIS9_NS6_11hip_rocprim5par_tENS6_11use_defaultESH_EEEENSD_INSE_IlSG_SH_SH_EEEEZNS1_13binary_searchIS3_SA_NSD_INS6_10device_ptrIS9_EEEESJ_SL_NS1_21lower_bound_search_opENSC_16wrapped_functionINS6_6system6detail7generic6detail18binary_search_lessEbEEEE10hipError_tPvRmT1_T2_T3_mmT4_T5_P12ihipStream_tbEUlRKS9_E_EESY_S12_S13_mS14_S17_bEUlT_E_NS1_11comp_targetILNS1_3genE0ELNS1_11target_archE4294967295ELNS1_3gpuE0ELNS1_3repE0EEENS1_30default_config_static_selectorELNS0_4arch9wavefront6targetE1EEEvS11_,@function
_ZN7rocprim17ROCPRIM_400000_NS6detail17trampoline_kernelINS0_14default_configENS1_27lower_bound_config_selectorIN6thrust23THRUST_200600_302600_NS5tupleIiiNS6_9null_typeES8_S8_S8_S8_S8_S8_S8_EElEEZNS1_14transform_implILb0ES3_SA_NS6_6detail15normal_iteratorINS6_7pointerIS9_NS6_11hip_rocprim5par_tENS6_11use_defaultESH_EEEENSD_INSE_IlSG_SH_SH_EEEEZNS1_13binary_searchIS3_SA_NSD_INS6_10device_ptrIS9_EEEESJ_SL_NS1_21lower_bound_search_opENSC_16wrapped_functionINS6_6system6detail7generic6detail18binary_search_lessEbEEEE10hipError_tPvRmT1_T2_T3_mmT4_T5_P12ihipStream_tbEUlRKS9_E_EESY_S12_S13_mS14_S17_bEUlT_E_NS1_11comp_targetILNS1_3genE0ELNS1_11target_archE4294967295ELNS1_3gpuE0ELNS1_3repE0EEENS1_30default_config_static_selectorELNS0_4arch9wavefront6targetE1EEEvS11_: ; @_ZN7rocprim17ROCPRIM_400000_NS6detail17trampoline_kernelINS0_14default_configENS1_27lower_bound_config_selectorIN6thrust23THRUST_200600_302600_NS5tupleIiiNS6_9null_typeES8_S8_S8_S8_S8_S8_S8_EElEEZNS1_14transform_implILb0ES3_SA_NS6_6detail15normal_iteratorINS6_7pointerIS9_NS6_11hip_rocprim5par_tENS6_11use_defaultESH_EEEENSD_INSE_IlSG_SH_SH_EEEEZNS1_13binary_searchIS3_SA_NSD_INS6_10device_ptrIS9_EEEESJ_SL_NS1_21lower_bound_search_opENSC_16wrapped_functionINS6_6system6detail7generic6detail18binary_search_lessEbEEEE10hipError_tPvRmT1_T2_T3_mmT4_T5_P12ihipStream_tbEUlRKS9_E_EESY_S12_S13_mS14_S17_bEUlT_E_NS1_11comp_targetILNS1_3genE0ELNS1_11target_archE4294967295ELNS1_3gpuE0ELNS1_3repE0EEENS1_30default_config_static_selectorELNS0_4arch9wavefront6targetE1EEEvS11_
; %bb.0:
	.section	.rodata,"a",@progbits
	.p2align	6, 0x0
	.amdhsa_kernel _ZN7rocprim17ROCPRIM_400000_NS6detail17trampoline_kernelINS0_14default_configENS1_27lower_bound_config_selectorIN6thrust23THRUST_200600_302600_NS5tupleIiiNS6_9null_typeES8_S8_S8_S8_S8_S8_S8_EElEEZNS1_14transform_implILb0ES3_SA_NS6_6detail15normal_iteratorINS6_7pointerIS9_NS6_11hip_rocprim5par_tENS6_11use_defaultESH_EEEENSD_INSE_IlSG_SH_SH_EEEEZNS1_13binary_searchIS3_SA_NSD_INS6_10device_ptrIS9_EEEESJ_SL_NS1_21lower_bound_search_opENSC_16wrapped_functionINS6_6system6detail7generic6detail18binary_search_lessEbEEEE10hipError_tPvRmT1_T2_T3_mmT4_T5_P12ihipStream_tbEUlRKS9_E_EESY_S12_S13_mS14_S17_bEUlT_E_NS1_11comp_targetILNS1_3genE0ELNS1_11target_archE4294967295ELNS1_3gpuE0ELNS1_3repE0EEENS1_30default_config_static_selectorELNS0_4arch9wavefront6targetE1EEEvS11_
		.amdhsa_group_segment_fixed_size 0
		.amdhsa_private_segment_fixed_size 0
		.amdhsa_kernarg_size 56
		.amdhsa_user_sgpr_count 6
		.amdhsa_user_sgpr_private_segment_buffer 1
		.amdhsa_user_sgpr_dispatch_ptr 0
		.amdhsa_user_sgpr_queue_ptr 0
		.amdhsa_user_sgpr_kernarg_segment_ptr 1
		.amdhsa_user_sgpr_dispatch_id 0
		.amdhsa_user_sgpr_flat_scratch_init 0
		.amdhsa_user_sgpr_private_segment_size 0
		.amdhsa_uses_dynamic_stack 0
		.amdhsa_system_sgpr_private_segment_wavefront_offset 0
		.amdhsa_system_sgpr_workgroup_id_x 1
		.amdhsa_system_sgpr_workgroup_id_y 0
		.amdhsa_system_sgpr_workgroup_id_z 0
		.amdhsa_system_sgpr_workgroup_info 0
		.amdhsa_system_vgpr_workitem_id 0
		.amdhsa_next_free_vgpr 1
		.amdhsa_next_free_sgpr 0
		.amdhsa_reserve_vcc 0
		.amdhsa_reserve_flat_scratch 0
		.amdhsa_float_round_mode_32 0
		.amdhsa_float_round_mode_16_64 0
		.amdhsa_float_denorm_mode_32 3
		.amdhsa_float_denorm_mode_16_64 3
		.amdhsa_dx10_clamp 1
		.amdhsa_ieee_mode 1
		.amdhsa_fp16_overflow 0
		.amdhsa_exception_fp_ieee_invalid_op 0
		.amdhsa_exception_fp_denorm_src 0
		.amdhsa_exception_fp_ieee_div_zero 0
		.amdhsa_exception_fp_ieee_overflow 0
		.amdhsa_exception_fp_ieee_underflow 0
		.amdhsa_exception_fp_ieee_inexact 0
		.amdhsa_exception_int_div_zero 0
	.end_amdhsa_kernel
	.section	.text._ZN7rocprim17ROCPRIM_400000_NS6detail17trampoline_kernelINS0_14default_configENS1_27lower_bound_config_selectorIN6thrust23THRUST_200600_302600_NS5tupleIiiNS6_9null_typeES8_S8_S8_S8_S8_S8_S8_EElEEZNS1_14transform_implILb0ES3_SA_NS6_6detail15normal_iteratorINS6_7pointerIS9_NS6_11hip_rocprim5par_tENS6_11use_defaultESH_EEEENSD_INSE_IlSG_SH_SH_EEEEZNS1_13binary_searchIS3_SA_NSD_INS6_10device_ptrIS9_EEEESJ_SL_NS1_21lower_bound_search_opENSC_16wrapped_functionINS6_6system6detail7generic6detail18binary_search_lessEbEEEE10hipError_tPvRmT1_T2_T3_mmT4_T5_P12ihipStream_tbEUlRKS9_E_EESY_S12_S13_mS14_S17_bEUlT_E_NS1_11comp_targetILNS1_3genE0ELNS1_11target_archE4294967295ELNS1_3gpuE0ELNS1_3repE0EEENS1_30default_config_static_selectorELNS0_4arch9wavefront6targetE1EEEvS11_,"axG",@progbits,_ZN7rocprim17ROCPRIM_400000_NS6detail17trampoline_kernelINS0_14default_configENS1_27lower_bound_config_selectorIN6thrust23THRUST_200600_302600_NS5tupleIiiNS6_9null_typeES8_S8_S8_S8_S8_S8_S8_EElEEZNS1_14transform_implILb0ES3_SA_NS6_6detail15normal_iteratorINS6_7pointerIS9_NS6_11hip_rocprim5par_tENS6_11use_defaultESH_EEEENSD_INSE_IlSG_SH_SH_EEEEZNS1_13binary_searchIS3_SA_NSD_INS6_10device_ptrIS9_EEEESJ_SL_NS1_21lower_bound_search_opENSC_16wrapped_functionINS6_6system6detail7generic6detail18binary_search_lessEbEEEE10hipError_tPvRmT1_T2_T3_mmT4_T5_P12ihipStream_tbEUlRKS9_E_EESY_S12_S13_mS14_S17_bEUlT_E_NS1_11comp_targetILNS1_3genE0ELNS1_11target_archE4294967295ELNS1_3gpuE0ELNS1_3repE0EEENS1_30default_config_static_selectorELNS0_4arch9wavefront6targetE1EEEvS11_,comdat
.Lfunc_end431:
	.size	_ZN7rocprim17ROCPRIM_400000_NS6detail17trampoline_kernelINS0_14default_configENS1_27lower_bound_config_selectorIN6thrust23THRUST_200600_302600_NS5tupleIiiNS6_9null_typeES8_S8_S8_S8_S8_S8_S8_EElEEZNS1_14transform_implILb0ES3_SA_NS6_6detail15normal_iteratorINS6_7pointerIS9_NS6_11hip_rocprim5par_tENS6_11use_defaultESH_EEEENSD_INSE_IlSG_SH_SH_EEEEZNS1_13binary_searchIS3_SA_NSD_INS6_10device_ptrIS9_EEEESJ_SL_NS1_21lower_bound_search_opENSC_16wrapped_functionINS6_6system6detail7generic6detail18binary_search_lessEbEEEE10hipError_tPvRmT1_T2_T3_mmT4_T5_P12ihipStream_tbEUlRKS9_E_EESY_S12_S13_mS14_S17_bEUlT_E_NS1_11comp_targetILNS1_3genE0ELNS1_11target_archE4294967295ELNS1_3gpuE0ELNS1_3repE0EEENS1_30default_config_static_selectorELNS0_4arch9wavefront6targetE1EEEvS11_, .Lfunc_end431-_ZN7rocprim17ROCPRIM_400000_NS6detail17trampoline_kernelINS0_14default_configENS1_27lower_bound_config_selectorIN6thrust23THRUST_200600_302600_NS5tupleIiiNS6_9null_typeES8_S8_S8_S8_S8_S8_S8_EElEEZNS1_14transform_implILb0ES3_SA_NS6_6detail15normal_iteratorINS6_7pointerIS9_NS6_11hip_rocprim5par_tENS6_11use_defaultESH_EEEENSD_INSE_IlSG_SH_SH_EEEEZNS1_13binary_searchIS3_SA_NSD_INS6_10device_ptrIS9_EEEESJ_SL_NS1_21lower_bound_search_opENSC_16wrapped_functionINS6_6system6detail7generic6detail18binary_search_lessEbEEEE10hipError_tPvRmT1_T2_T3_mmT4_T5_P12ihipStream_tbEUlRKS9_E_EESY_S12_S13_mS14_S17_bEUlT_E_NS1_11comp_targetILNS1_3genE0ELNS1_11target_archE4294967295ELNS1_3gpuE0ELNS1_3repE0EEENS1_30default_config_static_selectorELNS0_4arch9wavefront6targetE1EEEvS11_
                                        ; -- End function
	.set _ZN7rocprim17ROCPRIM_400000_NS6detail17trampoline_kernelINS0_14default_configENS1_27lower_bound_config_selectorIN6thrust23THRUST_200600_302600_NS5tupleIiiNS6_9null_typeES8_S8_S8_S8_S8_S8_S8_EElEEZNS1_14transform_implILb0ES3_SA_NS6_6detail15normal_iteratorINS6_7pointerIS9_NS6_11hip_rocprim5par_tENS6_11use_defaultESH_EEEENSD_INSE_IlSG_SH_SH_EEEEZNS1_13binary_searchIS3_SA_NSD_INS6_10device_ptrIS9_EEEESJ_SL_NS1_21lower_bound_search_opENSC_16wrapped_functionINS6_6system6detail7generic6detail18binary_search_lessEbEEEE10hipError_tPvRmT1_T2_T3_mmT4_T5_P12ihipStream_tbEUlRKS9_E_EESY_S12_S13_mS14_S17_bEUlT_E_NS1_11comp_targetILNS1_3genE0ELNS1_11target_archE4294967295ELNS1_3gpuE0ELNS1_3repE0EEENS1_30default_config_static_selectorELNS0_4arch9wavefront6targetE1EEEvS11_.num_vgpr, 0
	.set _ZN7rocprim17ROCPRIM_400000_NS6detail17trampoline_kernelINS0_14default_configENS1_27lower_bound_config_selectorIN6thrust23THRUST_200600_302600_NS5tupleIiiNS6_9null_typeES8_S8_S8_S8_S8_S8_S8_EElEEZNS1_14transform_implILb0ES3_SA_NS6_6detail15normal_iteratorINS6_7pointerIS9_NS6_11hip_rocprim5par_tENS6_11use_defaultESH_EEEENSD_INSE_IlSG_SH_SH_EEEEZNS1_13binary_searchIS3_SA_NSD_INS6_10device_ptrIS9_EEEESJ_SL_NS1_21lower_bound_search_opENSC_16wrapped_functionINS6_6system6detail7generic6detail18binary_search_lessEbEEEE10hipError_tPvRmT1_T2_T3_mmT4_T5_P12ihipStream_tbEUlRKS9_E_EESY_S12_S13_mS14_S17_bEUlT_E_NS1_11comp_targetILNS1_3genE0ELNS1_11target_archE4294967295ELNS1_3gpuE0ELNS1_3repE0EEENS1_30default_config_static_selectorELNS0_4arch9wavefront6targetE1EEEvS11_.num_agpr, 0
	.set _ZN7rocprim17ROCPRIM_400000_NS6detail17trampoline_kernelINS0_14default_configENS1_27lower_bound_config_selectorIN6thrust23THRUST_200600_302600_NS5tupleIiiNS6_9null_typeES8_S8_S8_S8_S8_S8_S8_EElEEZNS1_14transform_implILb0ES3_SA_NS6_6detail15normal_iteratorINS6_7pointerIS9_NS6_11hip_rocprim5par_tENS6_11use_defaultESH_EEEENSD_INSE_IlSG_SH_SH_EEEEZNS1_13binary_searchIS3_SA_NSD_INS6_10device_ptrIS9_EEEESJ_SL_NS1_21lower_bound_search_opENSC_16wrapped_functionINS6_6system6detail7generic6detail18binary_search_lessEbEEEE10hipError_tPvRmT1_T2_T3_mmT4_T5_P12ihipStream_tbEUlRKS9_E_EESY_S12_S13_mS14_S17_bEUlT_E_NS1_11comp_targetILNS1_3genE0ELNS1_11target_archE4294967295ELNS1_3gpuE0ELNS1_3repE0EEENS1_30default_config_static_selectorELNS0_4arch9wavefront6targetE1EEEvS11_.numbered_sgpr, 0
	.set _ZN7rocprim17ROCPRIM_400000_NS6detail17trampoline_kernelINS0_14default_configENS1_27lower_bound_config_selectorIN6thrust23THRUST_200600_302600_NS5tupleIiiNS6_9null_typeES8_S8_S8_S8_S8_S8_S8_EElEEZNS1_14transform_implILb0ES3_SA_NS6_6detail15normal_iteratorINS6_7pointerIS9_NS6_11hip_rocprim5par_tENS6_11use_defaultESH_EEEENSD_INSE_IlSG_SH_SH_EEEEZNS1_13binary_searchIS3_SA_NSD_INS6_10device_ptrIS9_EEEESJ_SL_NS1_21lower_bound_search_opENSC_16wrapped_functionINS6_6system6detail7generic6detail18binary_search_lessEbEEEE10hipError_tPvRmT1_T2_T3_mmT4_T5_P12ihipStream_tbEUlRKS9_E_EESY_S12_S13_mS14_S17_bEUlT_E_NS1_11comp_targetILNS1_3genE0ELNS1_11target_archE4294967295ELNS1_3gpuE0ELNS1_3repE0EEENS1_30default_config_static_selectorELNS0_4arch9wavefront6targetE1EEEvS11_.num_named_barrier, 0
	.set _ZN7rocprim17ROCPRIM_400000_NS6detail17trampoline_kernelINS0_14default_configENS1_27lower_bound_config_selectorIN6thrust23THRUST_200600_302600_NS5tupleIiiNS6_9null_typeES8_S8_S8_S8_S8_S8_S8_EElEEZNS1_14transform_implILb0ES3_SA_NS6_6detail15normal_iteratorINS6_7pointerIS9_NS6_11hip_rocprim5par_tENS6_11use_defaultESH_EEEENSD_INSE_IlSG_SH_SH_EEEEZNS1_13binary_searchIS3_SA_NSD_INS6_10device_ptrIS9_EEEESJ_SL_NS1_21lower_bound_search_opENSC_16wrapped_functionINS6_6system6detail7generic6detail18binary_search_lessEbEEEE10hipError_tPvRmT1_T2_T3_mmT4_T5_P12ihipStream_tbEUlRKS9_E_EESY_S12_S13_mS14_S17_bEUlT_E_NS1_11comp_targetILNS1_3genE0ELNS1_11target_archE4294967295ELNS1_3gpuE0ELNS1_3repE0EEENS1_30default_config_static_selectorELNS0_4arch9wavefront6targetE1EEEvS11_.private_seg_size, 0
	.set _ZN7rocprim17ROCPRIM_400000_NS6detail17trampoline_kernelINS0_14default_configENS1_27lower_bound_config_selectorIN6thrust23THRUST_200600_302600_NS5tupleIiiNS6_9null_typeES8_S8_S8_S8_S8_S8_S8_EElEEZNS1_14transform_implILb0ES3_SA_NS6_6detail15normal_iteratorINS6_7pointerIS9_NS6_11hip_rocprim5par_tENS6_11use_defaultESH_EEEENSD_INSE_IlSG_SH_SH_EEEEZNS1_13binary_searchIS3_SA_NSD_INS6_10device_ptrIS9_EEEESJ_SL_NS1_21lower_bound_search_opENSC_16wrapped_functionINS6_6system6detail7generic6detail18binary_search_lessEbEEEE10hipError_tPvRmT1_T2_T3_mmT4_T5_P12ihipStream_tbEUlRKS9_E_EESY_S12_S13_mS14_S17_bEUlT_E_NS1_11comp_targetILNS1_3genE0ELNS1_11target_archE4294967295ELNS1_3gpuE0ELNS1_3repE0EEENS1_30default_config_static_selectorELNS0_4arch9wavefront6targetE1EEEvS11_.uses_vcc, 0
	.set _ZN7rocprim17ROCPRIM_400000_NS6detail17trampoline_kernelINS0_14default_configENS1_27lower_bound_config_selectorIN6thrust23THRUST_200600_302600_NS5tupleIiiNS6_9null_typeES8_S8_S8_S8_S8_S8_S8_EElEEZNS1_14transform_implILb0ES3_SA_NS6_6detail15normal_iteratorINS6_7pointerIS9_NS6_11hip_rocprim5par_tENS6_11use_defaultESH_EEEENSD_INSE_IlSG_SH_SH_EEEEZNS1_13binary_searchIS3_SA_NSD_INS6_10device_ptrIS9_EEEESJ_SL_NS1_21lower_bound_search_opENSC_16wrapped_functionINS6_6system6detail7generic6detail18binary_search_lessEbEEEE10hipError_tPvRmT1_T2_T3_mmT4_T5_P12ihipStream_tbEUlRKS9_E_EESY_S12_S13_mS14_S17_bEUlT_E_NS1_11comp_targetILNS1_3genE0ELNS1_11target_archE4294967295ELNS1_3gpuE0ELNS1_3repE0EEENS1_30default_config_static_selectorELNS0_4arch9wavefront6targetE1EEEvS11_.uses_flat_scratch, 0
	.set _ZN7rocprim17ROCPRIM_400000_NS6detail17trampoline_kernelINS0_14default_configENS1_27lower_bound_config_selectorIN6thrust23THRUST_200600_302600_NS5tupleIiiNS6_9null_typeES8_S8_S8_S8_S8_S8_S8_EElEEZNS1_14transform_implILb0ES3_SA_NS6_6detail15normal_iteratorINS6_7pointerIS9_NS6_11hip_rocprim5par_tENS6_11use_defaultESH_EEEENSD_INSE_IlSG_SH_SH_EEEEZNS1_13binary_searchIS3_SA_NSD_INS6_10device_ptrIS9_EEEESJ_SL_NS1_21lower_bound_search_opENSC_16wrapped_functionINS6_6system6detail7generic6detail18binary_search_lessEbEEEE10hipError_tPvRmT1_T2_T3_mmT4_T5_P12ihipStream_tbEUlRKS9_E_EESY_S12_S13_mS14_S17_bEUlT_E_NS1_11comp_targetILNS1_3genE0ELNS1_11target_archE4294967295ELNS1_3gpuE0ELNS1_3repE0EEENS1_30default_config_static_selectorELNS0_4arch9wavefront6targetE1EEEvS11_.has_dyn_sized_stack, 0
	.set _ZN7rocprim17ROCPRIM_400000_NS6detail17trampoline_kernelINS0_14default_configENS1_27lower_bound_config_selectorIN6thrust23THRUST_200600_302600_NS5tupleIiiNS6_9null_typeES8_S8_S8_S8_S8_S8_S8_EElEEZNS1_14transform_implILb0ES3_SA_NS6_6detail15normal_iteratorINS6_7pointerIS9_NS6_11hip_rocprim5par_tENS6_11use_defaultESH_EEEENSD_INSE_IlSG_SH_SH_EEEEZNS1_13binary_searchIS3_SA_NSD_INS6_10device_ptrIS9_EEEESJ_SL_NS1_21lower_bound_search_opENSC_16wrapped_functionINS6_6system6detail7generic6detail18binary_search_lessEbEEEE10hipError_tPvRmT1_T2_T3_mmT4_T5_P12ihipStream_tbEUlRKS9_E_EESY_S12_S13_mS14_S17_bEUlT_E_NS1_11comp_targetILNS1_3genE0ELNS1_11target_archE4294967295ELNS1_3gpuE0ELNS1_3repE0EEENS1_30default_config_static_selectorELNS0_4arch9wavefront6targetE1EEEvS11_.has_recursion, 0
	.set _ZN7rocprim17ROCPRIM_400000_NS6detail17trampoline_kernelINS0_14default_configENS1_27lower_bound_config_selectorIN6thrust23THRUST_200600_302600_NS5tupleIiiNS6_9null_typeES8_S8_S8_S8_S8_S8_S8_EElEEZNS1_14transform_implILb0ES3_SA_NS6_6detail15normal_iteratorINS6_7pointerIS9_NS6_11hip_rocprim5par_tENS6_11use_defaultESH_EEEENSD_INSE_IlSG_SH_SH_EEEEZNS1_13binary_searchIS3_SA_NSD_INS6_10device_ptrIS9_EEEESJ_SL_NS1_21lower_bound_search_opENSC_16wrapped_functionINS6_6system6detail7generic6detail18binary_search_lessEbEEEE10hipError_tPvRmT1_T2_T3_mmT4_T5_P12ihipStream_tbEUlRKS9_E_EESY_S12_S13_mS14_S17_bEUlT_E_NS1_11comp_targetILNS1_3genE0ELNS1_11target_archE4294967295ELNS1_3gpuE0ELNS1_3repE0EEENS1_30default_config_static_selectorELNS0_4arch9wavefront6targetE1EEEvS11_.has_indirect_call, 0
	.section	.AMDGPU.csdata,"",@progbits
; Kernel info:
; codeLenInByte = 0
; TotalNumSgprs: 4
; NumVgprs: 0
; ScratchSize: 0
; MemoryBound: 0
; FloatMode: 240
; IeeeMode: 1
; LDSByteSize: 0 bytes/workgroup (compile time only)
; SGPRBlocks: 0
; VGPRBlocks: 0
; NumSGPRsForWavesPerEU: 4
; NumVGPRsForWavesPerEU: 1
; Occupancy: 10
; WaveLimiterHint : 0
; COMPUTE_PGM_RSRC2:SCRATCH_EN: 0
; COMPUTE_PGM_RSRC2:USER_SGPR: 6
; COMPUTE_PGM_RSRC2:TRAP_HANDLER: 0
; COMPUTE_PGM_RSRC2:TGID_X_EN: 1
; COMPUTE_PGM_RSRC2:TGID_Y_EN: 0
; COMPUTE_PGM_RSRC2:TGID_Z_EN: 0
; COMPUTE_PGM_RSRC2:TIDIG_COMP_CNT: 0
	.section	.text._ZN7rocprim17ROCPRIM_400000_NS6detail17trampoline_kernelINS0_14default_configENS1_27lower_bound_config_selectorIN6thrust23THRUST_200600_302600_NS5tupleIiiNS6_9null_typeES8_S8_S8_S8_S8_S8_S8_EElEEZNS1_14transform_implILb0ES3_SA_NS6_6detail15normal_iteratorINS6_7pointerIS9_NS6_11hip_rocprim5par_tENS6_11use_defaultESH_EEEENSD_INSE_IlSG_SH_SH_EEEEZNS1_13binary_searchIS3_SA_NSD_INS6_10device_ptrIS9_EEEESJ_SL_NS1_21lower_bound_search_opENSC_16wrapped_functionINS6_6system6detail7generic6detail18binary_search_lessEbEEEE10hipError_tPvRmT1_T2_T3_mmT4_T5_P12ihipStream_tbEUlRKS9_E_EESY_S12_S13_mS14_S17_bEUlT_E_NS1_11comp_targetILNS1_3genE5ELNS1_11target_archE942ELNS1_3gpuE9ELNS1_3repE0EEENS1_30default_config_static_selectorELNS0_4arch9wavefront6targetE1EEEvS11_,"axG",@progbits,_ZN7rocprim17ROCPRIM_400000_NS6detail17trampoline_kernelINS0_14default_configENS1_27lower_bound_config_selectorIN6thrust23THRUST_200600_302600_NS5tupleIiiNS6_9null_typeES8_S8_S8_S8_S8_S8_S8_EElEEZNS1_14transform_implILb0ES3_SA_NS6_6detail15normal_iteratorINS6_7pointerIS9_NS6_11hip_rocprim5par_tENS6_11use_defaultESH_EEEENSD_INSE_IlSG_SH_SH_EEEEZNS1_13binary_searchIS3_SA_NSD_INS6_10device_ptrIS9_EEEESJ_SL_NS1_21lower_bound_search_opENSC_16wrapped_functionINS6_6system6detail7generic6detail18binary_search_lessEbEEEE10hipError_tPvRmT1_T2_T3_mmT4_T5_P12ihipStream_tbEUlRKS9_E_EESY_S12_S13_mS14_S17_bEUlT_E_NS1_11comp_targetILNS1_3genE5ELNS1_11target_archE942ELNS1_3gpuE9ELNS1_3repE0EEENS1_30default_config_static_selectorELNS0_4arch9wavefront6targetE1EEEvS11_,comdat
	.protected	_ZN7rocprim17ROCPRIM_400000_NS6detail17trampoline_kernelINS0_14default_configENS1_27lower_bound_config_selectorIN6thrust23THRUST_200600_302600_NS5tupleIiiNS6_9null_typeES8_S8_S8_S8_S8_S8_S8_EElEEZNS1_14transform_implILb0ES3_SA_NS6_6detail15normal_iteratorINS6_7pointerIS9_NS6_11hip_rocprim5par_tENS6_11use_defaultESH_EEEENSD_INSE_IlSG_SH_SH_EEEEZNS1_13binary_searchIS3_SA_NSD_INS6_10device_ptrIS9_EEEESJ_SL_NS1_21lower_bound_search_opENSC_16wrapped_functionINS6_6system6detail7generic6detail18binary_search_lessEbEEEE10hipError_tPvRmT1_T2_T3_mmT4_T5_P12ihipStream_tbEUlRKS9_E_EESY_S12_S13_mS14_S17_bEUlT_E_NS1_11comp_targetILNS1_3genE5ELNS1_11target_archE942ELNS1_3gpuE9ELNS1_3repE0EEENS1_30default_config_static_selectorELNS0_4arch9wavefront6targetE1EEEvS11_ ; -- Begin function _ZN7rocprim17ROCPRIM_400000_NS6detail17trampoline_kernelINS0_14default_configENS1_27lower_bound_config_selectorIN6thrust23THRUST_200600_302600_NS5tupleIiiNS6_9null_typeES8_S8_S8_S8_S8_S8_S8_EElEEZNS1_14transform_implILb0ES3_SA_NS6_6detail15normal_iteratorINS6_7pointerIS9_NS6_11hip_rocprim5par_tENS6_11use_defaultESH_EEEENSD_INSE_IlSG_SH_SH_EEEEZNS1_13binary_searchIS3_SA_NSD_INS6_10device_ptrIS9_EEEESJ_SL_NS1_21lower_bound_search_opENSC_16wrapped_functionINS6_6system6detail7generic6detail18binary_search_lessEbEEEE10hipError_tPvRmT1_T2_T3_mmT4_T5_P12ihipStream_tbEUlRKS9_E_EESY_S12_S13_mS14_S17_bEUlT_E_NS1_11comp_targetILNS1_3genE5ELNS1_11target_archE942ELNS1_3gpuE9ELNS1_3repE0EEENS1_30default_config_static_selectorELNS0_4arch9wavefront6targetE1EEEvS11_
	.globl	_ZN7rocprim17ROCPRIM_400000_NS6detail17trampoline_kernelINS0_14default_configENS1_27lower_bound_config_selectorIN6thrust23THRUST_200600_302600_NS5tupleIiiNS6_9null_typeES8_S8_S8_S8_S8_S8_S8_EElEEZNS1_14transform_implILb0ES3_SA_NS6_6detail15normal_iteratorINS6_7pointerIS9_NS6_11hip_rocprim5par_tENS6_11use_defaultESH_EEEENSD_INSE_IlSG_SH_SH_EEEEZNS1_13binary_searchIS3_SA_NSD_INS6_10device_ptrIS9_EEEESJ_SL_NS1_21lower_bound_search_opENSC_16wrapped_functionINS6_6system6detail7generic6detail18binary_search_lessEbEEEE10hipError_tPvRmT1_T2_T3_mmT4_T5_P12ihipStream_tbEUlRKS9_E_EESY_S12_S13_mS14_S17_bEUlT_E_NS1_11comp_targetILNS1_3genE5ELNS1_11target_archE942ELNS1_3gpuE9ELNS1_3repE0EEENS1_30default_config_static_selectorELNS0_4arch9wavefront6targetE1EEEvS11_
	.p2align	8
	.type	_ZN7rocprim17ROCPRIM_400000_NS6detail17trampoline_kernelINS0_14default_configENS1_27lower_bound_config_selectorIN6thrust23THRUST_200600_302600_NS5tupleIiiNS6_9null_typeES8_S8_S8_S8_S8_S8_S8_EElEEZNS1_14transform_implILb0ES3_SA_NS6_6detail15normal_iteratorINS6_7pointerIS9_NS6_11hip_rocprim5par_tENS6_11use_defaultESH_EEEENSD_INSE_IlSG_SH_SH_EEEEZNS1_13binary_searchIS3_SA_NSD_INS6_10device_ptrIS9_EEEESJ_SL_NS1_21lower_bound_search_opENSC_16wrapped_functionINS6_6system6detail7generic6detail18binary_search_lessEbEEEE10hipError_tPvRmT1_T2_T3_mmT4_T5_P12ihipStream_tbEUlRKS9_E_EESY_S12_S13_mS14_S17_bEUlT_E_NS1_11comp_targetILNS1_3genE5ELNS1_11target_archE942ELNS1_3gpuE9ELNS1_3repE0EEENS1_30default_config_static_selectorELNS0_4arch9wavefront6targetE1EEEvS11_,@function
_ZN7rocprim17ROCPRIM_400000_NS6detail17trampoline_kernelINS0_14default_configENS1_27lower_bound_config_selectorIN6thrust23THRUST_200600_302600_NS5tupleIiiNS6_9null_typeES8_S8_S8_S8_S8_S8_S8_EElEEZNS1_14transform_implILb0ES3_SA_NS6_6detail15normal_iteratorINS6_7pointerIS9_NS6_11hip_rocprim5par_tENS6_11use_defaultESH_EEEENSD_INSE_IlSG_SH_SH_EEEEZNS1_13binary_searchIS3_SA_NSD_INS6_10device_ptrIS9_EEEESJ_SL_NS1_21lower_bound_search_opENSC_16wrapped_functionINS6_6system6detail7generic6detail18binary_search_lessEbEEEE10hipError_tPvRmT1_T2_T3_mmT4_T5_P12ihipStream_tbEUlRKS9_E_EESY_S12_S13_mS14_S17_bEUlT_E_NS1_11comp_targetILNS1_3genE5ELNS1_11target_archE942ELNS1_3gpuE9ELNS1_3repE0EEENS1_30default_config_static_selectorELNS0_4arch9wavefront6targetE1EEEvS11_: ; @_ZN7rocprim17ROCPRIM_400000_NS6detail17trampoline_kernelINS0_14default_configENS1_27lower_bound_config_selectorIN6thrust23THRUST_200600_302600_NS5tupleIiiNS6_9null_typeES8_S8_S8_S8_S8_S8_S8_EElEEZNS1_14transform_implILb0ES3_SA_NS6_6detail15normal_iteratorINS6_7pointerIS9_NS6_11hip_rocprim5par_tENS6_11use_defaultESH_EEEENSD_INSE_IlSG_SH_SH_EEEEZNS1_13binary_searchIS3_SA_NSD_INS6_10device_ptrIS9_EEEESJ_SL_NS1_21lower_bound_search_opENSC_16wrapped_functionINS6_6system6detail7generic6detail18binary_search_lessEbEEEE10hipError_tPvRmT1_T2_T3_mmT4_T5_P12ihipStream_tbEUlRKS9_E_EESY_S12_S13_mS14_S17_bEUlT_E_NS1_11comp_targetILNS1_3genE5ELNS1_11target_archE942ELNS1_3gpuE9ELNS1_3repE0EEENS1_30default_config_static_selectorELNS0_4arch9wavefront6targetE1EEEvS11_
; %bb.0:
	.section	.rodata,"a",@progbits
	.p2align	6, 0x0
	.amdhsa_kernel _ZN7rocprim17ROCPRIM_400000_NS6detail17trampoline_kernelINS0_14default_configENS1_27lower_bound_config_selectorIN6thrust23THRUST_200600_302600_NS5tupleIiiNS6_9null_typeES8_S8_S8_S8_S8_S8_S8_EElEEZNS1_14transform_implILb0ES3_SA_NS6_6detail15normal_iteratorINS6_7pointerIS9_NS6_11hip_rocprim5par_tENS6_11use_defaultESH_EEEENSD_INSE_IlSG_SH_SH_EEEEZNS1_13binary_searchIS3_SA_NSD_INS6_10device_ptrIS9_EEEESJ_SL_NS1_21lower_bound_search_opENSC_16wrapped_functionINS6_6system6detail7generic6detail18binary_search_lessEbEEEE10hipError_tPvRmT1_T2_T3_mmT4_T5_P12ihipStream_tbEUlRKS9_E_EESY_S12_S13_mS14_S17_bEUlT_E_NS1_11comp_targetILNS1_3genE5ELNS1_11target_archE942ELNS1_3gpuE9ELNS1_3repE0EEENS1_30default_config_static_selectorELNS0_4arch9wavefront6targetE1EEEvS11_
		.amdhsa_group_segment_fixed_size 0
		.amdhsa_private_segment_fixed_size 0
		.amdhsa_kernarg_size 56
		.amdhsa_user_sgpr_count 6
		.amdhsa_user_sgpr_private_segment_buffer 1
		.amdhsa_user_sgpr_dispatch_ptr 0
		.amdhsa_user_sgpr_queue_ptr 0
		.amdhsa_user_sgpr_kernarg_segment_ptr 1
		.amdhsa_user_sgpr_dispatch_id 0
		.amdhsa_user_sgpr_flat_scratch_init 0
		.amdhsa_user_sgpr_private_segment_size 0
		.amdhsa_uses_dynamic_stack 0
		.amdhsa_system_sgpr_private_segment_wavefront_offset 0
		.amdhsa_system_sgpr_workgroup_id_x 1
		.amdhsa_system_sgpr_workgroup_id_y 0
		.amdhsa_system_sgpr_workgroup_id_z 0
		.amdhsa_system_sgpr_workgroup_info 0
		.amdhsa_system_vgpr_workitem_id 0
		.amdhsa_next_free_vgpr 1
		.amdhsa_next_free_sgpr 0
		.amdhsa_reserve_vcc 0
		.amdhsa_reserve_flat_scratch 0
		.amdhsa_float_round_mode_32 0
		.amdhsa_float_round_mode_16_64 0
		.amdhsa_float_denorm_mode_32 3
		.amdhsa_float_denorm_mode_16_64 3
		.amdhsa_dx10_clamp 1
		.amdhsa_ieee_mode 1
		.amdhsa_fp16_overflow 0
		.amdhsa_exception_fp_ieee_invalid_op 0
		.amdhsa_exception_fp_denorm_src 0
		.amdhsa_exception_fp_ieee_div_zero 0
		.amdhsa_exception_fp_ieee_overflow 0
		.amdhsa_exception_fp_ieee_underflow 0
		.amdhsa_exception_fp_ieee_inexact 0
		.amdhsa_exception_int_div_zero 0
	.end_amdhsa_kernel
	.section	.text._ZN7rocprim17ROCPRIM_400000_NS6detail17trampoline_kernelINS0_14default_configENS1_27lower_bound_config_selectorIN6thrust23THRUST_200600_302600_NS5tupleIiiNS6_9null_typeES8_S8_S8_S8_S8_S8_S8_EElEEZNS1_14transform_implILb0ES3_SA_NS6_6detail15normal_iteratorINS6_7pointerIS9_NS6_11hip_rocprim5par_tENS6_11use_defaultESH_EEEENSD_INSE_IlSG_SH_SH_EEEEZNS1_13binary_searchIS3_SA_NSD_INS6_10device_ptrIS9_EEEESJ_SL_NS1_21lower_bound_search_opENSC_16wrapped_functionINS6_6system6detail7generic6detail18binary_search_lessEbEEEE10hipError_tPvRmT1_T2_T3_mmT4_T5_P12ihipStream_tbEUlRKS9_E_EESY_S12_S13_mS14_S17_bEUlT_E_NS1_11comp_targetILNS1_3genE5ELNS1_11target_archE942ELNS1_3gpuE9ELNS1_3repE0EEENS1_30default_config_static_selectorELNS0_4arch9wavefront6targetE1EEEvS11_,"axG",@progbits,_ZN7rocprim17ROCPRIM_400000_NS6detail17trampoline_kernelINS0_14default_configENS1_27lower_bound_config_selectorIN6thrust23THRUST_200600_302600_NS5tupleIiiNS6_9null_typeES8_S8_S8_S8_S8_S8_S8_EElEEZNS1_14transform_implILb0ES3_SA_NS6_6detail15normal_iteratorINS6_7pointerIS9_NS6_11hip_rocprim5par_tENS6_11use_defaultESH_EEEENSD_INSE_IlSG_SH_SH_EEEEZNS1_13binary_searchIS3_SA_NSD_INS6_10device_ptrIS9_EEEESJ_SL_NS1_21lower_bound_search_opENSC_16wrapped_functionINS6_6system6detail7generic6detail18binary_search_lessEbEEEE10hipError_tPvRmT1_T2_T3_mmT4_T5_P12ihipStream_tbEUlRKS9_E_EESY_S12_S13_mS14_S17_bEUlT_E_NS1_11comp_targetILNS1_3genE5ELNS1_11target_archE942ELNS1_3gpuE9ELNS1_3repE0EEENS1_30default_config_static_selectorELNS0_4arch9wavefront6targetE1EEEvS11_,comdat
.Lfunc_end432:
	.size	_ZN7rocprim17ROCPRIM_400000_NS6detail17trampoline_kernelINS0_14default_configENS1_27lower_bound_config_selectorIN6thrust23THRUST_200600_302600_NS5tupleIiiNS6_9null_typeES8_S8_S8_S8_S8_S8_S8_EElEEZNS1_14transform_implILb0ES3_SA_NS6_6detail15normal_iteratorINS6_7pointerIS9_NS6_11hip_rocprim5par_tENS6_11use_defaultESH_EEEENSD_INSE_IlSG_SH_SH_EEEEZNS1_13binary_searchIS3_SA_NSD_INS6_10device_ptrIS9_EEEESJ_SL_NS1_21lower_bound_search_opENSC_16wrapped_functionINS6_6system6detail7generic6detail18binary_search_lessEbEEEE10hipError_tPvRmT1_T2_T3_mmT4_T5_P12ihipStream_tbEUlRKS9_E_EESY_S12_S13_mS14_S17_bEUlT_E_NS1_11comp_targetILNS1_3genE5ELNS1_11target_archE942ELNS1_3gpuE9ELNS1_3repE0EEENS1_30default_config_static_selectorELNS0_4arch9wavefront6targetE1EEEvS11_, .Lfunc_end432-_ZN7rocprim17ROCPRIM_400000_NS6detail17trampoline_kernelINS0_14default_configENS1_27lower_bound_config_selectorIN6thrust23THRUST_200600_302600_NS5tupleIiiNS6_9null_typeES8_S8_S8_S8_S8_S8_S8_EElEEZNS1_14transform_implILb0ES3_SA_NS6_6detail15normal_iteratorINS6_7pointerIS9_NS6_11hip_rocprim5par_tENS6_11use_defaultESH_EEEENSD_INSE_IlSG_SH_SH_EEEEZNS1_13binary_searchIS3_SA_NSD_INS6_10device_ptrIS9_EEEESJ_SL_NS1_21lower_bound_search_opENSC_16wrapped_functionINS6_6system6detail7generic6detail18binary_search_lessEbEEEE10hipError_tPvRmT1_T2_T3_mmT4_T5_P12ihipStream_tbEUlRKS9_E_EESY_S12_S13_mS14_S17_bEUlT_E_NS1_11comp_targetILNS1_3genE5ELNS1_11target_archE942ELNS1_3gpuE9ELNS1_3repE0EEENS1_30default_config_static_selectorELNS0_4arch9wavefront6targetE1EEEvS11_
                                        ; -- End function
	.set _ZN7rocprim17ROCPRIM_400000_NS6detail17trampoline_kernelINS0_14default_configENS1_27lower_bound_config_selectorIN6thrust23THRUST_200600_302600_NS5tupleIiiNS6_9null_typeES8_S8_S8_S8_S8_S8_S8_EElEEZNS1_14transform_implILb0ES3_SA_NS6_6detail15normal_iteratorINS6_7pointerIS9_NS6_11hip_rocprim5par_tENS6_11use_defaultESH_EEEENSD_INSE_IlSG_SH_SH_EEEEZNS1_13binary_searchIS3_SA_NSD_INS6_10device_ptrIS9_EEEESJ_SL_NS1_21lower_bound_search_opENSC_16wrapped_functionINS6_6system6detail7generic6detail18binary_search_lessEbEEEE10hipError_tPvRmT1_T2_T3_mmT4_T5_P12ihipStream_tbEUlRKS9_E_EESY_S12_S13_mS14_S17_bEUlT_E_NS1_11comp_targetILNS1_3genE5ELNS1_11target_archE942ELNS1_3gpuE9ELNS1_3repE0EEENS1_30default_config_static_selectorELNS0_4arch9wavefront6targetE1EEEvS11_.num_vgpr, 0
	.set _ZN7rocprim17ROCPRIM_400000_NS6detail17trampoline_kernelINS0_14default_configENS1_27lower_bound_config_selectorIN6thrust23THRUST_200600_302600_NS5tupleIiiNS6_9null_typeES8_S8_S8_S8_S8_S8_S8_EElEEZNS1_14transform_implILb0ES3_SA_NS6_6detail15normal_iteratorINS6_7pointerIS9_NS6_11hip_rocprim5par_tENS6_11use_defaultESH_EEEENSD_INSE_IlSG_SH_SH_EEEEZNS1_13binary_searchIS3_SA_NSD_INS6_10device_ptrIS9_EEEESJ_SL_NS1_21lower_bound_search_opENSC_16wrapped_functionINS6_6system6detail7generic6detail18binary_search_lessEbEEEE10hipError_tPvRmT1_T2_T3_mmT4_T5_P12ihipStream_tbEUlRKS9_E_EESY_S12_S13_mS14_S17_bEUlT_E_NS1_11comp_targetILNS1_3genE5ELNS1_11target_archE942ELNS1_3gpuE9ELNS1_3repE0EEENS1_30default_config_static_selectorELNS0_4arch9wavefront6targetE1EEEvS11_.num_agpr, 0
	.set _ZN7rocprim17ROCPRIM_400000_NS6detail17trampoline_kernelINS0_14default_configENS1_27lower_bound_config_selectorIN6thrust23THRUST_200600_302600_NS5tupleIiiNS6_9null_typeES8_S8_S8_S8_S8_S8_S8_EElEEZNS1_14transform_implILb0ES3_SA_NS6_6detail15normal_iteratorINS6_7pointerIS9_NS6_11hip_rocprim5par_tENS6_11use_defaultESH_EEEENSD_INSE_IlSG_SH_SH_EEEEZNS1_13binary_searchIS3_SA_NSD_INS6_10device_ptrIS9_EEEESJ_SL_NS1_21lower_bound_search_opENSC_16wrapped_functionINS6_6system6detail7generic6detail18binary_search_lessEbEEEE10hipError_tPvRmT1_T2_T3_mmT4_T5_P12ihipStream_tbEUlRKS9_E_EESY_S12_S13_mS14_S17_bEUlT_E_NS1_11comp_targetILNS1_3genE5ELNS1_11target_archE942ELNS1_3gpuE9ELNS1_3repE0EEENS1_30default_config_static_selectorELNS0_4arch9wavefront6targetE1EEEvS11_.numbered_sgpr, 0
	.set _ZN7rocprim17ROCPRIM_400000_NS6detail17trampoline_kernelINS0_14default_configENS1_27lower_bound_config_selectorIN6thrust23THRUST_200600_302600_NS5tupleIiiNS6_9null_typeES8_S8_S8_S8_S8_S8_S8_EElEEZNS1_14transform_implILb0ES3_SA_NS6_6detail15normal_iteratorINS6_7pointerIS9_NS6_11hip_rocprim5par_tENS6_11use_defaultESH_EEEENSD_INSE_IlSG_SH_SH_EEEEZNS1_13binary_searchIS3_SA_NSD_INS6_10device_ptrIS9_EEEESJ_SL_NS1_21lower_bound_search_opENSC_16wrapped_functionINS6_6system6detail7generic6detail18binary_search_lessEbEEEE10hipError_tPvRmT1_T2_T3_mmT4_T5_P12ihipStream_tbEUlRKS9_E_EESY_S12_S13_mS14_S17_bEUlT_E_NS1_11comp_targetILNS1_3genE5ELNS1_11target_archE942ELNS1_3gpuE9ELNS1_3repE0EEENS1_30default_config_static_selectorELNS0_4arch9wavefront6targetE1EEEvS11_.num_named_barrier, 0
	.set _ZN7rocprim17ROCPRIM_400000_NS6detail17trampoline_kernelINS0_14default_configENS1_27lower_bound_config_selectorIN6thrust23THRUST_200600_302600_NS5tupleIiiNS6_9null_typeES8_S8_S8_S8_S8_S8_S8_EElEEZNS1_14transform_implILb0ES3_SA_NS6_6detail15normal_iteratorINS6_7pointerIS9_NS6_11hip_rocprim5par_tENS6_11use_defaultESH_EEEENSD_INSE_IlSG_SH_SH_EEEEZNS1_13binary_searchIS3_SA_NSD_INS6_10device_ptrIS9_EEEESJ_SL_NS1_21lower_bound_search_opENSC_16wrapped_functionINS6_6system6detail7generic6detail18binary_search_lessEbEEEE10hipError_tPvRmT1_T2_T3_mmT4_T5_P12ihipStream_tbEUlRKS9_E_EESY_S12_S13_mS14_S17_bEUlT_E_NS1_11comp_targetILNS1_3genE5ELNS1_11target_archE942ELNS1_3gpuE9ELNS1_3repE0EEENS1_30default_config_static_selectorELNS0_4arch9wavefront6targetE1EEEvS11_.private_seg_size, 0
	.set _ZN7rocprim17ROCPRIM_400000_NS6detail17trampoline_kernelINS0_14default_configENS1_27lower_bound_config_selectorIN6thrust23THRUST_200600_302600_NS5tupleIiiNS6_9null_typeES8_S8_S8_S8_S8_S8_S8_EElEEZNS1_14transform_implILb0ES3_SA_NS6_6detail15normal_iteratorINS6_7pointerIS9_NS6_11hip_rocprim5par_tENS6_11use_defaultESH_EEEENSD_INSE_IlSG_SH_SH_EEEEZNS1_13binary_searchIS3_SA_NSD_INS6_10device_ptrIS9_EEEESJ_SL_NS1_21lower_bound_search_opENSC_16wrapped_functionINS6_6system6detail7generic6detail18binary_search_lessEbEEEE10hipError_tPvRmT1_T2_T3_mmT4_T5_P12ihipStream_tbEUlRKS9_E_EESY_S12_S13_mS14_S17_bEUlT_E_NS1_11comp_targetILNS1_3genE5ELNS1_11target_archE942ELNS1_3gpuE9ELNS1_3repE0EEENS1_30default_config_static_selectorELNS0_4arch9wavefront6targetE1EEEvS11_.uses_vcc, 0
	.set _ZN7rocprim17ROCPRIM_400000_NS6detail17trampoline_kernelINS0_14default_configENS1_27lower_bound_config_selectorIN6thrust23THRUST_200600_302600_NS5tupleIiiNS6_9null_typeES8_S8_S8_S8_S8_S8_S8_EElEEZNS1_14transform_implILb0ES3_SA_NS6_6detail15normal_iteratorINS6_7pointerIS9_NS6_11hip_rocprim5par_tENS6_11use_defaultESH_EEEENSD_INSE_IlSG_SH_SH_EEEEZNS1_13binary_searchIS3_SA_NSD_INS6_10device_ptrIS9_EEEESJ_SL_NS1_21lower_bound_search_opENSC_16wrapped_functionINS6_6system6detail7generic6detail18binary_search_lessEbEEEE10hipError_tPvRmT1_T2_T3_mmT4_T5_P12ihipStream_tbEUlRKS9_E_EESY_S12_S13_mS14_S17_bEUlT_E_NS1_11comp_targetILNS1_3genE5ELNS1_11target_archE942ELNS1_3gpuE9ELNS1_3repE0EEENS1_30default_config_static_selectorELNS0_4arch9wavefront6targetE1EEEvS11_.uses_flat_scratch, 0
	.set _ZN7rocprim17ROCPRIM_400000_NS6detail17trampoline_kernelINS0_14default_configENS1_27lower_bound_config_selectorIN6thrust23THRUST_200600_302600_NS5tupleIiiNS6_9null_typeES8_S8_S8_S8_S8_S8_S8_EElEEZNS1_14transform_implILb0ES3_SA_NS6_6detail15normal_iteratorINS6_7pointerIS9_NS6_11hip_rocprim5par_tENS6_11use_defaultESH_EEEENSD_INSE_IlSG_SH_SH_EEEEZNS1_13binary_searchIS3_SA_NSD_INS6_10device_ptrIS9_EEEESJ_SL_NS1_21lower_bound_search_opENSC_16wrapped_functionINS6_6system6detail7generic6detail18binary_search_lessEbEEEE10hipError_tPvRmT1_T2_T3_mmT4_T5_P12ihipStream_tbEUlRKS9_E_EESY_S12_S13_mS14_S17_bEUlT_E_NS1_11comp_targetILNS1_3genE5ELNS1_11target_archE942ELNS1_3gpuE9ELNS1_3repE0EEENS1_30default_config_static_selectorELNS0_4arch9wavefront6targetE1EEEvS11_.has_dyn_sized_stack, 0
	.set _ZN7rocprim17ROCPRIM_400000_NS6detail17trampoline_kernelINS0_14default_configENS1_27lower_bound_config_selectorIN6thrust23THRUST_200600_302600_NS5tupleIiiNS6_9null_typeES8_S8_S8_S8_S8_S8_S8_EElEEZNS1_14transform_implILb0ES3_SA_NS6_6detail15normal_iteratorINS6_7pointerIS9_NS6_11hip_rocprim5par_tENS6_11use_defaultESH_EEEENSD_INSE_IlSG_SH_SH_EEEEZNS1_13binary_searchIS3_SA_NSD_INS6_10device_ptrIS9_EEEESJ_SL_NS1_21lower_bound_search_opENSC_16wrapped_functionINS6_6system6detail7generic6detail18binary_search_lessEbEEEE10hipError_tPvRmT1_T2_T3_mmT4_T5_P12ihipStream_tbEUlRKS9_E_EESY_S12_S13_mS14_S17_bEUlT_E_NS1_11comp_targetILNS1_3genE5ELNS1_11target_archE942ELNS1_3gpuE9ELNS1_3repE0EEENS1_30default_config_static_selectorELNS0_4arch9wavefront6targetE1EEEvS11_.has_recursion, 0
	.set _ZN7rocprim17ROCPRIM_400000_NS6detail17trampoline_kernelINS0_14default_configENS1_27lower_bound_config_selectorIN6thrust23THRUST_200600_302600_NS5tupleIiiNS6_9null_typeES8_S8_S8_S8_S8_S8_S8_EElEEZNS1_14transform_implILb0ES3_SA_NS6_6detail15normal_iteratorINS6_7pointerIS9_NS6_11hip_rocprim5par_tENS6_11use_defaultESH_EEEENSD_INSE_IlSG_SH_SH_EEEEZNS1_13binary_searchIS3_SA_NSD_INS6_10device_ptrIS9_EEEESJ_SL_NS1_21lower_bound_search_opENSC_16wrapped_functionINS6_6system6detail7generic6detail18binary_search_lessEbEEEE10hipError_tPvRmT1_T2_T3_mmT4_T5_P12ihipStream_tbEUlRKS9_E_EESY_S12_S13_mS14_S17_bEUlT_E_NS1_11comp_targetILNS1_3genE5ELNS1_11target_archE942ELNS1_3gpuE9ELNS1_3repE0EEENS1_30default_config_static_selectorELNS0_4arch9wavefront6targetE1EEEvS11_.has_indirect_call, 0
	.section	.AMDGPU.csdata,"",@progbits
; Kernel info:
; codeLenInByte = 0
; TotalNumSgprs: 4
; NumVgprs: 0
; ScratchSize: 0
; MemoryBound: 0
; FloatMode: 240
; IeeeMode: 1
; LDSByteSize: 0 bytes/workgroup (compile time only)
; SGPRBlocks: 0
; VGPRBlocks: 0
; NumSGPRsForWavesPerEU: 4
; NumVGPRsForWavesPerEU: 1
; Occupancy: 10
; WaveLimiterHint : 0
; COMPUTE_PGM_RSRC2:SCRATCH_EN: 0
; COMPUTE_PGM_RSRC2:USER_SGPR: 6
; COMPUTE_PGM_RSRC2:TRAP_HANDLER: 0
; COMPUTE_PGM_RSRC2:TGID_X_EN: 1
; COMPUTE_PGM_RSRC2:TGID_Y_EN: 0
; COMPUTE_PGM_RSRC2:TGID_Z_EN: 0
; COMPUTE_PGM_RSRC2:TIDIG_COMP_CNT: 0
	.section	.text._ZN7rocprim17ROCPRIM_400000_NS6detail17trampoline_kernelINS0_14default_configENS1_27lower_bound_config_selectorIN6thrust23THRUST_200600_302600_NS5tupleIiiNS6_9null_typeES8_S8_S8_S8_S8_S8_S8_EElEEZNS1_14transform_implILb0ES3_SA_NS6_6detail15normal_iteratorINS6_7pointerIS9_NS6_11hip_rocprim5par_tENS6_11use_defaultESH_EEEENSD_INSE_IlSG_SH_SH_EEEEZNS1_13binary_searchIS3_SA_NSD_INS6_10device_ptrIS9_EEEESJ_SL_NS1_21lower_bound_search_opENSC_16wrapped_functionINS6_6system6detail7generic6detail18binary_search_lessEbEEEE10hipError_tPvRmT1_T2_T3_mmT4_T5_P12ihipStream_tbEUlRKS9_E_EESY_S12_S13_mS14_S17_bEUlT_E_NS1_11comp_targetILNS1_3genE4ELNS1_11target_archE910ELNS1_3gpuE8ELNS1_3repE0EEENS1_30default_config_static_selectorELNS0_4arch9wavefront6targetE1EEEvS11_,"axG",@progbits,_ZN7rocprim17ROCPRIM_400000_NS6detail17trampoline_kernelINS0_14default_configENS1_27lower_bound_config_selectorIN6thrust23THRUST_200600_302600_NS5tupleIiiNS6_9null_typeES8_S8_S8_S8_S8_S8_S8_EElEEZNS1_14transform_implILb0ES3_SA_NS6_6detail15normal_iteratorINS6_7pointerIS9_NS6_11hip_rocprim5par_tENS6_11use_defaultESH_EEEENSD_INSE_IlSG_SH_SH_EEEEZNS1_13binary_searchIS3_SA_NSD_INS6_10device_ptrIS9_EEEESJ_SL_NS1_21lower_bound_search_opENSC_16wrapped_functionINS6_6system6detail7generic6detail18binary_search_lessEbEEEE10hipError_tPvRmT1_T2_T3_mmT4_T5_P12ihipStream_tbEUlRKS9_E_EESY_S12_S13_mS14_S17_bEUlT_E_NS1_11comp_targetILNS1_3genE4ELNS1_11target_archE910ELNS1_3gpuE8ELNS1_3repE0EEENS1_30default_config_static_selectorELNS0_4arch9wavefront6targetE1EEEvS11_,comdat
	.protected	_ZN7rocprim17ROCPRIM_400000_NS6detail17trampoline_kernelINS0_14default_configENS1_27lower_bound_config_selectorIN6thrust23THRUST_200600_302600_NS5tupleIiiNS6_9null_typeES8_S8_S8_S8_S8_S8_S8_EElEEZNS1_14transform_implILb0ES3_SA_NS6_6detail15normal_iteratorINS6_7pointerIS9_NS6_11hip_rocprim5par_tENS6_11use_defaultESH_EEEENSD_INSE_IlSG_SH_SH_EEEEZNS1_13binary_searchIS3_SA_NSD_INS6_10device_ptrIS9_EEEESJ_SL_NS1_21lower_bound_search_opENSC_16wrapped_functionINS6_6system6detail7generic6detail18binary_search_lessEbEEEE10hipError_tPvRmT1_T2_T3_mmT4_T5_P12ihipStream_tbEUlRKS9_E_EESY_S12_S13_mS14_S17_bEUlT_E_NS1_11comp_targetILNS1_3genE4ELNS1_11target_archE910ELNS1_3gpuE8ELNS1_3repE0EEENS1_30default_config_static_selectorELNS0_4arch9wavefront6targetE1EEEvS11_ ; -- Begin function _ZN7rocprim17ROCPRIM_400000_NS6detail17trampoline_kernelINS0_14default_configENS1_27lower_bound_config_selectorIN6thrust23THRUST_200600_302600_NS5tupleIiiNS6_9null_typeES8_S8_S8_S8_S8_S8_S8_EElEEZNS1_14transform_implILb0ES3_SA_NS6_6detail15normal_iteratorINS6_7pointerIS9_NS6_11hip_rocprim5par_tENS6_11use_defaultESH_EEEENSD_INSE_IlSG_SH_SH_EEEEZNS1_13binary_searchIS3_SA_NSD_INS6_10device_ptrIS9_EEEESJ_SL_NS1_21lower_bound_search_opENSC_16wrapped_functionINS6_6system6detail7generic6detail18binary_search_lessEbEEEE10hipError_tPvRmT1_T2_T3_mmT4_T5_P12ihipStream_tbEUlRKS9_E_EESY_S12_S13_mS14_S17_bEUlT_E_NS1_11comp_targetILNS1_3genE4ELNS1_11target_archE910ELNS1_3gpuE8ELNS1_3repE0EEENS1_30default_config_static_selectorELNS0_4arch9wavefront6targetE1EEEvS11_
	.globl	_ZN7rocprim17ROCPRIM_400000_NS6detail17trampoline_kernelINS0_14default_configENS1_27lower_bound_config_selectorIN6thrust23THRUST_200600_302600_NS5tupleIiiNS6_9null_typeES8_S8_S8_S8_S8_S8_S8_EElEEZNS1_14transform_implILb0ES3_SA_NS6_6detail15normal_iteratorINS6_7pointerIS9_NS6_11hip_rocprim5par_tENS6_11use_defaultESH_EEEENSD_INSE_IlSG_SH_SH_EEEEZNS1_13binary_searchIS3_SA_NSD_INS6_10device_ptrIS9_EEEESJ_SL_NS1_21lower_bound_search_opENSC_16wrapped_functionINS6_6system6detail7generic6detail18binary_search_lessEbEEEE10hipError_tPvRmT1_T2_T3_mmT4_T5_P12ihipStream_tbEUlRKS9_E_EESY_S12_S13_mS14_S17_bEUlT_E_NS1_11comp_targetILNS1_3genE4ELNS1_11target_archE910ELNS1_3gpuE8ELNS1_3repE0EEENS1_30default_config_static_selectorELNS0_4arch9wavefront6targetE1EEEvS11_
	.p2align	8
	.type	_ZN7rocprim17ROCPRIM_400000_NS6detail17trampoline_kernelINS0_14default_configENS1_27lower_bound_config_selectorIN6thrust23THRUST_200600_302600_NS5tupleIiiNS6_9null_typeES8_S8_S8_S8_S8_S8_S8_EElEEZNS1_14transform_implILb0ES3_SA_NS6_6detail15normal_iteratorINS6_7pointerIS9_NS6_11hip_rocprim5par_tENS6_11use_defaultESH_EEEENSD_INSE_IlSG_SH_SH_EEEEZNS1_13binary_searchIS3_SA_NSD_INS6_10device_ptrIS9_EEEESJ_SL_NS1_21lower_bound_search_opENSC_16wrapped_functionINS6_6system6detail7generic6detail18binary_search_lessEbEEEE10hipError_tPvRmT1_T2_T3_mmT4_T5_P12ihipStream_tbEUlRKS9_E_EESY_S12_S13_mS14_S17_bEUlT_E_NS1_11comp_targetILNS1_3genE4ELNS1_11target_archE910ELNS1_3gpuE8ELNS1_3repE0EEENS1_30default_config_static_selectorELNS0_4arch9wavefront6targetE1EEEvS11_,@function
_ZN7rocprim17ROCPRIM_400000_NS6detail17trampoline_kernelINS0_14default_configENS1_27lower_bound_config_selectorIN6thrust23THRUST_200600_302600_NS5tupleIiiNS6_9null_typeES8_S8_S8_S8_S8_S8_S8_EElEEZNS1_14transform_implILb0ES3_SA_NS6_6detail15normal_iteratorINS6_7pointerIS9_NS6_11hip_rocprim5par_tENS6_11use_defaultESH_EEEENSD_INSE_IlSG_SH_SH_EEEEZNS1_13binary_searchIS3_SA_NSD_INS6_10device_ptrIS9_EEEESJ_SL_NS1_21lower_bound_search_opENSC_16wrapped_functionINS6_6system6detail7generic6detail18binary_search_lessEbEEEE10hipError_tPvRmT1_T2_T3_mmT4_T5_P12ihipStream_tbEUlRKS9_E_EESY_S12_S13_mS14_S17_bEUlT_E_NS1_11comp_targetILNS1_3genE4ELNS1_11target_archE910ELNS1_3gpuE8ELNS1_3repE0EEENS1_30default_config_static_selectorELNS0_4arch9wavefront6targetE1EEEvS11_: ; @_ZN7rocprim17ROCPRIM_400000_NS6detail17trampoline_kernelINS0_14default_configENS1_27lower_bound_config_selectorIN6thrust23THRUST_200600_302600_NS5tupleIiiNS6_9null_typeES8_S8_S8_S8_S8_S8_S8_EElEEZNS1_14transform_implILb0ES3_SA_NS6_6detail15normal_iteratorINS6_7pointerIS9_NS6_11hip_rocprim5par_tENS6_11use_defaultESH_EEEENSD_INSE_IlSG_SH_SH_EEEEZNS1_13binary_searchIS3_SA_NSD_INS6_10device_ptrIS9_EEEESJ_SL_NS1_21lower_bound_search_opENSC_16wrapped_functionINS6_6system6detail7generic6detail18binary_search_lessEbEEEE10hipError_tPvRmT1_T2_T3_mmT4_T5_P12ihipStream_tbEUlRKS9_E_EESY_S12_S13_mS14_S17_bEUlT_E_NS1_11comp_targetILNS1_3genE4ELNS1_11target_archE910ELNS1_3gpuE8ELNS1_3repE0EEENS1_30default_config_static_selectorELNS0_4arch9wavefront6targetE1EEEvS11_
; %bb.0:
	.section	.rodata,"a",@progbits
	.p2align	6, 0x0
	.amdhsa_kernel _ZN7rocprim17ROCPRIM_400000_NS6detail17trampoline_kernelINS0_14default_configENS1_27lower_bound_config_selectorIN6thrust23THRUST_200600_302600_NS5tupleIiiNS6_9null_typeES8_S8_S8_S8_S8_S8_S8_EElEEZNS1_14transform_implILb0ES3_SA_NS6_6detail15normal_iteratorINS6_7pointerIS9_NS6_11hip_rocprim5par_tENS6_11use_defaultESH_EEEENSD_INSE_IlSG_SH_SH_EEEEZNS1_13binary_searchIS3_SA_NSD_INS6_10device_ptrIS9_EEEESJ_SL_NS1_21lower_bound_search_opENSC_16wrapped_functionINS6_6system6detail7generic6detail18binary_search_lessEbEEEE10hipError_tPvRmT1_T2_T3_mmT4_T5_P12ihipStream_tbEUlRKS9_E_EESY_S12_S13_mS14_S17_bEUlT_E_NS1_11comp_targetILNS1_3genE4ELNS1_11target_archE910ELNS1_3gpuE8ELNS1_3repE0EEENS1_30default_config_static_selectorELNS0_4arch9wavefront6targetE1EEEvS11_
		.amdhsa_group_segment_fixed_size 0
		.amdhsa_private_segment_fixed_size 0
		.amdhsa_kernarg_size 56
		.amdhsa_user_sgpr_count 6
		.amdhsa_user_sgpr_private_segment_buffer 1
		.amdhsa_user_sgpr_dispatch_ptr 0
		.amdhsa_user_sgpr_queue_ptr 0
		.amdhsa_user_sgpr_kernarg_segment_ptr 1
		.amdhsa_user_sgpr_dispatch_id 0
		.amdhsa_user_sgpr_flat_scratch_init 0
		.amdhsa_user_sgpr_private_segment_size 0
		.amdhsa_uses_dynamic_stack 0
		.amdhsa_system_sgpr_private_segment_wavefront_offset 0
		.amdhsa_system_sgpr_workgroup_id_x 1
		.amdhsa_system_sgpr_workgroup_id_y 0
		.amdhsa_system_sgpr_workgroup_id_z 0
		.amdhsa_system_sgpr_workgroup_info 0
		.amdhsa_system_vgpr_workitem_id 0
		.amdhsa_next_free_vgpr 1
		.amdhsa_next_free_sgpr 0
		.amdhsa_reserve_vcc 0
		.amdhsa_reserve_flat_scratch 0
		.amdhsa_float_round_mode_32 0
		.amdhsa_float_round_mode_16_64 0
		.amdhsa_float_denorm_mode_32 3
		.amdhsa_float_denorm_mode_16_64 3
		.amdhsa_dx10_clamp 1
		.amdhsa_ieee_mode 1
		.amdhsa_fp16_overflow 0
		.amdhsa_exception_fp_ieee_invalid_op 0
		.amdhsa_exception_fp_denorm_src 0
		.amdhsa_exception_fp_ieee_div_zero 0
		.amdhsa_exception_fp_ieee_overflow 0
		.amdhsa_exception_fp_ieee_underflow 0
		.amdhsa_exception_fp_ieee_inexact 0
		.amdhsa_exception_int_div_zero 0
	.end_amdhsa_kernel
	.section	.text._ZN7rocprim17ROCPRIM_400000_NS6detail17trampoline_kernelINS0_14default_configENS1_27lower_bound_config_selectorIN6thrust23THRUST_200600_302600_NS5tupleIiiNS6_9null_typeES8_S8_S8_S8_S8_S8_S8_EElEEZNS1_14transform_implILb0ES3_SA_NS6_6detail15normal_iteratorINS6_7pointerIS9_NS6_11hip_rocprim5par_tENS6_11use_defaultESH_EEEENSD_INSE_IlSG_SH_SH_EEEEZNS1_13binary_searchIS3_SA_NSD_INS6_10device_ptrIS9_EEEESJ_SL_NS1_21lower_bound_search_opENSC_16wrapped_functionINS6_6system6detail7generic6detail18binary_search_lessEbEEEE10hipError_tPvRmT1_T2_T3_mmT4_T5_P12ihipStream_tbEUlRKS9_E_EESY_S12_S13_mS14_S17_bEUlT_E_NS1_11comp_targetILNS1_3genE4ELNS1_11target_archE910ELNS1_3gpuE8ELNS1_3repE0EEENS1_30default_config_static_selectorELNS0_4arch9wavefront6targetE1EEEvS11_,"axG",@progbits,_ZN7rocprim17ROCPRIM_400000_NS6detail17trampoline_kernelINS0_14default_configENS1_27lower_bound_config_selectorIN6thrust23THRUST_200600_302600_NS5tupleIiiNS6_9null_typeES8_S8_S8_S8_S8_S8_S8_EElEEZNS1_14transform_implILb0ES3_SA_NS6_6detail15normal_iteratorINS6_7pointerIS9_NS6_11hip_rocprim5par_tENS6_11use_defaultESH_EEEENSD_INSE_IlSG_SH_SH_EEEEZNS1_13binary_searchIS3_SA_NSD_INS6_10device_ptrIS9_EEEESJ_SL_NS1_21lower_bound_search_opENSC_16wrapped_functionINS6_6system6detail7generic6detail18binary_search_lessEbEEEE10hipError_tPvRmT1_T2_T3_mmT4_T5_P12ihipStream_tbEUlRKS9_E_EESY_S12_S13_mS14_S17_bEUlT_E_NS1_11comp_targetILNS1_3genE4ELNS1_11target_archE910ELNS1_3gpuE8ELNS1_3repE0EEENS1_30default_config_static_selectorELNS0_4arch9wavefront6targetE1EEEvS11_,comdat
.Lfunc_end433:
	.size	_ZN7rocprim17ROCPRIM_400000_NS6detail17trampoline_kernelINS0_14default_configENS1_27lower_bound_config_selectorIN6thrust23THRUST_200600_302600_NS5tupleIiiNS6_9null_typeES8_S8_S8_S8_S8_S8_S8_EElEEZNS1_14transform_implILb0ES3_SA_NS6_6detail15normal_iteratorINS6_7pointerIS9_NS6_11hip_rocprim5par_tENS6_11use_defaultESH_EEEENSD_INSE_IlSG_SH_SH_EEEEZNS1_13binary_searchIS3_SA_NSD_INS6_10device_ptrIS9_EEEESJ_SL_NS1_21lower_bound_search_opENSC_16wrapped_functionINS6_6system6detail7generic6detail18binary_search_lessEbEEEE10hipError_tPvRmT1_T2_T3_mmT4_T5_P12ihipStream_tbEUlRKS9_E_EESY_S12_S13_mS14_S17_bEUlT_E_NS1_11comp_targetILNS1_3genE4ELNS1_11target_archE910ELNS1_3gpuE8ELNS1_3repE0EEENS1_30default_config_static_selectorELNS0_4arch9wavefront6targetE1EEEvS11_, .Lfunc_end433-_ZN7rocprim17ROCPRIM_400000_NS6detail17trampoline_kernelINS0_14default_configENS1_27lower_bound_config_selectorIN6thrust23THRUST_200600_302600_NS5tupleIiiNS6_9null_typeES8_S8_S8_S8_S8_S8_S8_EElEEZNS1_14transform_implILb0ES3_SA_NS6_6detail15normal_iteratorINS6_7pointerIS9_NS6_11hip_rocprim5par_tENS6_11use_defaultESH_EEEENSD_INSE_IlSG_SH_SH_EEEEZNS1_13binary_searchIS3_SA_NSD_INS6_10device_ptrIS9_EEEESJ_SL_NS1_21lower_bound_search_opENSC_16wrapped_functionINS6_6system6detail7generic6detail18binary_search_lessEbEEEE10hipError_tPvRmT1_T2_T3_mmT4_T5_P12ihipStream_tbEUlRKS9_E_EESY_S12_S13_mS14_S17_bEUlT_E_NS1_11comp_targetILNS1_3genE4ELNS1_11target_archE910ELNS1_3gpuE8ELNS1_3repE0EEENS1_30default_config_static_selectorELNS0_4arch9wavefront6targetE1EEEvS11_
                                        ; -- End function
	.set _ZN7rocprim17ROCPRIM_400000_NS6detail17trampoline_kernelINS0_14default_configENS1_27lower_bound_config_selectorIN6thrust23THRUST_200600_302600_NS5tupleIiiNS6_9null_typeES8_S8_S8_S8_S8_S8_S8_EElEEZNS1_14transform_implILb0ES3_SA_NS6_6detail15normal_iteratorINS6_7pointerIS9_NS6_11hip_rocprim5par_tENS6_11use_defaultESH_EEEENSD_INSE_IlSG_SH_SH_EEEEZNS1_13binary_searchIS3_SA_NSD_INS6_10device_ptrIS9_EEEESJ_SL_NS1_21lower_bound_search_opENSC_16wrapped_functionINS6_6system6detail7generic6detail18binary_search_lessEbEEEE10hipError_tPvRmT1_T2_T3_mmT4_T5_P12ihipStream_tbEUlRKS9_E_EESY_S12_S13_mS14_S17_bEUlT_E_NS1_11comp_targetILNS1_3genE4ELNS1_11target_archE910ELNS1_3gpuE8ELNS1_3repE0EEENS1_30default_config_static_selectorELNS0_4arch9wavefront6targetE1EEEvS11_.num_vgpr, 0
	.set _ZN7rocprim17ROCPRIM_400000_NS6detail17trampoline_kernelINS0_14default_configENS1_27lower_bound_config_selectorIN6thrust23THRUST_200600_302600_NS5tupleIiiNS6_9null_typeES8_S8_S8_S8_S8_S8_S8_EElEEZNS1_14transform_implILb0ES3_SA_NS6_6detail15normal_iteratorINS6_7pointerIS9_NS6_11hip_rocprim5par_tENS6_11use_defaultESH_EEEENSD_INSE_IlSG_SH_SH_EEEEZNS1_13binary_searchIS3_SA_NSD_INS6_10device_ptrIS9_EEEESJ_SL_NS1_21lower_bound_search_opENSC_16wrapped_functionINS6_6system6detail7generic6detail18binary_search_lessEbEEEE10hipError_tPvRmT1_T2_T3_mmT4_T5_P12ihipStream_tbEUlRKS9_E_EESY_S12_S13_mS14_S17_bEUlT_E_NS1_11comp_targetILNS1_3genE4ELNS1_11target_archE910ELNS1_3gpuE8ELNS1_3repE0EEENS1_30default_config_static_selectorELNS0_4arch9wavefront6targetE1EEEvS11_.num_agpr, 0
	.set _ZN7rocprim17ROCPRIM_400000_NS6detail17trampoline_kernelINS0_14default_configENS1_27lower_bound_config_selectorIN6thrust23THRUST_200600_302600_NS5tupleIiiNS6_9null_typeES8_S8_S8_S8_S8_S8_S8_EElEEZNS1_14transform_implILb0ES3_SA_NS6_6detail15normal_iteratorINS6_7pointerIS9_NS6_11hip_rocprim5par_tENS6_11use_defaultESH_EEEENSD_INSE_IlSG_SH_SH_EEEEZNS1_13binary_searchIS3_SA_NSD_INS6_10device_ptrIS9_EEEESJ_SL_NS1_21lower_bound_search_opENSC_16wrapped_functionINS6_6system6detail7generic6detail18binary_search_lessEbEEEE10hipError_tPvRmT1_T2_T3_mmT4_T5_P12ihipStream_tbEUlRKS9_E_EESY_S12_S13_mS14_S17_bEUlT_E_NS1_11comp_targetILNS1_3genE4ELNS1_11target_archE910ELNS1_3gpuE8ELNS1_3repE0EEENS1_30default_config_static_selectorELNS0_4arch9wavefront6targetE1EEEvS11_.numbered_sgpr, 0
	.set _ZN7rocprim17ROCPRIM_400000_NS6detail17trampoline_kernelINS0_14default_configENS1_27lower_bound_config_selectorIN6thrust23THRUST_200600_302600_NS5tupleIiiNS6_9null_typeES8_S8_S8_S8_S8_S8_S8_EElEEZNS1_14transform_implILb0ES3_SA_NS6_6detail15normal_iteratorINS6_7pointerIS9_NS6_11hip_rocprim5par_tENS6_11use_defaultESH_EEEENSD_INSE_IlSG_SH_SH_EEEEZNS1_13binary_searchIS3_SA_NSD_INS6_10device_ptrIS9_EEEESJ_SL_NS1_21lower_bound_search_opENSC_16wrapped_functionINS6_6system6detail7generic6detail18binary_search_lessEbEEEE10hipError_tPvRmT1_T2_T3_mmT4_T5_P12ihipStream_tbEUlRKS9_E_EESY_S12_S13_mS14_S17_bEUlT_E_NS1_11comp_targetILNS1_3genE4ELNS1_11target_archE910ELNS1_3gpuE8ELNS1_3repE0EEENS1_30default_config_static_selectorELNS0_4arch9wavefront6targetE1EEEvS11_.num_named_barrier, 0
	.set _ZN7rocprim17ROCPRIM_400000_NS6detail17trampoline_kernelINS0_14default_configENS1_27lower_bound_config_selectorIN6thrust23THRUST_200600_302600_NS5tupleIiiNS6_9null_typeES8_S8_S8_S8_S8_S8_S8_EElEEZNS1_14transform_implILb0ES3_SA_NS6_6detail15normal_iteratorINS6_7pointerIS9_NS6_11hip_rocprim5par_tENS6_11use_defaultESH_EEEENSD_INSE_IlSG_SH_SH_EEEEZNS1_13binary_searchIS3_SA_NSD_INS6_10device_ptrIS9_EEEESJ_SL_NS1_21lower_bound_search_opENSC_16wrapped_functionINS6_6system6detail7generic6detail18binary_search_lessEbEEEE10hipError_tPvRmT1_T2_T3_mmT4_T5_P12ihipStream_tbEUlRKS9_E_EESY_S12_S13_mS14_S17_bEUlT_E_NS1_11comp_targetILNS1_3genE4ELNS1_11target_archE910ELNS1_3gpuE8ELNS1_3repE0EEENS1_30default_config_static_selectorELNS0_4arch9wavefront6targetE1EEEvS11_.private_seg_size, 0
	.set _ZN7rocprim17ROCPRIM_400000_NS6detail17trampoline_kernelINS0_14default_configENS1_27lower_bound_config_selectorIN6thrust23THRUST_200600_302600_NS5tupleIiiNS6_9null_typeES8_S8_S8_S8_S8_S8_S8_EElEEZNS1_14transform_implILb0ES3_SA_NS6_6detail15normal_iteratorINS6_7pointerIS9_NS6_11hip_rocprim5par_tENS6_11use_defaultESH_EEEENSD_INSE_IlSG_SH_SH_EEEEZNS1_13binary_searchIS3_SA_NSD_INS6_10device_ptrIS9_EEEESJ_SL_NS1_21lower_bound_search_opENSC_16wrapped_functionINS6_6system6detail7generic6detail18binary_search_lessEbEEEE10hipError_tPvRmT1_T2_T3_mmT4_T5_P12ihipStream_tbEUlRKS9_E_EESY_S12_S13_mS14_S17_bEUlT_E_NS1_11comp_targetILNS1_3genE4ELNS1_11target_archE910ELNS1_3gpuE8ELNS1_3repE0EEENS1_30default_config_static_selectorELNS0_4arch9wavefront6targetE1EEEvS11_.uses_vcc, 0
	.set _ZN7rocprim17ROCPRIM_400000_NS6detail17trampoline_kernelINS0_14default_configENS1_27lower_bound_config_selectorIN6thrust23THRUST_200600_302600_NS5tupleIiiNS6_9null_typeES8_S8_S8_S8_S8_S8_S8_EElEEZNS1_14transform_implILb0ES3_SA_NS6_6detail15normal_iteratorINS6_7pointerIS9_NS6_11hip_rocprim5par_tENS6_11use_defaultESH_EEEENSD_INSE_IlSG_SH_SH_EEEEZNS1_13binary_searchIS3_SA_NSD_INS6_10device_ptrIS9_EEEESJ_SL_NS1_21lower_bound_search_opENSC_16wrapped_functionINS6_6system6detail7generic6detail18binary_search_lessEbEEEE10hipError_tPvRmT1_T2_T3_mmT4_T5_P12ihipStream_tbEUlRKS9_E_EESY_S12_S13_mS14_S17_bEUlT_E_NS1_11comp_targetILNS1_3genE4ELNS1_11target_archE910ELNS1_3gpuE8ELNS1_3repE0EEENS1_30default_config_static_selectorELNS0_4arch9wavefront6targetE1EEEvS11_.uses_flat_scratch, 0
	.set _ZN7rocprim17ROCPRIM_400000_NS6detail17trampoline_kernelINS0_14default_configENS1_27lower_bound_config_selectorIN6thrust23THRUST_200600_302600_NS5tupleIiiNS6_9null_typeES8_S8_S8_S8_S8_S8_S8_EElEEZNS1_14transform_implILb0ES3_SA_NS6_6detail15normal_iteratorINS6_7pointerIS9_NS6_11hip_rocprim5par_tENS6_11use_defaultESH_EEEENSD_INSE_IlSG_SH_SH_EEEEZNS1_13binary_searchIS3_SA_NSD_INS6_10device_ptrIS9_EEEESJ_SL_NS1_21lower_bound_search_opENSC_16wrapped_functionINS6_6system6detail7generic6detail18binary_search_lessEbEEEE10hipError_tPvRmT1_T2_T3_mmT4_T5_P12ihipStream_tbEUlRKS9_E_EESY_S12_S13_mS14_S17_bEUlT_E_NS1_11comp_targetILNS1_3genE4ELNS1_11target_archE910ELNS1_3gpuE8ELNS1_3repE0EEENS1_30default_config_static_selectorELNS0_4arch9wavefront6targetE1EEEvS11_.has_dyn_sized_stack, 0
	.set _ZN7rocprim17ROCPRIM_400000_NS6detail17trampoline_kernelINS0_14default_configENS1_27lower_bound_config_selectorIN6thrust23THRUST_200600_302600_NS5tupleIiiNS6_9null_typeES8_S8_S8_S8_S8_S8_S8_EElEEZNS1_14transform_implILb0ES3_SA_NS6_6detail15normal_iteratorINS6_7pointerIS9_NS6_11hip_rocprim5par_tENS6_11use_defaultESH_EEEENSD_INSE_IlSG_SH_SH_EEEEZNS1_13binary_searchIS3_SA_NSD_INS6_10device_ptrIS9_EEEESJ_SL_NS1_21lower_bound_search_opENSC_16wrapped_functionINS6_6system6detail7generic6detail18binary_search_lessEbEEEE10hipError_tPvRmT1_T2_T3_mmT4_T5_P12ihipStream_tbEUlRKS9_E_EESY_S12_S13_mS14_S17_bEUlT_E_NS1_11comp_targetILNS1_3genE4ELNS1_11target_archE910ELNS1_3gpuE8ELNS1_3repE0EEENS1_30default_config_static_selectorELNS0_4arch9wavefront6targetE1EEEvS11_.has_recursion, 0
	.set _ZN7rocprim17ROCPRIM_400000_NS6detail17trampoline_kernelINS0_14default_configENS1_27lower_bound_config_selectorIN6thrust23THRUST_200600_302600_NS5tupleIiiNS6_9null_typeES8_S8_S8_S8_S8_S8_S8_EElEEZNS1_14transform_implILb0ES3_SA_NS6_6detail15normal_iteratorINS6_7pointerIS9_NS6_11hip_rocprim5par_tENS6_11use_defaultESH_EEEENSD_INSE_IlSG_SH_SH_EEEEZNS1_13binary_searchIS3_SA_NSD_INS6_10device_ptrIS9_EEEESJ_SL_NS1_21lower_bound_search_opENSC_16wrapped_functionINS6_6system6detail7generic6detail18binary_search_lessEbEEEE10hipError_tPvRmT1_T2_T3_mmT4_T5_P12ihipStream_tbEUlRKS9_E_EESY_S12_S13_mS14_S17_bEUlT_E_NS1_11comp_targetILNS1_3genE4ELNS1_11target_archE910ELNS1_3gpuE8ELNS1_3repE0EEENS1_30default_config_static_selectorELNS0_4arch9wavefront6targetE1EEEvS11_.has_indirect_call, 0
	.section	.AMDGPU.csdata,"",@progbits
; Kernel info:
; codeLenInByte = 0
; TotalNumSgprs: 4
; NumVgprs: 0
; ScratchSize: 0
; MemoryBound: 0
; FloatMode: 240
; IeeeMode: 1
; LDSByteSize: 0 bytes/workgroup (compile time only)
; SGPRBlocks: 0
; VGPRBlocks: 0
; NumSGPRsForWavesPerEU: 4
; NumVGPRsForWavesPerEU: 1
; Occupancy: 10
; WaveLimiterHint : 0
; COMPUTE_PGM_RSRC2:SCRATCH_EN: 0
; COMPUTE_PGM_RSRC2:USER_SGPR: 6
; COMPUTE_PGM_RSRC2:TRAP_HANDLER: 0
; COMPUTE_PGM_RSRC2:TGID_X_EN: 1
; COMPUTE_PGM_RSRC2:TGID_Y_EN: 0
; COMPUTE_PGM_RSRC2:TGID_Z_EN: 0
; COMPUTE_PGM_RSRC2:TIDIG_COMP_CNT: 0
	.section	.text._ZN7rocprim17ROCPRIM_400000_NS6detail17trampoline_kernelINS0_14default_configENS1_27lower_bound_config_selectorIN6thrust23THRUST_200600_302600_NS5tupleIiiNS6_9null_typeES8_S8_S8_S8_S8_S8_S8_EElEEZNS1_14transform_implILb0ES3_SA_NS6_6detail15normal_iteratorINS6_7pointerIS9_NS6_11hip_rocprim5par_tENS6_11use_defaultESH_EEEENSD_INSE_IlSG_SH_SH_EEEEZNS1_13binary_searchIS3_SA_NSD_INS6_10device_ptrIS9_EEEESJ_SL_NS1_21lower_bound_search_opENSC_16wrapped_functionINS6_6system6detail7generic6detail18binary_search_lessEbEEEE10hipError_tPvRmT1_T2_T3_mmT4_T5_P12ihipStream_tbEUlRKS9_E_EESY_S12_S13_mS14_S17_bEUlT_E_NS1_11comp_targetILNS1_3genE3ELNS1_11target_archE908ELNS1_3gpuE7ELNS1_3repE0EEENS1_30default_config_static_selectorELNS0_4arch9wavefront6targetE1EEEvS11_,"axG",@progbits,_ZN7rocprim17ROCPRIM_400000_NS6detail17trampoline_kernelINS0_14default_configENS1_27lower_bound_config_selectorIN6thrust23THRUST_200600_302600_NS5tupleIiiNS6_9null_typeES8_S8_S8_S8_S8_S8_S8_EElEEZNS1_14transform_implILb0ES3_SA_NS6_6detail15normal_iteratorINS6_7pointerIS9_NS6_11hip_rocprim5par_tENS6_11use_defaultESH_EEEENSD_INSE_IlSG_SH_SH_EEEEZNS1_13binary_searchIS3_SA_NSD_INS6_10device_ptrIS9_EEEESJ_SL_NS1_21lower_bound_search_opENSC_16wrapped_functionINS6_6system6detail7generic6detail18binary_search_lessEbEEEE10hipError_tPvRmT1_T2_T3_mmT4_T5_P12ihipStream_tbEUlRKS9_E_EESY_S12_S13_mS14_S17_bEUlT_E_NS1_11comp_targetILNS1_3genE3ELNS1_11target_archE908ELNS1_3gpuE7ELNS1_3repE0EEENS1_30default_config_static_selectorELNS0_4arch9wavefront6targetE1EEEvS11_,comdat
	.protected	_ZN7rocprim17ROCPRIM_400000_NS6detail17trampoline_kernelINS0_14default_configENS1_27lower_bound_config_selectorIN6thrust23THRUST_200600_302600_NS5tupleIiiNS6_9null_typeES8_S8_S8_S8_S8_S8_S8_EElEEZNS1_14transform_implILb0ES3_SA_NS6_6detail15normal_iteratorINS6_7pointerIS9_NS6_11hip_rocprim5par_tENS6_11use_defaultESH_EEEENSD_INSE_IlSG_SH_SH_EEEEZNS1_13binary_searchIS3_SA_NSD_INS6_10device_ptrIS9_EEEESJ_SL_NS1_21lower_bound_search_opENSC_16wrapped_functionINS6_6system6detail7generic6detail18binary_search_lessEbEEEE10hipError_tPvRmT1_T2_T3_mmT4_T5_P12ihipStream_tbEUlRKS9_E_EESY_S12_S13_mS14_S17_bEUlT_E_NS1_11comp_targetILNS1_3genE3ELNS1_11target_archE908ELNS1_3gpuE7ELNS1_3repE0EEENS1_30default_config_static_selectorELNS0_4arch9wavefront6targetE1EEEvS11_ ; -- Begin function _ZN7rocprim17ROCPRIM_400000_NS6detail17trampoline_kernelINS0_14default_configENS1_27lower_bound_config_selectorIN6thrust23THRUST_200600_302600_NS5tupleIiiNS6_9null_typeES8_S8_S8_S8_S8_S8_S8_EElEEZNS1_14transform_implILb0ES3_SA_NS6_6detail15normal_iteratorINS6_7pointerIS9_NS6_11hip_rocprim5par_tENS6_11use_defaultESH_EEEENSD_INSE_IlSG_SH_SH_EEEEZNS1_13binary_searchIS3_SA_NSD_INS6_10device_ptrIS9_EEEESJ_SL_NS1_21lower_bound_search_opENSC_16wrapped_functionINS6_6system6detail7generic6detail18binary_search_lessEbEEEE10hipError_tPvRmT1_T2_T3_mmT4_T5_P12ihipStream_tbEUlRKS9_E_EESY_S12_S13_mS14_S17_bEUlT_E_NS1_11comp_targetILNS1_3genE3ELNS1_11target_archE908ELNS1_3gpuE7ELNS1_3repE0EEENS1_30default_config_static_selectorELNS0_4arch9wavefront6targetE1EEEvS11_
	.globl	_ZN7rocprim17ROCPRIM_400000_NS6detail17trampoline_kernelINS0_14default_configENS1_27lower_bound_config_selectorIN6thrust23THRUST_200600_302600_NS5tupleIiiNS6_9null_typeES8_S8_S8_S8_S8_S8_S8_EElEEZNS1_14transform_implILb0ES3_SA_NS6_6detail15normal_iteratorINS6_7pointerIS9_NS6_11hip_rocprim5par_tENS6_11use_defaultESH_EEEENSD_INSE_IlSG_SH_SH_EEEEZNS1_13binary_searchIS3_SA_NSD_INS6_10device_ptrIS9_EEEESJ_SL_NS1_21lower_bound_search_opENSC_16wrapped_functionINS6_6system6detail7generic6detail18binary_search_lessEbEEEE10hipError_tPvRmT1_T2_T3_mmT4_T5_P12ihipStream_tbEUlRKS9_E_EESY_S12_S13_mS14_S17_bEUlT_E_NS1_11comp_targetILNS1_3genE3ELNS1_11target_archE908ELNS1_3gpuE7ELNS1_3repE0EEENS1_30default_config_static_selectorELNS0_4arch9wavefront6targetE1EEEvS11_
	.p2align	8
	.type	_ZN7rocprim17ROCPRIM_400000_NS6detail17trampoline_kernelINS0_14default_configENS1_27lower_bound_config_selectorIN6thrust23THRUST_200600_302600_NS5tupleIiiNS6_9null_typeES8_S8_S8_S8_S8_S8_S8_EElEEZNS1_14transform_implILb0ES3_SA_NS6_6detail15normal_iteratorINS6_7pointerIS9_NS6_11hip_rocprim5par_tENS6_11use_defaultESH_EEEENSD_INSE_IlSG_SH_SH_EEEEZNS1_13binary_searchIS3_SA_NSD_INS6_10device_ptrIS9_EEEESJ_SL_NS1_21lower_bound_search_opENSC_16wrapped_functionINS6_6system6detail7generic6detail18binary_search_lessEbEEEE10hipError_tPvRmT1_T2_T3_mmT4_T5_P12ihipStream_tbEUlRKS9_E_EESY_S12_S13_mS14_S17_bEUlT_E_NS1_11comp_targetILNS1_3genE3ELNS1_11target_archE908ELNS1_3gpuE7ELNS1_3repE0EEENS1_30default_config_static_selectorELNS0_4arch9wavefront6targetE1EEEvS11_,@function
_ZN7rocprim17ROCPRIM_400000_NS6detail17trampoline_kernelINS0_14default_configENS1_27lower_bound_config_selectorIN6thrust23THRUST_200600_302600_NS5tupleIiiNS6_9null_typeES8_S8_S8_S8_S8_S8_S8_EElEEZNS1_14transform_implILb0ES3_SA_NS6_6detail15normal_iteratorINS6_7pointerIS9_NS6_11hip_rocprim5par_tENS6_11use_defaultESH_EEEENSD_INSE_IlSG_SH_SH_EEEEZNS1_13binary_searchIS3_SA_NSD_INS6_10device_ptrIS9_EEEESJ_SL_NS1_21lower_bound_search_opENSC_16wrapped_functionINS6_6system6detail7generic6detail18binary_search_lessEbEEEE10hipError_tPvRmT1_T2_T3_mmT4_T5_P12ihipStream_tbEUlRKS9_E_EESY_S12_S13_mS14_S17_bEUlT_E_NS1_11comp_targetILNS1_3genE3ELNS1_11target_archE908ELNS1_3gpuE7ELNS1_3repE0EEENS1_30default_config_static_selectorELNS0_4arch9wavefront6targetE1EEEvS11_: ; @_ZN7rocprim17ROCPRIM_400000_NS6detail17trampoline_kernelINS0_14default_configENS1_27lower_bound_config_selectorIN6thrust23THRUST_200600_302600_NS5tupleIiiNS6_9null_typeES8_S8_S8_S8_S8_S8_S8_EElEEZNS1_14transform_implILb0ES3_SA_NS6_6detail15normal_iteratorINS6_7pointerIS9_NS6_11hip_rocprim5par_tENS6_11use_defaultESH_EEEENSD_INSE_IlSG_SH_SH_EEEEZNS1_13binary_searchIS3_SA_NSD_INS6_10device_ptrIS9_EEEESJ_SL_NS1_21lower_bound_search_opENSC_16wrapped_functionINS6_6system6detail7generic6detail18binary_search_lessEbEEEE10hipError_tPvRmT1_T2_T3_mmT4_T5_P12ihipStream_tbEUlRKS9_E_EESY_S12_S13_mS14_S17_bEUlT_E_NS1_11comp_targetILNS1_3genE3ELNS1_11target_archE908ELNS1_3gpuE7ELNS1_3repE0EEENS1_30default_config_static_selectorELNS0_4arch9wavefront6targetE1EEEvS11_
; %bb.0:
	.section	.rodata,"a",@progbits
	.p2align	6, 0x0
	.amdhsa_kernel _ZN7rocprim17ROCPRIM_400000_NS6detail17trampoline_kernelINS0_14default_configENS1_27lower_bound_config_selectorIN6thrust23THRUST_200600_302600_NS5tupleIiiNS6_9null_typeES8_S8_S8_S8_S8_S8_S8_EElEEZNS1_14transform_implILb0ES3_SA_NS6_6detail15normal_iteratorINS6_7pointerIS9_NS6_11hip_rocprim5par_tENS6_11use_defaultESH_EEEENSD_INSE_IlSG_SH_SH_EEEEZNS1_13binary_searchIS3_SA_NSD_INS6_10device_ptrIS9_EEEESJ_SL_NS1_21lower_bound_search_opENSC_16wrapped_functionINS6_6system6detail7generic6detail18binary_search_lessEbEEEE10hipError_tPvRmT1_T2_T3_mmT4_T5_P12ihipStream_tbEUlRKS9_E_EESY_S12_S13_mS14_S17_bEUlT_E_NS1_11comp_targetILNS1_3genE3ELNS1_11target_archE908ELNS1_3gpuE7ELNS1_3repE0EEENS1_30default_config_static_selectorELNS0_4arch9wavefront6targetE1EEEvS11_
		.amdhsa_group_segment_fixed_size 0
		.amdhsa_private_segment_fixed_size 0
		.amdhsa_kernarg_size 56
		.amdhsa_user_sgpr_count 6
		.amdhsa_user_sgpr_private_segment_buffer 1
		.amdhsa_user_sgpr_dispatch_ptr 0
		.amdhsa_user_sgpr_queue_ptr 0
		.amdhsa_user_sgpr_kernarg_segment_ptr 1
		.amdhsa_user_sgpr_dispatch_id 0
		.amdhsa_user_sgpr_flat_scratch_init 0
		.amdhsa_user_sgpr_private_segment_size 0
		.amdhsa_uses_dynamic_stack 0
		.amdhsa_system_sgpr_private_segment_wavefront_offset 0
		.amdhsa_system_sgpr_workgroup_id_x 1
		.amdhsa_system_sgpr_workgroup_id_y 0
		.amdhsa_system_sgpr_workgroup_id_z 0
		.amdhsa_system_sgpr_workgroup_info 0
		.amdhsa_system_vgpr_workitem_id 0
		.amdhsa_next_free_vgpr 1
		.amdhsa_next_free_sgpr 0
		.amdhsa_reserve_vcc 0
		.amdhsa_reserve_flat_scratch 0
		.amdhsa_float_round_mode_32 0
		.amdhsa_float_round_mode_16_64 0
		.amdhsa_float_denorm_mode_32 3
		.amdhsa_float_denorm_mode_16_64 3
		.amdhsa_dx10_clamp 1
		.amdhsa_ieee_mode 1
		.amdhsa_fp16_overflow 0
		.amdhsa_exception_fp_ieee_invalid_op 0
		.amdhsa_exception_fp_denorm_src 0
		.amdhsa_exception_fp_ieee_div_zero 0
		.amdhsa_exception_fp_ieee_overflow 0
		.amdhsa_exception_fp_ieee_underflow 0
		.amdhsa_exception_fp_ieee_inexact 0
		.amdhsa_exception_int_div_zero 0
	.end_amdhsa_kernel
	.section	.text._ZN7rocprim17ROCPRIM_400000_NS6detail17trampoline_kernelINS0_14default_configENS1_27lower_bound_config_selectorIN6thrust23THRUST_200600_302600_NS5tupleIiiNS6_9null_typeES8_S8_S8_S8_S8_S8_S8_EElEEZNS1_14transform_implILb0ES3_SA_NS6_6detail15normal_iteratorINS6_7pointerIS9_NS6_11hip_rocprim5par_tENS6_11use_defaultESH_EEEENSD_INSE_IlSG_SH_SH_EEEEZNS1_13binary_searchIS3_SA_NSD_INS6_10device_ptrIS9_EEEESJ_SL_NS1_21lower_bound_search_opENSC_16wrapped_functionINS6_6system6detail7generic6detail18binary_search_lessEbEEEE10hipError_tPvRmT1_T2_T3_mmT4_T5_P12ihipStream_tbEUlRKS9_E_EESY_S12_S13_mS14_S17_bEUlT_E_NS1_11comp_targetILNS1_3genE3ELNS1_11target_archE908ELNS1_3gpuE7ELNS1_3repE0EEENS1_30default_config_static_selectorELNS0_4arch9wavefront6targetE1EEEvS11_,"axG",@progbits,_ZN7rocprim17ROCPRIM_400000_NS6detail17trampoline_kernelINS0_14default_configENS1_27lower_bound_config_selectorIN6thrust23THRUST_200600_302600_NS5tupleIiiNS6_9null_typeES8_S8_S8_S8_S8_S8_S8_EElEEZNS1_14transform_implILb0ES3_SA_NS6_6detail15normal_iteratorINS6_7pointerIS9_NS6_11hip_rocprim5par_tENS6_11use_defaultESH_EEEENSD_INSE_IlSG_SH_SH_EEEEZNS1_13binary_searchIS3_SA_NSD_INS6_10device_ptrIS9_EEEESJ_SL_NS1_21lower_bound_search_opENSC_16wrapped_functionINS6_6system6detail7generic6detail18binary_search_lessEbEEEE10hipError_tPvRmT1_T2_T3_mmT4_T5_P12ihipStream_tbEUlRKS9_E_EESY_S12_S13_mS14_S17_bEUlT_E_NS1_11comp_targetILNS1_3genE3ELNS1_11target_archE908ELNS1_3gpuE7ELNS1_3repE0EEENS1_30default_config_static_selectorELNS0_4arch9wavefront6targetE1EEEvS11_,comdat
.Lfunc_end434:
	.size	_ZN7rocprim17ROCPRIM_400000_NS6detail17trampoline_kernelINS0_14default_configENS1_27lower_bound_config_selectorIN6thrust23THRUST_200600_302600_NS5tupleIiiNS6_9null_typeES8_S8_S8_S8_S8_S8_S8_EElEEZNS1_14transform_implILb0ES3_SA_NS6_6detail15normal_iteratorINS6_7pointerIS9_NS6_11hip_rocprim5par_tENS6_11use_defaultESH_EEEENSD_INSE_IlSG_SH_SH_EEEEZNS1_13binary_searchIS3_SA_NSD_INS6_10device_ptrIS9_EEEESJ_SL_NS1_21lower_bound_search_opENSC_16wrapped_functionINS6_6system6detail7generic6detail18binary_search_lessEbEEEE10hipError_tPvRmT1_T2_T3_mmT4_T5_P12ihipStream_tbEUlRKS9_E_EESY_S12_S13_mS14_S17_bEUlT_E_NS1_11comp_targetILNS1_3genE3ELNS1_11target_archE908ELNS1_3gpuE7ELNS1_3repE0EEENS1_30default_config_static_selectorELNS0_4arch9wavefront6targetE1EEEvS11_, .Lfunc_end434-_ZN7rocprim17ROCPRIM_400000_NS6detail17trampoline_kernelINS0_14default_configENS1_27lower_bound_config_selectorIN6thrust23THRUST_200600_302600_NS5tupleIiiNS6_9null_typeES8_S8_S8_S8_S8_S8_S8_EElEEZNS1_14transform_implILb0ES3_SA_NS6_6detail15normal_iteratorINS6_7pointerIS9_NS6_11hip_rocprim5par_tENS6_11use_defaultESH_EEEENSD_INSE_IlSG_SH_SH_EEEEZNS1_13binary_searchIS3_SA_NSD_INS6_10device_ptrIS9_EEEESJ_SL_NS1_21lower_bound_search_opENSC_16wrapped_functionINS6_6system6detail7generic6detail18binary_search_lessEbEEEE10hipError_tPvRmT1_T2_T3_mmT4_T5_P12ihipStream_tbEUlRKS9_E_EESY_S12_S13_mS14_S17_bEUlT_E_NS1_11comp_targetILNS1_3genE3ELNS1_11target_archE908ELNS1_3gpuE7ELNS1_3repE0EEENS1_30default_config_static_selectorELNS0_4arch9wavefront6targetE1EEEvS11_
                                        ; -- End function
	.set _ZN7rocprim17ROCPRIM_400000_NS6detail17trampoline_kernelINS0_14default_configENS1_27lower_bound_config_selectorIN6thrust23THRUST_200600_302600_NS5tupleIiiNS6_9null_typeES8_S8_S8_S8_S8_S8_S8_EElEEZNS1_14transform_implILb0ES3_SA_NS6_6detail15normal_iteratorINS6_7pointerIS9_NS6_11hip_rocprim5par_tENS6_11use_defaultESH_EEEENSD_INSE_IlSG_SH_SH_EEEEZNS1_13binary_searchIS3_SA_NSD_INS6_10device_ptrIS9_EEEESJ_SL_NS1_21lower_bound_search_opENSC_16wrapped_functionINS6_6system6detail7generic6detail18binary_search_lessEbEEEE10hipError_tPvRmT1_T2_T3_mmT4_T5_P12ihipStream_tbEUlRKS9_E_EESY_S12_S13_mS14_S17_bEUlT_E_NS1_11comp_targetILNS1_3genE3ELNS1_11target_archE908ELNS1_3gpuE7ELNS1_3repE0EEENS1_30default_config_static_selectorELNS0_4arch9wavefront6targetE1EEEvS11_.num_vgpr, 0
	.set _ZN7rocprim17ROCPRIM_400000_NS6detail17trampoline_kernelINS0_14default_configENS1_27lower_bound_config_selectorIN6thrust23THRUST_200600_302600_NS5tupleIiiNS6_9null_typeES8_S8_S8_S8_S8_S8_S8_EElEEZNS1_14transform_implILb0ES3_SA_NS6_6detail15normal_iteratorINS6_7pointerIS9_NS6_11hip_rocprim5par_tENS6_11use_defaultESH_EEEENSD_INSE_IlSG_SH_SH_EEEEZNS1_13binary_searchIS3_SA_NSD_INS6_10device_ptrIS9_EEEESJ_SL_NS1_21lower_bound_search_opENSC_16wrapped_functionINS6_6system6detail7generic6detail18binary_search_lessEbEEEE10hipError_tPvRmT1_T2_T3_mmT4_T5_P12ihipStream_tbEUlRKS9_E_EESY_S12_S13_mS14_S17_bEUlT_E_NS1_11comp_targetILNS1_3genE3ELNS1_11target_archE908ELNS1_3gpuE7ELNS1_3repE0EEENS1_30default_config_static_selectorELNS0_4arch9wavefront6targetE1EEEvS11_.num_agpr, 0
	.set _ZN7rocprim17ROCPRIM_400000_NS6detail17trampoline_kernelINS0_14default_configENS1_27lower_bound_config_selectorIN6thrust23THRUST_200600_302600_NS5tupleIiiNS6_9null_typeES8_S8_S8_S8_S8_S8_S8_EElEEZNS1_14transform_implILb0ES3_SA_NS6_6detail15normal_iteratorINS6_7pointerIS9_NS6_11hip_rocprim5par_tENS6_11use_defaultESH_EEEENSD_INSE_IlSG_SH_SH_EEEEZNS1_13binary_searchIS3_SA_NSD_INS6_10device_ptrIS9_EEEESJ_SL_NS1_21lower_bound_search_opENSC_16wrapped_functionINS6_6system6detail7generic6detail18binary_search_lessEbEEEE10hipError_tPvRmT1_T2_T3_mmT4_T5_P12ihipStream_tbEUlRKS9_E_EESY_S12_S13_mS14_S17_bEUlT_E_NS1_11comp_targetILNS1_3genE3ELNS1_11target_archE908ELNS1_3gpuE7ELNS1_3repE0EEENS1_30default_config_static_selectorELNS0_4arch9wavefront6targetE1EEEvS11_.numbered_sgpr, 0
	.set _ZN7rocprim17ROCPRIM_400000_NS6detail17trampoline_kernelINS0_14default_configENS1_27lower_bound_config_selectorIN6thrust23THRUST_200600_302600_NS5tupleIiiNS6_9null_typeES8_S8_S8_S8_S8_S8_S8_EElEEZNS1_14transform_implILb0ES3_SA_NS6_6detail15normal_iteratorINS6_7pointerIS9_NS6_11hip_rocprim5par_tENS6_11use_defaultESH_EEEENSD_INSE_IlSG_SH_SH_EEEEZNS1_13binary_searchIS3_SA_NSD_INS6_10device_ptrIS9_EEEESJ_SL_NS1_21lower_bound_search_opENSC_16wrapped_functionINS6_6system6detail7generic6detail18binary_search_lessEbEEEE10hipError_tPvRmT1_T2_T3_mmT4_T5_P12ihipStream_tbEUlRKS9_E_EESY_S12_S13_mS14_S17_bEUlT_E_NS1_11comp_targetILNS1_3genE3ELNS1_11target_archE908ELNS1_3gpuE7ELNS1_3repE0EEENS1_30default_config_static_selectorELNS0_4arch9wavefront6targetE1EEEvS11_.num_named_barrier, 0
	.set _ZN7rocprim17ROCPRIM_400000_NS6detail17trampoline_kernelINS0_14default_configENS1_27lower_bound_config_selectorIN6thrust23THRUST_200600_302600_NS5tupleIiiNS6_9null_typeES8_S8_S8_S8_S8_S8_S8_EElEEZNS1_14transform_implILb0ES3_SA_NS6_6detail15normal_iteratorINS6_7pointerIS9_NS6_11hip_rocprim5par_tENS6_11use_defaultESH_EEEENSD_INSE_IlSG_SH_SH_EEEEZNS1_13binary_searchIS3_SA_NSD_INS6_10device_ptrIS9_EEEESJ_SL_NS1_21lower_bound_search_opENSC_16wrapped_functionINS6_6system6detail7generic6detail18binary_search_lessEbEEEE10hipError_tPvRmT1_T2_T3_mmT4_T5_P12ihipStream_tbEUlRKS9_E_EESY_S12_S13_mS14_S17_bEUlT_E_NS1_11comp_targetILNS1_3genE3ELNS1_11target_archE908ELNS1_3gpuE7ELNS1_3repE0EEENS1_30default_config_static_selectorELNS0_4arch9wavefront6targetE1EEEvS11_.private_seg_size, 0
	.set _ZN7rocprim17ROCPRIM_400000_NS6detail17trampoline_kernelINS0_14default_configENS1_27lower_bound_config_selectorIN6thrust23THRUST_200600_302600_NS5tupleIiiNS6_9null_typeES8_S8_S8_S8_S8_S8_S8_EElEEZNS1_14transform_implILb0ES3_SA_NS6_6detail15normal_iteratorINS6_7pointerIS9_NS6_11hip_rocprim5par_tENS6_11use_defaultESH_EEEENSD_INSE_IlSG_SH_SH_EEEEZNS1_13binary_searchIS3_SA_NSD_INS6_10device_ptrIS9_EEEESJ_SL_NS1_21lower_bound_search_opENSC_16wrapped_functionINS6_6system6detail7generic6detail18binary_search_lessEbEEEE10hipError_tPvRmT1_T2_T3_mmT4_T5_P12ihipStream_tbEUlRKS9_E_EESY_S12_S13_mS14_S17_bEUlT_E_NS1_11comp_targetILNS1_3genE3ELNS1_11target_archE908ELNS1_3gpuE7ELNS1_3repE0EEENS1_30default_config_static_selectorELNS0_4arch9wavefront6targetE1EEEvS11_.uses_vcc, 0
	.set _ZN7rocprim17ROCPRIM_400000_NS6detail17trampoline_kernelINS0_14default_configENS1_27lower_bound_config_selectorIN6thrust23THRUST_200600_302600_NS5tupleIiiNS6_9null_typeES8_S8_S8_S8_S8_S8_S8_EElEEZNS1_14transform_implILb0ES3_SA_NS6_6detail15normal_iteratorINS6_7pointerIS9_NS6_11hip_rocprim5par_tENS6_11use_defaultESH_EEEENSD_INSE_IlSG_SH_SH_EEEEZNS1_13binary_searchIS3_SA_NSD_INS6_10device_ptrIS9_EEEESJ_SL_NS1_21lower_bound_search_opENSC_16wrapped_functionINS6_6system6detail7generic6detail18binary_search_lessEbEEEE10hipError_tPvRmT1_T2_T3_mmT4_T5_P12ihipStream_tbEUlRKS9_E_EESY_S12_S13_mS14_S17_bEUlT_E_NS1_11comp_targetILNS1_3genE3ELNS1_11target_archE908ELNS1_3gpuE7ELNS1_3repE0EEENS1_30default_config_static_selectorELNS0_4arch9wavefront6targetE1EEEvS11_.uses_flat_scratch, 0
	.set _ZN7rocprim17ROCPRIM_400000_NS6detail17trampoline_kernelINS0_14default_configENS1_27lower_bound_config_selectorIN6thrust23THRUST_200600_302600_NS5tupleIiiNS6_9null_typeES8_S8_S8_S8_S8_S8_S8_EElEEZNS1_14transform_implILb0ES3_SA_NS6_6detail15normal_iteratorINS6_7pointerIS9_NS6_11hip_rocprim5par_tENS6_11use_defaultESH_EEEENSD_INSE_IlSG_SH_SH_EEEEZNS1_13binary_searchIS3_SA_NSD_INS6_10device_ptrIS9_EEEESJ_SL_NS1_21lower_bound_search_opENSC_16wrapped_functionINS6_6system6detail7generic6detail18binary_search_lessEbEEEE10hipError_tPvRmT1_T2_T3_mmT4_T5_P12ihipStream_tbEUlRKS9_E_EESY_S12_S13_mS14_S17_bEUlT_E_NS1_11comp_targetILNS1_3genE3ELNS1_11target_archE908ELNS1_3gpuE7ELNS1_3repE0EEENS1_30default_config_static_selectorELNS0_4arch9wavefront6targetE1EEEvS11_.has_dyn_sized_stack, 0
	.set _ZN7rocprim17ROCPRIM_400000_NS6detail17trampoline_kernelINS0_14default_configENS1_27lower_bound_config_selectorIN6thrust23THRUST_200600_302600_NS5tupleIiiNS6_9null_typeES8_S8_S8_S8_S8_S8_S8_EElEEZNS1_14transform_implILb0ES3_SA_NS6_6detail15normal_iteratorINS6_7pointerIS9_NS6_11hip_rocprim5par_tENS6_11use_defaultESH_EEEENSD_INSE_IlSG_SH_SH_EEEEZNS1_13binary_searchIS3_SA_NSD_INS6_10device_ptrIS9_EEEESJ_SL_NS1_21lower_bound_search_opENSC_16wrapped_functionINS6_6system6detail7generic6detail18binary_search_lessEbEEEE10hipError_tPvRmT1_T2_T3_mmT4_T5_P12ihipStream_tbEUlRKS9_E_EESY_S12_S13_mS14_S17_bEUlT_E_NS1_11comp_targetILNS1_3genE3ELNS1_11target_archE908ELNS1_3gpuE7ELNS1_3repE0EEENS1_30default_config_static_selectorELNS0_4arch9wavefront6targetE1EEEvS11_.has_recursion, 0
	.set _ZN7rocprim17ROCPRIM_400000_NS6detail17trampoline_kernelINS0_14default_configENS1_27lower_bound_config_selectorIN6thrust23THRUST_200600_302600_NS5tupleIiiNS6_9null_typeES8_S8_S8_S8_S8_S8_S8_EElEEZNS1_14transform_implILb0ES3_SA_NS6_6detail15normal_iteratorINS6_7pointerIS9_NS6_11hip_rocprim5par_tENS6_11use_defaultESH_EEEENSD_INSE_IlSG_SH_SH_EEEEZNS1_13binary_searchIS3_SA_NSD_INS6_10device_ptrIS9_EEEESJ_SL_NS1_21lower_bound_search_opENSC_16wrapped_functionINS6_6system6detail7generic6detail18binary_search_lessEbEEEE10hipError_tPvRmT1_T2_T3_mmT4_T5_P12ihipStream_tbEUlRKS9_E_EESY_S12_S13_mS14_S17_bEUlT_E_NS1_11comp_targetILNS1_3genE3ELNS1_11target_archE908ELNS1_3gpuE7ELNS1_3repE0EEENS1_30default_config_static_selectorELNS0_4arch9wavefront6targetE1EEEvS11_.has_indirect_call, 0
	.section	.AMDGPU.csdata,"",@progbits
; Kernel info:
; codeLenInByte = 0
; TotalNumSgprs: 4
; NumVgprs: 0
; ScratchSize: 0
; MemoryBound: 0
; FloatMode: 240
; IeeeMode: 1
; LDSByteSize: 0 bytes/workgroup (compile time only)
; SGPRBlocks: 0
; VGPRBlocks: 0
; NumSGPRsForWavesPerEU: 4
; NumVGPRsForWavesPerEU: 1
; Occupancy: 10
; WaveLimiterHint : 0
; COMPUTE_PGM_RSRC2:SCRATCH_EN: 0
; COMPUTE_PGM_RSRC2:USER_SGPR: 6
; COMPUTE_PGM_RSRC2:TRAP_HANDLER: 0
; COMPUTE_PGM_RSRC2:TGID_X_EN: 1
; COMPUTE_PGM_RSRC2:TGID_Y_EN: 0
; COMPUTE_PGM_RSRC2:TGID_Z_EN: 0
; COMPUTE_PGM_RSRC2:TIDIG_COMP_CNT: 0
	.section	.text._ZN7rocprim17ROCPRIM_400000_NS6detail17trampoline_kernelINS0_14default_configENS1_27lower_bound_config_selectorIN6thrust23THRUST_200600_302600_NS5tupleIiiNS6_9null_typeES8_S8_S8_S8_S8_S8_S8_EElEEZNS1_14transform_implILb0ES3_SA_NS6_6detail15normal_iteratorINS6_7pointerIS9_NS6_11hip_rocprim5par_tENS6_11use_defaultESH_EEEENSD_INSE_IlSG_SH_SH_EEEEZNS1_13binary_searchIS3_SA_NSD_INS6_10device_ptrIS9_EEEESJ_SL_NS1_21lower_bound_search_opENSC_16wrapped_functionINS6_6system6detail7generic6detail18binary_search_lessEbEEEE10hipError_tPvRmT1_T2_T3_mmT4_T5_P12ihipStream_tbEUlRKS9_E_EESY_S12_S13_mS14_S17_bEUlT_E_NS1_11comp_targetILNS1_3genE2ELNS1_11target_archE906ELNS1_3gpuE6ELNS1_3repE0EEENS1_30default_config_static_selectorELNS0_4arch9wavefront6targetE1EEEvS11_,"axG",@progbits,_ZN7rocprim17ROCPRIM_400000_NS6detail17trampoline_kernelINS0_14default_configENS1_27lower_bound_config_selectorIN6thrust23THRUST_200600_302600_NS5tupleIiiNS6_9null_typeES8_S8_S8_S8_S8_S8_S8_EElEEZNS1_14transform_implILb0ES3_SA_NS6_6detail15normal_iteratorINS6_7pointerIS9_NS6_11hip_rocprim5par_tENS6_11use_defaultESH_EEEENSD_INSE_IlSG_SH_SH_EEEEZNS1_13binary_searchIS3_SA_NSD_INS6_10device_ptrIS9_EEEESJ_SL_NS1_21lower_bound_search_opENSC_16wrapped_functionINS6_6system6detail7generic6detail18binary_search_lessEbEEEE10hipError_tPvRmT1_T2_T3_mmT4_T5_P12ihipStream_tbEUlRKS9_E_EESY_S12_S13_mS14_S17_bEUlT_E_NS1_11comp_targetILNS1_3genE2ELNS1_11target_archE906ELNS1_3gpuE6ELNS1_3repE0EEENS1_30default_config_static_selectorELNS0_4arch9wavefront6targetE1EEEvS11_,comdat
	.protected	_ZN7rocprim17ROCPRIM_400000_NS6detail17trampoline_kernelINS0_14default_configENS1_27lower_bound_config_selectorIN6thrust23THRUST_200600_302600_NS5tupleIiiNS6_9null_typeES8_S8_S8_S8_S8_S8_S8_EElEEZNS1_14transform_implILb0ES3_SA_NS6_6detail15normal_iteratorINS6_7pointerIS9_NS6_11hip_rocprim5par_tENS6_11use_defaultESH_EEEENSD_INSE_IlSG_SH_SH_EEEEZNS1_13binary_searchIS3_SA_NSD_INS6_10device_ptrIS9_EEEESJ_SL_NS1_21lower_bound_search_opENSC_16wrapped_functionINS6_6system6detail7generic6detail18binary_search_lessEbEEEE10hipError_tPvRmT1_T2_T3_mmT4_T5_P12ihipStream_tbEUlRKS9_E_EESY_S12_S13_mS14_S17_bEUlT_E_NS1_11comp_targetILNS1_3genE2ELNS1_11target_archE906ELNS1_3gpuE6ELNS1_3repE0EEENS1_30default_config_static_selectorELNS0_4arch9wavefront6targetE1EEEvS11_ ; -- Begin function _ZN7rocprim17ROCPRIM_400000_NS6detail17trampoline_kernelINS0_14default_configENS1_27lower_bound_config_selectorIN6thrust23THRUST_200600_302600_NS5tupleIiiNS6_9null_typeES8_S8_S8_S8_S8_S8_S8_EElEEZNS1_14transform_implILb0ES3_SA_NS6_6detail15normal_iteratorINS6_7pointerIS9_NS6_11hip_rocprim5par_tENS6_11use_defaultESH_EEEENSD_INSE_IlSG_SH_SH_EEEEZNS1_13binary_searchIS3_SA_NSD_INS6_10device_ptrIS9_EEEESJ_SL_NS1_21lower_bound_search_opENSC_16wrapped_functionINS6_6system6detail7generic6detail18binary_search_lessEbEEEE10hipError_tPvRmT1_T2_T3_mmT4_T5_P12ihipStream_tbEUlRKS9_E_EESY_S12_S13_mS14_S17_bEUlT_E_NS1_11comp_targetILNS1_3genE2ELNS1_11target_archE906ELNS1_3gpuE6ELNS1_3repE0EEENS1_30default_config_static_selectorELNS0_4arch9wavefront6targetE1EEEvS11_
	.globl	_ZN7rocprim17ROCPRIM_400000_NS6detail17trampoline_kernelINS0_14default_configENS1_27lower_bound_config_selectorIN6thrust23THRUST_200600_302600_NS5tupleIiiNS6_9null_typeES8_S8_S8_S8_S8_S8_S8_EElEEZNS1_14transform_implILb0ES3_SA_NS6_6detail15normal_iteratorINS6_7pointerIS9_NS6_11hip_rocprim5par_tENS6_11use_defaultESH_EEEENSD_INSE_IlSG_SH_SH_EEEEZNS1_13binary_searchIS3_SA_NSD_INS6_10device_ptrIS9_EEEESJ_SL_NS1_21lower_bound_search_opENSC_16wrapped_functionINS6_6system6detail7generic6detail18binary_search_lessEbEEEE10hipError_tPvRmT1_T2_T3_mmT4_T5_P12ihipStream_tbEUlRKS9_E_EESY_S12_S13_mS14_S17_bEUlT_E_NS1_11comp_targetILNS1_3genE2ELNS1_11target_archE906ELNS1_3gpuE6ELNS1_3repE0EEENS1_30default_config_static_selectorELNS0_4arch9wavefront6targetE1EEEvS11_
	.p2align	8
	.type	_ZN7rocprim17ROCPRIM_400000_NS6detail17trampoline_kernelINS0_14default_configENS1_27lower_bound_config_selectorIN6thrust23THRUST_200600_302600_NS5tupleIiiNS6_9null_typeES8_S8_S8_S8_S8_S8_S8_EElEEZNS1_14transform_implILb0ES3_SA_NS6_6detail15normal_iteratorINS6_7pointerIS9_NS6_11hip_rocprim5par_tENS6_11use_defaultESH_EEEENSD_INSE_IlSG_SH_SH_EEEEZNS1_13binary_searchIS3_SA_NSD_INS6_10device_ptrIS9_EEEESJ_SL_NS1_21lower_bound_search_opENSC_16wrapped_functionINS6_6system6detail7generic6detail18binary_search_lessEbEEEE10hipError_tPvRmT1_T2_T3_mmT4_T5_P12ihipStream_tbEUlRKS9_E_EESY_S12_S13_mS14_S17_bEUlT_E_NS1_11comp_targetILNS1_3genE2ELNS1_11target_archE906ELNS1_3gpuE6ELNS1_3repE0EEENS1_30default_config_static_selectorELNS0_4arch9wavefront6targetE1EEEvS11_,@function
_ZN7rocprim17ROCPRIM_400000_NS6detail17trampoline_kernelINS0_14default_configENS1_27lower_bound_config_selectorIN6thrust23THRUST_200600_302600_NS5tupleIiiNS6_9null_typeES8_S8_S8_S8_S8_S8_S8_EElEEZNS1_14transform_implILb0ES3_SA_NS6_6detail15normal_iteratorINS6_7pointerIS9_NS6_11hip_rocprim5par_tENS6_11use_defaultESH_EEEENSD_INSE_IlSG_SH_SH_EEEEZNS1_13binary_searchIS3_SA_NSD_INS6_10device_ptrIS9_EEEESJ_SL_NS1_21lower_bound_search_opENSC_16wrapped_functionINS6_6system6detail7generic6detail18binary_search_lessEbEEEE10hipError_tPvRmT1_T2_T3_mmT4_T5_P12ihipStream_tbEUlRKS9_E_EESY_S12_S13_mS14_S17_bEUlT_E_NS1_11comp_targetILNS1_3genE2ELNS1_11target_archE906ELNS1_3gpuE6ELNS1_3repE0EEENS1_30default_config_static_selectorELNS0_4arch9wavefront6targetE1EEEvS11_: ; @_ZN7rocprim17ROCPRIM_400000_NS6detail17trampoline_kernelINS0_14default_configENS1_27lower_bound_config_selectorIN6thrust23THRUST_200600_302600_NS5tupleIiiNS6_9null_typeES8_S8_S8_S8_S8_S8_S8_EElEEZNS1_14transform_implILb0ES3_SA_NS6_6detail15normal_iteratorINS6_7pointerIS9_NS6_11hip_rocprim5par_tENS6_11use_defaultESH_EEEENSD_INSE_IlSG_SH_SH_EEEEZNS1_13binary_searchIS3_SA_NSD_INS6_10device_ptrIS9_EEEESJ_SL_NS1_21lower_bound_search_opENSC_16wrapped_functionINS6_6system6detail7generic6detail18binary_search_lessEbEEEE10hipError_tPvRmT1_T2_T3_mmT4_T5_P12ihipStream_tbEUlRKS9_E_EESY_S12_S13_mS14_S17_bEUlT_E_NS1_11comp_targetILNS1_3genE2ELNS1_11target_archE906ELNS1_3gpuE6ELNS1_3repE0EEENS1_30default_config_static_selectorELNS0_4arch9wavefront6targetE1EEEvS11_
; %bb.0:
	s_load_dwordx4 s[0:3], s[4:5], 0x0
	s_load_dwordx4 s[8:11], s[4:5], 0x18
	s_load_dwordx2 s[12:13], s[4:5], 0x28
	s_load_dword s7, s[4:5], 0x38
	s_waitcnt lgkmcnt(0)
	s_lshl_b64 s[2:3], s[2:3], 3
	s_add_u32 s14, s0, s2
	s_addc_u32 s15, s1, s3
	s_add_u32 s16, s8, s2
	s_addc_u32 s17, s9, s3
	s_lshl_b32 s8, s6, 8
	s_add_i32 s7, s7, -1
	s_mov_b32 s9, 0
	s_cmp_lg_u32 s6, s7
	s_mov_b64 s[0:1], -1
	s_cbranch_scc0 .LBB435_7
; %bb.1:
	s_cmp_eq_u64 s[12:13], 0
	s_mov_b64 s[6:7], 0
	s_cbranch_scc1 .LBB435_5
; %bb.2:
	s_lshl_b64 s[0:1], s[8:9], 3
	s_add_u32 s0, s14, s0
	s_addc_u32 s1, s15, s1
	v_lshlrev_b32_e32 v1, 3, v0
	v_mov_b32_e32 v2, s1
	v_add_co_u32_e32 v1, vcc, s0, v1
	v_addc_co_u32_e32 v2, vcc, 0, v2, vcc
	flat_load_dwordx2 v[3:4], v[1:2]
	v_mov_b32_e32 v1, 0
	v_mov_b32_e32 v5, s12
	;; [unrolled: 1-line block ×5, first 2 shown]
.LBB435_3:                              ; =>This Inner Loop Header: Depth=1
	v_sub_co_u32_e32 v8, vcc, v5, v1
	v_subb_co_u32_e32 v9, vcc, v6, v2, vcc
	v_lshrrev_b64 v[10:11], 1, v[8:9]
	v_lshrrev_b64 v[8:9], 6, v[8:9]
	v_add_co_u32_e32 v10, vcc, v10, v1
	v_addc_co_u32_e32 v11, vcc, v11, v2, vcc
	v_add_co_u32_e32 v8, vcc, v10, v8
	v_addc_co_u32_e32 v9, vcc, v11, v9, vcc
	v_lshlrev_b64 v[10:11], 3, v[8:9]
	v_add_co_u32_e32 v10, vcc, s10, v10
	v_addc_co_u32_e32 v11, vcc, v7, v11, vcc
	global_load_dwordx2 v[10:11], v[10:11], off
	v_add_co_u32_e32 v12, vcc, 1, v8
	v_addc_co_u32_e32 v13, vcc, 0, v9, vcc
	s_waitcnt vmcnt(0) lgkmcnt(0)
	v_cmp_ge_i32_e64 s[0:1], v3, v10
	v_cmp_lt_i32_e64 s[2:3], v11, v4
	v_cmp_lt_i32_e32 vcc, v10, v3
	s_and_b64 s[0:1], s[0:1], s[2:3]
	s_or_b64 vcc, vcc, s[0:1]
	v_cndmask_b32_e32 v6, v9, v6, vcc
	v_cndmask_b32_e32 v5, v8, v5, vcc
	;; [unrolled: 1-line block ×4, first 2 shown]
	v_cmp_ge_u64_e32 vcc, v[1:2], v[5:6]
	s_or_b64 s[6:7], vcc, s[6:7]
	s_andn2_b64 exec, exec, s[6:7]
	s_cbranch_execnz .LBB435_3
; %bb.4:
	s_or_b64 exec, exec, s[6:7]
	s_branch .LBB435_6
.LBB435_5:
	v_mov_b32_e32 v1, 0
	v_mov_b32_e32 v2, 0
.LBB435_6:
	s_lshl_b64 s[0:1], s[8:9], 3
	s_add_u32 s0, s16, s0
	s_addc_u32 s1, s17, s1
	v_lshlrev_b32_e32 v3, 3, v0
	v_mov_b32_e32 v4, s1
	v_add_co_u32_e32 v3, vcc, s0, v3
	v_addc_co_u32_e32 v4, vcc, 0, v4, vcc
	s_mov_b64 s[0:1], 0
	flat_store_dwordx2 v[3:4], v[1:2]
.LBB435_7:
	s_and_b64 vcc, exec, s[0:1]
	s_cbranch_vccz .LBB435_16
; %bb.8:
	s_load_dword s0, s[4:5], 0x10
	v_mov_b32_e32 v2, 0
	v_mov_b32_e32 v1, 0
	s_waitcnt lgkmcnt(0)
	s_sub_i32 s2, s0, s8
	v_cmp_le_u32_e64 s[0:1], s2, v0
	v_cmp_gt_u32_e32 vcc, s2, v0
	s_and_saveexec_b64 s[4:5], vcc
	s_cbranch_execz .LBB435_10
; %bb.9:
	s_lshl_b64 s[2:3], s[8:9], 3
	s_add_u32 s2, s14, s2
	s_addc_u32 s3, s15, s3
	v_lshlrev_b32_e32 v1, 3, v0
	v_mov_b32_e32 v2, s3
	v_add_co_u32_e64 v1, s[2:3], s2, v1
	v_addc_co_u32_e64 v2, s[2:3], 0, v2, s[2:3]
	flat_load_dwordx2 v[1:2], v[1:2]
.LBB435_10:
	s_or_b64 exec, exec, s[4:5]
	s_cmp_lg_u64 s[12:13], 0
	s_cselect_b64 s[2:3], -1, 0
	s_xor_b64 s[0:1], s[0:1], -1
	v_mov_b32_e32 v3, 0
	s_mov_b64 s[6:7], 0
	v_mov_b32_e32 v4, 0
	s_and_b64 s[0:1], s[0:1], s[2:3]
	s_and_saveexec_b64 s[14:15], s[0:1]
	s_cbranch_execz .LBB435_14
; %bb.11:
	v_mov_b32_e32 v3, 0
	v_mov_b32_e32 v5, s12
	;; [unrolled: 1-line block ×5, first 2 shown]
.LBB435_12:                             ; =>This Inner Loop Header: Depth=1
	v_sub_co_u32_e64 v8, s[0:1], v5, v3
	v_subb_co_u32_e64 v9, s[0:1], v6, v4, s[0:1]
	v_lshrrev_b64 v[10:11], 1, v[8:9]
	v_lshrrev_b64 v[8:9], 6, v[8:9]
	v_add_co_u32_e64 v10, s[0:1], v10, v3
	v_addc_co_u32_e64 v11, s[0:1], v11, v4, s[0:1]
	v_add_co_u32_e64 v8, s[0:1], v10, v8
	v_addc_co_u32_e64 v9, s[0:1], v11, v9, s[0:1]
	v_lshlrev_b64 v[10:11], 3, v[8:9]
	v_add_co_u32_e64 v10, s[0:1], s10, v10
	v_addc_co_u32_e64 v11, s[0:1], v7, v11, s[0:1]
	global_load_dwordx2 v[10:11], v[10:11], off
	v_add_co_u32_e64 v12, s[0:1], 1, v8
	v_addc_co_u32_e64 v13, s[0:1], 0, v9, s[0:1]
	s_waitcnt vmcnt(0) lgkmcnt(0)
	v_cmp_ge_i32_e64 s[2:3], v1, v10
	v_cmp_lt_i32_e64 s[4:5], v11, v2
	v_cmp_lt_i32_e64 s[0:1], v10, v1
	s_and_b64 s[2:3], s[2:3], s[4:5]
	s_or_b64 s[0:1], s[0:1], s[2:3]
	v_cndmask_b32_e64 v6, v9, v6, s[0:1]
	v_cndmask_b32_e64 v5, v8, v5, s[0:1]
	v_cndmask_b32_e64 v4, v4, v13, s[0:1]
	v_cndmask_b32_e64 v3, v3, v12, s[0:1]
	v_cmp_ge_u64_e64 s[0:1], v[3:4], v[5:6]
	s_or_b64 s[6:7], s[0:1], s[6:7]
	s_andn2_b64 exec, exec, s[6:7]
	s_cbranch_execnz .LBB435_12
; %bb.13:
	s_or_b64 exec, exec, s[6:7]
.LBB435_14:
	s_or_b64 exec, exec, s[14:15]
	s_and_saveexec_b64 s[0:1], vcc
	s_cbranch_execz .LBB435_16
; %bb.15:
	s_lshl_b64 s[0:1], s[8:9], 3
	s_add_u32 s0, s16, s0
	s_addc_u32 s1, s17, s1
	v_lshlrev_b32_e32 v0, 3, v0
	s_waitcnt vmcnt(0) lgkmcnt(0)
	v_mov_b32_e32 v1, s1
	v_add_co_u32_e32 v0, vcc, s0, v0
	v_addc_co_u32_e32 v1, vcc, 0, v1, vcc
	flat_store_dwordx2 v[0:1], v[3:4]
.LBB435_16:
	s_endpgm
	.section	.rodata,"a",@progbits
	.p2align	6, 0x0
	.amdhsa_kernel _ZN7rocprim17ROCPRIM_400000_NS6detail17trampoline_kernelINS0_14default_configENS1_27lower_bound_config_selectorIN6thrust23THRUST_200600_302600_NS5tupleIiiNS6_9null_typeES8_S8_S8_S8_S8_S8_S8_EElEEZNS1_14transform_implILb0ES3_SA_NS6_6detail15normal_iteratorINS6_7pointerIS9_NS6_11hip_rocprim5par_tENS6_11use_defaultESH_EEEENSD_INSE_IlSG_SH_SH_EEEEZNS1_13binary_searchIS3_SA_NSD_INS6_10device_ptrIS9_EEEESJ_SL_NS1_21lower_bound_search_opENSC_16wrapped_functionINS6_6system6detail7generic6detail18binary_search_lessEbEEEE10hipError_tPvRmT1_T2_T3_mmT4_T5_P12ihipStream_tbEUlRKS9_E_EESY_S12_S13_mS14_S17_bEUlT_E_NS1_11comp_targetILNS1_3genE2ELNS1_11target_archE906ELNS1_3gpuE6ELNS1_3repE0EEENS1_30default_config_static_selectorELNS0_4arch9wavefront6targetE1EEEvS11_
		.amdhsa_group_segment_fixed_size 0
		.amdhsa_private_segment_fixed_size 0
		.amdhsa_kernarg_size 312
		.amdhsa_user_sgpr_count 6
		.amdhsa_user_sgpr_private_segment_buffer 1
		.amdhsa_user_sgpr_dispatch_ptr 0
		.amdhsa_user_sgpr_queue_ptr 0
		.amdhsa_user_sgpr_kernarg_segment_ptr 1
		.amdhsa_user_sgpr_dispatch_id 0
		.amdhsa_user_sgpr_flat_scratch_init 0
		.amdhsa_user_sgpr_private_segment_size 0
		.amdhsa_uses_dynamic_stack 0
		.amdhsa_system_sgpr_private_segment_wavefront_offset 0
		.amdhsa_system_sgpr_workgroup_id_x 1
		.amdhsa_system_sgpr_workgroup_id_y 0
		.amdhsa_system_sgpr_workgroup_id_z 0
		.amdhsa_system_sgpr_workgroup_info 0
		.amdhsa_system_vgpr_workitem_id 0
		.amdhsa_next_free_vgpr 14
		.amdhsa_next_free_sgpr 18
		.amdhsa_reserve_vcc 1
		.amdhsa_reserve_flat_scratch 0
		.amdhsa_float_round_mode_32 0
		.amdhsa_float_round_mode_16_64 0
		.amdhsa_float_denorm_mode_32 3
		.amdhsa_float_denorm_mode_16_64 3
		.amdhsa_dx10_clamp 1
		.amdhsa_ieee_mode 1
		.amdhsa_fp16_overflow 0
		.amdhsa_exception_fp_ieee_invalid_op 0
		.amdhsa_exception_fp_denorm_src 0
		.amdhsa_exception_fp_ieee_div_zero 0
		.amdhsa_exception_fp_ieee_overflow 0
		.amdhsa_exception_fp_ieee_underflow 0
		.amdhsa_exception_fp_ieee_inexact 0
		.amdhsa_exception_int_div_zero 0
	.end_amdhsa_kernel
	.section	.text._ZN7rocprim17ROCPRIM_400000_NS6detail17trampoline_kernelINS0_14default_configENS1_27lower_bound_config_selectorIN6thrust23THRUST_200600_302600_NS5tupleIiiNS6_9null_typeES8_S8_S8_S8_S8_S8_S8_EElEEZNS1_14transform_implILb0ES3_SA_NS6_6detail15normal_iteratorINS6_7pointerIS9_NS6_11hip_rocprim5par_tENS6_11use_defaultESH_EEEENSD_INSE_IlSG_SH_SH_EEEEZNS1_13binary_searchIS3_SA_NSD_INS6_10device_ptrIS9_EEEESJ_SL_NS1_21lower_bound_search_opENSC_16wrapped_functionINS6_6system6detail7generic6detail18binary_search_lessEbEEEE10hipError_tPvRmT1_T2_T3_mmT4_T5_P12ihipStream_tbEUlRKS9_E_EESY_S12_S13_mS14_S17_bEUlT_E_NS1_11comp_targetILNS1_3genE2ELNS1_11target_archE906ELNS1_3gpuE6ELNS1_3repE0EEENS1_30default_config_static_selectorELNS0_4arch9wavefront6targetE1EEEvS11_,"axG",@progbits,_ZN7rocprim17ROCPRIM_400000_NS6detail17trampoline_kernelINS0_14default_configENS1_27lower_bound_config_selectorIN6thrust23THRUST_200600_302600_NS5tupleIiiNS6_9null_typeES8_S8_S8_S8_S8_S8_S8_EElEEZNS1_14transform_implILb0ES3_SA_NS6_6detail15normal_iteratorINS6_7pointerIS9_NS6_11hip_rocprim5par_tENS6_11use_defaultESH_EEEENSD_INSE_IlSG_SH_SH_EEEEZNS1_13binary_searchIS3_SA_NSD_INS6_10device_ptrIS9_EEEESJ_SL_NS1_21lower_bound_search_opENSC_16wrapped_functionINS6_6system6detail7generic6detail18binary_search_lessEbEEEE10hipError_tPvRmT1_T2_T3_mmT4_T5_P12ihipStream_tbEUlRKS9_E_EESY_S12_S13_mS14_S17_bEUlT_E_NS1_11comp_targetILNS1_3genE2ELNS1_11target_archE906ELNS1_3gpuE6ELNS1_3repE0EEENS1_30default_config_static_selectorELNS0_4arch9wavefront6targetE1EEEvS11_,comdat
.Lfunc_end435:
	.size	_ZN7rocprim17ROCPRIM_400000_NS6detail17trampoline_kernelINS0_14default_configENS1_27lower_bound_config_selectorIN6thrust23THRUST_200600_302600_NS5tupleIiiNS6_9null_typeES8_S8_S8_S8_S8_S8_S8_EElEEZNS1_14transform_implILb0ES3_SA_NS6_6detail15normal_iteratorINS6_7pointerIS9_NS6_11hip_rocprim5par_tENS6_11use_defaultESH_EEEENSD_INSE_IlSG_SH_SH_EEEEZNS1_13binary_searchIS3_SA_NSD_INS6_10device_ptrIS9_EEEESJ_SL_NS1_21lower_bound_search_opENSC_16wrapped_functionINS6_6system6detail7generic6detail18binary_search_lessEbEEEE10hipError_tPvRmT1_T2_T3_mmT4_T5_P12ihipStream_tbEUlRKS9_E_EESY_S12_S13_mS14_S17_bEUlT_E_NS1_11comp_targetILNS1_3genE2ELNS1_11target_archE906ELNS1_3gpuE6ELNS1_3repE0EEENS1_30default_config_static_selectorELNS0_4arch9wavefront6targetE1EEEvS11_, .Lfunc_end435-_ZN7rocprim17ROCPRIM_400000_NS6detail17trampoline_kernelINS0_14default_configENS1_27lower_bound_config_selectorIN6thrust23THRUST_200600_302600_NS5tupleIiiNS6_9null_typeES8_S8_S8_S8_S8_S8_S8_EElEEZNS1_14transform_implILb0ES3_SA_NS6_6detail15normal_iteratorINS6_7pointerIS9_NS6_11hip_rocprim5par_tENS6_11use_defaultESH_EEEENSD_INSE_IlSG_SH_SH_EEEEZNS1_13binary_searchIS3_SA_NSD_INS6_10device_ptrIS9_EEEESJ_SL_NS1_21lower_bound_search_opENSC_16wrapped_functionINS6_6system6detail7generic6detail18binary_search_lessEbEEEE10hipError_tPvRmT1_T2_T3_mmT4_T5_P12ihipStream_tbEUlRKS9_E_EESY_S12_S13_mS14_S17_bEUlT_E_NS1_11comp_targetILNS1_3genE2ELNS1_11target_archE906ELNS1_3gpuE6ELNS1_3repE0EEENS1_30default_config_static_selectorELNS0_4arch9wavefront6targetE1EEEvS11_
                                        ; -- End function
	.set _ZN7rocprim17ROCPRIM_400000_NS6detail17trampoline_kernelINS0_14default_configENS1_27lower_bound_config_selectorIN6thrust23THRUST_200600_302600_NS5tupleIiiNS6_9null_typeES8_S8_S8_S8_S8_S8_S8_EElEEZNS1_14transform_implILb0ES3_SA_NS6_6detail15normal_iteratorINS6_7pointerIS9_NS6_11hip_rocprim5par_tENS6_11use_defaultESH_EEEENSD_INSE_IlSG_SH_SH_EEEEZNS1_13binary_searchIS3_SA_NSD_INS6_10device_ptrIS9_EEEESJ_SL_NS1_21lower_bound_search_opENSC_16wrapped_functionINS6_6system6detail7generic6detail18binary_search_lessEbEEEE10hipError_tPvRmT1_T2_T3_mmT4_T5_P12ihipStream_tbEUlRKS9_E_EESY_S12_S13_mS14_S17_bEUlT_E_NS1_11comp_targetILNS1_3genE2ELNS1_11target_archE906ELNS1_3gpuE6ELNS1_3repE0EEENS1_30default_config_static_selectorELNS0_4arch9wavefront6targetE1EEEvS11_.num_vgpr, 14
	.set _ZN7rocprim17ROCPRIM_400000_NS6detail17trampoline_kernelINS0_14default_configENS1_27lower_bound_config_selectorIN6thrust23THRUST_200600_302600_NS5tupleIiiNS6_9null_typeES8_S8_S8_S8_S8_S8_S8_EElEEZNS1_14transform_implILb0ES3_SA_NS6_6detail15normal_iteratorINS6_7pointerIS9_NS6_11hip_rocprim5par_tENS6_11use_defaultESH_EEEENSD_INSE_IlSG_SH_SH_EEEEZNS1_13binary_searchIS3_SA_NSD_INS6_10device_ptrIS9_EEEESJ_SL_NS1_21lower_bound_search_opENSC_16wrapped_functionINS6_6system6detail7generic6detail18binary_search_lessEbEEEE10hipError_tPvRmT1_T2_T3_mmT4_T5_P12ihipStream_tbEUlRKS9_E_EESY_S12_S13_mS14_S17_bEUlT_E_NS1_11comp_targetILNS1_3genE2ELNS1_11target_archE906ELNS1_3gpuE6ELNS1_3repE0EEENS1_30default_config_static_selectorELNS0_4arch9wavefront6targetE1EEEvS11_.num_agpr, 0
	.set _ZN7rocprim17ROCPRIM_400000_NS6detail17trampoline_kernelINS0_14default_configENS1_27lower_bound_config_selectorIN6thrust23THRUST_200600_302600_NS5tupleIiiNS6_9null_typeES8_S8_S8_S8_S8_S8_S8_EElEEZNS1_14transform_implILb0ES3_SA_NS6_6detail15normal_iteratorINS6_7pointerIS9_NS6_11hip_rocprim5par_tENS6_11use_defaultESH_EEEENSD_INSE_IlSG_SH_SH_EEEEZNS1_13binary_searchIS3_SA_NSD_INS6_10device_ptrIS9_EEEESJ_SL_NS1_21lower_bound_search_opENSC_16wrapped_functionINS6_6system6detail7generic6detail18binary_search_lessEbEEEE10hipError_tPvRmT1_T2_T3_mmT4_T5_P12ihipStream_tbEUlRKS9_E_EESY_S12_S13_mS14_S17_bEUlT_E_NS1_11comp_targetILNS1_3genE2ELNS1_11target_archE906ELNS1_3gpuE6ELNS1_3repE0EEENS1_30default_config_static_selectorELNS0_4arch9wavefront6targetE1EEEvS11_.numbered_sgpr, 18
	.set _ZN7rocprim17ROCPRIM_400000_NS6detail17trampoline_kernelINS0_14default_configENS1_27lower_bound_config_selectorIN6thrust23THRUST_200600_302600_NS5tupleIiiNS6_9null_typeES8_S8_S8_S8_S8_S8_S8_EElEEZNS1_14transform_implILb0ES3_SA_NS6_6detail15normal_iteratorINS6_7pointerIS9_NS6_11hip_rocprim5par_tENS6_11use_defaultESH_EEEENSD_INSE_IlSG_SH_SH_EEEEZNS1_13binary_searchIS3_SA_NSD_INS6_10device_ptrIS9_EEEESJ_SL_NS1_21lower_bound_search_opENSC_16wrapped_functionINS6_6system6detail7generic6detail18binary_search_lessEbEEEE10hipError_tPvRmT1_T2_T3_mmT4_T5_P12ihipStream_tbEUlRKS9_E_EESY_S12_S13_mS14_S17_bEUlT_E_NS1_11comp_targetILNS1_3genE2ELNS1_11target_archE906ELNS1_3gpuE6ELNS1_3repE0EEENS1_30default_config_static_selectorELNS0_4arch9wavefront6targetE1EEEvS11_.num_named_barrier, 0
	.set _ZN7rocprim17ROCPRIM_400000_NS6detail17trampoline_kernelINS0_14default_configENS1_27lower_bound_config_selectorIN6thrust23THRUST_200600_302600_NS5tupleIiiNS6_9null_typeES8_S8_S8_S8_S8_S8_S8_EElEEZNS1_14transform_implILb0ES3_SA_NS6_6detail15normal_iteratorINS6_7pointerIS9_NS6_11hip_rocprim5par_tENS6_11use_defaultESH_EEEENSD_INSE_IlSG_SH_SH_EEEEZNS1_13binary_searchIS3_SA_NSD_INS6_10device_ptrIS9_EEEESJ_SL_NS1_21lower_bound_search_opENSC_16wrapped_functionINS6_6system6detail7generic6detail18binary_search_lessEbEEEE10hipError_tPvRmT1_T2_T3_mmT4_T5_P12ihipStream_tbEUlRKS9_E_EESY_S12_S13_mS14_S17_bEUlT_E_NS1_11comp_targetILNS1_3genE2ELNS1_11target_archE906ELNS1_3gpuE6ELNS1_3repE0EEENS1_30default_config_static_selectorELNS0_4arch9wavefront6targetE1EEEvS11_.private_seg_size, 0
	.set _ZN7rocprim17ROCPRIM_400000_NS6detail17trampoline_kernelINS0_14default_configENS1_27lower_bound_config_selectorIN6thrust23THRUST_200600_302600_NS5tupleIiiNS6_9null_typeES8_S8_S8_S8_S8_S8_S8_EElEEZNS1_14transform_implILb0ES3_SA_NS6_6detail15normal_iteratorINS6_7pointerIS9_NS6_11hip_rocprim5par_tENS6_11use_defaultESH_EEEENSD_INSE_IlSG_SH_SH_EEEEZNS1_13binary_searchIS3_SA_NSD_INS6_10device_ptrIS9_EEEESJ_SL_NS1_21lower_bound_search_opENSC_16wrapped_functionINS6_6system6detail7generic6detail18binary_search_lessEbEEEE10hipError_tPvRmT1_T2_T3_mmT4_T5_P12ihipStream_tbEUlRKS9_E_EESY_S12_S13_mS14_S17_bEUlT_E_NS1_11comp_targetILNS1_3genE2ELNS1_11target_archE906ELNS1_3gpuE6ELNS1_3repE0EEENS1_30default_config_static_selectorELNS0_4arch9wavefront6targetE1EEEvS11_.uses_vcc, 1
	.set _ZN7rocprim17ROCPRIM_400000_NS6detail17trampoline_kernelINS0_14default_configENS1_27lower_bound_config_selectorIN6thrust23THRUST_200600_302600_NS5tupleIiiNS6_9null_typeES8_S8_S8_S8_S8_S8_S8_EElEEZNS1_14transform_implILb0ES3_SA_NS6_6detail15normal_iteratorINS6_7pointerIS9_NS6_11hip_rocprim5par_tENS6_11use_defaultESH_EEEENSD_INSE_IlSG_SH_SH_EEEEZNS1_13binary_searchIS3_SA_NSD_INS6_10device_ptrIS9_EEEESJ_SL_NS1_21lower_bound_search_opENSC_16wrapped_functionINS6_6system6detail7generic6detail18binary_search_lessEbEEEE10hipError_tPvRmT1_T2_T3_mmT4_T5_P12ihipStream_tbEUlRKS9_E_EESY_S12_S13_mS14_S17_bEUlT_E_NS1_11comp_targetILNS1_3genE2ELNS1_11target_archE906ELNS1_3gpuE6ELNS1_3repE0EEENS1_30default_config_static_selectorELNS0_4arch9wavefront6targetE1EEEvS11_.uses_flat_scratch, 0
	.set _ZN7rocprim17ROCPRIM_400000_NS6detail17trampoline_kernelINS0_14default_configENS1_27lower_bound_config_selectorIN6thrust23THRUST_200600_302600_NS5tupleIiiNS6_9null_typeES8_S8_S8_S8_S8_S8_S8_EElEEZNS1_14transform_implILb0ES3_SA_NS6_6detail15normal_iteratorINS6_7pointerIS9_NS6_11hip_rocprim5par_tENS6_11use_defaultESH_EEEENSD_INSE_IlSG_SH_SH_EEEEZNS1_13binary_searchIS3_SA_NSD_INS6_10device_ptrIS9_EEEESJ_SL_NS1_21lower_bound_search_opENSC_16wrapped_functionINS6_6system6detail7generic6detail18binary_search_lessEbEEEE10hipError_tPvRmT1_T2_T3_mmT4_T5_P12ihipStream_tbEUlRKS9_E_EESY_S12_S13_mS14_S17_bEUlT_E_NS1_11comp_targetILNS1_3genE2ELNS1_11target_archE906ELNS1_3gpuE6ELNS1_3repE0EEENS1_30default_config_static_selectorELNS0_4arch9wavefront6targetE1EEEvS11_.has_dyn_sized_stack, 0
	.set _ZN7rocprim17ROCPRIM_400000_NS6detail17trampoline_kernelINS0_14default_configENS1_27lower_bound_config_selectorIN6thrust23THRUST_200600_302600_NS5tupleIiiNS6_9null_typeES8_S8_S8_S8_S8_S8_S8_EElEEZNS1_14transform_implILb0ES3_SA_NS6_6detail15normal_iteratorINS6_7pointerIS9_NS6_11hip_rocprim5par_tENS6_11use_defaultESH_EEEENSD_INSE_IlSG_SH_SH_EEEEZNS1_13binary_searchIS3_SA_NSD_INS6_10device_ptrIS9_EEEESJ_SL_NS1_21lower_bound_search_opENSC_16wrapped_functionINS6_6system6detail7generic6detail18binary_search_lessEbEEEE10hipError_tPvRmT1_T2_T3_mmT4_T5_P12ihipStream_tbEUlRKS9_E_EESY_S12_S13_mS14_S17_bEUlT_E_NS1_11comp_targetILNS1_3genE2ELNS1_11target_archE906ELNS1_3gpuE6ELNS1_3repE0EEENS1_30default_config_static_selectorELNS0_4arch9wavefront6targetE1EEEvS11_.has_recursion, 0
	.set _ZN7rocprim17ROCPRIM_400000_NS6detail17trampoline_kernelINS0_14default_configENS1_27lower_bound_config_selectorIN6thrust23THRUST_200600_302600_NS5tupleIiiNS6_9null_typeES8_S8_S8_S8_S8_S8_S8_EElEEZNS1_14transform_implILb0ES3_SA_NS6_6detail15normal_iteratorINS6_7pointerIS9_NS6_11hip_rocprim5par_tENS6_11use_defaultESH_EEEENSD_INSE_IlSG_SH_SH_EEEEZNS1_13binary_searchIS3_SA_NSD_INS6_10device_ptrIS9_EEEESJ_SL_NS1_21lower_bound_search_opENSC_16wrapped_functionINS6_6system6detail7generic6detail18binary_search_lessEbEEEE10hipError_tPvRmT1_T2_T3_mmT4_T5_P12ihipStream_tbEUlRKS9_E_EESY_S12_S13_mS14_S17_bEUlT_E_NS1_11comp_targetILNS1_3genE2ELNS1_11target_archE906ELNS1_3gpuE6ELNS1_3repE0EEENS1_30default_config_static_selectorELNS0_4arch9wavefront6targetE1EEEvS11_.has_indirect_call, 0
	.section	.AMDGPU.csdata,"",@progbits
; Kernel info:
; codeLenInByte = 756
; TotalNumSgprs: 22
; NumVgprs: 14
; ScratchSize: 0
; MemoryBound: 0
; FloatMode: 240
; IeeeMode: 1
; LDSByteSize: 0 bytes/workgroup (compile time only)
; SGPRBlocks: 2
; VGPRBlocks: 3
; NumSGPRsForWavesPerEU: 22
; NumVGPRsForWavesPerEU: 14
; Occupancy: 10
; WaveLimiterHint : 0
; COMPUTE_PGM_RSRC2:SCRATCH_EN: 0
; COMPUTE_PGM_RSRC2:USER_SGPR: 6
; COMPUTE_PGM_RSRC2:TRAP_HANDLER: 0
; COMPUTE_PGM_RSRC2:TGID_X_EN: 1
; COMPUTE_PGM_RSRC2:TGID_Y_EN: 0
; COMPUTE_PGM_RSRC2:TGID_Z_EN: 0
; COMPUTE_PGM_RSRC2:TIDIG_COMP_CNT: 0
	.section	.text._ZN6thrust23THRUST_200600_302600_NS11hip_rocprim14__parallel_for6kernelILj256ENS1_20__uninitialized_copy7functorINS0_7pointerINS0_5tupleIiiNS0_9null_typeES8_S8_S8_S8_S8_S8_S8_EENS1_5par_tENS0_11use_defaultESB_EESC_EEmLj1EEEvT0_T1_SF_,"axG",@progbits,_ZN6thrust23THRUST_200600_302600_NS11hip_rocprim14__parallel_for6kernelILj256ENS1_20__uninitialized_copy7functorINS0_7pointerINS0_5tupleIiiNS0_9null_typeES8_S8_S8_S8_S8_S8_S8_EENS1_5par_tENS0_11use_defaultESB_EESC_EEmLj1EEEvT0_T1_SF_,comdat
	.protected	_ZN6thrust23THRUST_200600_302600_NS11hip_rocprim14__parallel_for6kernelILj256ENS1_20__uninitialized_copy7functorINS0_7pointerINS0_5tupleIiiNS0_9null_typeES8_S8_S8_S8_S8_S8_S8_EENS1_5par_tENS0_11use_defaultESB_EESC_EEmLj1EEEvT0_T1_SF_ ; -- Begin function _ZN6thrust23THRUST_200600_302600_NS11hip_rocprim14__parallel_for6kernelILj256ENS1_20__uninitialized_copy7functorINS0_7pointerINS0_5tupleIiiNS0_9null_typeES8_S8_S8_S8_S8_S8_S8_EENS1_5par_tENS0_11use_defaultESB_EESC_EEmLj1EEEvT0_T1_SF_
	.globl	_ZN6thrust23THRUST_200600_302600_NS11hip_rocprim14__parallel_for6kernelILj256ENS1_20__uninitialized_copy7functorINS0_7pointerINS0_5tupleIiiNS0_9null_typeES8_S8_S8_S8_S8_S8_S8_EENS1_5par_tENS0_11use_defaultESB_EESC_EEmLj1EEEvT0_T1_SF_
	.p2align	8
	.type	_ZN6thrust23THRUST_200600_302600_NS11hip_rocprim14__parallel_for6kernelILj256ENS1_20__uninitialized_copy7functorINS0_7pointerINS0_5tupleIiiNS0_9null_typeES8_S8_S8_S8_S8_S8_S8_EENS1_5par_tENS0_11use_defaultESB_EESC_EEmLj1EEEvT0_T1_SF_,@function
_ZN6thrust23THRUST_200600_302600_NS11hip_rocprim14__parallel_for6kernelILj256ENS1_20__uninitialized_copy7functorINS0_7pointerINS0_5tupleIiiNS0_9null_typeES8_S8_S8_S8_S8_S8_S8_EENS1_5par_tENS0_11use_defaultESB_EESC_EEmLj1EEEvT0_T1_SF_: ; @_ZN6thrust23THRUST_200600_302600_NS11hip_rocprim14__parallel_for6kernelILj256ENS1_20__uninitialized_copy7functorINS0_7pointerINS0_5tupleIiiNS0_9null_typeES8_S8_S8_S8_S8_S8_S8_EENS1_5par_tENS0_11use_defaultESB_EESC_EEmLj1EEEvT0_T1_SF_
; %bb.0:
	s_load_dwordx8 s[8:15], s[4:5], 0x0
	s_lshl_b32 s0, s6, 8
	v_mov_b32_e32 v1, 0xff
	v_mov_b32_e32 v2, 0
	s_mov_b64 s[2:3], -1
	s_waitcnt lgkmcnt(0)
	s_add_u32 s4, s14, s0
	s_addc_u32 s5, s15, 0
	s_sub_u32 s0, s12, s4
	s_subb_u32 s1, s13, s5
	v_cmp_gt_u64_e32 vcc, s[0:1], v[1:2]
	s_cbranch_vccz .LBB436_3
; %bb.1:
	s_andn2_b64 vcc, exec, s[2:3]
	s_cbranch_vccz .LBB436_6
.LBB436_2:
	s_endpgm
.LBB436_3:
	v_cmp_gt_u32_e32 vcc, s0, v0
	s_and_saveexec_b64 s[0:1], vcc
	s_cbranch_execz .LBB436_5
; %bb.4:
	v_mov_b32_e32 v2, s5
	v_add_co_u32_e32 v1, vcc, s4, v0
	v_addc_co_u32_e32 v2, vcc, 0, v2, vcc
	v_lshlrev_b64 v[1:2], 3, v[1:2]
	v_mov_b32_e32 v4, s9
	v_add_co_u32_e32 v3, vcc, s8, v1
	v_addc_co_u32_e32 v4, vcc, v4, v2, vcc
	flat_load_dwordx2 v[3:4], v[3:4]
	v_mov_b32_e32 v5, s11
	v_add_co_u32_e32 v1, vcc, s10, v1
	v_addc_co_u32_e32 v2, vcc, v5, v2, vcc
	s_waitcnt vmcnt(0) lgkmcnt(0)
	flat_store_dwordx2 v[1:2], v[3:4]
.LBB436_5:
	s_or_b64 exec, exec, s[0:1]
	s_cbranch_execnz .LBB436_2
.LBB436_6:
	v_mov_b32_e32 v1, s5
	v_add_co_u32_e32 v0, vcc, s4, v0
	v_addc_co_u32_e32 v1, vcc, 0, v1, vcc
	v_lshlrev_b64 v[0:1], 3, v[0:1]
	v_mov_b32_e32 v3, s9
	v_add_co_u32_e32 v2, vcc, s8, v0
	v_addc_co_u32_e32 v3, vcc, v3, v1, vcc
	flat_load_dwordx2 v[2:3], v[2:3]
	v_mov_b32_e32 v4, s11
	v_add_co_u32_e32 v0, vcc, s10, v0
	v_addc_co_u32_e32 v1, vcc, v4, v1, vcc
	s_waitcnt vmcnt(0) lgkmcnt(0)
	flat_store_dwordx2 v[0:1], v[2:3]
	s_endpgm
	.section	.rodata,"a",@progbits
	.p2align	6, 0x0
	.amdhsa_kernel _ZN6thrust23THRUST_200600_302600_NS11hip_rocprim14__parallel_for6kernelILj256ENS1_20__uninitialized_copy7functorINS0_7pointerINS0_5tupleIiiNS0_9null_typeES8_S8_S8_S8_S8_S8_S8_EENS1_5par_tENS0_11use_defaultESB_EESC_EEmLj1EEEvT0_T1_SF_
		.amdhsa_group_segment_fixed_size 0
		.amdhsa_private_segment_fixed_size 0
		.amdhsa_kernarg_size 32
		.amdhsa_user_sgpr_count 6
		.amdhsa_user_sgpr_private_segment_buffer 1
		.amdhsa_user_sgpr_dispatch_ptr 0
		.amdhsa_user_sgpr_queue_ptr 0
		.amdhsa_user_sgpr_kernarg_segment_ptr 1
		.amdhsa_user_sgpr_dispatch_id 0
		.amdhsa_user_sgpr_flat_scratch_init 0
		.amdhsa_user_sgpr_private_segment_size 0
		.amdhsa_uses_dynamic_stack 0
		.amdhsa_system_sgpr_private_segment_wavefront_offset 0
		.amdhsa_system_sgpr_workgroup_id_x 1
		.amdhsa_system_sgpr_workgroup_id_y 0
		.amdhsa_system_sgpr_workgroup_id_z 0
		.amdhsa_system_sgpr_workgroup_info 0
		.amdhsa_system_vgpr_workitem_id 0
		.amdhsa_next_free_vgpr 6
		.amdhsa_next_free_sgpr 16
		.amdhsa_reserve_vcc 1
		.amdhsa_reserve_flat_scratch 0
		.amdhsa_float_round_mode_32 0
		.amdhsa_float_round_mode_16_64 0
		.amdhsa_float_denorm_mode_32 3
		.amdhsa_float_denorm_mode_16_64 3
		.amdhsa_dx10_clamp 1
		.amdhsa_ieee_mode 1
		.amdhsa_fp16_overflow 0
		.amdhsa_exception_fp_ieee_invalid_op 0
		.amdhsa_exception_fp_denorm_src 0
		.amdhsa_exception_fp_ieee_div_zero 0
		.amdhsa_exception_fp_ieee_overflow 0
		.amdhsa_exception_fp_ieee_underflow 0
		.amdhsa_exception_fp_ieee_inexact 0
		.amdhsa_exception_int_div_zero 0
	.end_amdhsa_kernel
	.section	.text._ZN6thrust23THRUST_200600_302600_NS11hip_rocprim14__parallel_for6kernelILj256ENS1_20__uninitialized_copy7functorINS0_7pointerINS0_5tupleIiiNS0_9null_typeES8_S8_S8_S8_S8_S8_S8_EENS1_5par_tENS0_11use_defaultESB_EESC_EEmLj1EEEvT0_T1_SF_,"axG",@progbits,_ZN6thrust23THRUST_200600_302600_NS11hip_rocprim14__parallel_for6kernelILj256ENS1_20__uninitialized_copy7functorINS0_7pointerINS0_5tupleIiiNS0_9null_typeES8_S8_S8_S8_S8_S8_S8_EENS1_5par_tENS0_11use_defaultESB_EESC_EEmLj1EEEvT0_T1_SF_,comdat
.Lfunc_end436:
	.size	_ZN6thrust23THRUST_200600_302600_NS11hip_rocprim14__parallel_for6kernelILj256ENS1_20__uninitialized_copy7functorINS0_7pointerINS0_5tupleIiiNS0_9null_typeES8_S8_S8_S8_S8_S8_S8_EENS1_5par_tENS0_11use_defaultESB_EESC_EEmLj1EEEvT0_T1_SF_, .Lfunc_end436-_ZN6thrust23THRUST_200600_302600_NS11hip_rocprim14__parallel_for6kernelILj256ENS1_20__uninitialized_copy7functorINS0_7pointerINS0_5tupleIiiNS0_9null_typeES8_S8_S8_S8_S8_S8_S8_EENS1_5par_tENS0_11use_defaultESB_EESC_EEmLj1EEEvT0_T1_SF_
                                        ; -- End function
	.set _ZN6thrust23THRUST_200600_302600_NS11hip_rocprim14__parallel_for6kernelILj256ENS1_20__uninitialized_copy7functorINS0_7pointerINS0_5tupleIiiNS0_9null_typeES8_S8_S8_S8_S8_S8_S8_EENS1_5par_tENS0_11use_defaultESB_EESC_EEmLj1EEEvT0_T1_SF_.num_vgpr, 6
	.set _ZN6thrust23THRUST_200600_302600_NS11hip_rocprim14__parallel_for6kernelILj256ENS1_20__uninitialized_copy7functorINS0_7pointerINS0_5tupleIiiNS0_9null_typeES8_S8_S8_S8_S8_S8_S8_EENS1_5par_tENS0_11use_defaultESB_EESC_EEmLj1EEEvT0_T1_SF_.num_agpr, 0
	.set _ZN6thrust23THRUST_200600_302600_NS11hip_rocprim14__parallel_for6kernelILj256ENS1_20__uninitialized_copy7functorINS0_7pointerINS0_5tupleIiiNS0_9null_typeES8_S8_S8_S8_S8_S8_S8_EENS1_5par_tENS0_11use_defaultESB_EESC_EEmLj1EEEvT0_T1_SF_.numbered_sgpr, 16
	.set _ZN6thrust23THRUST_200600_302600_NS11hip_rocprim14__parallel_for6kernelILj256ENS1_20__uninitialized_copy7functorINS0_7pointerINS0_5tupleIiiNS0_9null_typeES8_S8_S8_S8_S8_S8_S8_EENS1_5par_tENS0_11use_defaultESB_EESC_EEmLj1EEEvT0_T1_SF_.num_named_barrier, 0
	.set _ZN6thrust23THRUST_200600_302600_NS11hip_rocprim14__parallel_for6kernelILj256ENS1_20__uninitialized_copy7functorINS0_7pointerINS0_5tupleIiiNS0_9null_typeES8_S8_S8_S8_S8_S8_S8_EENS1_5par_tENS0_11use_defaultESB_EESC_EEmLj1EEEvT0_T1_SF_.private_seg_size, 0
	.set _ZN6thrust23THRUST_200600_302600_NS11hip_rocprim14__parallel_for6kernelILj256ENS1_20__uninitialized_copy7functorINS0_7pointerINS0_5tupleIiiNS0_9null_typeES8_S8_S8_S8_S8_S8_S8_EENS1_5par_tENS0_11use_defaultESB_EESC_EEmLj1EEEvT0_T1_SF_.uses_vcc, 1
	.set _ZN6thrust23THRUST_200600_302600_NS11hip_rocprim14__parallel_for6kernelILj256ENS1_20__uninitialized_copy7functorINS0_7pointerINS0_5tupleIiiNS0_9null_typeES8_S8_S8_S8_S8_S8_S8_EENS1_5par_tENS0_11use_defaultESB_EESC_EEmLj1EEEvT0_T1_SF_.uses_flat_scratch, 0
	.set _ZN6thrust23THRUST_200600_302600_NS11hip_rocprim14__parallel_for6kernelILj256ENS1_20__uninitialized_copy7functorINS0_7pointerINS0_5tupleIiiNS0_9null_typeES8_S8_S8_S8_S8_S8_S8_EENS1_5par_tENS0_11use_defaultESB_EESC_EEmLj1EEEvT0_T1_SF_.has_dyn_sized_stack, 0
	.set _ZN6thrust23THRUST_200600_302600_NS11hip_rocprim14__parallel_for6kernelILj256ENS1_20__uninitialized_copy7functorINS0_7pointerINS0_5tupleIiiNS0_9null_typeES8_S8_S8_S8_S8_S8_S8_EENS1_5par_tENS0_11use_defaultESB_EESC_EEmLj1EEEvT0_T1_SF_.has_recursion, 0
	.set _ZN6thrust23THRUST_200600_302600_NS11hip_rocprim14__parallel_for6kernelILj256ENS1_20__uninitialized_copy7functorINS0_7pointerINS0_5tupleIiiNS0_9null_typeES8_S8_S8_S8_S8_S8_S8_EENS1_5par_tENS0_11use_defaultESB_EESC_EEmLj1EEEvT0_T1_SF_.has_indirect_call, 0
	.section	.AMDGPU.csdata,"",@progbits
; Kernel info:
; codeLenInByte = 220
; TotalNumSgprs: 20
; NumVgprs: 6
; ScratchSize: 0
; MemoryBound: 0
; FloatMode: 240
; IeeeMode: 1
; LDSByteSize: 0 bytes/workgroup (compile time only)
; SGPRBlocks: 2
; VGPRBlocks: 1
; NumSGPRsForWavesPerEU: 20
; NumVGPRsForWavesPerEU: 6
; Occupancy: 10
; WaveLimiterHint : 0
; COMPUTE_PGM_RSRC2:SCRATCH_EN: 0
; COMPUTE_PGM_RSRC2:USER_SGPR: 6
; COMPUTE_PGM_RSRC2:TRAP_HANDLER: 0
; COMPUTE_PGM_RSRC2:TGID_X_EN: 1
; COMPUTE_PGM_RSRC2:TGID_Y_EN: 0
; COMPUTE_PGM_RSRC2:TGID_Z_EN: 0
; COMPUTE_PGM_RSRC2:TIDIG_COMP_CNT: 0
	.section	.text._ZN7rocprim17ROCPRIM_400000_NS6detail17trampoline_kernelINS0_14default_configENS1_27lower_bound_config_selectorIN6thrust23THRUST_200600_302600_NS5tupleIiiNS6_9null_typeES8_S8_S8_S8_S8_S8_S8_EElEEZNS1_14transform_implILb0ES3_SA_NS6_6detail15normal_iteratorINS6_7pointerIS9_NS6_11hip_rocprim5par_tENS6_11use_defaultESH_EEEENSD_INSE_IlSG_SH_SH_EEEEZNS1_13binary_searchIS3_SA_NSD_INS6_10device_ptrIS9_EEEESJ_SL_NS1_21lower_bound_search_opENSC_16wrapped_functionINS6_6system6detail7generic6detail18binary_search_lessEbEEEE10hipError_tPvRmT1_T2_T3_mmT4_T5_P12ihipStream_tbEUlRKS9_E_EESY_S12_S13_mS14_S17_bEUlT_E_NS1_11comp_targetILNS1_3genE10ELNS1_11target_archE1201ELNS1_3gpuE5ELNS1_3repE0EEENS1_30default_config_static_selectorELNS0_4arch9wavefront6targetE1EEEvS11_,"axG",@progbits,_ZN7rocprim17ROCPRIM_400000_NS6detail17trampoline_kernelINS0_14default_configENS1_27lower_bound_config_selectorIN6thrust23THRUST_200600_302600_NS5tupleIiiNS6_9null_typeES8_S8_S8_S8_S8_S8_S8_EElEEZNS1_14transform_implILb0ES3_SA_NS6_6detail15normal_iteratorINS6_7pointerIS9_NS6_11hip_rocprim5par_tENS6_11use_defaultESH_EEEENSD_INSE_IlSG_SH_SH_EEEEZNS1_13binary_searchIS3_SA_NSD_INS6_10device_ptrIS9_EEEESJ_SL_NS1_21lower_bound_search_opENSC_16wrapped_functionINS6_6system6detail7generic6detail18binary_search_lessEbEEEE10hipError_tPvRmT1_T2_T3_mmT4_T5_P12ihipStream_tbEUlRKS9_E_EESY_S12_S13_mS14_S17_bEUlT_E_NS1_11comp_targetILNS1_3genE10ELNS1_11target_archE1201ELNS1_3gpuE5ELNS1_3repE0EEENS1_30default_config_static_selectorELNS0_4arch9wavefront6targetE1EEEvS11_,comdat
	.protected	_ZN7rocprim17ROCPRIM_400000_NS6detail17trampoline_kernelINS0_14default_configENS1_27lower_bound_config_selectorIN6thrust23THRUST_200600_302600_NS5tupleIiiNS6_9null_typeES8_S8_S8_S8_S8_S8_S8_EElEEZNS1_14transform_implILb0ES3_SA_NS6_6detail15normal_iteratorINS6_7pointerIS9_NS6_11hip_rocprim5par_tENS6_11use_defaultESH_EEEENSD_INSE_IlSG_SH_SH_EEEEZNS1_13binary_searchIS3_SA_NSD_INS6_10device_ptrIS9_EEEESJ_SL_NS1_21lower_bound_search_opENSC_16wrapped_functionINS6_6system6detail7generic6detail18binary_search_lessEbEEEE10hipError_tPvRmT1_T2_T3_mmT4_T5_P12ihipStream_tbEUlRKS9_E_EESY_S12_S13_mS14_S17_bEUlT_E_NS1_11comp_targetILNS1_3genE10ELNS1_11target_archE1201ELNS1_3gpuE5ELNS1_3repE0EEENS1_30default_config_static_selectorELNS0_4arch9wavefront6targetE1EEEvS11_ ; -- Begin function _ZN7rocprim17ROCPRIM_400000_NS6detail17trampoline_kernelINS0_14default_configENS1_27lower_bound_config_selectorIN6thrust23THRUST_200600_302600_NS5tupleIiiNS6_9null_typeES8_S8_S8_S8_S8_S8_S8_EElEEZNS1_14transform_implILb0ES3_SA_NS6_6detail15normal_iteratorINS6_7pointerIS9_NS6_11hip_rocprim5par_tENS6_11use_defaultESH_EEEENSD_INSE_IlSG_SH_SH_EEEEZNS1_13binary_searchIS3_SA_NSD_INS6_10device_ptrIS9_EEEESJ_SL_NS1_21lower_bound_search_opENSC_16wrapped_functionINS6_6system6detail7generic6detail18binary_search_lessEbEEEE10hipError_tPvRmT1_T2_T3_mmT4_T5_P12ihipStream_tbEUlRKS9_E_EESY_S12_S13_mS14_S17_bEUlT_E_NS1_11comp_targetILNS1_3genE10ELNS1_11target_archE1201ELNS1_3gpuE5ELNS1_3repE0EEENS1_30default_config_static_selectorELNS0_4arch9wavefront6targetE1EEEvS11_
	.globl	_ZN7rocprim17ROCPRIM_400000_NS6detail17trampoline_kernelINS0_14default_configENS1_27lower_bound_config_selectorIN6thrust23THRUST_200600_302600_NS5tupleIiiNS6_9null_typeES8_S8_S8_S8_S8_S8_S8_EElEEZNS1_14transform_implILb0ES3_SA_NS6_6detail15normal_iteratorINS6_7pointerIS9_NS6_11hip_rocprim5par_tENS6_11use_defaultESH_EEEENSD_INSE_IlSG_SH_SH_EEEEZNS1_13binary_searchIS3_SA_NSD_INS6_10device_ptrIS9_EEEESJ_SL_NS1_21lower_bound_search_opENSC_16wrapped_functionINS6_6system6detail7generic6detail18binary_search_lessEbEEEE10hipError_tPvRmT1_T2_T3_mmT4_T5_P12ihipStream_tbEUlRKS9_E_EESY_S12_S13_mS14_S17_bEUlT_E_NS1_11comp_targetILNS1_3genE10ELNS1_11target_archE1201ELNS1_3gpuE5ELNS1_3repE0EEENS1_30default_config_static_selectorELNS0_4arch9wavefront6targetE1EEEvS11_
	.p2align	8
	.type	_ZN7rocprim17ROCPRIM_400000_NS6detail17trampoline_kernelINS0_14default_configENS1_27lower_bound_config_selectorIN6thrust23THRUST_200600_302600_NS5tupleIiiNS6_9null_typeES8_S8_S8_S8_S8_S8_S8_EElEEZNS1_14transform_implILb0ES3_SA_NS6_6detail15normal_iteratorINS6_7pointerIS9_NS6_11hip_rocprim5par_tENS6_11use_defaultESH_EEEENSD_INSE_IlSG_SH_SH_EEEEZNS1_13binary_searchIS3_SA_NSD_INS6_10device_ptrIS9_EEEESJ_SL_NS1_21lower_bound_search_opENSC_16wrapped_functionINS6_6system6detail7generic6detail18binary_search_lessEbEEEE10hipError_tPvRmT1_T2_T3_mmT4_T5_P12ihipStream_tbEUlRKS9_E_EESY_S12_S13_mS14_S17_bEUlT_E_NS1_11comp_targetILNS1_3genE10ELNS1_11target_archE1201ELNS1_3gpuE5ELNS1_3repE0EEENS1_30default_config_static_selectorELNS0_4arch9wavefront6targetE1EEEvS11_,@function
_ZN7rocprim17ROCPRIM_400000_NS6detail17trampoline_kernelINS0_14default_configENS1_27lower_bound_config_selectorIN6thrust23THRUST_200600_302600_NS5tupleIiiNS6_9null_typeES8_S8_S8_S8_S8_S8_S8_EElEEZNS1_14transform_implILb0ES3_SA_NS6_6detail15normal_iteratorINS6_7pointerIS9_NS6_11hip_rocprim5par_tENS6_11use_defaultESH_EEEENSD_INSE_IlSG_SH_SH_EEEEZNS1_13binary_searchIS3_SA_NSD_INS6_10device_ptrIS9_EEEESJ_SL_NS1_21lower_bound_search_opENSC_16wrapped_functionINS6_6system6detail7generic6detail18binary_search_lessEbEEEE10hipError_tPvRmT1_T2_T3_mmT4_T5_P12ihipStream_tbEUlRKS9_E_EESY_S12_S13_mS14_S17_bEUlT_E_NS1_11comp_targetILNS1_3genE10ELNS1_11target_archE1201ELNS1_3gpuE5ELNS1_3repE0EEENS1_30default_config_static_selectorELNS0_4arch9wavefront6targetE1EEEvS11_: ; @_ZN7rocprim17ROCPRIM_400000_NS6detail17trampoline_kernelINS0_14default_configENS1_27lower_bound_config_selectorIN6thrust23THRUST_200600_302600_NS5tupleIiiNS6_9null_typeES8_S8_S8_S8_S8_S8_S8_EElEEZNS1_14transform_implILb0ES3_SA_NS6_6detail15normal_iteratorINS6_7pointerIS9_NS6_11hip_rocprim5par_tENS6_11use_defaultESH_EEEENSD_INSE_IlSG_SH_SH_EEEEZNS1_13binary_searchIS3_SA_NSD_INS6_10device_ptrIS9_EEEESJ_SL_NS1_21lower_bound_search_opENSC_16wrapped_functionINS6_6system6detail7generic6detail18binary_search_lessEbEEEE10hipError_tPvRmT1_T2_T3_mmT4_T5_P12ihipStream_tbEUlRKS9_E_EESY_S12_S13_mS14_S17_bEUlT_E_NS1_11comp_targetILNS1_3genE10ELNS1_11target_archE1201ELNS1_3gpuE5ELNS1_3repE0EEENS1_30default_config_static_selectorELNS0_4arch9wavefront6targetE1EEEvS11_
; %bb.0:
	.section	.rodata,"a",@progbits
	.p2align	6, 0x0
	.amdhsa_kernel _ZN7rocprim17ROCPRIM_400000_NS6detail17trampoline_kernelINS0_14default_configENS1_27lower_bound_config_selectorIN6thrust23THRUST_200600_302600_NS5tupleIiiNS6_9null_typeES8_S8_S8_S8_S8_S8_S8_EElEEZNS1_14transform_implILb0ES3_SA_NS6_6detail15normal_iteratorINS6_7pointerIS9_NS6_11hip_rocprim5par_tENS6_11use_defaultESH_EEEENSD_INSE_IlSG_SH_SH_EEEEZNS1_13binary_searchIS3_SA_NSD_INS6_10device_ptrIS9_EEEESJ_SL_NS1_21lower_bound_search_opENSC_16wrapped_functionINS6_6system6detail7generic6detail18binary_search_lessEbEEEE10hipError_tPvRmT1_T2_T3_mmT4_T5_P12ihipStream_tbEUlRKS9_E_EESY_S12_S13_mS14_S17_bEUlT_E_NS1_11comp_targetILNS1_3genE10ELNS1_11target_archE1201ELNS1_3gpuE5ELNS1_3repE0EEENS1_30default_config_static_selectorELNS0_4arch9wavefront6targetE1EEEvS11_
		.amdhsa_group_segment_fixed_size 0
		.amdhsa_private_segment_fixed_size 0
		.amdhsa_kernarg_size 56
		.amdhsa_user_sgpr_count 6
		.amdhsa_user_sgpr_private_segment_buffer 1
		.amdhsa_user_sgpr_dispatch_ptr 0
		.amdhsa_user_sgpr_queue_ptr 0
		.amdhsa_user_sgpr_kernarg_segment_ptr 1
		.amdhsa_user_sgpr_dispatch_id 0
		.amdhsa_user_sgpr_flat_scratch_init 0
		.amdhsa_user_sgpr_private_segment_size 0
		.amdhsa_uses_dynamic_stack 0
		.amdhsa_system_sgpr_private_segment_wavefront_offset 0
		.amdhsa_system_sgpr_workgroup_id_x 1
		.amdhsa_system_sgpr_workgroup_id_y 0
		.amdhsa_system_sgpr_workgroup_id_z 0
		.amdhsa_system_sgpr_workgroup_info 0
		.amdhsa_system_vgpr_workitem_id 0
		.amdhsa_next_free_vgpr 1
		.amdhsa_next_free_sgpr 0
		.amdhsa_reserve_vcc 0
		.amdhsa_reserve_flat_scratch 0
		.amdhsa_float_round_mode_32 0
		.amdhsa_float_round_mode_16_64 0
		.amdhsa_float_denorm_mode_32 3
		.amdhsa_float_denorm_mode_16_64 3
		.amdhsa_dx10_clamp 1
		.amdhsa_ieee_mode 1
		.amdhsa_fp16_overflow 0
		.amdhsa_exception_fp_ieee_invalid_op 0
		.amdhsa_exception_fp_denorm_src 0
		.amdhsa_exception_fp_ieee_div_zero 0
		.amdhsa_exception_fp_ieee_overflow 0
		.amdhsa_exception_fp_ieee_underflow 0
		.amdhsa_exception_fp_ieee_inexact 0
		.amdhsa_exception_int_div_zero 0
	.end_amdhsa_kernel
	.section	.text._ZN7rocprim17ROCPRIM_400000_NS6detail17trampoline_kernelINS0_14default_configENS1_27lower_bound_config_selectorIN6thrust23THRUST_200600_302600_NS5tupleIiiNS6_9null_typeES8_S8_S8_S8_S8_S8_S8_EElEEZNS1_14transform_implILb0ES3_SA_NS6_6detail15normal_iteratorINS6_7pointerIS9_NS6_11hip_rocprim5par_tENS6_11use_defaultESH_EEEENSD_INSE_IlSG_SH_SH_EEEEZNS1_13binary_searchIS3_SA_NSD_INS6_10device_ptrIS9_EEEESJ_SL_NS1_21lower_bound_search_opENSC_16wrapped_functionINS6_6system6detail7generic6detail18binary_search_lessEbEEEE10hipError_tPvRmT1_T2_T3_mmT4_T5_P12ihipStream_tbEUlRKS9_E_EESY_S12_S13_mS14_S17_bEUlT_E_NS1_11comp_targetILNS1_3genE10ELNS1_11target_archE1201ELNS1_3gpuE5ELNS1_3repE0EEENS1_30default_config_static_selectorELNS0_4arch9wavefront6targetE1EEEvS11_,"axG",@progbits,_ZN7rocprim17ROCPRIM_400000_NS6detail17trampoline_kernelINS0_14default_configENS1_27lower_bound_config_selectorIN6thrust23THRUST_200600_302600_NS5tupleIiiNS6_9null_typeES8_S8_S8_S8_S8_S8_S8_EElEEZNS1_14transform_implILb0ES3_SA_NS6_6detail15normal_iteratorINS6_7pointerIS9_NS6_11hip_rocprim5par_tENS6_11use_defaultESH_EEEENSD_INSE_IlSG_SH_SH_EEEEZNS1_13binary_searchIS3_SA_NSD_INS6_10device_ptrIS9_EEEESJ_SL_NS1_21lower_bound_search_opENSC_16wrapped_functionINS6_6system6detail7generic6detail18binary_search_lessEbEEEE10hipError_tPvRmT1_T2_T3_mmT4_T5_P12ihipStream_tbEUlRKS9_E_EESY_S12_S13_mS14_S17_bEUlT_E_NS1_11comp_targetILNS1_3genE10ELNS1_11target_archE1201ELNS1_3gpuE5ELNS1_3repE0EEENS1_30default_config_static_selectorELNS0_4arch9wavefront6targetE1EEEvS11_,comdat
.Lfunc_end437:
	.size	_ZN7rocprim17ROCPRIM_400000_NS6detail17trampoline_kernelINS0_14default_configENS1_27lower_bound_config_selectorIN6thrust23THRUST_200600_302600_NS5tupleIiiNS6_9null_typeES8_S8_S8_S8_S8_S8_S8_EElEEZNS1_14transform_implILb0ES3_SA_NS6_6detail15normal_iteratorINS6_7pointerIS9_NS6_11hip_rocprim5par_tENS6_11use_defaultESH_EEEENSD_INSE_IlSG_SH_SH_EEEEZNS1_13binary_searchIS3_SA_NSD_INS6_10device_ptrIS9_EEEESJ_SL_NS1_21lower_bound_search_opENSC_16wrapped_functionINS6_6system6detail7generic6detail18binary_search_lessEbEEEE10hipError_tPvRmT1_T2_T3_mmT4_T5_P12ihipStream_tbEUlRKS9_E_EESY_S12_S13_mS14_S17_bEUlT_E_NS1_11comp_targetILNS1_3genE10ELNS1_11target_archE1201ELNS1_3gpuE5ELNS1_3repE0EEENS1_30default_config_static_selectorELNS0_4arch9wavefront6targetE1EEEvS11_, .Lfunc_end437-_ZN7rocprim17ROCPRIM_400000_NS6detail17trampoline_kernelINS0_14default_configENS1_27lower_bound_config_selectorIN6thrust23THRUST_200600_302600_NS5tupleIiiNS6_9null_typeES8_S8_S8_S8_S8_S8_S8_EElEEZNS1_14transform_implILb0ES3_SA_NS6_6detail15normal_iteratorINS6_7pointerIS9_NS6_11hip_rocprim5par_tENS6_11use_defaultESH_EEEENSD_INSE_IlSG_SH_SH_EEEEZNS1_13binary_searchIS3_SA_NSD_INS6_10device_ptrIS9_EEEESJ_SL_NS1_21lower_bound_search_opENSC_16wrapped_functionINS6_6system6detail7generic6detail18binary_search_lessEbEEEE10hipError_tPvRmT1_T2_T3_mmT4_T5_P12ihipStream_tbEUlRKS9_E_EESY_S12_S13_mS14_S17_bEUlT_E_NS1_11comp_targetILNS1_3genE10ELNS1_11target_archE1201ELNS1_3gpuE5ELNS1_3repE0EEENS1_30default_config_static_selectorELNS0_4arch9wavefront6targetE1EEEvS11_
                                        ; -- End function
	.set _ZN7rocprim17ROCPRIM_400000_NS6detail17trampoline_kernelINS0_14default_configENS1_27lower_bound_config_selectorIN6thrust23THRUST_200600_302600_NS5tupleIiiNS6_9null_typeES8_S8_S8_S8_S8_S8_S8_EElEEZNS1_14transform_implILb0ES3_SA_NS6_6detail15normal_iteratorINS6_7pointerIS9_NS6_11hip_rocprim5par_tENS6_11use_defaultESH_EEEENSD_INSE_IlSG_SH_SH_EEEEZNS1_13binary_searchIS3_SA_NSD_INS6_10device_ptrIS9_EEEESJ_SL_NS1_21lower_bound_search_opENSC_16wrapped_functionINS6_6system6detail7generic6detail18binary_search_lessEbEEEE10hipError_tPvRmT1_T2_T3_mmT4_T5_P12ihipStream_tbEUlRKS9_E_EESY_S12_S13_mS14_S17_bEUlT_E_NS1_11comp_targetILNS1_3genE10ELNS1_11target_archE1201ELNS1_3gpuE5ELNS1_3repE0EEENS1_30default_config_static_selectorELNS0_4arch9wavefront6targetE1EEEvS11_.num_vgpr, 0
	.set _ZN7rocprim17ROCPRIM_400000_NS6detail17trampoline_kernelINS0_14default_configENS1_27lower_bound_config_selectorIN6thrust23THRUST_200600_302600_NS5tupleIiiNS6_9null_typeES8_S8_S8_S8_S8_S8_S8_EElEEZNS1_14transform_implILb0ES3_SA_NS6_6detail15normal_iteratorINS6_7pointerIS9_NS6_11hip_rocprim5par_tENS6_11use_defaultESH_EEEENSD_INSE_IlSG_SH_SH_EEEEZNS1_13binary_searchIS3_SA_NSD_INS6_10device_ptrIS9_EEEESJ_SL_NS1_21lower_bound_search_opENSC_16wrapped_functionINS6_6system6detail7generic6detail18binary_search_lessEbEEEE10hipError_tPvRmT1_T2_T3_mmT4_T5_P12ihipStream_tbEUlRKS9_E_EESY_S12_S13_mS14_S17_bEUlT_E_NS1_11comp_targetILNS1_3genE10ELNS1_11target_archE1201ELNS1_3gpuE5ELNS1_3repE0EEENS1_30default_config_static_selectorELNS0_4arch9wavefront6targetE1EEEvS11_.num_agpr, 0
	.set _ZN7rocprim17ROCPRIM_400000_NS6detail17trampoline_kernelINS0_14default_configENS1_27lower_bound_config_selectorIN6thrust23THRUST_200600_302600_NS5tupleIiiNS6_9null_typeES8_S8_S8_S8_S8_S8_S8_EElEEZNS1_14transform_implILb0ES3_SA_NS6_6detail15normal_iteratorINS6_7pointerIS9_NS6_11hip_rocprim5par_tENS6_11use_defaultESH_EEEENSD_INSE_IlSG_SH_SH_EEEEZNS1_13binary_searchIS3_SA_NSD_INS6_10device_ptrIS9_EEEESJ_SL_NS1_21lower_bound_search_opENSC_16wrapped_functionINS6_6system6detail7generic6detail18binary_search_lessEbEEEE10hipError_tPvRmT1_T2_T3_mmT4_T5_P12ihipStream_tbEUlRKS9_E_EESY_S12_S13_mS14_S17_bEUlT_E_NS1_11comp_targetILNS1_3genE10ELNS1_11target_archE1201ELNS1_3gpuE5ELNS1_3repE0EEENS1_30default_config_static_selectorELNS0_4arch9wavefront6targetE1EEEvS11_.numbered_sgpr, 0
	.set _ZN7rocprim17ROCPRIM_400000_NS6detail17trampoline_kernelINS0_14default_configENS1_27lower_bound_config_selectorIN6thrust23THRUST_200600_302600_NS5tupleIiiNS6_9null_typeES8_S8_S8_S8_S8_S8_S8_EElEEZNS1_14transform_implILb0ES3_SA_NS6_6detail15normal_iteratorINS6_7pointerIS9_NS6_11hip_rocprim5par_tENS6_11use_defaultESH_EEEENSD_INSE_IlSG_SH_SH_EEEEZNS1_13binary_searchIS3_SA_NSD_INS6_10device_ptrIS9_EEEESJ_SL_NS1_21lower_bound_search_opENSC_16wrapped_functionINS6_6system6detail7generic6detail18binary_search_lessEbEEEE10hipError_tPvRmT1_T2_T3_mmT4_T5_P12ihipStream_tbEUlRKS9_E_EESY_S12_S13_mS14_S17_bEUlT_E_NS1_11comp_targetILNS1_3genE10ELNS1_11target_archE1201ELNS1_3gpuE5ELNS1_3repE0EEENS1_30default_config_static_selectorELNS0_4arch9wavefront6targetE1EEEvS11_.num_named_barrier, 0
	.set _ZN7rocprim17ROCPRIM_400000_NS6detail17trampoline_kernelINS0_14default_configENS1_27lower_bound_config_selectorIN6thrust23THRUST_200600_302600_NS5tupleIiiNS6_9null_typeES8_S8_S8_S8_S8_S8_S8_EElEEZNS1_14transform_implILb0ES3_SA_NS6_6detail15normal_iteratorINS6_7pointerIS9_NS6_11hip_rocprim5par_tENS6_11use_defaultESH_EEEENSD_INSE_IlSG_SH_SH_EEEEZNS1_13binary_searchIS3_SA_NSD_INS6_10device_ptrIS9_EEEESJ_SL_NS1_21lower_bound_search_opENSC_16wrapped_functionINS6_6system6detail7generic6detail18binary_search_lessEbEEEE10hipError_tPvRmT1_T2_T3_mmT4_T5_P12ihipStream_tbEUlRKS9_E_EESY_S12_S13_mS14_S17_bEUlT_E_NS1_11comp_targetILNS1_3genE10ELNS1_11target_archE1201ELNS1_3gpuE5ELNS1_3repE0EEENS1_30default_config_static_selectorELNS0_4arch9wavefront6targetE1EEEvS11_.private_seg_size, 0
	.set _ZN7rocprim17ROCPRIM_400000_NS6detail17trampoline_kernelINS0_14default_configENS1_27lower_bound_config_selectorIN6thrust23THRUST_200600_302600_NS5tupleIiiNS6_9null_typeES8_S8_S8_S8_S8_S8_S8_EElEEZNS1_14transform_implILb0ES3_SA_NS6_6detail15normal_iteratorINS6_7pointerIS9_NS6_11hip_rocprim5par_tENS6_11use_defaultESH_EEEENSD_INSE_IlSG_SH_SH_EEEEZNS1_13binary_searchIS3_SA_NSD_INS6_10device_ptrIS9_EEEESJ_SL_NS1_21lower_bound_search_opENSC_16wrapped_functionINS6_6system6detail7generic6detail18binary_search_lessEbEEEE10hipError_tPvRmT1_T2_T3_mmT4_T5_P12ihipStream_tbEUlRKS9_E_EESY_S12_S13_mS14_S17_bEUlT_E_NS1_11comp_targetILNS1_3genE10ELNS1_11target_archE1201ELNS1_3gpuE5ELNS1_3repE0EEENS1_30default_config_static_selectorELNS0_4arch9wavefront6targetE1EEEvS11_.uses_vcc, 0
	.set _ZN7rocprim17ROCPRIM_400000_NS6detail17trampoline_kernelINS0_14default_configENS1_27lower_bound_config_selectorIN6thrust23THRUST_200600_302600_NS5tupleIiiNS6_9null_typeES8_S8_S8_S8_S8_S8_S8_EElEEZNS1_14transform_implILb0ES3_SA_NS6_6detail15normal_iteratorINS6_7pointerIS9_NS6_11hip_rocprim5par_tENS6_11use_defaultESH_EEEENSD_INSE_IlSG_SH_SH_EEEEZNS1_13binary_searchIS3_SA_NSD_INS6_10device_ptrIS9_EEEESJ_SL_NS1_21lower_bound_search_opENSC_16wrapped_functionINS6_6system6detail7generic6detail18binary_search_lessEbEEEE10hipError_tPvRmT1_T2_T3_mmT4_T5_P12ihipStream_tbEUlRKS9_E_EESY_S12_S13_mS14_S17_bEUlT_E_NS1_11comp_targetILNS1_3genE10ELNS1_11target_archE1201ELNS1_3gpuE5ELNS1_3repE0EEENS1_30default_config_static_selectorELNS0_4arch9wavefront6targetE1EEEvS11_.uses_flat_scratch, 0
	.set _ZN7rocprim17ROCPRIM_400000_NS6detail17trampoline_kernelINS0_14default_configENS1_27lower_bound_config_selectorIN6thrust23THRUST_200600_302600_NS5tupleIiiNS6_9null_typeES8_S8_S8_S8_S8_S8_S8_EElEEZNS1_14transform_implILb0ES3_SA_NS6_6detail15normal_iteratorINS6_7pointerIS9_NS6_11hip_rocprim5par_tENS6_11use_defaultESH_EEEENSD_INSE_IlSG_SH_SH_EEEEZNS1_13binary_searchIS3_SA_NSD_INS6_10device_ptrIS9_EEEESJ_SL_NS1_21lower_bound_search_opENSC_16wrapped_functionINS6_6system6detail7generic6detail18binary_search_lessEbEEEE10hipError_tPvRmT1_T2_T3_mmT4_T5_P12ihipStream_tbEUlRKS9_E_EESY_S12_S13_mS14_S17_bEUlT_E_NS1_11comp_targetILNS1_3genE10ELNS1_11target_archE1201ELNS1_3gpuE5ELNS1_3repE0EEENS1_30default_config_static_selectorELNS0_4arch9wavefront6targetE1EEEvS11_.has_dyn_sized_stack, 0
	.set _ZN7rocprim17ROCPRIM_400000_NS6detail17trampoline_kernelINS0_14default_configENS1_27lower_bound_config_selectorIN6thrust23THRUST_200600_302600_NS5tupleIiiNS6_9null_typeES8_S8_S8_S8_S8_S8_S8_EElEEZNS1_14transform_implILb0ES3_SA_NS6_6detail15normal_iteratorINS6_7pointerIS9_NS6_11hip_rocprim5par_tENS6_11use_defaultESH_EEEENSD_INSE_IlSG_SH_SH_EEEEZNS1_13binary_searchIS3_SA_NSD_INS6_10device_ptrIS9_EEEESJ_SL_NS1_21lower_bound_search_opENSC_16wrapped_functionINS6_6system6detail7generic6detail18binary_search_lessEbEEEE10hipError_tPvRmT1_T2_T3_mmT4_T5_P12ihipStream_tbEUlRKS9_E_EESY_S12_S13_mS14_S17_bEUlT_E_NS1_11comp_targetILNS1_3genE10ELNS1_11target_archE1201ELNS1_3gpuE5ELNS1_3repE0EEENS1_30default_config_static_selectorELNS0_4arch9wavefront6targetE1EEEvS11_.has_recursion, 0
	.set _ZN7rocprim17ROCPRIM_400000_NS6detail17trampoline_kernelINS0_14default_configENS1_27lower_bound_config_selectorIN6thrust23THRUST_200600_302600_NS5tupleIiiNS6_9null_typeES8_S8_S8_S8_S8_S8_S8_EElEEZNS1_14transform_implILb0ES3_SA_NS6_6detail15normal_iteratorINS6_7pointerIS9_NS6_11hip_rocprim5par_tENS6_11use_defaultESH_EEEENSD_INSE_IlSG_SH_SH_EEEEZNS1_13binary_searchIS3_SA_NSD_INS6_10device_ptrIS9_EEEESJ_SL_NS1_21lower_bound_search_opENSC_16wrapped_functionINS6_6system6detail7generic6detail18binary_search_lessEbEEEE10hipError_tPvRmT1_T2_T3_mmT4_T5_P12ihipStream_tbEUlRKS9_E_EESY_S12_S13_mS14_S17_bEUlT_E_NS1_11comp_targetILNS1_3genE10ELNS1_11target_archE1201ELNS1_3gpuE5ELNS1_3repE0EEENS1_30default_config_static_selectorELNS0_4arch9wavefront6targetE1EEEvS11_.has_indirect_call, 0
	.section	.AMDGPU.csdata,"",@progbits
; Kernel info:
; codeLenInByte = 0
; TotalNumSgprs: 4
; NumVgprs: 0
; ScratchSize: 0
; MemoryBound: 0
; FloatMode: 240
; IeeeMode: 1
; LDSByteSize: 0 bytes/workgroup (compile time only)
; SGPRBlocks: 0
; VGPRBlocks: 0
; NumSGPRsForWavesPerEU: 4
; NumVGPRsForWavesPerEU: 1
; Occupancy: 10
; WaveLimiterHint : 0
; COMPUTE_PGM_RSRC2:SCRATCH_EN: 0
; COMPUTE_PGM_RSRC2:USER_SGPR: 6
; COMPUTE_PGM_RSRC2:TRAP_HANDLER: 0
; COMPUTE_PGM_RSRC2:TGID_X_EN: 1
; COMPUTE_PGM_RSRC2:TGID_Y_EN: 0
; COMPUTE_PGM_RSRC2:TGID_Z_EN: 0
; COMPUTE_PGM_RSRC2:TIDIG_COMP_CNT: 0
	.section	.text._ZN7rocprim17ROCPRIM_400000_NS6detail17trampoline_kernelINS0_14default_configENS1_27lower_bound_config_selectorIN6thrust23THRUST_200600_302600_NS5tupleIiiNS6_9null_typeES8_S8_S8_S8_S8_S8_S8_EElEEZNS1_14transform_implILb0ES3_SA_NS6_6detail15normal_iteratorINS6_7pointerIS9_NS6_11hip_rocprim5par_tENS6_11use_defaultESH_EEEENSD_INSE_IlSG_SH_SH_EEEEZNS1_13binary_searchIS3_SA_NSD_INS6_10device_ptrIS9_EEEESJ_SL_NS1_21lower_bound_search_opENSC_16wrapped_functionINS6_6system6detail7generic6detail18binary_search_lessEbEEEE10hipError_tPvRmT1_T2_T3_mmT4_T5_P12ihipStream_tbEUlRKS9_E_EESY_S12_S13_mS14_S17_bEUlT_E_NS1_11comp_targetILNS1_3genE10ELNS1_11target_archE1200ELNS1_3gpuE4ELNS1_3repE0EEENS1_30default_config_static_selectorELNS0_4arch9wavefront6targetE1EEEvS11_,"axG",@progbits,_ZN7rocprim17ROCPRIM_400000_NS6detail17trampoline_kernelINS0_14default_configENS1_27lower_bound_config_selectorIN6thrust23THRUST_200600_302600_NS5tupleIiiNS6_9null_typeES8_S8_S8_S8_S8_S8_S8_EElEEZNS1_14transform_implILb0ES3_SA_NS6_6detail15normal_iteratorINS6_7pointerIS9_NS6_11hip_rocprim5par_tENS6_11use_defaultESH_EEEENSD_INSE_IlSG_SH_SH_EEEEZNS1_13binary_searchIS3_SA_NSD_INS6_10device_ptrIS9_EEEESJ_SL_NS1_21lower_bound_search_opENSC_16wrapped_functionINS6_6system6detail7generic6detail18binary_search_lessEbEEEE10hipError_tPvRmT1_T2_T3_mmT4_T5_P12ihipStream_tbEUlRKS9_E_EESY_S12_S13_mS14_S17_bEUlT_E_NS1_11comp_targetILNS1_3genE10ELNS1_11target_archE1200ELNS1_3gpuE4ELNS1_3repE0EEENS1_30default_config_static_selectorELNS0_4arch9wavefront6targetE1EEEvS11_,comdat
	.protected	_ZN7rocprim17ROCPRIM_400000_NS6detail17trampoline_kernelINS0_14default_configENS1_27lower_bound_config_selectorIN6thrust23THRUST_200600_302600_NS5tupleIiiNS6_9null_typeES8_S8_S8_S8_S8_S8_S8_EElEEZNS1_14transform_implILb0ES3_SA_NS6_6detail15normal_iteratorINS6_7pointerIS9_NS6_11hip_rocprim5par_tENS6_11use_defaultESH_EEEENSD_INSE_IlSG_SH_SH_EEEEZNS1_13binary_searchIS3_SA_NSD_INS6_10device_ptrIS9_EEEESJ_SL_NS1_21lower_bound_search_opENSC_16wrapped_functionINS6_6system6detail7generic6detail18binary_search_lessEbEEEE10hipError_tPvRmT1_T2_T3_mmT4_T5_P12ihipStream_tbEUlRKS9_E_EESY_S12_S13_mS14_S17_bEUlT_E_NS1_11comp_targetILNS1_3genE10ELNS1_11target_archE1200ELNS1_3gpuE4ELNS1_3repE0EEENS1_30default_config_static_selectorELNS0_4arch9wavefront6targetE1EEEvS11_ ; -- Begin function _ZN7rocprim17ROCPRIM_400000_NS6detail17trampoline_kernelINS0_14default_configENS1_27lower_bound_config_selectorIN6thrust23THRUST_200600_302600_NS5tupleIiiNS6_9null_typeES8_S8_S8_S8_S8_S8_S8_EElEEZNS1_14transform_implILb0ES3_SA_NS6_6detail15normal_iteratorINS6_7pointerIS9_NS6_11hip_rocprim5par_tENS6_11use_defaultESH_EEEENSD_INSE_IlSG_SH_SH_EEEEZNS1_13binary_searchIS3_SA_NSD_INS6_10device_ptrIS9_EEEESJ_SL_NS1_21lower_bound_search_opENSC_16wrapped_functionINS6_6system6detail7generic6detail18binary_search_lessEbEEEE10hipError_tPvRmT1_T2_T3_mmT4_T5_P12ihipStream_tbEUlRKS9_E_EESY_S12_S13_mS14_S17_bEUlT_E_NS1_11comp_targetILNS1_3genE10ELNS1_11target_archE1200ELNS1_3gpuE4ELNS1_3repE0EEENS1_30default_config_static_selectorELNS0_4arch9wavefront6targetE1EEEvS11_
	.globl	_ZN7rocprim17ROCPRIM_400000_NS6detail17trampoline_kernelINS0_14default_configENS1_27lower_bound_config_selectorIN6thrust23THRUST_200600_302600_NS5tupleIiiNS6_9null_typeES8_S8_S8_S8_S8_S8_S8_EElEEZNS1_14transform_implILb0ES3_SA_NS6_6detail15normal_iteratorINS6_7pointerIS9_NS6_11hip_rocprim5par_tENS6_11use_defaultESH_EEEENSD_INSE_IlSG_SH_SH_EEEEZNS1_13binary_searchIS3_SA_NSD_INS6_10device_ptrIS9_EEEESJ_SL_NS1_21lower_bound_search_opENSC_16wrapped_functionINS6_6system6detail7generic6detail18binary_search_lessEbEEEE10hipError_tPvRmT1_T2_T3_mmT4_T5_P12ihipStream_tbEUlRKS9_E_EESY_S12_S13_mS14_S17_bEUlT_E_NS1_11comp_targetILNS1_3genE10ELNS1_11target_archE1200ELNS1_3gpuE4ELNS1_3repE0EEENS1_30default_config_static_selectorELNS0_4arch9wavefront6targetE1EEEvS11_
	.p2align	8
	.type	_ZN7rocprim17ROCPRIM_400000_NS6detail17trampoline_kernelINS0_14default_configENS1_27lower_bound_config_selectorIN6thrust23THRUST_200600_302600_NS5tupleIiiNS6_9null_typeES8_S8_S8_S8_S8_S8_S8_EElEEZNS1_14transform_implILb0ES3_SA_NS6_6detail15normal_iteratorINS6_7pointerIS9_NS6_11hip_rocprim5par_tENS6_11use_defaultESH_EEEENSD_INSE_IlSG_SH_SH_EEEEZNS1_13binary_searchIS3_SA_NSD_INS6_10device_ptrIS9_EEEESJ_SL_NS1_21lower_bound_search_opENSC_16wrapped_functionINS6_6system6detail7generic6detail18binary_search_lessEbEEEE10hipError_tPvRmT1_T2_T3_mmT4_T5_P12ihipStream_tbEUlRKS9_E_EESY_S12_S13_mS14_S17_bEUlT_E_NS1_11comp_targetILNS1_3genE10ELNS1_11target_archE1200ELNS1_3gpuE4ELNS1_3repE0EEENS1_30default_config_static_selectorELNS0_4arch9wavefront6targetE1EEEvS11_,@function
_ZN7rocprim17ROCPRIM_400000_NS6detail17trampoline_kernelINS0_14default_configENS1_27lower_bound_config_selectorIN6thrust23THRUST_200600_302600_NS5tupleIiiNS6_9null_typeES8_S8_S8_S8_S8_S8_S8_EElEEZNS1_14transform_implILb0ES3_SA_NS6_6detail15normal_iteratorINS6_7pointerIS9_NS6_11hip_rocprim5par_tENS6_11use_defaultESH_EEEENSD_INSE_IlSG_SH_SH_EEEEZNS1_13binary_searchIS3_SA_NSD_INS6_10device_ptrIS9_EEEESJ_SL_NS1_21lower_bound_search_opENSC_16wrapped_functionINS6_6system6detail7generic6detail18binary_search_lessEbEEEE10hipError_tPvRmT1_T2_T3_mmT4_T5_P12ihipStream_tbEUlRKS9_E_EESY_S12_S13_mS14_S17_bEUlT_E_NS1_11comp_targetILNS1_3genE10ELNS1_11target_archE1200ELNS1_3gpuE4ELNS1_3repE0EEENS1_30default_config_static_selectorELNS0_4arch9wavefront6targetE1EEEvS11_: ; @_ZN7rocprim17ROCPRIM_400000_NS6detail17trampoline_kernelINS0_14default_configENS1_27lower_bound_config_selectorIN6thrust23THRUST_200600_302600_NS5tupleIiiNS6_9null_typeES8_S8_S8_S8_S8_S8_S8_EElEEZNS1_14transform_implILb0ES3_SA_NS6_6detail15normal_iteratorINS6_7pointerIS9_NS6_11hip_rocprim5par_tENS6_11use_defaultESH_EEEENSD_INSE_IlSG_SH_SH_EEEEZNS1_13binary_searchIS3_SA_NSD_INS6_10device_ptrIS9_EEEESJ_SL_NS1_21lower_bound_search_opENSC_16wrapped_functionINS6_6system6detail7generic6detail18binary_search_lessEbEEEE10hipError_tPvRmT1_T2_T3_mmT4_T5_P12ihipStream_tbEUlRKS9_E_EESY_S12_S13_mS14_S17_bEUlT_E_NS1_11comp_targetILNS1_3genE10ELNS1_11target_archE1200ELNS1_3gpuE4ELNS1_3repE0EEENS1_30default_config_static_selectorELNS0_4arch9wavefront6targetE1EEEvS11_
; %bb.0:
	.section	.rodata,"a",@progbits
	.p2align	6, 0x0
	.amdhsa_kernel _ZN7rocprim17ROCPRIM_400000_NS6detail17trampoline_kernelINS0_14default_configENS1_27lower_bound_config_selectorIN6thrust23THRUST_200600_302600_NS5tupleIiiNS6_9null_typeES8_S8_S8_S8_S8_S8_S8_EElEEZNS1_14transform_implILb0ES3_SA_NS6_6detail15normal_iteratorINS6_7pointerIS9_NS6_11hip_rocprim5par_tENS6_11use_defaultESH_EEEENSD_INSE_IlSG_SH_SH_EEEEZNS1_13binary_searchIS3_SA_NSD_INS6_10device_ptrIS9_EEEESJ_SL_NS1_21lower_bound_search_opENSC_16wrapped_functionINS6_6system6detail7generic6detail18binary_search_lessEbEEEE10hipError_tPvRmT1_T2_T3_mmT4_T5_P12ihipStream_tbEUlRKS9_E_EESY_S12_S13_mS14_S17_bEUlT_E_NS1_11comp_targetILNS1_3genE10ELNS1_11target_archE1200ELNS1_3gpuE4ELNS1_3repE0EEENS1_30default_config_static_selectorELNS0_4arch9wavefront6targetE1EEEvS11_
		.amdhsa_group_segment_fixed_size 0
		.amdhsa_private_segment_fixed_size 0
		.amdhsa_kernarg_size 56
		.amdhsa_user_sgpr_count 6
		.amdhsa_user_sgpr_private_segment_buffer 1
		.amdhsa_user_sgpr_dispatch_ptr 0
		.amdhsa_user_sgpr_queue_ptr 0
		.amdhsa_user_sgpr_kernarg_segment_ptr 1
		.amdhsa_user_sgpr_dispatch_id 0
		.amdhsa_user_sgpr_flat_scratch_init 0
		.amdhsa_user_sgpr_private_segment_size 0
		.amdhsa_uses_dynamic_stack 0
		.amdhsa_system_sgpr_private_segment_wavefront_offset 0
		.amdhsa_system_sgpr_workgroup_id_x 1
		.amdhsa_system_sgpr_workgroup_id_y 0
		.amdhsa_system_sgpr_workgroup_id_z 0
		.amdhsa_system_sgpr_workgroup_info 0
		.amdhsa_system_vgpr_workitem_id 0
		.amdhsa_next_free_vgpr 1
		.amdhsa_next_free_sgpr 0
		.amdhsa_reserve_vcc 0
		.amdhsa_reserve_flat_scratch 0
		.amdhsa_float_round_mode_32 0
		.amdhsa_float_round_mode_16_64 0
		.amdhsa_float_denorm_mode_32 3
		.amdhsa_float_denorm_mode_16_64 3
		.amdhsa_dx10_clamp 1
		.amdhsa_ieee_mode 1
		.amdhsa_fp16_overflow 0
		.amdhsa_exception_fp_ieee_invalid_op 0
		.amdhsa_exception_fp_denorm_src 0
		.amdhsa_exception_fp_ieee_div_zero 0
		.amdhsa_exception_fp_ieee_overflow 0
		.amdhsa_exception_fp_ieee_underflow 0
		.amdhsa_exception_fp_ieee_inexact 0
		.amdhsa_exception_int_div_zero 0
	.end_amdhsa_kernel
	.section	.text._ZN7rocprim17ROCPRIM_400000_NS6detail17trampoline_kernelINS0_14default_configENS1_27lower_bound_config_selectorIN6thrust23THRUST_200600_302600_NS5tupleIiiNS6_9null_typeES8_S8_S8_S8_S8_S8_S8_EElEEZNS1_14transform_implILb0ES3_SA_NS6_6detail15normal_iteratorINS6_7pointerIS9_NS6_11hip_rocprim5par_tENS6_11use_defaultESH_EEEENSD_INSE_IlSG_SH_SH_EEEEZNS1_13binary_searchIS3_SA_NSD_INS6_10device_ptrIS9_EEEESJ_SL_NS1_21lower_bound_search_opENSC_16wrapped_functionINS6_6system6detail7generic6detail18binary_search_lessEbEEEE10hipError_tPvRmT1_T2_T3_mmT4_T5_P12ihipStream_tbEUlRKS9_E_EESY_S12_S13_mS14_S17_bEUlT_E_NS1_11comp_targetILNS1_3genE10ELNS1_11target_archE1200ELNS1_3gpuE4ELNS1_3repE0EEENS1_30default_config_static_selectorELNS0_4arch9wavefront6targetE1EEEvS11_,"axG",@progbits,_ZN7rocprim17ROCPRIM_400000_NS6detail17trampoline_kernelINS0_14default_configENS1_27lower_bound_config_selectorIN6thrust23THRUST_200600_302600_NS5tupleIiiNS6_9null_typeES8_S8_S8_S8_S8_S8_S8_EElEEZNS1_14transform_implILb0ES3_SA_NS6_6detail15normal_iteratorINS6_7pointerIS9_NS6_11hip_rocprim5par_tENS6_11use_defaultESH_EEEENSD_INSE_IlSG_SH_SH_EEEEZNS1_13binary_searchIS3_SA_NSD_INS6_10device_ptrIS9_EEEESJ_SL_NS1_21lower_bound_search_opENSC_16wrapped_functionINS6_6system6detail7generic6detail18binary_search_lessEbEEEE10hipError_tPvRmT1_T2_T3_mmT4_T5_P12ihipStream_tbEUlRKS9_E_EESY_S12_S13_mS14_S17_bEUlT_E_NS1_11comp_targetILNS1_3genE10ELNS1_11target_archE1200ELNS1_3gpuE4ELNS1_3repE0EEENS1_30default_config_static_selectorELNS0_4arch9wavefront6targetE1EEEvS11_,comdat
.Lfunc_end438:
	.size	_ZN7rocprim17ROCPRIM_400000_NS6detail17trampoline_kernelINS0_14default_configENS1_27lower_bound_config_selectorIN6thrust23THRUST_200600_302600_NS5tupleIiiNS6_9null_typeES8_S8_S8_S8_S8_S8_S8_EElEEZNS1_14transform_implILb0ES3_SA_NS6_6detail15normal_iteratorINS6_7pointerIS9_NS6_11hip_rocprim5par_tENS6_11use_defaultESH_EEEENSD_INSE_IlSG_SH_SH_EEEEZNS1_13binary_searchIS3_SA_NSD_INS6_10device_ptrIS9_EEEESJ_SL_NS1_21lower_bound_search_opENSC_16wrapped_functionINS6_6system6detail7generic6detail18binary_search_lessEbEEEE10hipError_tPvRmT1_T2_T3_mmT4_T5_P12ihipStream_tbEUlRKS9_E_EESY_S12_S13_mS14_S17_bEUlT_E_NS1_11comp_targetILNS1_3genE10ELNS1_11target_archE1200ELNS1_3gpuE4ELNS1_3repE0EEENS1_30default_config_static_selectorELNS0_4arch9wavefront6targetE1EEEvS11_, .Lfunc_end438-_ZN7rocprim17ROCPRIM_400000_NS6detail17trampoline_kernelINS0_14default_configENS1_27lower_bound_config_selectorIN6thrust23THRUST_200600_302600_NS5tupleIiiNS6_9null_typeES8_S8_S8_S8_S8_S8_S8_EElEEZNS1_14transform_implILb0ES3_SA_NS6_6detail15normal_iteratorINS6_7pointerIS9_NS6_11hip_rocprim5par_tENS6_11use_defaultESH_EEEENSD_INSE_IlSG_SH_SH_EEEEZNS1_13binary_searchIS3_SA_NSD_INS6_10device_ptrIS9_EEEESJ_SL_NS1_21lower_bound_search_opENSC_16wrapped_functionINS6_6system6detail7generic6detail18binary_search_lessEbEEEE10hipError_tPvRmT1_T2_T3_mmT4_T5_P12ihipStream_tbEUlRKS9_E_EESY_S12_S13_mS14_S17_bEUlT_E_NS1_11comp_targetILNS1_3genE10ELNS1_11target_archE1200ELNS1_3gpuE4ELNS1_3repE0EEENS1_30default_config_static_selectorELNS0_4arch9wavefront6targetE1EEEvS11_
                                        ; -- End function
	.set _ZN7rocprim17ROCPRIM_400000_NS6detail17trampoline_kernelINS0_14default_configENS1_27lower_bound_config_selectorIN6thrust23THRUST_200600_302600_NS5tupleIiiNS6_9null_typeES8_S8_S8_S8_S8_S8_S8_EElEEZNS1_14transform_implILb0ES3_SA_NS6_6detail15normal_iteratorINS6_7pointerIS9_NS6_11hip_rocprim5par_tENS6_11use_defaultESH_EEEENSD_INSE_IlSG_SH_SH_EEEEZNS1_13binary_searchIS3_SA_NSD_INS6_10device_ptrIS9_EEEESJ_SL_NS1_21lower_bound_search_opENSC_16wrapped_functionINS6_6system6detail7generic6detail18binary_search_lessEbEEEE10hipError_tPvRmT1_T2_T3_mmT4_T5_P12ihipStream_tbEUlRKS9_E_EESY_S12_S13_mS14_S17_bEUlT_E_NS1_11comp_targetILNS1_3genE10ELNS1_11target_archE1200ELNS1_3gpuE4ELNS1_3repE0EEENS1_30default_config_static_selectorELNS0_4arch9wavefront6targetE1EEEvS11_.num_vgpr, 0
	.set _ZN7rocprim17ROCPRIM_400000_NS6detail17trampoline_kernelINS0_14default_configENS1_27lower_bound_config_selectorIN6thrust23THRUST_200600_302600_NS5tupleIiiNS6_9null_typeES8_S8_S8_S8_S8_S8_S8_EElEEZNS1_14transform_implILb0ES3_SA_NS6_6detail15normal_iteratorINS6_7pointerIS9_NS6_11hip_rocprim5par_tENS6_11use_defaultESH_EEEENSD_INSE_IlSG_SH_SH_EEEEZNS1_13binary_searchIS3_SA_NSD_INS6_10device_ptrIS9_EEEESJ_SL_NS1_21lower_bound_search_opENSC_16wrapped_functionINS6_6system6detail7generic6detail18binary_search_lessEbEEEE10hipError_tPvRmT1_T2_T3_mmT4_T5_P12ihipStream_tbEUlRKS9_E_EESY_S12_S13_mS14_S17_bEUlT_E_NS1_11comp_targetILNS1_3genE10ELNS1_11target_archE1200ELNS1_3gpuE4ELNS1_3repE0EEENS1_30default_config_static_selectorELNS0_4arch9wavefront6targetE1EEEvS11_.num_agpr, 0
	.set _ZN7rocprim17ROCPRIM_400000_NS6detail17trampoline_kernelINS0_14default_configENS1_27lower_bound_config_selectorIN6thrust23THRUST_200600_302600_NS5tupleIiiNS6_9null_typeES8_S8_S8_S8_S8_S8_S8_EElEEZNS1_14transform_implILb0ES3_SA_NS6_6detail15normal_iteratorINS6_7pointerIS9_NS6_11hip_rocprim5par_tENS6_11use_defaultESH_EEEENSD_INSE_IlSG_SH_SH_EEEEZNS1_13binary_searchIS3_SA_NSD_INS6_10device_ptrIS9_EEEESJ_SL_NS1_21lower_bound_search_opENSC_16wrapped_functionINS6_6system6detail7generic6detail18binary_search_lessEbEEEE10hipError_tPvRmT1_T2_T3_mmT4_T5_P12ihipStream_tbEUlRKS9_E_EESY_S12_S13_mS14_S17_bEUlT_E_NS1_11comp_targetILNS1_3genE10ELNS1_11target_archE1200ELNS1_3gpuE4ELNS1_3repE0EEENS1_30default_config_static_selectorELNS0_4arch9wavefront6targetE1EEEvS11_.numbered_sgpr, 0
	.set _ZN7rocprim17ROCPRIM_400000_NS6detail17trampoline_kernelINS0_14default_configENS1_27lower_bound_config_selectorIN6thrust23THRUST_200600_302600_NS5tupleIiiNS6_9null_typeES8_S8_S8_S8_S8_S8_S8_EElEEZNS1_14transform_implILb0ES3_SA_NS6_6detail15normal_iteratorINS6_7pointerIS9_NS6_11hip_rocprim5par_tENS6_11use_defaultESH_EEEENSD_INSE_IlSG_SH_SH_EEEEZNS1_13binary_searchIS3_SA_NSD_INS6_10device_ptrIS9_EEEESJ_SL_NS1_21lower_bound_search_opENSC_16wrapped_functionINS6_6system6detail7generic6detail18binary_search_lessEbEEEE10hipError_tPvRmT1_T2_T3_mmT4_T5_P12ihipStream_tbEUlRKS9_E_EESY_S12_S13_mS14_S17_bEUlT_E_NS1_11comp_targetILNS1_3genE10ELNS1_11target_archE1200ELNS1_3gpuE4ELNS1_3repE0EEENS1_30default_config_static_selectorELNS0_4arch9wavefront6targetE1EEEvS11_.num_named_barrier, 0
	.set _ZN7rocprim17ROCPRIM_400000_NS6detail17trampoline_kernelINS0_14default_configENS1_27lower_bound_config_selectorIN6thrust23THRUST_200600_302600_NS5tupleIiiNS6_9null_typeES8_S8_S8_S8_S8_S8_S8_EElEEZNS1_14transform_implILb0ES3_SA_NS6_6detail15normal_iteratorINS6_7pointerIS9_NS6_11hip_rocprim5par_tENS6_11use_defaultESH_EEEENSD_INSE_IlSG_SH_SH_EEEEZNS1_13binary_searchIS3_SA_NSD_INS6_10device_ptrIS9_EEEESJ_SL_NS1_21lower_bound_search_opENSC_16wrapped_functionINS6_6system6detail7generic6detail18binary_search_lessEbEEEE10hipError_tPvRmT1_T2_T3_mmT4_T5_P12ihipStream_tbEUlRKS9_E_EESY_S12_S13_mS14_S17_bEUlT_E_NS1_11comp_targetILNS1_3genE10ELNS1_11target_archE1200ELNS1_3gpuE4ELNS1_3repE0EEENS1_30default_config_static_selectorELNS0_4arch9wavefront6targetE1EEEvS11_.private_seg_size, 0
	.set _ZN7rocprim17ROCPRIM_400000_NS6detail17trampoline_kernelINS0_14default_configENS1_27lower_bound_config_selectorIN6thrust23THRUST_200600_302600_NS5tupleIiiNS6_9null_typeES8_S8_S8_S8_S8_S8_S8_EElEEZNS1_14transform_implILb0ES3_SA_NS6_6detail15normal_iteratorINS6_7pointerIS9_NS6_11hip_rocprim5par_tENS6_11use_defaultESH_EEEENSD_INSE_IlSG_SH_SH_EEEEZNS1_13binary_searchIS3_SA_NSD_INS6_10device_ptrIS9_EEEESJ_SL_NS1_21lower_bound_search_opENSC_16wrapped_functionINS6_6system6detail7generic6detail18binary_search_lessEbEEEE10hipError_tPvRmT1_T2_T3_mmT4_T5_P12ihipStream_tbEUlRKS9_E_EESY_S12_S13_mS14_S17_bEUlT_E_NS1_11comp_targetILNS1_3genE10ELNS1_11target_archE1200ELNS1_3gpuE4ELNS1_3repE0EEENS1_30default_config_static_selectorELNS0_4arch9wavefront6targetE1EEEvS11_.uses_vcc, 0
	.set _ZN7rocprim17ROCPRIM_400000_NS6detail17trampoline_kernelINS0_14default_configENS1_27lower_bound_config_selectorIN6thrust23THRUST_200600_302600_NS5tupleIiiNS6_9null_typeES8_S8_S8_S8_S8_S8_S8_EElEEZNS1_14transform_implILb0ES3_SA_NS6_6detail15normal_iteratorINS6_7pointerIS9_NS6_11hip_rocprim5par_tENS6_11use_defaultESH_EEEENSD_INSE_IlSG_SH_SH_EEEEZNS1_13binary_searchIS3_SA_NSD_INS6_10device_ptrIS9_EEEESJ_SL_NS1_21lower_bound_search_opENSC_16wrapped_functionINS6_6system6detail7generic6detail18binary_search_lessEbEEEE10hipError_tPvRmT1_T2_T3_mmT4_T5_P12ihipStream_tbEUlRKS9_E_EESY_S12_S13_mS14_S17_bEUlT_E_NS1_11comp_targetILNS1_3genE10ELNS1_11target_archE1200ELNS1_3gpuE4ELNS1_3repE0EEENS1_30default_config_static_selectorELNS0_4arch9wavefront6targetE1EEEvS11_.uses_flat_scratch, 0
	.set _ZN7rocprim17ROCPRIM_400000_NS6detail17trampoline_kernelINS0_14default_configENS1_27lower_bound_config_selectorIN6thrust23THRUST_200600_302600_NS5tupleIiiNS6_9null_typeES8_S8_S8_S8_S8_S8_S8_EElEEZNS1_14transform_implILb0ES3_SA_NS6_6detail15normal_iteratorINS6_7pointerIS9_NS6_11hip_rocprim5par_tENS6_11use_defaultESH_EEEENSD_INSE_IlSG_SH_SH_EEEEZNS1_13binary_searchIS3_SA_NSD_INS6_10device_ptrIS9_EEEESJ_SL_NS1_21lower_bound_search_opENSC_16wrapped_functionINS6_6system6detail7generic6detail18binary_search_lessEbEEEE10hipError_tPvRmT1_T2_T3_mmT4_T5_P12ihipStream_tbEUlRKS9_E_EESY_S12_S13_mS14_S17_bEUlT_E_NS1_11comp_targetILNS1_3genE10ELNS1_11target_archE1200ELNS1_3gpuE4ELNS1_3repE0EEENS1_30default_config_static_selectorELNS0_4arch9wavefront6targetE1EEEvS11_.has_dyn_sized_stack, 0
	.set _ZN7rocprim17ROCPRIM_400000_NS6detail17trampoline_kernelINS0_14default_configENS1_27lower_bound_config_selectorIN6thrust23THRUST_200600_302600_NS5tupleIiiNS6_9null_typeES8_S8_S8_S8_S8_S8_S8_EElEEZNS1_14transform_implILb0ES3_SA_NS6_6detail15normal_iteratorINS6_7pointerIS9_NS6_11hip_rocprim5par_tENS6_11use_defaultESH_EEEENSD_INSE_IlSG_SH_SH_EEEEZNS1_13binary_searchIS3_SA_NSD_INS6_10device_ptrIS9_EEEESJ_SL_NS1_21lower_bound_search_opENSC_16wrapped_functionINS6_6system6detail7generic6detail18binary_search_lessEbEEEE10hipError_tPvRmT1_T2_T3_mmT4_T5_P12ihipStream_tbEUlRKS9_E_EESY_S12_S13_mS14_S17_bEUlT_E_NS1_11comp_targetILNS1_3genE10ELNS1_11target_archE1200ELNS1_3gpuE4ELNS1_3repE0EEENS1_30default_config_static_selectorELNS0_4arch9wavefront6targetE1EEEvS11_.has_recursion, 0
	.set _ZN7rocprim17ROCPRIM_400000_NS6detail17trampoline_kernelINS0_14default_configENS1_27lower_bound_config_selectorIN6thrust23THRUST_200600_302600_NS5tupleIiiNS6_9null_typeES8_S8_S8_S8_S8_S8_S8_EElEEZNS1_14transform_implILb0ES3_SA_NS6_6detail15normal_iteratorINS6_7pointerIS9_NS6_11hip_rocprim5par_tENS6_11use_defaultESH_EEEENSD_INSE_IlSG_SH_SH_EEEEZNS1_13binary_searchIS3_SA_NSD_INS6_10device_ptrIS9_EEEESJ_SL_NS1_21lower_bound_search_opENSC_16wrapped_functionINS6_6system6detail7generic6detail18binary_search_lessEbEEEE10hipError_tPvRmT1_T2_T3_mmT4_T5_P12ihipStream_tbEUlRKS9_E_EESY_S12_S13_mS14_S17_bEUlT_E_NS1_11comp_targetILNS1_3genE10ELNS1_11target_archE1200ELNS1_3gpuE4ELNS1_3repE0EEENS1_30default_config_static_selectorELNS0_4arch9wavefront6targetE1EEEvS11_.has_indirect_call, 0
	.section	.AMDGPU.csdata,"",@progbits
; Kernel info:
; codeLenInByte = 0
; TotalNumSgprs: 4
; NumVgprs: 0
; ScratchSize: 0
; MemoryBound: 0
; FloatMode: 240
; IeeeMode: 1
; LDSByteSize: 0 bytes/workgroup (compile time only)
; SGPRBlocks: 0
; VGPRBlocks: 0
; NumSGPRsForWavesPerEU: 4
; NumVGPRsForWavesPerEU: 1
; Occupancy: 10
; WaveLimiterHint : 0
; COMPUTE_PGM_RSRC2:SCRATCH_EN: 0
; COMPUTE_PGM_RSRC2:USER_SGPR: 6
; COMPUTE_PGM_RSRC2:TRAP_HANDLER: 0
; COMPUTE_PGM_RSRC2:TGID_X_EN: 1
; COMPUTE_PGM_RSRC2:TGID_Y_EN: 0
; COMPUTE_PGM_RSRC2:TGID_Z_EN: 0
; COMPUTE_PGM_RSRC2:TIDIG_COMP_CNT: 0
	.section	.text._ZN7rocprim17ROCPRIM_400000_NS6detail17trampoline_kernelINS0_14default_configENS1_27lower_bound_config_selectorIN6thrust23THRUST_200600_302600_NS5tupleIiiNS6_9null_typeES8_S8_S8_S8_S8_S8_S8_EElEEZNS1_14transform_implILb0ES3_SA_NS6_6detail15normal_iteratorINS6_7pointerIS9_NS6_11hip_rocprim5par_tENS6_11use_defaultESH_EEEENSD_INSE_IlSG_SH_SH_EEEEZNS1_13binary_searchIS3_SA_NSD_INS6_10device_ptrIS9_EEEESJ_SL_NS1_21lower_bound_search_opENSC_16wrapped_functionINS6_6system6detail7generic6detail18binary_search_lessEbEEEE10hipError_tPvRmT1_T2_T3_mmT4_T5_P12ihipStream_tbEUlRKS9_E_EESY_S12_S13_mS14_S17_bEUlT_E_NS1_11comp_targetILNS1_3genE9ELNS1_11target_archE1100ELNS1_3gpuE3ELNS1_3repE0EEENS1_30default_config_static_selectorELNS0_4arch9wavefront6targetE1EEEvS11_,"axG",@progbits,_ZN7rocprim17ROCPRIM_400000_NS6detail17trampoline_kernelINS0_14default_configENS1_27lower_bound_config_selectorIN6thrust23THRUST_200600_302600_NS5tupleIiiNS6_9null_typeES8_S8_S8_S8_S8_S8_S8_EElEEZNS1_14transform_implILb0ES3_SA_NS6_6detail15normal_iteratorINS6_7pointerIS9_NS6_11hip_rocprim5par_tENS6_11use_defaultESH_EEEENSD_INSE_IlSG_SH_SH_EEEEZNS1_13binary_searchIS3_SA_NSD_INS6_10device_ptrIS9_EEEESJ_SL_NS1_21lower_bound_search_opENSC_16wrapped_functionINS6_6system6detail7generic6detail18binary_search_lessEbEEEE10hipError_tPvRmT1_T2_T3_mmT4_T5_P12ihipStream_tbEUlRKS9_E_EESY_S12_S13_mS14_S17_bEUlT_E_NS1_11comp_targetILNS1_3genE9ELNS1_11target_archE1100ELNS1_3gpuE3ELNS1_3repE0EEENS1_30default_config_static_selectorELNS0_4arch9wavefront6targetE1EEEvS11_,comdat
	.protected	_ZN7rocprim17ROCPRIM_400000_NS6detail17trampoline_kernelINS0_14default_configENS1_27lower_bound_config_selectorIN6thrust23THRUST_200600_302600_NS5tupleIiiNS6_9null_typeES8_S8_S8_S8_S8_S8_S8_EElEEZNS1_14transform_implILb0ES3_SA_NS6_6detail15normal_iteratorINS6_7pointerIS9_NS6_11hip_rocprim5par_tENS6_11use_defaultESH_EEEENSD_INSE_IlSG_SH_SH_EEEEZNS1_13binary_searchIS3_SA_NSD_INS6_10device_ptrIS9_EEEESJ_SL_NS1_21lower_bound_search_opENSC_16wrapped_functionINS6_6system6detail7generic6detail18binary_search_lessEbEEEE10hipError_tPvRmT1_T2_T3_mmT4_T5_P12ihipStream_tbEUlRKS9_E_EESY_S12_S13_mS14_S17_bEUlT_E_NS1_11comp_targetILNS1_3genE9ELNS1_11target_archE1100ELNS1_3gpuE3ELNS1_3repE0EEENS1_30default_config_static_selectorELNS0_4arch9wavefront6targetE1EEEvS11_ ; -- Begin function _ZN7rocprim17ROCPRIM_400000_NS6detail17trampoline_kernelINS0_14default_configENS1_27lower_bound_config_selectorIN6thrust23THRUST_200600_302600_NS5tupleIiiNS6_9null_typeES8_S8_S8_S8_S8_S8_S8_EElEEZNS1_14transform_implILb0ES3_SA_NS6_6detail15normal_iteratorINS6_7pointerIS9_NS6_11hip_rocprim5par_tENS6_11use_defaultESH_EEEENSD_INSE_IlSG_SH_SH_EEEEZNS1_13binary_searchIS3_SA_NSD_INS6_10device_ptrIS9_EEEESJ_SL_NS1_21lower_bound_search_opENSC_16wrapped_functionINS6_6system6detail7generic6detail18binary_search_lessEbEEEE10hipError_tPvRmT1_T2_T3_mmT4_T5_P12ihipStream_tbEUlRKS9_E_EESY_S12_S13_mS14_S17_bEUlT_E_NS1_11comp_targetILNS1_3genE9ELNS1_11target_archE1100ELNS1_3gpuE3ELNS1_3repE0EEENS1_30default_config_static_selectorELNS0_4arch9wavefront6targetE1EEEvS11_
	.globl	_ZN7rocprim17ROCPRIM_400000_NS6detail17trampoline_kernelINS0_14default_configENS1_27lower_bound_config_selectorIN6thrust23THRUST_200600_302600_NS5tupleIiiNS6_9null_typeES8_S8_S8_S8_S8_S8_S8_EElEEZNS1_14transform_implILb0ES3_SA_NS6_6detail15normal_iteratorINS6_7pointerIS9_NS6_11hip_rocprim5par_tENS6_11use_defaultESH_EEEENSD_INSE_IlSG_SH_SH_EEEEZNS1_13binary_searchIS3_SA_NSD_INS6_10device_ptrIS9_EEEESJ_SL_NS1_21lower_bound_search_opENSC_16wrapped_functionINS6_6system6detail7generic6detail18binary_search_lessEbEEEE10hipError_tPvRmT1_T2_T3_mmT4_T5_P12ihipStream_tbEUlRKS9_E_EESY_S12_S13_mS14_S17_bEUlT_E_NS1_11comp_targetILNS1_3genE9ELNS1_11target_archE1100ELNS1_3gpuE3ELNS1_3repE0EEENS1_30default_config_static_selectorELNS0_4arch9wavefront6targetE1EEEvS11_
	.p2align	8
	.type	_ZN7rocprim17ROCPRIM_400000_NS6detail17trampoline_kernelINS0_14default_configENS1_27lower_bound_config_selectorIN6thrust23THRUST_200600_302600_NS5tupleIiiNS6_9null_typeES8_S8_S8_S8_S8_S8_S8_EElEEZNS1_14transform_implILb0ES3_SA_NS6_6detail15normal_iteratorINS6_7pointerIS9_NS6_11hip_rocprim5par_tENS6_11use_defaultESH_EEEENSD_INSE_IlSG_SH_SH_EEEEZNS1_13binary_searchIS3_SA_NSD_INS6_10device_ptrIS9_EEEESJ_SL_NS1_21lower_bound_search_opENSC_16wrapped_functionINS6_6system6detail7generic6detail18binary_search_lessEbEEEE10hipError_tPvRmT1_T2_T3_mmT4_T5_P12ihipStream_tbEUlRKS9_E_EESY_S12_S13_mS14_S17_bEUlT_E_NS1_11comp_targetILNS1_3genE9ELNS1_11target_archE1100ELNS1_3gpuE3ELNS1_3repE0EEENS1_30default_config_static_selectorELNS0_4arch9wavefront6targetE1EEEvS11_,@function
_ZN7rocprim17ROCPRIM_400000_NS6detail17trampoline_kernelINS0_14default_configENS1_27lower_bound_config_selectorIN6thrust23THRUST_200600_302600_NS5tupleIiiNS6_9null_typeES8_S8_S8_S8_S8_S8_S8_EElEEZNS1_14transform_implILb0ES3_SA_NS6_6detail15normal_iteratorINS6_7pointerIS9_NS6_11hip_rocprim5par_tENS6_11use_defaultESH_EEEENSD_INSE_IlSG_SH_SH_EEEEZNS1_13binary_searchIS3_SA_NSD_INS6_10device_ptrIS9_EEEESJ_SL_NS1_21lower_bound_search_opENSC_16wrapped_functionINS6_6system6detail7generic6detail18binary_search_lessEbEEEE10hipError_tPvRmT1_T2_T3_mmT4_T5_P12ihipStream_tbEUlRKS9_E_EESY_S12_S13_mS14_S17_bEUlT_E_NS1_11comp_targetILNS1_3genE9ELNS1_11target_archE1100ELNS1_3gpuE3ELNS1_3repE0EEENS1_30default_config_static_selectorELNS0_4arch9wavefront6targetE1EEEvS11_: ; @_ZN7rocprim17ROCPRIM_400000_NS6detail17trampoline_kernelINS0_14default_configENS1_27lower_bound_config_selectorIN6thrust23THRUST_200600_302600_NS5tupleIiiNS6_9null_typeES8_S8_S8_S8_S8_S8_S8_EElEEZNS1_14transform_implILb0ES3_SA_NS6_6detail15normal_iteratorINS6_7pointerIS9_NS6_11hip_rocprim5par_tENS6_11use_defaultESH_EEEENSD_INSE_IlSG_SH_SH_EEEEZNS1_13binary_searchIS3_SA_NSD_INS6_10device_ptrIS9_EEEESJ_SL_NS1_21lower_bound_search_opENSC_16wrapped_functionINS6_6system6detail7generic6detail18binary_search_lessEbEEEE10hipError_tPvRmT1_T2_T3_mmT4_T5_P12ihipStream_tbEUlRKS9_E_EESY_S12_S13_mS14_S17_bEUlT_E_NS1_11comp_targetILNS1_3genE9ELNS1_11target_archE1100ELNS1_3gpuE3ELNS1_3repE0EEENS1_30default_config_static_selectorELNS0_4arch9wavefront6targetE1EEEvS11_
; %bb.0:
	.section	.rodata,"a",@progbits
	.p2align	6, 0x0
	.amdhsa_kernel _ZN7rocprim17ROCPRIM_400000_NS6detail17trampoline_kernelINS0_14default_configENS1_27lower_bound_config_selectorIN6thrust23THRUST_200600_302600_NS5tupleIiiNS6_9null_typeES8_S8_S8_S8_S8_S8_S8_EElEEZNS1_14transform_implILb0ES3_SA_NS6_6detail15normal_iteratorINS6_7pointerIS9_NS6_11hip_rocprim5par_tENS6_11use_defaultESH_EEEENSD_INSE_IlSG_SH_SH_EEEEZNS1_13binary_searchIS3_SA_NSD_INS6_10device_ptrIS9_EEEESJ_SL_NS1_21lower_bound_search_opENSC_16wrapped_functionINS6_6system6detail7generic6detail18binary_search_lessEbEEEE10hipError_tPvRmT1_T2_T3_mmT4_T5_P12ihipStream_tbEUlRKS9_E_EESY_S12_S13_mS14_S17_bEUlT_E_NS1_11comp_targetILNS1_3genE9ELNS1_11target_archE1100ELNS1_3gpuE3ELNS1_3repE0EEENS1_30default_config_static_selectorELNS0_4arch9wavefront6targetE1EEEvS11_
		.amdhsa_group_segment_fixed_size 0
		.amdhsa_private_segment_fixed_size 0
		.amdhsa_kernarg_size 56
		.amdhsa_user_sgpr_count 6
		.amdhsa_user_sgpr_private_segment_buffer 1
		.amdhsa_user_sgpr_dispatch_ptr 0
		.amdhsa_user_sgpr_queue_ptr 0
		.amdhsa_user_sgpr_kernarg_segment_ptr 1
		.amdhsa_user_sgpr_dispatch_id 0
		.amdhsa_user_sgpr_flat_scratch_init 0
		.amdhsa_user_sgpr_private_segment_size 0
		.amdhsa_uses_dynamic_stack 0
		.amdhsa_system_sgpr_private_segment_wavefront_offset 0
		.amdhsa_system_sgpr_workgroup_id_x 1
		.amdhsa_system_sgpr_workgroup_id_y 0
		.amdhsa_system_sgpr_workgroup_id_z 0
		.amdhsa_system_sgpr_workgroup_info 0
		.amdhsa_system_vgpr_workitem_id 0
		.amdhsa_next_free_vgpr 1
		.amdhsa_next_free_sgpr 0
		.amdhsa_reserve_vcc 0
		.amdhsa_reserve_flat_scratch 0
		.amdhsa_float_round_mode_32 0
		.amdhsa_float_round_mode_16_64 0
		.amdhsa_float_denorm_mode_32 3
		.amdhsa_float_denorm_mode_16_64 3
		.amdhsa_dx10_clamp 1
		.amdhsa_ieee_mode 1
		.amdhsa_fp16_overflow 0
		.amdhsa_exception_fp_ieee_invalid_op 0
		.amdhsa_exception_fp_denorm_src 0
		.amdhsa_exception_fp_ieee_div_zero 0
		.amdhsa_exception_fp_ieee_overflow 0
		.amdhsa_exception_fp_ieee_underflow 0
		.amdhsa_exception_fp_ieee_inexact 0
		.amdhsa_exception_int_div_zero 0
	.end_amdhsa_kernel
	.section	.text._ZN7rocprim17ROCPRIM_400000_NS6detail17trampoline_kernelINS0_14default_configENS1_27lower_bound_config_selectorIN6thrust23THRUST_200600_302600_NS5tupleIiiNS6_9null_typeES8_S8_S8_S8_S8_S8_S8_EElEEZNS1_14transform_implILb0ES3_SA_NS6_6detail15normal_iteratorINS6_7pointerIS9_NS6_11hip_rocprim5par_tENS6_11use_defaultESH_EEEENSD_INSE_IlSG_SH_SH_EEEEZNS1_13binary_searchIS3_SA_NSD_INS6_10device_ptrIS9_EEEESJ_SL_NS1_21lower_bound_search_opENSC_16wrapped_functionINS6_6system6detail7generic6detail18binary_search_lessEbEEEE10hipError_tPvRmT1_T2_T3_mmT4_T5_P12ihipStream_tbEUlRKS9_E_EESY_S12_S13_mS14_S17_bEUlT_E_NS1_11comp_targetILNS1_3genE9ELNS1_11target_archE1100ELNS1_3gpuE3ELNS1_3repE0EEENS1_30default_config_static_selectorELNS0_4arch9wavefront6targetE1EEEvS11_,"axG",@progbits,_ZN7rocprim17ROCPRIM_400000_NS6detail17trampoline_kernelINS0_14default_configENS1_27lower_bound_config_selectorIN6thrust23THRUST_200600_302600_NS5tupleIiiNS6_9null_typeES8_S8_S8_S8_S8_S8_S8_EElEEZNS1_14transform_implILb0ES3_SA_NS6_6detail15normal_iteratorINS6_7pointerIS9_NS6_11hip_rocprim5par_tENS6_11use_defaultESH_EEEENSD_INSE_IlSG_SH_SH_EEEEZNS1_13binary_searchIS3_SA_NSD_INS6_10device_ptrIS9_EEEESJ_SL_NS1_21lower_bound_search_opENSC_16wrapped_functionINS6_6system6detail7generic6detail18binary_search_lessEbEEEE10hipError_tPvRmT1_T2_T3_mmT4_T5_P12ihipStream_tbEUlRKS9_E_EESY_S12_S13_mS14_S17_bEUlT_E_NS1_11comp_targetILNS1_3genE9ELNS1_11target_archE1100ELNS1_3gpuE3ELNS1_3repE0EEENS1_30default_config_static_selectorELNS0_4arch9wavefront6targetE1EEEvS11_,comdat
.Lfunc_end439:
	.size	_ZN7rocprim17ROCPRIM_400000_NS6detail17trampoline_kernelINS0_14default_configENS1_27lower_bound_config_selectorIN6thrust23THRUST_200600_302600_NS5tupleIiiNS6_9null_typeES8_S8_S8_S8_S8_S8_S8_EElEEZNS1_14transform_implILb0ES3_SA_NS6_6detail15normal_iteratorINS6_7pointerIS9_NS6_11hip_rocprim5par_tENS6_11use_defaultESH_EEEENSD_INSE_IlSG_SH_SH_EEEEZNS1_13binary_searchIS3_SA_NSD_INS6_10device_ptrIS9_EEEESJ_SL_NS1_21lower_bound_search_opENSC_16wrapped_functionINS6_6system6detail7generic6detail18binary_search_lessEbEEEE10hipError_tPvRmT1_T2_T3_mmT4_T5_P12ihipStream_tbEUlRKS9_E_EESY_S12_S13_mS14_S17_bEUlT_E_NS1_11comp_targetILNS1_3genE9ELNS1_11target_archE1100ELNS1_3gpuE3ELNS1_3repE0EEENS1_30default_config_static_selectorELNS0_4arch9wavefront6targetE1EEEvS11_, .Lfunc_end439-_ZN7rocprim17ROCPRIM_400000_NS6detail17trampoline_kernelINS0_14default_configENS1_27lower_bound_config_selectorIN6thrust23THRUST_200600_302600_NS5tupleIiiNS6_9null_typeES8_S8_S8_S8_S8_S8_S8_EElEEZNS1_14transform_implILb0ES3_SA_NS6_6detail15normal_iteratorINS6_7pointerIS9_NS6_11hip_rocprim5par_tENS6_11use_defaultESH_EEEENSD_INSE_IlSG_SH_SH_EEEEZNS1_13binary_searchIS3_SA_NSD_INS6_10device_ptrIS9_EEEESJ_SL_NS1_21lower_bound_search_opENSC_16wrapped_functionINS6_6system6detail7generic6detail18binary_search_lessEbEEEE10hipError_tPvRmT1_T2_T3_mmT4_T5_P12ihipStream_tbEUlRKS9_E_EESY_S12_S13_mS14_S17_bEUlT_E_NS1_11comp_targetILNS1_3genE9ELNS1_11target_archE1100ELNS1_3gpuE3ELNS1_3repE0EEENS1_30default_config_static_selectorELNS0_4arch9wavefront6targetE1EEEvS11_
                                        ; -- End function
	.set _ZN7rocprim17ROCPRIM_400000_NS6detail17trampoline_kernelINS0_14default_configENS1_27lower_bound_config_selectorIN6thrust23THRUST_200600_302600_NS5tupleIiiNS6_9null_typeES8_S8_S8_S8_S8_S8_S8_EElEEZNS1_14transform_implILb0ES3_SA_NS6_6detail15normal_iteratorINS6_7pointerIS9_NS6_11hip_rocprim5par_tENS6_11use_defaultESH_EEEENSD_INSE_IlSG_SH_SH_EEEEZNS1_13binary_searchIS3_SA_NSD_INS6_10device_ptrIS9_EEEESJ_SL_NS1_21lower_bound_search_opENSC_16wrapped_functionINS6_6system6detail7generic6detail18binary_search_lessEbEEEE10hipError_tPvRmT1_T2_T3_mmT4_T5_P12ihipStream_tbEUlRKS9_E_EESY_S12_S13_mS14_S17_bEUlT_E_NS1_11comp_targetILNS1_3genE9ELNS1_11target_archE1100ELNS1_3gpuE3ELNS1_3repE0EEENS1_30default_config_static_selectorELNS0_4arch9wavefront6targetE1EEEvS11_.num_vgpr, 0
	.set _ZN7rocprim17ROCPRIM_400000_NS6detail17trampoline_kernelINS0_14default_configENS1_27lower_bound_config_selectorIN6thrust23THRUST_200600_302600_NS5tupleIiiNS6_9null_typeES8_S8_S8_S8_S8_S8_S8_EElEEZNS1_14transform_implILb0ES3_SA_NS6_6detail15normal_iteratorINS6_7pointerIS9_NS6_11hip_rocprim5par_tENS6_11use_defaultESH_EEEENSD_INSE_IlSG_SH_SH_EEEEZNS1_13binary_searchIS3_SA_NSD_INS6_10device_ptrIS9_EEEESJ_SL_NS1_21lower_bound_search_opENSC_16wrapped_functionINS6_6system6detail7generic6detail18binary_search_lessEbEEEE10hipError_tPvRmT1_T2_T3_mmT4_T5_P12ihipStream_tbEUlRKS9_E_EESY_S12_S13_mS14_S17_bEUlT_E_NS1_11comp_targetILNS1_3genE9ELNS1_11target_archE1100ELNS1_3gpuE3ELNS1_3repE0EEENS1_30default_config_static_selectorELNS0_4arch9wavefront6targetE1EEEvS11_.num_agpr, 0
	.set _ZN7rocprim17ROCPRIM_400000_NS6detail17trampoline_kernelINS0_14default_configENS1_27lower_bound_config_selectorIN6thrust23THRUST_200600_302600_NS5tupleIiiNS6_9null_typeES8_S8_S8_S8_S8_S8_S8_EElEEZNS1_14transform_implILb0ES3_SA_NS6_6detail15normal_iteratorINS6_7pointerIS9_NS6_11hip_rocprim5par_tENS6_11use_defaultESH_EEEENSD_INSE_IlSG_SH_SH_EEEEZNS1_13binary_searchIS3_SA_NSD_INS6_10device_ptrIS9_EEEESJ_SL_NS1_21lower_bound_search_opENSC_16wrapped_functionINS6_6system6detail7generic6detail18binary_search_lessEbEEEE10hipError_tPvRmT1_T2_T3_mmT4_T5_P12ihipStream_tbEUlRKS9_E_EESY_S12_S13_mS14_S17_bEUlT_E_NS1_11comp_targetILNS1_3genE9ELNS1_11target_archE1100ELNS1_3gpuE3ELNS1_3repE0EEENS1_30default_config_static_selectorELNS0_4arch9wavefront6targetE1EEEvS11_.numbered_sgpr, 0
	.set _ZN7rocprim17ROCPRIM_400000_NS6detail17trampoline_kernelINS0_14default_configENS1_27lower_bound_config_selectorIN6thrust23THRUST_200600_302600_NS5tupleIiiNS6_9null_typeES8_S8_S8_S8_S8_S8_S8_EElEEZNS1_14transform_implILb0ES3_SA_NS6_6detail15normal_iteratorINS6_7pointerIS9_NS6_11hip_rocprim5par_tENS6_11use_defaultESH_EEEENSD_INSE_IlSG_SH_SH_EEEEZNS1_13binary_searchIS3_SA_NSD_INS6_10device_ptrIS9_EEEESJ_SL_NS1_21lower_bound_search_opENSC_16wrapped_functionINS6_6system6detail7generic6detail18binary_search_lessEbEEEE10hipError_tPvRmT1_T2_T3_mmT4_T5_P12ihipStream_tbEUlRKS9_E_EESY_S12_S13_mS14_S17_bEUlT_E_NS1_11comp_targetILNS1_3genE9ELNS1_11target_archE1100ELNS1_3gpuE3ELNS1_3repE0EEENS1_30default_config_static_selectorELNS0_4arch9wavefront6targetE1EEEvS11_.num_named_barrier, 0
	.set _ZN7rocprim17ROCPRIM_400000_NS6detail17trampoline_kernelINS0_14default_configENS1_27lower_bound_config_selectorIN6thrust23THRUST_200600_302600_NS5tupleIiiNS6_9null_typeES8_S8_S8_S8_S8_S8_S8_EElEEZNS1_14transform_implILb0ES3_SA_NS6_6detail15normal_iteratorINS6_7pointerIS9_NS6_11hip_rocprim5par_tENS6_11use_defaultESH_EEEENSD_INSE_IlSG_SH_SH_EEEEZNS1_13binary_searchIS3_SA_NSD_INS6_10device_ptrIS9_EEEESJ_SL_NS1_21lower_bound_search_opENSC_16wrapped_functionINS6_6system6detail7generic6detail18binary_search_lessEbEEEE10hipError_tPvRmT1_T2_T3_mmT4_T5_P12ihipStream_tbEUlRKS9_E_EESY_S12_S13_mS14_S17_bEUlT_E_NS1_11comp_targetILNS1_3genE9ELNS1_11target_archE1100ELNS1_3gpuE3ELNS1_3repE0EEENS1_30default_config_static_selectorELNS0_4arch9wavefront6targetE1EEEvS11_.private_seg_size, 0
	.set _ZN7rocprim17ROCPRIM_400000_NS6detail17trampoline_kernelINS0_14default_configENS1_27lower_bound_config_selectorIN6thrust23THRUST_200600_302600_NS5tupleIiiNS6_9null_typeES8_S8_S8_S8_S8_S8_S8_EElEEZNS1_14transform_implILb0ES3_SA_NS6_6detail15normal_iteratorINS6_7pointerIS9_NS6_11hip_rocprim5par_tENS6_11use_defaultESH_EEEENSD_INSE_IlSG_SH_SH_EEEEZNS1_13binary_searchIS3_SA_NSD_INS6_10device_ptrIS9_EEEESJ_SL_NS1_21lower_bound_search_opENSC_16wrapped_functionINS6_6system6detail7generic6detail18binary_search_lessEbEEEE10hipError_tPvRmT1_T2_T3_mmT4_T5_P12ihipStream_tbEUlRKS9_E_EESY_S12_S13_mS14_S17_bEUlT_E_NS1_11comp_targetILNS1_3genE9ELNS1_11target_archE1100ELNS1_3gpuE3ELNS1_3repE0EEENS1_30default_config_static_selectorELNS0_4arch9wavefront6targetE1EEEvS11_.uses_vcc, 0
	.set _ZN7rocprim17ROCPRIM_400000_NS6detail17trampoline_kernelINS0_14default_configENS1_27lower_bound_config_selectorIN6thrust23THRUST_200600_302600_NS5tupleIiiNS6_9null_typeES8_S8_S8_S8_S8_S8_S8_EElEEZNS1_14transform_implILb0ES3_SA_NS6_6detail15normal_iteratorINS6_7pointerIS9_NS6_11hip_rocprim5par_tENS6_11use_defaultESH_EEEENSD_INSE_IlSG_SH_SH_EEEEZNS1_13binary_searchIS3_SA_NSD_INS6_10device_ptrIS9_EEEESJ_SL_NS1_21lower_bound_search_opENSC_16wrapped_functionINS6_6system6detail7generic6detail18binary_search_lessEbEEEE10hipError_tPvRmT1_T2_T3_mmT4_T5_P12ihipStream_tbEUlRKS9_E_EESY_S12_S13_mS14_S17_bEUlT_E_NS1_11comp_targetILNS1_3genE9ELNS1_11target_archE1100ELNS1_3gpuE3ELNS1_3repE0EEENS1_30default_config_static_selectorELNS0_4arch9wavefront6targetE1EEEvS11_.uses_flat_scratch, 0
	.set _ZN7rocprim17ROCPRIM_400000_NS6detail17trampoline_kernelINS0_14default_configENS1_27lower_bound_config_selectorIN6thrust23THRUST_200600_302600_NS5tupleIiiNS6_9null_typeES8_S8_S8_S8_S8_S8_S8_EElEEZNS1_14transform_implILb0ES3_SA_NS6_6detail15normal_iteratorINS6_7pointerIS9_NS6_11hip_rocprim5par_tENS6_11use_defaultESH_EEEENSD_INSE_IlSG_SH_SH_EEEEZNS1_13binary_searchIS3_SA_NSD_INS6_10device_ptrIS9_EEEESJ_SL_NS1_21lower_bound_search_opENSC_16wrapped_functionINS6_6system6detail7generic6detail18binary_search_lessEbEEEE10hipError_tPvRmT1_T2_T3_mmT4_T5_P12ihipStream_tbEUlRKS9_E_EESY_S12_S13_mS14_S17_bEUlT_E_NS1_11comp_targetILNS1_3genE9ELNS1_11target_archE1100ELNS1_3gpuE3ELNS1_3repE0EEENS1_30default_config_static_selectorELNS0_4arch9wavefront6targetE1EEEvS11_.has_dyn_sized_stack, 0
	.set _ZN7rocprim17ROCPRIM_400000_NS6detail17trampoline_kernelINS0_14default_configENS1_27lower_bound_config_selectorIN6thrust23THRUST_200600_302600_NS5tupleIiiNS6_9null_typeES8_S8_S8_S8_S8_S8_S8_EElEEZNS1_14transform_implILb0ES3_SA_NS6_6detail15normal_iteratorINS6_7pointerIS9_NS6_11hip_rocprim5par_tENS6_11use_defaultESH_EEEENSD_INSE_IlSG_SH_SH_EEEEZNS1_13binary_searchIS3_SA_NSD_INS6_10device_ptrIS9_EEEESJ_SL_NS1_21lower_bound_search_opENSC_16wrapped_functionINS6_6system6detail7generic6detail18binary_search_lessEbEEEE10hipError_tPvRmT1_T2_T3_mmT4_T5_P12ihipStream_tbEUlRKS9_E_EESY_S12_S13_mS14_S17_bEUlT_E_NS1_11comp_targetILNS1_3genE9ELNS1_11target_archE1100ELNS1_3gpuE3ELNS1_3repE0EEENS1_30default_config_static_selectorELNS0_4arch9wavefront6targetE1EEEvS11_.has_recursion, 0
	.set _ZN7rocprim17ROCPRIM_400000_NS6detail17trampoline_kernelINS0_14default_configENS1_27lower_bound_config_selectorIN6thrust23THRUST_200600_302600_NS5tupleIiiNS6_9null_typeES8_S8_S8_S8_S8_S8_S8_EElEEZNS1_14transform_implILb0ES3_SA_NS6_6detail15normal_iteratorINS6_7pointerIS9_NS6_11hip_rocprim5par_tENS6_11use_defaultESH_EEEENSD_INSE_IlSG_SH_SH_EEEEZNS1_13binary_searchIS3_SA_NSD_INS6_10device_ptrIS9_EEEESJ_SL_NS1_21lower_bound_search_opENSC_16wrapped_functionINS6_6system6detail7generic6detail18binary_search_lessEbEEEE10hipError_tPvRmT1_T2_T3_mmT4_T5_P12ihipStream_tbEUlRKS9_E_EESY_S12_S13_mS14_S17_bEUlT_E_NS1_11comp_targetILNS1_3genE9ELNS1_11target_archE1100ELNS1_3gpuE3ELNS1_3repE0EEENS1_30default_config_static_selectorELNS0_4arch9wavefront6targetE1EEEvS11_.has_indirect_call, 0
	.section	.AMDGPU.csdata,"",@progbits
; Kernel info:
; codeLenInByte = 0
; TotalNumSgprs: 4
; NumVgprs: 0
; ScratchSize: 0
; MemoryBound: 0
; FloatMode: 240
; IeeeMode: 1
; LDSByteSize: 0 bytes/workgroup (compile time only)
; SGPRBlocks: 0
; VGPRBlocks: 0
; NumSGPRsForWavesPerEU: 4
; NumVGPRsForWavesPerEU: 1
; Occupancy: 10
; WaveLimiterHint : 0
; COMPUTE_PGM_RSRC2:SCRATCH_EN: 0
; COMPUTE_PGM_RSRC2:USER_SGPR: 6
; COMPUTE_PGM_RSRC2:TRAP_HANDLER: 0
; COMPUTE_PGM_RSRC2:TGID_X_EN: 1
; COMPUTE_PGM_RSRC2:TGID_Y_EN: 0
; COMPUTE_PGM_RSRC2:TGID_Z_EN: 0
; COMPUTE_PGM_RSRC2:TIDIG_COMP_CNT: 0
	.section	.text._ZN7rocprim17ROCPRIM_400000_NS6detail17trampoline_kernelINS0_14default_configENS1_27lower_bound_config_selectorIN6thrust23THRUST_200600_302600_NS5tupleIiiNS6_9null_typeES8_S8_S8_S8_S8_S8_S8_EElEEZNS1_14transform_implILb0ES3_SA_NS6_6detail15normal_iteratorINS6_7pointerIS9_NS6_11hip_rocprim5par_tENS6_11use_defaultESH_EEEENSD_INSE_IlSG_SH_SH_EEEEZNS1_13binary_searchIS3_SA_NSD_INS6_10device_ptrIS9_EEEESJ_SL_NS1_21lower_bound_search_opENSC_16wrapped_functionINS6_6system6detail7generic6detail18binary_search_lessEbEEEE10hipError_tPvRmT1_T2_T3_mmT4_T5_P12ihipStream_tbEUlRKS9_E_EESY_S12_S13_mS14_S17_bEUlT_E_NS1_11comp_targetILNS1_3genE8ELNS1_11target_archE1030ELNS1_3gpuE2ELNS1_3repE0EEENS1_30default_config_static_selectorELNS0_4arch9wavefront6targetE1EEEvS11_,"axG",@progbits,_ZN7rocprim17ROCPRIM_400000_NS6detail17trampoline_kernelINS0_14default_configENS1_27lower_bound_config_selectorIN6thrust23THRUST_200600_302600_NS5tupleIiiNS6_9null_typeES8_S8_S8_S8_S8_S8_S8_EElEEZNS1_14transform_implILb0ES3_SA_NS6_6detail15normal_iteratorINS6_7pointerIS9_NS6_11hip_rocprim5par_tENS6_11use_defaultESH_EEEENSD_INSE_IlSG_SH_SH_EEEEZNS1_13binary_searchIS3_SA_NSD_INS6_10device_ptrIS9_EEEESJ_SL_NS1_21lower_bound_search_opENSC_16wrapped_functionINS6_6system6detail7generic6detail18binary_search_lessEbEEEE10hipError_tPvRmT1_T2_T3_mmT4_T5_P12ihipStream_tbEUlRKS9_E_EESY_S12_S13_mS14_S17_bEUlT_E_NS1_11comp_targetILNS1_3genE8ELNS1_11target_archE1030ELNS1_3gpuE2ELNS1_3repE0EEENS1_30default_config_static_selectorELNS0_4arch9wavefront6targetE1EEEvS11_,comdat
	.protected	_ZN7rocprim17ROCPRIM_400000_NS6detail17trampoline_kernelINS0_14default_configENS1_27lower_bound_config_selectorIN6thrust23THRUST_200600_302600_NS5tupleIiiNS6_9null_typeES8_S8_S8_S8_S8_S8_S8_EElEEZNS1_14transform_implILb0ES3_SA_NS6_6detail15normal_iteratorINS6_7pointerIS9_NS6_11hip_rocprim5par_tENS6_11use_defaultESH_EEEENSD_INSE_IlSG_SH_SH_EEEEZNS1_13binary_searchIS3_SA_NSD_INS6_10device_ptrIS9_EEEESJ_SL_NS1_21lower_bound_search_opENSC_16wrapped_functionINS6_6system6detail7generic6detail18binary_search_lessEbEEEE10hipError_tPvRmT1_T2_T3_mmT4_T5_P12ihipStream_tbEUlRKS9_E_EESY_S12_S13_mS14_S17_bEUlT_E_NS1_11comp_targetILNS1_3genE8ELNS1_11target_archE1030ELNS1_3gpuE2ELNS1_3repE0EEENS1_30default_config_static_selectorELNS0_4arch9wavefront6targetE1EEEvS11_ ; -- Begin function _ZN7rocprim17ROCPRIM_400000_NS6detail17trampoline_kernelINS0_14default_configENS1_27lower_bound_config_selectorIN6thrust23THRUST_200600_302600_NS5tupleIiiNS6_9null_typeES8_S8_S8_S8_S8_S8_S8_EElEEZNS1_14transform_implILb0ES3_SA_NS6_6detail15normal_iteratorINS6_7pointerIS9_NS6_11hip_rocprim5par_tENS6_11use_defaultESH_EEEENSD_INSE_IlSG_SH_SH_EEEEZNS1_13binary_searchIS3_SA_NSD_INS6_10device_ptrIS9_EEEESJ_SL_NS1_21lower_bound_search_opENSC_16wrapped_functionINS6_6system6detail7generic6detail18binary_search_lessEbEEEE10hipError_tPvRmT1_T2_T3_mmT4_T5_P12ihipStream_tbEUlRKS9_E_EESY_S12_S13_mS14_S17_bEUlT_E_NS1_11comp_targetILNS1_3genE8ELNS1_11target_archE1030ELNS1_3gpuE2ELNS1_3repE0EEENS1_30default_config_static_selectorELNS0_4arch9wavefront6targetE1EEEvS11_
	.globl	_ZN7rocprim17ROCPRIM_400000_NS6detail17trampoline_kernelINS0_14default_configENS1_27lower_bound_config_selectorIN6thrust23THRUST_200600_302600_NS5tupleIiiNS6_9null_typeES8_S8_S8_S8_S8_S8_S8_EElEEZNS1_14transform_implILb0ES3_SA_NS6_6detail15normal_iteratorINS6_7pointerIS9_NS6_11hip_rocprim5par_tENS6_11use_defaultESH_EEEENSD_INSE_IlSG_SH_SH_EEEEZNS1_13binary_searchIS3_SA_NSD_INS6_10device_ptrIS9_EEEESJ_SL_NS1_21lower_bound_search_opENSC_16wrapped_functionINS6_6system6detail7generic6detail18binary_search_lessEbEEEE10hipError_tPvRmT1_T2_T3_mmT4_T5_P12ihipStream_tbEUlRKS9_E_EESY_S12_S13_mS14_S17_bEUlT_E_NS1_11comp_targetILNS1_3genE8ELNS1_11target_archE1030ELNS1_3gpuE2ELNS1_3repE0EEENS1_30default_config_static_selectorELNS0_4arch9wavefront6targetE1EEEvS11_
	.p2align	8
	.type	_ZN7rocprim17ROCPRIM_400000_NS6detail17trampoline_kernelINS0_14default_configENS1_27lower_bound_config_selectorIN6thrust23THRUST_200600_302600_NS5tupleIiiNS6_9null_typeES8_S8_S8_S8_S8_S8_S8_EElEEZNS1_14transform_implILb0ES3_SA_NS6_6detail15normal_iteratorINS6_7pointerIS9_NS6_11hip_rocprim5par_tENS6_11use_defaultESH_EEEENSD_INSE_IlSG_SH_SH_EEEEZNS1_13binary_searchIS3_SA_NSD_INS6_10device_ptrIS9_EEEESJ_SL_NS1_21lower_bound_search_opENSC_16wrapped_functionINS6_6system6detail7generic6detail18binary_search_lessEbEEEE10hipError_tPvRmT1_T2_T3_mmT4_T5_P12ihipStream_tbEUlRKS9_E_EESY_S12_S13_mS14_S17_bEUlT_E_NS1_11comp_targetILNS1_3genE8ELNS1_11target_archE1030ELNS1_3gpuE2ELNS1_3repE0EEENS1_30default_config_static_selectorELNS0_4arch9wavefront6targetE1EEEvS11_,@function
_ZN7rocprim17ROCPRIM_400000_NS6detail17trampoline_kernelINS0_14default_configENS1_27lower_bound_config_selectorIN6thrust23THRUST_200600_302600_NS5tupleIiiNS6_9null_typeES8_S8_S8_S8_S8_S8_S8_EElEEZNS1_14transform_implILb0ES3_SA_NS6_6detail15normal_iteratorINS6_7pointerIS9_NS6_11hip_rocprim5par_tENS6_11use_defaultESH_EEEENSD_INSE_IlSG_SH_SH_EEEEZNS1_13binary_searchIS3_SA_NSD_INS6_10device_ptrIS9_EEEESJ_SL_NS1_21lower_bound_search_opENSC_16wrapped_functionINS6_6system6detail7generic6detail18binary_search_lessEbEEEE10hipError_tPvRmT1_T2_T3_mmT4_T5_P12ihipStream_tbEUlRKS9_E_EESY_S12_S13_mS14_S17_bEUlT_E_NS1_11comp_targetILNS1_3genE8ELNS1_11target_archE1030ELNS1_3gpuE2ELNS1_3repE0EEENS1_30default_config_static_selectorELNS0_4arch9wavefront6targetE1EEEvS11_: ; @_ZN7rocprim17ROCPRIM_400000_NS6detail17trampoline_kernelINS0_14default_configENS1_27lower_bound_config_selectorIN6thrust23THRUST_200600_302600_NS5tupleIiiNS6_9null_typeES8_S8_S8_S8_S8_S8_S8_EElEEZNS1_14transform_implILb0ES3_SA_NS6_6detail15normal_iteratorINS6_7pointerIS9_NS6_11hip_rocprim5par_tENS6_11use_defaultESH_EEEENSD_INSE_IlSG_SH_SH_EEEEZNS1_13binary_searchIS3_SA_NSD_INS6_10device_ptrIS9_EEEESJ_SL_NS1_21lower_bound_search_opENSC_16wrapped_functionINS6_6system6detail7generic6detail18binary_search_lessEbEEEE10hipError_tPvRmT1_T2_T3_mmT4_T5_P12ihipStream_tbEUlRKS9_E_EESY_S12_S13_mS14_S17_bEUlT_E_NS1_11comp_targetILNS1_3genE8ELNS1_11target_archE1030ELNS1_3gpuE2ELNS1_3repE0EEENS1_30default_config_static_selectorELNS0_4arch9wavefront6targetE1EEEvS11_
; %bb.0:
	.section	.rodata,"a",@progbits
	.p2align	6, 0x0
	.amdhsa_kernel _ZN7rocprim17ROCPRIM_400000_NS6detail17trampoline_kernelINS0_14default_configENS1_27lower_bound_config_selectorIN6thrust23THRUST_200600_302600_NS5tupleIiiNS6_9null_typeES8_S8_S8_S8_S8_S8_S8_EElEEZNS1_14transform_implILb0ES3_SA_NS6_6detail15normal_iteratorINS6_7pointerIS9_NS6_11hip_rocprim5par_tENS6_11use_defaultESH_EEEENSD_INSE_IlSG_SH_SH_EEEEZNS1_13binary_searchIS3_SA_NSD_INS6_10device_ptrIS9_EEEESJ_SL_NS1_21lower_bound_search_opENSC_16wrapped_functionINS6_6system6detail7generic6detail18binary_search_lessEbEEEE10hipError_tPvRmT1_T2_T3_mmT4_T5_P12ihipStream_tbEUlRKS9_E_EESY_S12_S13_mS14_S17_bEUlT_E_NS1_11comp_targetILNS1_3genE8ELNS1_11target_archE1030ELNS1_3gpuE2ELNS1_3repE0EEENS1_30default_config_static_selectorELNS0_4arch9wavefront6targetE1EEEvS11_
		.amdhsa_group_segment_fixed_size 0
		.amdhsa_private_segment_fixed_size 0
		.amdhsa_kernarg_size 56
		.amdhsa_user_sgpr_count 6
		.amdhsa_user_sgpr_private_segment_buffer 1
		.amdhsa_user_sgpr_dispatch_ptr 0
		.amdhsa_user_sgpr_queue_ptr 0
		.amdhsa_user_sgpr_kernarg_segment_ptr 1
		.amdhsa_user_sgpr_dispatch_id 0
		.amdhsa_user_sgpr_flat_scratch_init 0
		.amdhsa_user_sgpr_private_segment_size 0
		.amdhsa_uses_dynamic_stack 0
		.amdhsa_system_sgpr_private_segment_wavefront_offset 0
		.amdhsa_system_sgpr_workgroup_id_x 1
		.amdhsa_system_sgpr_workgroup_id_y 0
		.amdhsa_system_sgpr_workgroup_id_z 0
		.amdhsa_system_sgpr_workgroup_info 0
		.amdhsa_system_vgpr_workitem_id 0
		.amdhsa_next_free_vgpr 1
		.amdhsa_next_free_sgpr 0
		.amdhsa_reserve_vcc 0
		.amdhsa_reserve_flat_scratch 0
		.amdhsa_float_round_mode_32 0
		.amdhsa_float_round_mode_16_64 0
		.amdhsa_float_denorm_mode_32 3
		.amdhsa_float_denorm_mode_16_64 3
		.amdhsa_dx10_clamp 1
		.amdhsa_ieee_mode 1
		.amdhsa_fp16_overflow 0
		.amdhsa_exception_fp_ieee_invalid_op 0
		.amdhsa_exception_fp_denorm_src 0
		.amdhsa_exception_fp_ieee_div_zero 0
		.amdhsa_exception_fp_ieee_overflow 0
		.amdhsa_exception_fp_ieee_underflow 0
		.amdhsa_exception_fp_ieee_inexact 0
		.amdhsa_exception_int_div_zero 0
	.end_amdhsa_kernel
	.section	.text._ZN7rocprim17ROCPRIM_400000_NS6detail17trampoline_kernelINS0_14default_configENS1_27lower_bound_config_selectorIN6thrust23THRUST_200600_302600_NS5tupleIiiNS6_9null_typeES8_S8_S8_S8_S8_S8_S8_EElEEZNS1_14transform_implILb0ES3_SA_NS6_6detail15normal_iteratorINS6_7pointerIS9_NS6_11hip_rocprim5par_tENS6_11use_defaultESH_EEEENSD_INSE_IlSG_SH_SH_EEEEZNS1_13binary_searchIS3_SA_NSD_INS6_10device_ptrIS9_EEEESJ_SL_NS1_21lower_bound_search_opENSC_16wrapped_functionINS6_6system6detail7generic6detail18binary_search_lessEbEEEE10hipError_tPvRmT1_T2_T3_mmT4_T5_P12ihipStream_tbEUlRKS9_E_EESY_S12_S13_mS14_S17_bEUlT_E_NS1_11comp_targetILNS1_3genE8ELNS1_11target_archE1030ELNS1_3gpuE2ELNS1_3repE0EEENS1_30default_config_static_selectorELNS0_4arch9wavefront6targetE1EEEvS11_,"axG",@progbits,_ZN7rocprim17ROCPRIM_400000_NS6detail17trampoline_kernelINS0_14default_configENS1_27lower_bound_config_selectorIN6thrust23THRUST_200600_302600_NS5tupleIiiNS6_9null_typeES8_S8_S8_S8_S8_S8_S8_EElEEZNS1_14transform_implILb0ES3_SA_NS6_6detail15normal_iteratorINS6_7pointerIS9_NS6_11hip_rocprim5par_tENS6_11use_defaultESH_EEEENSD_INSE_IlSG_SH_SH_EEEEZNS1_13binary_searchIS3_SA_NSD_INS6_10device_ptrIS9_EEEESJ_SL_NS1_21lower_bound_search_opENSC_16wrapped_functionINS6_6system6detail7generic6detail18binary_search_lessEbEEEE10hipError_tPvRmT1_T2_T3_mmT4_T5_P12ihipStream_tbEUlRKS9_E_EESY_S12_S13_mS14_S17_bEUlT_E_NS1_11comp_targetILNS1_3genE8ELNS1_11target_archE1030ELNS1_3gpuE2ELNS1_3repE0EEENS1_30default_config_static_selectorELNS0_4arch9wavefront6targetE1EEEvS11_,comdat
.Lfunc_end440:
	.size	_ZN7rocprim17ROCPRIM_400000_NS6detail17trampoline_kernelINS0_14default_configENS1_27lower_bound_config_selectorIN6thrust23THRUST_200600_302600_NS5tupleIiiNS6_9null_typeES8_S8_S8_S8_S8_S8_S8_EElEEZNS1_14transform_implILb0ES3_SA_NS6_6detail15normal_iteratorINS6_7pointerIS9_NS6_11hip_rocprim5par_tENS6_11use_defaultESH_EEEENSD_INSE_IlSG_SH_SH_EEEEZNS1_13binary_searchIS3_SA_NSD_INS6_10device_ptrIS9_EEEESJ_SL_NS1_21lower_bound_search_opENSC_16wrapped_functionINS6_6system6detail7generic6detail18binary_search_lessEbEEEE10hipError_tPvRmT1_T2_T3_mmT4_T5_P12ihipStream_tbEUlRKS9_E_EESY_S12_S13_mS14_S17_bEUlT_E_NS1_11comp_targetILNS1_3genE8ELNS1_11target_archE1030ELNS1_3gpuE2ELNS1_3repE0EEENS1_30default_config_static_selectorELNS0_4arch9wavefront6targetE1EEEvS11_, .Lfunc_end440-_ZN7rocprim17ROCPRIM_400000_NS6detail17trampoline_kernelINS0_14default_configENS1_27lower_bound_config_selectorIN6thrust23THRUST_200600_302600_NS5tupleIiiNS6_9null_typeES8_S8_S8_S8_S8_S8_S8_EElEEZNS1_14transform_implILb0ES3_SA_NS6_6detail15normal_iteratorINS6_7pointerIS9_NS6_11hip_rocprim5par_tENS6_11use_defaultESH_EEEENSD_INSE_IlSG_SH_SH_EEEEZNS1_13binary_searchIS3_SA_NSD_INS6_10device_ptrIS9_EEEESJ_SL_NS1_21lower_bound_search_opENSC_16wrapped_functionINS6_6system6detail7generic6detail18binary_search_lessEbEEEE10hipError_tPvRmT1_T2_T3_mmT4_T5_P12ihipStream_tbEUlRKS9_E_EESY_S12_S13_mS14_S17_bEUlT_E_NS1_11comp_targetILNS1_3genE8ELNS1_11target_archE1030ELNS1_3gpuE2ELNS1_3repE0EEENS1_30default_config_static_selectorELNS0_4arch9wavefront6targetE1EEEvS11_
                                        ; -- End function
	.set _ZN7rocprim17ROCPRIM_400000_NS6detail17trampoline_kernelINS0_14default_configENS1_27lower_bound_config_selectorIN6thrust23THRUST_200600_302600_NS5tupleIiiNS6_9null_typeES8_S8_S8_S8_S8_S8_S8_EElEEZNS1_14transform_implILb0ES3_SA_NS6_6detail15normal_iteratorINS6_7pointerIS9_NS6_11hip_rocprim5par_tENS6_11use_defaultESH_EEEENSD_INSE_IlSG_SH_SH_EEEEZNS1_13binary_searchIS3_SA_NSD_INS6_10device_ptrIS9_EEEESJ_SL_NS1_21lower_bound_search_opENSC_16wrapped_functionINS6_6system6detail7generic6detail18binary_search_lessEbEEEE10hipError_tPvRmT1_T2_T3_mmT4_T5_P12ihipStream_tbEUlRKS9_E_EESY_S12_S13_mS14_S17_bEUlT_E_NS1_11comp_targetILNS1_3genE8ELNS1_11target_archE1030ELNS1_3gpuE2ELNS1_3repE0EEENS1_30default_config_static_selectorELNS0_4arch9wavefront6targetE1EEEvS11_.num_vgpr, 0
	.set _ZN7rocprim17ROCPRIM_400000_NS6detail17trampoline_kernelINS0_14default_configENS1_27lower_bound_config_selectorIN6thrust23THRUST_200600_302600_NS5tupleIiiNS6_9null_typeES8_S8_S8_S8_S8_S8_S8_EElEEZNS1_14transform_implILb0ES3_SA_NS6_6detail15normal_iteratorINS6_7pointerIS9_NS6_11hip_rocprim5par_tENS6_11use_defaultESH_EEEENSD_INSE_IlSG_SH_SH_EEEEZNS1_13binary_searchIS3_SA_NSD_INS6_10device_ptrIS9_EEEESJ_SL_NS1_21lower_bound_search_opENSC_16wrapped_functionINS6_6system6detail7generic6detail18binary_search_lessEbEEEE10hipError_tPvRmT1_T2_T3_mmT4_T5_P12ihipStream_tbEUlRKS9_E_EESY_S12_S13_mS14_S17_bEUlT_E_NS1_11comp_targetILNS1_3genE8ELNS1_11target_archE1030ELNS1_3gpuE2ELNS1_3repE0EEENS1_30default_config_static_selectorELNS0_4arch9wavefront6targetE1EEEvS11_.num_agpr, 0
	.set _ZN7rocprim17ROCPRIM_400000_NS6detail17trampoline_kernelINS0_14default_configENS1_27lower_bound_config_selectorIN6thrust23THRUST_200600_302600_NS5tupleIiiNS6_9null_typeES8_S8_S8_S8_S8_S8_S8_EElEEZNS1_14transform_implILb0ES3_SA_NS6_6detail15normal_iteratorINS6_7pointerIS9_NS6_11hip_rocprim5par_tENS6_11use_defaultESH_EEEENSD_INSE_IlSG_SH_SH_EEEEZNS1_13binary_searchIS3_SA_NSD_INS6_10device_ptrIS9_EEEESJ_SL_NS1_21lower_bound_search_opENSC_16wrapped_functionINS6_6system6detail7generic6detail18binary_search_lessEbEEEE10hipError_tPvRmT1_T2_T3_mmT4_T5_P12ihipStream_tbEUlRKS9_E_EESY_S12_S13_mS14_S17_bEUlT_E_NS1_11comp_targetILNS1_3genE8ELNS1_11target_archE1030ELNS1_3gpuE2ELNS1_3repE0EEENS1_30default_config_static_selectorELNS0_4arch9wavefront6targetE1EEEvS11_.numbered_sgpr, 0
	.set _ZN7rocprim17ROCPRIM_400000_NS6detail17trampoline_kernelINS0_14default_configENS1_27lower_bound_config_selectorIN6thrust23THRUST_200600_302600_NS5tupleIiiNS6_9null_typeES8_S8_S8_S8_S8_S8_S8_EElEEZNS1_14transform_implILb0ES3_SA_NS6_6detail15normal_iteratorINS6_7pointerIS9_NS6_11hip_rocprim5par_tENS6_11use_defaultESH_EEEENSD_INSE_IlSG_SH_SH_EEEEZNS1_13binary_searchIS3_SA_NSD_INS6_10device_ptrIS9_EEEESJ_SL_NS1_21lower_bound_search_opENSC_16wrapped_functionINS6_6system6detail7generic6detail18binary_search_lessEbEEEE10hipError_tPvRmT1_T2_T3_mmT4_T5_P12ihipStream_tbEUlRKS9_E_EESY_S12_S13_mS14_S17_bEUlT_E_NS1_11comp_targetILNS1_3genE8ELNS1_11target_archE1030ELNS1_3gpuE2ELNS1_3repE0EEENS1_30default_config_static_selectorELNS0_4arch9wavefront6targetE1EEEvS11_.num_named_barrier, 0
	.set _ZN7rocprim17ROCPRIM_400000_NS6detail17trampoline_kernelINS0_14default_configENS1_27lower_bound_config_selectorIN6thrust23THRUST_200600_302600_NS5tupleIiiNS6_9null_typeES8_S8_S8_S8_S8_S8_S8_EElEEZNS1_14transform_implILb0ES3_SA_NS6_6detail15normal_iteratorINS6_7pointerIS9_NS6_11hip_rocprim5par_tENS6_11use_defaultESH_EEEENSD_INSE_IlSG_SH_SH_EEEEZNS1_13binary_searchIS3_SA_NSD_INS6_10device_ptrIS9_EEEESJ_SL_NS1_21lower_bound_search_opENSC_16wrapped_functionINS6_6system6detail7generic6detail18binary_search_lessEbEEEE10hipError_tPvRmT1_T2_T3_mmT4_T5_P12ihipStream_tbEUlRKS9_E_EESY_S12_S13_mS14_S17_bEUlT_E_NS1_11comp_targetILNS1_3genE8ELNS1_11target_archE1030ELNS1_3gpuE2ELNS1_3repE0EEENS1_30default_config_static_selectorELNS0_4arch9wavefront6targetE1EEEvS11_.private_seg_size, 0
	.set _ZN7rocprim17ROCPRIM_400000_NS6detail17trampoline_kernelINS0_14default_configENS1_27lower_bound_config_selectorIN6thrust23THRUST_200600_302600_NS5tupleIiiNS6_9null_typeES8_S8_S8_S8_S8_S8_S8_EElEEZNS1_14transform_implILb0ES3_SA_NS6_6detail15normal_iteratorINS6_7pointerIS9_NS6_11hip_rocprim5par_tENS6_11use_defaultESH_EEEENSD_INSE_IlSG_SH_SH_EEEEZNS1_13binary_searchIS3_SA_NSD_INS6_10device_ptrIS9_EEEESJ_SL_NS1_21lower_bound_search_opENSC_16wrapped_functionINS6_6system6detail7generic6detail18binary_search_lessEbEEEE10hipError_tPvRmT1_T2_T3_mmT4_T5_P12ihipStream_tbEUlRKS9_E_EESY_S12_S13_mS14_S17_bEUlT_E_NS1_11comp_targetILNS1_3genE8ELNS1_11target_archE1030ELNS1_3gpuE2ELNS1_3repE0EEENS1_30default_config_static_selectorELNS0_4arch9wavefront6targetE1EEEvS11_.uses_vcc, 0
	.set _ZN7rocprim17ROCPRIM_400000_NS6detail17trampoline_kernelINS0_14default_configENS1_27lower_bound_config_selectorIN6thrust23THRUST_200600_302600_NS5tupleIiiNS6_9null_typeES8_S8_S8_S8_S8_S8_S8_EElEEZNS1_14transform_implILb0ES3_SA_NS6_6detail15normal_iteratorINS6_7pointerIS9_NS6_11hip_rocprim5par_tENS6_11use_defaultESH_EEEENSD_INSE_IlSG_SH_SH_EEEEZNS1_13binary_searchIS3_SA_NSD_INS6_10device_ptrIS9_EEEESJ_SL_NS1_21lower_bound_search_opENSC_16wrapped_functionINS6_6system6detail7generic6detail18binary_search_lessEbEEEE10hipError_tPvRmT1_T2_T3_mmT4_T5_P12ihipStream_tbEUlRKS9_E_EESY_S12_S13_mS14_S17_bEUlT_E_NS1_11comp_targetILNS1_3genE8ELNS1_11target_archE1030ELNS1_3gpuE2ELNS1_3repE0EEENS1_30default_config_static_selectorELNS0_4arch9wavefront6targetE1EEEvS11_.uses_flat_scratch, 0
	.set _ZN7rocprim17ROCPRIM_400000_NS6detail17trampoline_kernelINS0_14default_configENS1_27lower_bound_config_selectorIN6thrust23THRUST_200600_302600_NS5tupleIiiNS6_9null_typeES8_S8_S8_S8_S8_S8_S8_EElEEZNS1_14transform_implILb0ES3_SA_NS6_6detail15normal_iteratorINS6_7pointerIS9_NS6_11hip_rocprim5par_tENS6_11use_defaultESH_EEEENSD_INSE_IlSG_SH_SH_EEEEZNS1_13binary_searchIS3_SA_NSD_INS6_10device_ptrIS9_EEEESJ_SL_NS1_21lower_bound_search_opENSC_16wrapped_functionINS6_6system6detail7generic6detail18binary_search_lessEbEEEE10hipError_tPvRmT1_T2_T3_mmT4_T5_P12ihipStream_tbEUlRKS9_E_EESY_S12_S13_mS14_S17_bEUlT_E_NS1_11comp_targetILNS1_3genE8ELNS1_11target_archE1030ELNS1_3gpuE2ELNS1_3repE0EEENS1_30default_config_static_selectorELNS0_4arch9wavefront6targetE1EEEvS11_.has_dyn_sized_stack, 0
	.set _ZN7rocprim17ROCPRIM_400000_NS6detail17trampoline_kernelINS0_14default_configENS1_27lower_bound_config_selectorIN6thrust23THRUST_200600_302600_NS5tupleIiiNS6_9null_typeES8_S8_S8_S8_S8_S8_S8_EElEEZNS1_14transform_implILb0ES3_SA_NS6_6detail15normal_iteratorINS6_7pointerIS9_NS6_11hip_rocprim5par_tENS6_11use_defaultESH_EEEENSD_INSE_IlSG_SH_SH_EEEEZNS1_13binary_searchIS3_SA_NSD_INS6_10device_ptrIS9_EEEESJ_SL_NS1_21lower_bound_search_opENSC_16wrapped_functionINS6_6system6detail7generic6detail18binary_search_lessEbEEEE10hipError_tPvRmT1_T2_T3_mmT4_T5_P12ihipStream_tbEUlRKS9_E_EESY_S12_S13_mS14_S17_bEUlT_E_NS1_11comp_targetILNS1_3genE8ELNS1_11target_archE1030ELNS1_3gpuE2ELNS1_3repE0EEENS1_30default_config_static_selectorELNS0_4arch9wavefront6targetE1EEEvS11_.has_recursion, 0
	.set _ZN7rocprim17ROCPRIM_400000_NS6detail17trampoline_kernelINS0_14default_configENS1_27lower_bound_config_selectorIN6thrust23THRUST_200600_302600_NS5tupleIiiNS6_9null_typeES8_S8_S8_S8_S8_S8_S8_EElEEZNS1_14transform_implILb0ES3_SA_NS6_6detail15normal_iteratorINS6_7pointerIS9_NS6_11hip_rocprim5par_tENS6_11use_defaultESH_EEEENSD_INSE_IlSG_SH_SH_EEEEZNS1_13binary_searchIS3_SA_NSD_INS6_10device_ptrIS9_EEEESJ_SL_NS1_21lower_bound_search_opENSC_16wrapped_functionINS6_6system6detail7generic6detail18binary_search_lessEbEEEE10hipError_tPvRmT1_T2_T3_mmT4_T5_P12ihipStream_tbEUlRKS9_E_EESY_S12_S13_mS14_S17_bEUlT_E_NS1_11comp_targetILNS1_3genE8ELNS1_11target_archE1030ELNS1_3gpuE2ELNS1_3repE0EEENS1_30default_config_static_selectorELNS0_4arch9wavefront6targetE1EEEvS11_.has_indirect_call, 0
	.section	.AMDGPU.csdata,"",@progbits
; Kernel info:
; codeLenInByte = 0
; TotalNumSgprs: 4
; NumVgprs: 0
; ScratchSize: 0
; MemoryBound: 0
; FloatMode: 240
; IeeeMode: 1
; LDSByteSize: 0 bytes/workgroup (compile time only)
; SGPRBlocks: 0
; VGPRBlocks: 0
; NumSGPRsForWavesPerEU: 4
; NumVGPRsForWavesPerEU: 1
; Occupancy: 10
; WaveLimiterHint : 0
; COMPUTE_PGM_RSRC2:SCRATCH_EN: 0
; COMPUTE_PGM_RSRC2:USER_SGPR: 6
; COMPUTE_PGM_RSRC2:TRAP_HANDLER: 0
; COMPUTE_PGM_RSRC2:TGID_X_EN: 1
; COMPUTE_PGM_RSRC2:TGID_Y_EN: 0
; COMPUTE_PGM_RSRC2:TGID_Z_EN: 0
; COMPUTE_PGM_RSRC2:TIDIG_COMP_CNT: 0
	.section	.text._ZN7rocprim17ROCPRIM_400000_NS6detail17trampoline_kernelINS0_14default_configENS1_27lower_bound_config_selectorIiiEEZNS1_14transform_implILb0ES3_S5_N6thrust23THRUST_200600_302600_NS6detail15normal_iteratorINS8_10device_ptrIiEEEESD_ZNS1_13binary_searchIS3_S5_SD_SD_SD_NS1_21lower_bound_search_opENS9_16wrapped_functionINS0_4lessIvEEbEEEE10hipError_tPvRmT1_T2_T3_mmT4_T5_P12ihipStream_tbEUlRKiE_EESK_SO_SP_mSQ_ST_bEUlT_E_NS1_11comp_targetILNS1_3genE0ELNS1_11target_archE4294967295ELNS1_3gpuE0ELNS1_3repE0EEENS1_30default_config_static_selectorELNS0_4arch9wavefront6targetE1EEEvSN_,"axG",@progbits,_ZN7rocprim17ROCPRIM_400000_NS6detail17trampoline_kernelINS0_14default_configENS1_27lower_bound_config_selectorIiiEEZNS1_14transform_implILb0ES3_S5_N6thrust23THRUST_200600_302600_NS6detail15normal_iteratorINS8_10device_ptrIiEEEESD_ZNS1_13binary_searchIS3_S5_SD_SD_SD_NS1_21lower_bound_search_opENS9_16wrapped_functionINS0_4lessIvEEbEEEE10hipError_tPvRmT1_T2_T3_mmT4_T5_P12ihipStream_tbEUlRKiE_EESK_SO_SP_mSQ_ST_bEUlT_E_NS1_11comp_targetILNS1_3genE0ELNS1_11target_archE4294967295ELNS1_3gpuE0ELNS1_3repE0EEENS1_30default_config_static_selectorELNS0_4arch9wavefront6targetE1EEEvSN_,comdat
	.protected	_ZN7rocprim17ROCPRIM_400000_NS6detail17trampoline_kernelINS0_14default_configENS1_27lower_bound_config_selectorIiiEEZNS1_14transform_implILb0ES3_S5_N6thrust23THRUST_200600_302600_NS6detail15normal_iteratorINS8_10device_ptrIiEEEESD_ZNS1_13binary_searchIS3_S5_SD_SD_SD_NS1_21lower_bound_search_opENS9_16wrapped_functionINS0_4lessIvEEbEEEE10hipError_tPvRmT1_T2_T3_mmT4_T5_P12ihipStream_tbEUlRKiE_EESK_SO_SP_mSQ_ST_bEUlT_E_NS1_11comp_targetILNS1_3genE0ELNS1_11target_archE4294967295ELNS1_3gpuE0ELNS1_3repE0EEENS1_30default_config_static_selectorELNS0_4arch9wavefront6targetE1EEEvSN_ ; -- Begin function _ZN7rocprim17ROCPRIM_400000_NS6detail17trampoline_kernelINS0_14default_configENS1_27lower_bound_config_selectorIiiEEZNS1_14transform_implILb0ES3_S5_N6thrust23THRUST_200600_302600_NS6detail15normal_iteratorINS8_10device_ptrIiEEEESD_ZNS1_13binary_searchIS3_S5_SD_SD_SD_NS1_21lower_bound_search_opENS9_16wrapped_functionINS0_4lessIvEEbEEEE10hipError_tPvRmT1_T2_T3_mmT4_T5_P12ihipStream_tbEUlRKiE_EESK_SO_SP_mSQ_ST_bEUlT_E_NS1_11comp_targetILNS1_3genE0ELNS1_11target_archE4294967295ELNS1_3gpuE0ELNS1_3repE0EEENS1_30default_config_static_selectorELNS0_4arch9wavefront6targetE1EEEvSN_
	.globl	_ZN7rocprim17ROCPRIM_400000_NS6detail17trampoline_kernelINS0_14default_configENS1_27lower_bound_config_selectorIiiEEZNS1_14transform_implILb0ES3_S5_N6thrust23THRUST_200600_302600_NS6detail15normal_iteratorINS8_10device_ptrIiEEEESD_ZNS1_13binary_searchIS3_S5_SD_SD_SD_NS1_21lower_bound_search_opENS9_16wrapped_functionINS0_4lessIvEEbEEEE10hipError_tPvRmT1_T2_T3_mmT4_T5_P12ihipStream_tbEUlRKiE_EESK_SO_SP_mSQ_ST_bEUlT_E_NS1_11comp_targetILNS1_3genE0ELNS1_11target_archE4294967295ELNS1_3gpuE0ELNS1_3repE0EEENS1_30default_config_static_selectorELNS0_4arch9wavefront6targetE1EEEvSN_
	.p2align	8
	.type	_ZN7rocprim17ROCPRIM_400000_NS6detail17trampoline_kernelINS0_14default_configENS1_27lower_bound_config_selectorIiiEEZNS1_14transform_implILb0ES3_S5_N6thrust23THRUST_200600_302600_NS6detail15normal_iteratorINS8_10device_ptrIiEEEESD_ZNS1_13binary_searchIS3_S5_SD_SD_SD_NS1_21lower_bound_search_opENS9_16wrapped_functionINS0_4lessIvEEbEEEE10hipError_tPvRmT1_T2_T3_mmT4_T5_P12ihipStream_tbEUlRKiE_EESK_SO_SP_mSQ_ST_bEUlT_E_NS1_11comp_targetILNS1_3genE0ELNS1_11target_archE4294967295ELNS1_3gpuE0ELNS1_3repE0EEENS1_30default_config_static_selectorELNS0_4arch9wavefront6targetE1EEEvSN_,@function
_ZN7rocprim17ROCPRIM_400000_NS6detail17trampoline_kernelINS0_14default_configENS1_27lower_bound_config_selectorIiiEEZNS1_14transform_implILb0ES3_S5_N6thrust23THRUST_200600_302600_NS6detail15normal_iteratorINS8_10device_ptrIiEEEESD_ZNS1_13binary_searchIS3_S5_SD_SD_SD_NS1_21lower_bound_search_opENS9_16wrapped_functionINS0_4lessIvEEbEEEE10hipError_tPvRmT1_T2_T3_mmT4_T5_P12ihipStream_tbEUlRKiE_EESK_SO_SP_mSQ_ST_bEUlT_E_NS1_11comp_targetILNS1_3genE0ELNS1_11target_archE4294967295ELNS1_3gpuE0ELNS1_3repE0EEENS1_30default_config_static_selectorELNS0_4arch9wavefront6targetE1EEEvSN_: ; @_ZN7rocprim17ROCPRIM_400000_NS6detail17trampoline_kernelINS0_14default_configENS1_27lower_bound_config_selectorIiiEEZNS1_14transform_implILb0ES3_S5_N6thrust23THRUST_200600_302600_NS6detail15normal_iteratorINS8_10device_ptrIiEEEESD_ZNS1_13binary_searchIS3_S5_SD_SD_SD_NS1_21lower_bound_search_opENS9_16wrapped_functionINS0_4lessIvEEbEEEE10hipError_tPvRmT1_T2_T3_mmT4_T5_P12ihipStream_tbEUlRKiE_EESK_SO_SP_mSQ_ST_bEUlT_E_NS1_11comp_targetILNS1_3genE0ELNS1_11target_archE4294967295ELNS1_3gpuE0ELNS1_3repE0EEENS1_30default_config_static_selectorELNS0_4arch9wavefront6targetE1EEEvSN_
; %bb.0:
	.section	.rodata,"a",@progbits
	.p2align	6, 0x0
	.amdhsa_kernel _ZN7rocprim17ROCPRIM_400000_NS6detail17trampoline_kernelINS0_14default_configENS1_27lower_bound_config_selectorIiiEEZNS1_14transform_implILb0ES3_S5_N6thrust23THRUST_200600_302600_NS6detail15normal_iteratorINS8_10device_ptrIiEEEESD_ZNS1_13binary_searchIS3_S5_SD_SD_SD_NS1_21lower_bound_search_opENS9_16wrapped_functionINS0_4lessIvEEbEEEE10hipError_tPvRmT1_T2_T3_mmT4_T5_P12ihipStream_tbEUlRKiE_EESK_SO_SP_mSQ_ST_bEUlT_E_NS1_11comp_targetILNS1_3genE0ELNS1_11target_archE4294967295ELNS1_3gpuE0ELNS1_3repE0EEENS1_30default_config_static_selectorELNS0_4arch9wavefront6targetE1EEEvSN_
		.amdhsa_group_segment_fixed_size 0
		.amdhsa_private_segment_fixed_size 0
		.amdhsa_kernarg_size 56
		.amdhsa_user_sgpr_count 6
		.amdhsa_user_sgpr_private_segment_buffer 1
		.amdhsa_user_sgpr_dispatch_ptr 0
		.amdhsa_user_sgpr_queue_ptr 0
		.amdhsa_user_sgpr_kernarg_segment_ptr 1
		.amdhsa_user_sgpr_dispatch_id 0
		.amdhsa_user_sgpr_flat_scratch_init 0
		.amdhsa_user_sgpr_private_segment_size 0
		.amdhsa_uses_dynamic_stack 0
		.amdhsa_system_sgpr_private_segment_wavefront_offset 0
		.amdhsa_system_sgpr_workgroup_id_x 1
		.amdhsa_system_sgpr_workgroup_id_y 0
		.amdhsa_system_sgpr_workgroup_id_z 0
		.amdhsa_system_sgpr_workgroup_info 0
		.amdhsa_system_vgpr_workitem_id 0
		.amdhsa_next_free_vgpr 1
		.amdhsa_next_free_sgpr 0
		.amdhsa_reserve_vcc 0
		.amdhsa_reserve_flat_scratch 0
		.amdhsa_float_round_mode_32 0
		.amdhsa_float_round_mode_16_64 0
		.amdhsa_float_denorm_mode_32 3
		.amdhsa_float_denorm_mode_16_64 3
		.amdhsa_dx10_clamp 1
		.amdhsa_ieee_mode 1
		.amdhsa_fp16_overflow 0
		.amdhsa_exception_fp_ieee_invalid_op 0
		.amdhsa_exception_fp_denorm_src 0
		.amdhsa_exception_fp_ieee_div_zero 0
		.amdhsa_exception_fp_ieee_overflow 0
		.amdhsa_exception_fp_ieee_underflow 0
		.amdhsa_exception_fp_ieee_inexact 0
		.amdhsa_exception_int_div_zero 0
	.end_amdhsa_kernel
	.section	.text._ZN7rocprim17ROCPRIM_400000_NS6detail17trampoline_kernelINS0_14default_configENS1_27lower_bound_config_selectorIiiEEZNS1_14transform_implILb0ES3_S5_N6thrust23THRUST_200600_302600_NS6detail15normal_iteratorINS8_10device_ptrIiEEEESD_ZNS1_13binary_searchIS3_S5_SD_SD_SD_NS1_21lower_bound_search_opENS9_16wrapped_functionINS0_4lessIvEEbEEEE10hipError_tPvRmT1_T2_T3_mmT4_T5_P12ihipStream_tbEUlRKiE_EESK_SO_SP_mSQ_ST_bEUlT_E_NS1_11comp_targetILNS1_3genE0ELNS1_11target_archE4294967295ELNS1_3gpuE0ELNS1_3repE0EEENS1_30default_config_static_selectorELNS0_4arch9wavefront6targetE1EEEvSN_,"axG",@progbits,_ZN7rocprim17ROCPRIM_400000_NS6detail17trampoline_kernelINS0_14default_configENS1_27lower_bound_config_selectorIiiEEZNS1_14transform_implILb0ES3_S5_N6thrust23THRUST_200600_302600_NS6detail15normal_iteratorINS8_10device_ptrIiEEEESD_ZNS1_13binary_searchIS3_S5_SD_SD_SD_NS1_21lower_bound_search_opENS9_16wrapped_functionINS0_4lessIvEEbEEEE10hipError_tPvRmT1_T2_T3_mmT4_T5_P12ihipStream_tbEUlRKiE_EESK_SO_SP_mSQ_ST_bEUlT_E_NS1_11comp_targetILNS1_3genE0ELNS1_11target_archE4294967295ELNS1_3gpuE0ELNS1_3repE0EEENS1_30default_config_static_selectorELNS0_4arch9wavefront6targetE1EEEvSN_,comdat
.Lfunc_end441:
	.size	_ZN7rocprim17ROCPRIM_400000_NS6detail17trampoline_kernelINS0_14default_configENS1_27lower_bound_config_selectorIiiEEZNS1_14transform_implILb0ES3_S5_N6thrust23THRUST_200600_302600_NS6detail15normal_iteratorINS8_10device_ptrIiEEEESD_ZNS1_13binary_searchIS3_S5_SD_SD_SD_NS1_21lower_bound_search_opENS9_16wrapped_functionINS0_4lessIvEEbEEEE10hipError_tPvRmT1_T2_T3_mmT4_T5_P12ihipStream_tbEUlRKiE_EESK_SO_SP_mSQ_ST_bEUlT_E_NS1_11comp_targetILNS1_3genE0ELNS1_11target_archE4294967295ELNS1_3gpuE0ELNS1_3repE0EEENS1_30default_config_static_selectorELNS0_4arch9wavefront6targetE1EEEvSN_, .Lfunc_end441-_ZN7rocprim17ROCPRIM_400000_NS6detail17trampoline_kernelINS0_14default_configENS1_27lower_bound_config_selectorIiiEEZNS1_14transform_implILb0ES3_S5_N6thrust23THRUST_200600_302600_NS6detail15normal_iteratorINS8_10device_ptrIiEEEESD_ZNS1_13binary_searchIS3_S5_SD_SD_SD_NS1_21lower_bound_search_opENS9_16wrapped_functionINS0_4lessIvEEbEEEE10hipError_tPvRmT1_T2_T3_mmT4_T5_P12ihipStream_tbEUlRKiE_EESK_SO_SP_mSQ_ST_bEUlT_E_NS1_11comp_targetILNS1_3genE0ELNS1_11target_archE4294967295ELNS1_3gpuE0ELNS1_3repE0EEENS1_30default_config_static_selectorELNS0_4arch9wavefront6targetE1EEEvSN_
                                        ; -- End function
	.set _ZN7rocprim17ROCPRIM_400000_NS6detail17trampoline_kernelINS0_14default_configENS1_27lower_bound_config_selectorIiiEEZNS1_14transform_implILb0ES3_S5_N6thrust23THRUST_200600_302600_NS6detail15normal_iteratorINS8_10device_ptrIiEEEESD_ZNS1_13binary_searchIS3_S5_SD_SD_SD_NS1_21lower_bound_search_opENS9_16wrapped_functionINS0_4lessIvEEbEEEE10hipError_tPvRmT1_T2_T3_mmT4_T5_P12ihipStream_tbEUlRKiE_EESK_SO_SP_mSQ_ST_bEUlT_E_NS1_11comp_targetILNS1_3genE0ELNS1_11target_archE4294967295ELNS1_3gpuE0ELNS1_3repE0EEENS1_30default_config_static_selectorELNS0_4arch9wavefront6targetE1EEEvSN_.num_vgpr, 0
	.set _ZN7rocprim17ROCPRIM_400000_NS6detail17trampoline_kernelINS0_14default_configENS1_27lower_bound_config_selectorIiiEEZNS1_14transform_implILb0ES3_S5_N6thrust23THRUST_200600_302600_NS6detail15normal_iteratorINS8_10device_ptrIiEEEESD_ZNS1_13binary_searchIS3_S5_SD_SD_SD_NS1_21lower_bound_search_opENS9_16wrapped_functionINS0_4lessIvEEbEEEE10hipError_tPvRmT1_T2_T3_mmT4_T5_P12ihipStream_tbEUlRKiE_EESK_SO_SP_mSQ_ST_bEUlT_E_NS1_11comp_targetILNS1_3genE0ELNS1_11target_archE4294967295ELNS1_3gpuE0ELNS1_3repE0EEENS1_30default_config_static_selectorELNS0_4arch9wavefront6targetE1EEEvSN_.num_agpr, 0
	.set _ZN7rocprim17ROCPRIM_400000_NS6detail17trampoline_kernelINS0_14default_configENS1_27lower_bound_config_selectorIiiEEZNS1_14transform_implILb0ES3_S5_N6thrust23THRUST_200600_302600_NS6detail15normal_iteratorINS8_10device_ptrIiEEEESD_ZNS1_13binary_searchIS3_S5_SD_SD_SD_NS1_21lower_bound_search_opENS9_16wrapped_functionINS0_4lessIvEEbEEEE10hipError_tPvRmT1_T2_T3_mmT4_T5_P12ihipStream_tbEUlRKiE_EESK_SO_SP_mSQ_ST_bEUlT_E_NS1_11comp_targetILNS1_3genE0ELNS1_11target_archE4294967295ELNS1_3gpuE0ELNS1_3repE0EEENS1_30default_config_static_selectorELNS0_4arch9wavefront6targetE1EEEvSN_.numbered_sgpr, 0
	.set _ZN7rocprim17ROCPRIM_400000_NS6detail17trampoline_kernelINS0_14default_configENS1_27lower_bound_config_selectorIiiEEZNS1_14transform_implILb0ES3_S5_N6thrust23THRUST_200600_302600_NS6detail15normal_iteratorINS8_10device_ptrIiEEEESD_ZNS1_13binary_searchIS3_S5_SD_SD_SD_NS1_21lower_bound_search_opENS9_16wrapped_functionINS0_4lessIvEEbEEEE10hipError_tPvRmT1_T2_T3_mmT4_T5_P12ihipStream_tbEUlRKiE_EESK_SO_SP_mSQ_ST_bEUlT_E_NS1_11comp_targetILNS1_3genE0ELNS1_11target_archE4294967295ELNS1_3gpuE0ELNS1_3repE0EEENS1_30default_config_static_selectorELNS0_4arch9wavefront6targetE1EEEvSN_.num_named_barrier, 0
	.set _ZN7rocprim17ROCPRIM_400000_NS6detail17trampoline_kernelINS0_14default_configENS1_27lower_bound_config_selectorIiiEEZNS1_14transform_implILb0ES3_S5_N6thrust23THRUST_200600_302600_NS6detail15normal_iteratorINS8_10device_ptrIiEEEESD_ZNS1_13binary_searchIS3_S5_SD_SD_SD_NS1_21lower_bound_search_opENS9_16wrapped_functionINS0_4lessIvEEbEEEE10hipError_tPvRmT1_T2_T3_mmT4_T5_P12ihipStream_tbEUlRKiE_EESK_SO_SP_mSQ_ST_bEUlT_E_NS1_11comp_targetILNS1_3genE0ELNS1_11target_archE4294967295ELNS1_3gpuE0ELNS1_3repE0EEENS1_30default_config_static_selectorELNS0_4arch9wavefront6targetE1EEEvSN_.private_seg_size, 0
	.set _ZN7rocprim17ROCPRIM_400000_NS6detail17trampoline_kernelINS0_14default_configENS1_27lower_bound_config_selectorIiiEEZNS1_14transform_implILb0ES3_S5_N6thrust23THRUST_200600_302600_NS6detail15normal_iteratorINS8_10device_ptrIiEEEESD_ZNS1_13binary_searchIS3_S5_SD_SD_SD_NS1_21lower_bound_search_opENS9_16wrapped_functionINS0_4lessIvEEbEEEE10hipError_tPvRmT1_T2_T3_mmT4_T5_P12ihipStream_tbEUlRKiE_EESK_SO_SP_mSQ_ST_bEUlT_E_NS1_11comp_targetILNS1_3genE0ELNS1_11target_archE4294967295ELNS1_3gpuE0ELNS1_3repE0EEENS1_30default_config_static_selectorELNS0_4arch9wavefront6targetE1EEEvSN_.uses_vcc, 0
	.set _ZN7rocprim17ROCPRIM_400000_NS6detail17trampoline_kernelINS0_14default_configENS1_27lower_bound_config_selectorIiiEEZNS1_14transform_implILb0ES3_S5_N6thrust23THRUST_200600_302600_NS6detail15normal_iteratorINS8_10device_ptrIiEEEESD_ZNS1_13binary_searchIS3_S5_SD_SD_SD_NS1_21lower_bound_search_opENS9_16wrapped_functionINS0_4lessIvEEbEEEE10hipError_tPvRmT1_T2_T3_mmT4_T5_P12ihipStream_tbEUlRKiE_EESK_SO_SP_mSQ_ST_bEUlT_E_NS1_11comp_targetILNS1_3genE0ELNS1_11target_archE4294967295ELNS1_3gpuE0ELNS1_3repE0EEENS1_30default_config_static_selectorELNS0_4arch9wavefront6targetE1EEEvSN_.uses_flat_scratch, 0
	.set _ZN7rocprim17ROCPRIM_400000_NS6detail17trampoline_kernelINS0_14default_configENS1_27lower_bound_config_selectorIiiEEZNS1_14transform_implILb0ES3_S5_N6thrust23THRUST_200600_302600_NS6detail15normal_iteratorINS8_10device_ptrIiEEEESD_ZNS1_13binary_searchIS3_S5_SD_SD_SD_NS1_21lower_bound_search_opENS9_16wrapped_functionINS0_4lessIvEEbEEEE10hipError_tPvRmT1_T2_T3_mmT4_T5_P12ihipStream_tbEUlRKiE_EESK_SO_SP_mSQ_ST_bEUlT_E_NS1_11comp_targetILNS1_3genE0ELNS1_11target_archE4294967295ELNS1_3gpuE0ELNS1_3repE0EEENS1_30default_config_static_selectorELNS0_4arch9wavefront6targetE1EEEvSN_.has_dyn_sized_stack, 0
	.set _ZN7rocprim17ROCPRIM_400000_NS6detail17trampoline_kernelINS0_14default_configENS1_27lower_bound_config_selectorIiiEEZNS1_14transform_implILb0ES3_S5_N6thrust23THRUST_200600_302600_NS6detail15normal_iteratorINS8_10device_ptrIiEEEESD_ZNS1_13binary_searchIS3_S5_SD_SD_SD_NS1_21lower_bound_search_opENS9_16wrapped_functionINS0_4lessIvEEbEEEE10hipError_tPvRmT1_T2_T3_mmT4_T5_P12ihipStream_tbEUlRKiE_EESK_SO_SP_mSQ_ST_bEUlT_E_NS1_11comp_targetILNS1_3genE0ELNS1_11target_archE4294967295ELNS1_3gpuE0ELNS1_3repE0EEENS1_30default_config_static_selectorELNS0_4arch9wavefront6targetE1EEEvSN_.has_recursion, 0
	.set _ZN7rocprim17ROCPRIM_400000_NS6detail17trampoline_kernelINS0_14default_configENS1_27lower_bound_config_selectorIiiEEZNS1_14transform_implILb0ES3_S5_N6thrust23THRUST_200600_302600_NS6detail15normal_iteratorINS8_10device_ptrIiEEEESD_ZNS1_13binary_searchIS3_S5_SD_SD_SD_NS1_21lower_bound_search_opENS9_16wrapped_functionINS0_4lessIvEEbEEEE10hipError_tPvRmT1_T2_T3_mmT4_T5_P12ihipStream_tbEUlRKiE_EESK_SO_SP_mSQ_ST_bEUlT_E_NS1_11comp_targetILNS1_3genE0ELNS1_11target_archE4294967295ELNS1_3gpuE0ELNS1_3repE0EEENS1_30default_config_static_selectorELNS0_4arch9wavefront6targetE1EEEvSN_.has_indirect_call, 0
	.section	.AMDGPU.csdata,"",@progbits
; Kernel info:
; codeLenInByte = 0
; TotalNumSgprs: 4
; NumVgprs: 0
; ScratchSize: 0
; MemoryBound: 0
; FloatMode: 240
; IeeeMode: 1
; LDSByteSize: 0 bytes/workgroup (compile time only)
; SGPRBlocks: 0
; VGPRBlocks: 0
; NumSGPRsForWavesPerEU: 4
; NumVGPRsForWavesPerEU: 1
; Occupancy: 10
; WaveLimiterHint : 0
; COMPUTE_PGM_RSRC2:SCRATCH_EN: 0
; COMPUTE_PGM_RSRC2:USER_SGPR: 6
; COMPUTE_PGM_RSRC2:TRAP_HANDLER: 0
; COMPUTE_PGM_RSRC2:TGID_X_EN: 1
; COMPUTE_PGM_RSRC2:TGID_Y_EN: 0
; COMPUTE_PGM_RSRC2:TGID_Z_EN: 0
; COMPUTE_PGM_RSRC2:TIDIG_COMP_CNT: 0
	.section	.text._ZN7rocprim17ROCPRIM_400000_NS6detail17trampoline_kernelINS0_14default_configENS1_27lower_bound_config_selectorIiiEEZNS1_14transform_implILb0ES3_S5_N6thrust23THRUST_200600_302600_NS6detail15normal_iteratorINS8_10device_ptrIiEEEESD_ZNS1_13binary_searchIS3_S5_SD_SD_SD_NS1_21lower_bound_search_opENS9_16wrapped_functionINS0_4lessIvEEbEEEE10hipError_tPvRmT1_T2_T3_mmT4_T5_P12ihipStream_tbEUlRKiE_EESK_SO_SP_mSQ_ST_bEUlT_E_NS1_11comp_targetILNS1_3genE5ELNS1_11target_archE942ELNS1_3gpuE9ELNS1_3repE0EEENS1_30default_config_static_selectorELNS0_4arch9wavefront6targetE1EEEvSN_,"axG",@progbits,_ZN7rocprim17ROCPRIM_400000_NS6detail17trampoline_kernelINS0_14default_configENS1_27lower_bound_config_selectorIiiEEZNS1_14transform_implILb0ES3_S5_N6thrust23THRUST_200600_302600_NS6detail15normal_iteratorINS8_10device_ptrIiEEEESD_ZNS1_13binary_searchIS3_S5_SD_SD_SD_NS1_21lower_bound_search_opENS9_16wrapped_functionINS0_4lessIvEEbEEEE10hipError_tPvRmT1_T2_T3_mmT4_T5_P12ihipStream_tbEUlRKiE_EESK_SO_SP_mSQ_ST_bEUlT_E_NS1_11comp_targetILNS1_3genE5ELNS1_11target_archE942ELNS1_3gpuE9ELNS1_3repE0EEENS1_30default_config_static_selectorELNS0_4arch9wavefront6targetE1EEEvSN_,comdat
	.protected	_ZN7rocprim17ROCPRIM_400000_NS6detail17trampoline_kernelINS0_14default_configENS1_27lower_bound_config_selectorIiiEEZNS1_14transform_implILb0ES3_S5_N6thrust23THRUST_200600_302600_NS6detail15normal_iteratorINS8_10device_ptrIiEEEESD_ZNS1_13binary_searchIS3_S5_SD_SD_SD_NS1_21lower_bound_search_opENS9_16wrapped_functionINS0_4lessIvEEbEEEE10hipError_tPvRmT1_T2_T3_mmT4_T5_P12ihipStream_tbEUlRKiE_EESK_SO_SP_mSQ_ST_bEUlT_E_NS1_11comp_targetILNS1_3genE5ELNS1_11target_archE942ELNS1_3gpuE9ELNS1_3repE0EEENS1_30default_config_static_selectorELNS0_4arch9wavefront6targetE1EEEvSN_ ; -- Begin function _ZN7rocprim17ROCPRIM_400000_NS6detail17trampoline_kernelINS0_14default_configENS1_27lower_bound_config_selectorIiiEEZNS1_14transform_implILb0ES3_S5_N6thrust23THRUST_200600_302600_NS6detail15normal_iteratorINS8_10device_ptrIiEEEESD_ZNS1_13binary_searchIS3_S5_SD_SD_SD_NS1_21lower_bound_search_opENS9_16wrapped_functionINS0_4lessIvEEbEEEE10hipError_tPvRmT1_T2_T3_mmT4_T5_P12ihipStream_tbEUlRKiE_EESK_SO_SP_mSQ_ST_bEUlT_E_NS1_11comp_targetILNS1_3genE5ELNS1_11target_archE942ELNS1_3gpuE9ELNS1_3repE0EEENS1_30default_config_static_selectorELNS0_4arch9wavefront6targetE1EEEvSN_
	.globl	_ZN7rocprim17ROCPRIM_400000_NS6detail17trampoline_kernelINS0_14default_configENS1_27lower_bound_config_selectorIiiEEZNS1_14transform_implILb0ES3_S5_N6thrust23THRUST_200600_302600_NS6detail15normal_iteratorINS8_10device_ptrIiEEEESD_ZNS1_13binary_searchIS3_S5_SD_SD_SD_NS1_21lower_bound_search_opENS9_16wrapped_functionINS0_4lessIvEEbEEEE10hipError_tPvRmT1_T2_T3_mmT4_T5_P12ihipStream_tbEUlRKiE_EESK_SO_SP_mSQ_ST_bEUlT_E_NS1_11comp_targetILNS1_3genE5ELNS1_11target_archE942ELNS1_3gpuE9ELNS1_3repE0EEENS1_30default_config_static_selectorELNS0_4arch9wavefront6targetE1EEEvSN_
	.p2align	8
	.type	_ZN7rocprim17ROCPRIM_400000_NS6detail17trampoline_kernelINS0_14default_configENS1_27lower_bound_config_selectorIiiEEZNS1_14transform_implILb0ES3_S5_N6thrust23THRUST_200600_302600_NS6detail15normal_iteratorINS8_10device_ptrIiEEEESD_ZNS1_13binary_searchIS3_S5_SD_SD_SD_NS1_21lower_bound_search_opENS9_16wrapped_functionINS0_4lessIvEEbEEEE10hipError_tPvRmT1_T2_T3_mmT4_T5_P12ihipStream_tbEUlRKiE_EESK_SO_SP_mSQ_ST_bEUlT_E_NS1_11comp_targetILNS1_3genE5ELNS1_11target_archE942ELNS1_3gpuE9ELNS1_3repE0EEENS1_30default_config_static_selectorELNS0_4arch9wavefront6targetE1EEEvSN_,@function
_ZN7rocprim17ROCPRIM_400000_NS6detail17trampoline_kernelINS0_14default_configENS1_27lower_bound_config_selectorIiiEEZNS1_14transform_implILb0ES3_S5_N6thrust23THRUST_200600_302600_NS6detail15normal_iteratorINS8_10device_ptrIiEEEESD_ZNS1_13binary_searchIS3_S5_SD_SD_SD_NS1_21lower_bound_search_opENS9_16wrapped_functionINS0_4lessIvEEbEEEE10hipError_tPvRmT1_T2_T3_mmT4_T5_P12ihipStream_tbEUlRKiE_EESK_SO_SP_mSQ_ST_bEUlT_E_NS1_11comp_targetILNS1_3genE5ELNS1_11target_archE942ELNS1_3gpuE9ELNS1_3repE0EEENS1_30default_config_static_selectorELNS0_4arch9wavefront6targetE1EEEvSN_: ; @_ZN7rocprim17ROCPRIM_400000_NS6detail17trampoline_kernelINS0_14default_configENS1_27lower_bound_config_selectorIiiEEZNS1_14transform_implILb0ES3_S5_N6thrust23THRUST_200600_302600_NS6detail15normal_iteratorINS8_10device_ptrIiEEEESD_ZNS1_13binary_searchIS3_S5_SD_SD_SD_NS1_21lower_bound_search_opENS9_16wrapped_functionINS0_4lessIvEEbEEEE10hipError_tPvRmT1_T2_T3_mmT4_T5_P12ihipStream_tbEUlRKiE_EESK_SO_SP_mSQ_ST_bEUlT_E_NS1_11comp_targetILNS1_3genE5ELNS1_11target_archE942ELNS1_3gpuE9ELNS1_3repE0EEENS1_30default_config_static_selectorELNS0_4arch9wavefront6targetE1EEEvSN_
; %bb.0:
	.section	.rodata,"a",@progbits
	.p2align	6, 0x0
	.amdhsa_kernel _ZN7rocprim17ROCPRIM_400000_NS6detail17trampoline_kernelINS0_14default_configENS1_27lower_bound_config_selectorIiiEEZNS1_14transform_implILb0ES3_S5_N6thrust23THRUST_200600_302600_NS6detail15normal_iteratorINS8_10device_ptrIiEEEESD_ZNS1_13binary_searchIS3_S5_SD_SD_SD_NS1_21lower_bound_search_opENS9_16wrapped_functionINS0_4lessIvEEbEEEE10hipError_tPvRmT1_T2_T3_mmT4_T5_P12ihipStream_tbEUlRKiE_EESK_SO_SP_mSQ_ST_bEUlT_E_NS1_11comp_targetILNS1_3genE5ELNS1_11target_archE942ELNS1_3gpuE9ELNS1_3repE0EEENS1_30default_config_static_selectorELNS0_4arch9wavefront6targetE1EEEvSN_
		.amdhsa_group_segment_fixed_size 0
		.amdhsa_private_segment_fixed_size 0
		.amdhsa_kernarg_size 56
		.amdhsa_user_sgpr_count 6
		.amdhsa_user_sgpr_private_segment_buffer 1
		.amdhsa_user_sgpr_dispatch_ptr 0
		.amdhsa_user_sgpr_queue_ptr 0
		.amdhsa_user_sgpr_kernarg_segment_ptr 1
		.amdhsa_user_sgpr_dispatch_id 0
		.amdhsa_user_sgpr_flat_scratch_init 0
		.amdhsa_user_sgpr_private_segment_size 0
		.amdhsa_uses_dynamic_stack 0
		.amdhsa_system_sgpr_private_segment_wavefront_offset 0
		.amdhsa_system_sgpr_workgroup_id_x 1
		.amdhsa_system_sgpr_workgroup_id_y 0
		.amdhsa_system_sgpr_workgroup_id_z 0
		.amdhsa_system_sgpr_workgroup_info 0
		.amdhsa_system_vgpr_workitem_id 0
		.amdhsa_next_free_vgpr 1
		.amdhsa_next_free_sgpr 0
		.amdhsa_reserve_vcc 0
		.amdhsa_reserve_flat_scratch 0
		.amdhsa_float_round_mode_32 0
		.amdhsa_float_round_mode_16_64 0
		.amdhsa_float_denorm_mode_32 3
		.amdhsa_float_denorm_mode_16_64 3
		.amdhsa_dx10_clamp 1
		.amdhsa_ieee_mode 1
		.amdhsa_fp16_overflow 0
		.amdhsa_exception_fp_ieee_invalid_op 0
		.amdhsa_exception_fp_denorm_src 0
		.amdhsa_exception_fp_ieee_div_zero 0
		.amdhsa_exception_fp_ieee_overflow 0
		.amdhsa_exception_fp_ieee_underflow 0
		.amdhsa_exception_fp_ieee_inexact 0
		.amdhsa_exception_int_div_zero 0
	.end_amdhsa_kernel
	.section	.text._ZN7rocprim17ROCPRIM_400000_NS6detail17trampoline_kernelINS0_14default_configENS1_27lower_bound_config_selectorIiiEEZNS1_14transform_implILb0ES3_S5_N6thrust23THRUST_200600_302600_NS6detail15normal_iteratorINS8_10device_ptrIiEEEESD_ZNS1_13binary_searchIS3_S5_SD_SD_SD_NS1_21lower_bound_search_opENS9_16wrapped_functionINS0_4lessIvEEbEEEE10hipError_tPvRmT1_T2_T3_mmT4_T5_P12ihipStream_tbEUlRKiE_EESK_SO_SP_mSQ_ST_bEUlT_E_NS1_11comp_targetILNS1_3genE5ELNS1_11target_archE942ELNS1_3gpuE9ELNS1_3repE0EEENS1_30default_config_static_selectorELNS0_4arch9wavefront6targetE1EEEvSN_,"axG",@progbits,_ZN7rocprim17ROCPRIM_400000_NS6detail17trampoline_kernelINS0_14default_configENS1_27lower_bound_config_selectorIiiEEZNS1_14transform_implILb0ES3_S5_N6thrust23THRUST_200600_302600_NS6detail15normal_iteratorINS8_10device_ptrIiEEEESD_ZNS1_13binary_searchIS3_S5_SD_SD_SD_NS1_21lower_bound_search_opENS9_16wrapped_functionINS0_4lessIvEEbEEEE10hipError_tPvRmT1_T2_T3_mmT4_T5_P12ihipStream_tbEUlRKiE_EESK_SO_SP_mSQ_ST_bEUlT_E_NS1_11comp_targetILNS1_3genE5ELNS1_11target_archE942ELNS1_3gpuE9ELNS1_3repE0EEENS1_30default_config_static_selectorELNS0_4arch9wavefront6targetE1EEEvSN_,comdat
.Lfunc_end442:
	.size	_ZN7rocprim17ROCPRIM_400000_NS6detail17trampoline_kernelINS0_14default_configENS1_27lower_bound_config_selectorIiiEEZNS1_14transform_implILb0ES3_S5_N6thrust23THRUST_200600_302600_NS6detail15normal_iteratorINS8_10device_ptrIiEEEESD_ZNS1_13binary_searchIS3_S5_SD_SD_SD_NS1_21lower_bound_search_opENS9_16wrapped_functionINS0_4lessIvEEbEEEE10hipError_tPvRmT1_T2_T3_mmT4_T5_P12ihipStream_tbEUlRKiE_EESK_SO_SP_mSQ_ST_bEUlT_E_NS1_11comp_targetILNS1_3genE5ELNS1_11target_archE942ELNS1_3gpuE9ELNS1_3repE0EEENS1_30default_config_static_selectorELNS0_4arch9wavefront6targetE1EEEvSN_, .Lfunc_end442-_ZN7rocprim17ROCPRIM_400000_NS6detail17trampoline_kernelINS0_14default_configENS1_27lower_bound_config_selectorIiiEEZNS1_14transform_implILb0ES3_S5_N6thrust23THRUST_200600_302600_NS6detail15normal_iteratorINS8_10device_ptrIiEEEESD_ZNS1_13binary_searchIS3_S5_SD_SD_SD_NS1_21lower_bound_search_opENS9_16wrapped_functionINS0_4lessIvEEbEEEE10hipError_tPvRmT1_T2_T3_mmT4_T5_P12ihipStream_tbEUlRKiE_EESK_SO_SP_mSQ_ST_bEUlT_E_NS1_11comp_targetILNS1_3genE5ELNS1_11target_archE942ELNS1_3gpuE9ELNS1_3repE0EEENS1_30default_config_static_selectorELNS0_4arch9wavefront6targetE1EEEvSN_
                                        ; -- End function
	.set _ZN7rocprim17ROCPRIM_400000_NS6detail17trampoline_kernelINS0_14default_configENS1_27lower_bound_config_selectorIiiEEZNS1_14transform_implILb0ES3_S5_N6thrust23THRUST_200600_302600_NS6detail15normal_iteratorINS8_10device_ptrIiEEEESD_ZNS1_13binary_searchIS3_S5_SD_SD_SD_NS1_21lower_bound_search_opENS9_16wrapped_functionINS0_4lessIvEEbEEEE10hipError_tPvRmT1_T2_T3_mmT4_T5_P12ihipStream_tbEUlRKiE_EESK_SO_SP_mSQ_ST_bEUlT_E_NS1_11comp_targetILNS1_3genE5ELNS1_11target_archE942ELNS1_3gpuE9ELNS1_3repE0EEENS1_30default_config_static_selectorELNS0_4arch9wavefront6targetE1EEEvSN_.num_vgpr, 0
	.set _ZN7rocprim17ROCPRIM_400000_NS6detail17trampoline_kernelINS0_14default_configENS1_27lower_bound_config_selectorIiiEEZNS1_14transform_implILb0ES3_S5_N6thrust23THRUST_200600_302600_NS6detail15normal_iteratorINS8_10device_ptrIiEEEESD_ZNS1_13binary_searchIS3_S5_SD_SD_SD_NS1_21lower_bound_search_opENS9_16wrapped_functionINS0_4lessIvEEbEEEE10hipError_tPvRmT1_T2_T3_mmT4_T5_P12ihipStream_tbEUlRKiE_EESK_SO_SP_mSQ_ST_bEUlT_E_NS1_11comp_targetILNS1_3genE5ELNS1_11target_archE942ELNS1_3gpuE9ELNS1_3repE0EEENS1_30default_config_static_selectorELNS0_4arch9wavefront6targetE1EEEvSN_.num_agpr, 0
	.set _ZN7rocprim17ROCPRIM_400000_NS6detail17trampoline_kernelINS0_14default_configENS1_27lower_bound_config_selectorIiiEEZNS1_14transform_implILb0ES3_S5_N6thrust23THRUST_200600_302600_NS6detail15normal_iteratorINS8_10device_ptrIiEEEESD_ZNS1_13binary_searchIS3_S5_SD_SD_SD_NS1_21lower_bound_search_opENS9_16wrapped_functionINS0_4lessIvEEbEEEE10hipError_tPvRmT1_T2_T3_mmT4_T5_P12ihipStream_tbEUlRKiE_EESK_SO_SP_mSQ_ST_bEUlT_E_NS1_11comp_targetILNS1_3genE5ELNS1_11target_archE942ELNS1_3gpuE9ELNS1_3repE0EEENS1_30default_config_static_selectorELNS0_4arch9wavefront6targetE1EEEvSN_.numbered_sgpr, 0
	.set _ZN7rocprim17ROCPRIM_400000_NS6detail17trampoline_kernelINS0_14default_configENS1_27lower_bound_config_selectorIiiEEZNS1_14transform_implILb0ES3_S5_N6thrust23THRUST_200600_302600_NS6detail15normal_iteratorINS8_10device_ptrIiEEEESD_ZNS1_13binary_searchIS3_S5_SD_SD_SD_NS1_21lower_bound_search_opENS9_16wrapped_functionINS0_4lessIvEEbEEEE10hipError_tPvRmT1_T2_T3_mmT4_T5_P12ihipStream_tbEUlRKiE_EESK_SO_SP_mSQ_ST_bEUlT_E_NS1_11comp_targetILNS1_3genE5ELNS1_11target_archE942ELNS1_3gpuE9ELNS1_3repE0EEENS1_30default_config_static_selectorELNS0_4arch9wavefront6targetE1EEEvSN_.num_named_barrier, 0
	.set _ZN7rocprim17ROCPRIM_400000_NS6detail17trampoline_kernelINS0_14default_configENS1_27lower_bound_config_selectorIiiEEZNS1_14transform_implILb0ES3_S5_N6thrust23THRUST_200600_302600_NS6detail15normal_iteratorINS8_10device_ptrIiEEEESD_ZNS1_13binary_searchIS3_S5_SD_SD_SD_NS1_21lower_bound_search_opENS9_16wrapped_functionINS0_4lessIvEEbEEEE10hipError_tPvRmT1_T2_T3_mmT4_T5_P12ihipStream_tbEUlRKiE_EESK_SO_SP_mSQ_ST_bEUlT_E_NS1_11comp_targetILNS1_3genE5ELNS1_11target_archE942ELNS1_3gpuE9ELNS1_3repE0EEENS1_30default_config_static_selectorELNS0_4arch9wavefront6targetE1EEEvSN_.private_seg_size, 0
	.set _ZN7rocprim17ROCPRIM_400000_NS6detail17trampoline_kernelINS0_14default_configENS1_27lower_bound_config_selectorIiiEEZNS1_14transform_implILb0ES3_S5_N6thrust23THRUST_200600_302600_NS6detail15normal_iteratorINS8_10device_ptrIiEEEESD_ZNS1_13binary_searchIS3_S5_SD_SD_SD_NS1_21lower_bound_search_opENS9_16wrapped_functionINS0_4lessIvEEbEEEE10hipError_tPvRmT1_T2_T3_mmT4_T5_P12ihipStream_tbEUlRKiE_EESK_SO_SP_mSQ_ST_bEUlT_E_NS1_11comp_targetILNS1_3genE5ELNS1_11target_archE942ELNS1_3gpuE9ELNS1_3repE0EEENS1_30default_config_static_selectorELNS0_4arch9wavefront6targetE1EEEvSN_.uses_vcc, 0
	.set _ZN7rocprim17ROCPRIM_400000_NS6detail17trampoline_kernelINS0_14default_configENS1_27lower_bound_config_selectorIiiEEZNS1_14transform_implILb0ES3_S5_N6thrust23THRUST_200600_302600_NS6detail15normal_iteratorINS8_10device_ptrIiEEEESD_ZNS1_13binary_searchIS3_S5_SD_SD_SD_NS1_21lower_bound_search_opENS9_16wrapped_functionINS0_4lessIvEEbEEEE10hipError_tPvRmT1_T2_T3_mmT4_T5_P12ihipStream_tbEUlRKiE_EESK_SO_SP_mSQ_ST_bEUlT_E_NS1_11comp_targetILNS1_3genE5ELNS1_11target_archE942ELNS1_3gpuE9ELNS1_3repE0EEENS1_30default_config_static_selectorELNS0_4arch9wavefront6targetE1EEEvSN_.uses_flat_scratch, 0
	.set _ZN7rocprim17ROCPRIM_400000_NS6detail17trampoline_kernelINS0_14default_configENS1_27lower_bound_config_selectorIiiEEZNS1_14transform_implILb0ES3_S5_N6thrust23THRUST_200600_302600_NS6detail15normal_iteratorINS8_10device_ptrIiEEEESD_ZNS1_13binary_searchIS3_S5_SD_SD_SD_NS1_21lower_bound_search_opENS9_16wrapped_functionINS0_4lessIvEEbEEEE10hipError_tPvRmT1_T2_T3_mmT4_T5_P12ihipStream_tbEUlRKiE_EESK_SO_SP_mSQ_ST_bEUlT_E_NS1_11comp_targetILNS1_3genE5ELNS1_11target_archE942ELNS1_3gpuE9ELNS1_3repE0EEENS1_30default_config_static_selectorELNS0_4arch9wavefront6targetE1EEEvSN_.has_dyn_sized_stack, 0
	.set _ZN7rocprim17ROCPRIM_400000_NS6detail17trampoline_kernelINS0_14default_configENS1_27lower_bound_config_selectorIiiEEZNS1_14transform_implILb0ES3_S5_N6thrust23THRUST_200600_302600_NS6detail15normal_iteratorINS8_10device_ptrIiEEEESD_ZNS1_13binary_searchIS3_S5_SD_SD_SD_NS1_21lower_bound_search_opENS9_16wrapped_functionINS0_4lessIvEEbEEEE10hipError_tPvRmT1_T2_T3_mmT4_T5_P12ihipStream_tbEUlRKiE_EESK_SO_SP_mSQ_ST_bEUlT_E_NS1_11comp_targetILNS1_3genE5ELNS1_11target_archE942ELNS1_3gpuE9ELNS1_3repE0EEENS1_30default_config_static_selectorELNS0_4arch9wavefront6targetE1EEEvSN_.has_recursion, 0
	.set _ZN7rocprim17ROCPRIM_400000_NS6detail17trampoline_kernelINS0_14default_configENS1_27lower_bound_config_selectorIiiEEZNS1_14transform_implILb0ES3_S5_N6thrust23THRUST_200600_302600_NS6detail15normal_iteratorINS8_10device_ptrIiEEEESD_ZNS1_13binary_searchIS3_S5_SD_SD_SD_NS1_21lower_bound_search_opENS9_16wrapped_functionINS0_4lessIvEEbEEEE10hipError_tPvRmT1_T2_T3_mmT4_T5_P12ihipStream_tbEUlRKiE_EESK_SO_SP_mSQ_ST_bEUlT_E_NS1_11comp_targetILNS1_3genE5ELNS1_11target_archE942ELNS1_3gpuE9ELNS1_3repE0EEENS1_30default_config_static_selectorELNS0_4arch9wavefront6targetE1EEEvSN_.has_indirect_call, 0
	.section	.AMDGPU.csdata,"",@progbits
; Kernel info:
; codeLenInByte = 0
; TotalNumSgprs: 4
; NumVgprs: 0
; ScratchSize: 0
; MemoryBound: 0
; FloatMode: 240
; IeeeMode: 1
; LDSByteSize: 0 bytes/workgroup (compile time only)
; SGPRBlocks: 0
; VGPRBlocks: 0
; NumSGPRsForWavesPerEU: 4
; NumVGPRsForWavesPerEU: 1
; Occupancy: 10
; WaveLimiterHint : 0
; COMPUTE_PGM_RSRC2:SCRATCH_EN: 0
; COMPUTE_PGM_RSRC2:USER_SGPR: 6
; COMPUTE_PGM_RSRC2:TRAP_HANDLER: 0
; COMPUTE_PGM_RSRC2:TGID_X_EN: 1
; COMPUTE_PGM_RSRC2:TGID_Y_EN: 0
; COMPUTE_PGM_RSRC2:TGID_Z_EN: 0
; COMPUTE_PGM_RSRC2:TIDIG_COMP_CNT: 0
	.section	.text._ZN7rocprim17ROCPRIM_400000_NS6detail17trampoline_kernelINS0_14default_configENS1_27lower_bound_config_selectorIiiEEZNS1_14transform_implILb0ES3_S5_N6thrust23THRUST_200600_302600_NS6detail15normal_iteratorINS8_10device_ptrIiEEEESD_ZNS1_13binary_searchIS3_S5_SD_SD_SD_NS1_21lower_bound_search_opENS9_16wrapped_functionINS0_4lessIvEEbEEEE10hipError_tPvRmT1_T2_T3_mmT4_T5_P12ihipStream_tbEUlRKiE_EESK_SO_SP_mSQ_ST_bEUlT_E_NS1_11comp_targetILNS1_3genE4ELNS1_11target_archE910ELNS1_3gpuE8ELNS1_3repE0EEENS1_30default_config_static_selectorELNS0_4arch9wavefront6targetE1EEEvSN_,"axG",@progbits,_ZN7rocprim17ROCPRIM_400000_NS6detail17trampoline_kernelINS0_14default_configENS1_27lower_bound_config_selectorIiiEEZNS1_14transform_implILb0ES3_S5_N6thrust23THRUST_200600_302600_NS6detail15normal_iteratorINS8_10device_ptrIiEEEESD_ZNS1_13binary_searchIS3_S5_SD_SD_SD_NS1_21lower_bound_search_opENS9_16wrapped_functionINS0_4lessIvEEbEEEE10hipError_tPvRmT1_T2_T3_mmT4_T5_P12ihipStream_tbEUlRKiE_EESK_SO_SP_mSQ_ST_bEUlT_E_NS1_11comp_targetILNS1_3genE4ELNS1_11target_archE910ELNS1_3gpuE8ELNS1_3repE0EEENS1_30default_config_static_selectorELNS0_4arch9wavefront6targetE1EEEvSN_,comdat
	.protected	_ZN7rocprim17ROCPRIM_400000_NS6detail17trampoline_kernelINS0_14default_configENS1_27lower_bound_config_selectorIiiEEZNS1_14transform_implILb0ES3_S5_N6thrust23THRUST_200600_302600_NS6detail15normal_iteratorINS8_10device_ptrIiEEEESD_ZNS1_13binary_searchIS3_S5_SD_SD_SD_NS1_21lower_bound_search_opENS9_16wrapped_functionINS0_4lessIvEEbEEEE10hipError_tPvRmT1_T2_T3_mmT4_T5_P12ihipStream_tbEUlRKiE_EESK_SO_SP_mSQ_ST_bEUlT_E_NS1_11comp_targetILNS1_3genE4ELNS1_11target_archE910ELNS1_3gpuE8ELNS1_3repE0EEENS1_30default_config_static_selectorELNS0_4arch9wavefront6targetE1EEEvSN_ ; -- Begin function _ZN7rocprim17ROCPRIM_400000_NS6detail17trampoline_kernelINS0_14default_configENS1_27lower_bound_config_selectorIiiEEZNS1_14transform_implILb0ES3_S5_N6thrust23THRUST_200600_302600_NS6detail15normal_iteratorINS8_10device_ptrIiEEEESD_ZNS1_13binary_searchIS3_S5_SD_SD_SD_NS1_21lower_bound_search_opENS9_16wrapped_functionINS0_4lessIvEEbEEEE10hipError_tPvRmT1_T2_T3_mmT4_T5_P12ihipStream_tbEUlRKiE_EESK_SO_SP_mSQ_ST_bEUlT_E_NS1_11comp_targetILNS1_3genE4ELNS1_11target_archE910ELNS1_3gpuE8ELNS1_3repE0EEENS1_30default_config_static_selectorELNS0_4arch9wavefront6targetE1EEEvSN_
	.globl	_ZN7rocprim17ROCPRIM_400000_NS6detail17trampoline_kernelINS0_14default_configENS1_27lower_bound_config_selectorIiiEEZNS1_14transform_implILb0ES3_S5_N6thrust23THRUST_200600_302600_NS6detail15normal_iteratorINS8_10device_ptrIiEEEESD_ZNS1_13binary_searchIS3_S5_SD_SD_SD_NS1_21lower_bound_search_opENS9_16wrapped_functionINS0_4lessIvEEbEEEE10hipError_tPvRmT1_T2_T3_mmT4_T5_P12ihipStream_tbEUlRKiE_EESK_SO_SP_mSQ_ST_bEUlT_E_NS1_11comp_targetILNS1_3genE4ELNS1_11target_archE910ELNS1_3gpuE8ELNS1_3repE0EEENS1_30default_config_static_selectorELNS0_4arch9wavefront6targetE1EEEvSN_
	.p2align	8
	.type	_ZN7rocprim17ROCPRIM_400000_NS6detail17trampoline_kernelINS0_14default_configENS1_27lower_bound_config_selectorIiiEEZNS1_14transform_implILb0ES3_S5_N6thrust23THRUST_200600_302600_NS6detail15normal_iteratorINS8_10device_ptrIiEEEESD_ZNS1_13binary_searchIS3_S5_SD_SD_SD_NS1_21lower_bound_search_opENS9_16wrapped_functionINS0_4lessIvEEbEEEE10hipError_tPvRmT1_T2_T3_mmT4_T5_P12ihipStream_tbEUlRKiE_EESK_SO_SP_mSQ_ST_bEUlT_E_NS1_11comp_targetILNS1_3genE4ELNS1_11target_archE910ELNS1_3gpuE8ELNS1_3repE0EEENS1_30default_config_static_selectorELNS0_4arch9wavefront6targetE1EEEvSN_,@function
_ZN7rocprim17ROCPRIM_400000_NS6detail17trampoline_kernelINS0_14default_configENS1_27lower_bound_config_selectorIiiEEZNS1_14transform_implILb0ES3_S5_N6thrust23THRUST_200600_302600_NS6detail15normal_iteratorINS8_10device_ptrIiEEEESD_ZNS1_13binary_searchIS3_S5_SD_SD_SD_NS1_21lower_bound_search_opENS9_16wrapped_functionINS0_4lessIvEEbEEEE10hipError_tPvRmT1_T2_T3_mmT4_T5_P12ihipStream_tbEUlRKiE_EESK_SO_SP_mSQ_ST_bEUlT_E_NS1_11comp_targetILNS1_3genE4ELNS1_11target_archE910ELNS1_3gpuE8ELNS1_3repE0EEENS1_30default_config_static_selectorELNS0_4arch9wavefront6targetE1EEEvSN_: ; @_ZN7rocprim17ROCPRIM_400000_NS6detail17trampoline_kernelINS0_14default_configENS1_27lower_bound_config_selectorIiiEEZNS1_14transform_implILb0ES3_S5_N6thrust23THRUST_200600_302600_NS6detail15normal_iteratorINS8_10device_ptrIiEEEESD_ZNS1_13binary_searchIS3_S5_SD_SD_SD_NS1_21lower_bound_search_opENS9_16wrapped_functionINS0_4lessIvEEbEEEE10hipError_tPvRmT1_T2_T3_mmT4_T5_P12ihipStream_tbEUlRKiE_EESK_SO_SP_mSQ_ST_bEUlT_E_NS1_11comp_targetILNS1_3genE4ELNS1_11target_archE910ELNS1_3gpuE8ELNS1_3repE0EEENS1_30default_config_static_selectorELNS0_4arch9wavefront6targetE1EEEvSN_
; %bb.0:
	.section	.rodata,"a",@progbits
	.p2align	6, 0x0
	.amdhsa_kernel _ZN7rocprim17ROCPRIM_400000_NS6detail17trampoline_kernelINS0_14default_configENS1_27lower_bound_config_selectorIiiEEZNS1_14transform_implILb0ES3_S5_N6thrust23THRUST_200600_302600_NS6detail15normal_iteratorINS8_10device_ptrIiEEEESD_ZNS1_13binary_searchIS3_S5_SD_SD_SD_NS1_21lower_bound_search_opENS9_16wrapped_functionINS0_4lessIvEEbEEEE10hipError_tPvRmT1_T2_T3_mmT4_T5_P12ihipStream_tbEUlRKiE_EESK_SO_SP_mSQ_ST_bEUlT_E_NS1_11comp_targetILNS1_3genE4ELNS1_11target_archE910ELNS1_3gpuE8ELNS1_3repE0EEENS1_30default_config_static_selectorELNS0_4arch9wavefront6targetE1EEEvSN_
		.amdhsa_group_segment_fixed_size 0
		.amdhsa_private_segment_fixed_size 0
		.amdhsa_kernarg_size 56
		.amdhsa_user_sgpr_count 6
		.amdhsa_user_sgpr_private_segment_buffer 1
		.amdhsa_user_sgpr_dispatch_ptr 0
		.amdhsa_user_sgpr_queue_ptr 0
		.amdhsa_user_sgpr_kernarg_segment_ptr 1
		.amdhsa_user_sgpr_dispatch_id 0
		.amdhsa_user_sgpr_flat_scratch_init 0
		.amdhsa_user_sgpr_private_segment_size 0
		.amdhsa_uses_dynamic_stack 0
		.amdhsa_system_sgpr_private_segment_wavefront_offset 0
		.amdhsa_system_sgpr_workgroup_id_x 1
		.amdhsa_system_sgpr_workgroup_id_y 0
		.amdhsa_system_sgpr_workgroup_id_z 0
		.amdhsa_system_sgpr_workgroup_info 0
		.amdhsa_system_vgpr_workitem_id 0
		.amdhsa_next_free_vgpr 1
		.amdhsa_next_free_sgpr 0
		.amdhsa_reserve_vcc 0
		.amdhsa_reserve_flat_scratch 0
		.amdhsa_float_round_mode_32 0
		.amdhsa_float_round_mode_16_64 0
		.amdhsa_float_denorm_mode_32 3
		.amdhsa_float_denorm_mode_16_64 3
		.amdhsa_dx10_clamp 1
		.amdhsa_ieee_mode 1
		.amdhsa_fp16_overflow 0
		.amdhsa_exception_fp_ieee_invalid_op 0
		.amdhsa_exception_fp_denorm_src 0
		.amdhsa_exception_fp_ieee_div_zero 0
		.amdhsa_exception_fp_ieee_overflow 0
		.amdhsa_exception_fp_ieee_underflow 0
		.amdhsa_exception_fp_ieee_inexact 0
		.amdhsa_exception_int_div_zero 0
	.end_amdhsa_kernel
	.section	.text._ZN7rocprim17ROCPRIM_400000_NS6detail17trampoline_kernelINS0_14default_configENS1_27lower_bound_config_selectorIiiEEZNS1_14transform_implILb0ES3_S5_N6thrust23THRUST_200600_302600_NS6detail15normal_iteratorINS8_10device_ptrIiEEEESD_ZNS1_13binary_searchIS3_S5_SD_SD_SD_NS1_21lower_bound_search_opENS9_16wrapped_functionINS0_4lessIvEEbEEEE10hipError_tPvRmT1_T2_T3_mmT4_T5_P12ihipStream_tbEUlRKiE_EESK_SO_SP_mSQ_ST_bEUlT_E_NS1_11comp_targetILNS1_3genE4ELNS1_11target_archE910ELNS1_3gpuE8ELNS1_3repE0EEENS1_30default_config_static_selectorELNS0_4arch9wavefront6targetE1EEEvSN_,"axG",@progbits,_ZN7rocprim17ROCPRIM_400000_NS6detail17trampoline_kernelINS0_14default_configENS1_27lower_bound_config_selectorIiiEEZNS1_14transform_implILb0ES3_S5_N6thrust23THRUST_200600_302600_NS6detail15normal_iteratorINS8_10device_ptrIiEEEESD_ZNS1_13binary_searchIS3_S5_SD_SD_SD_NS1_21lower_bound_search_opENS9_16wrapped_functionINS0_4lessIvEEbEEEE10hipError_tPvRmT1_T2_T3_mmT4_T5_P12ihipStream_tbEUlRKiE_EESK_SO_SP_mSQ_ST_bEUlT_E_NS1_11comp_targetILNS1_3genE4ELNS1_11target_archE910ELNS1_3gpuE8ELNS1_3repE0EEENS1_30default_config_static_selectorELNS0_4arch9wavefront6targetE1EEEvSN_,comdat
.Lfunc_end443:
	.size	_ZN7rocprim17ROCPRIM_400000_NS6detail17trampoline_kernelINS0_14default_configENS1_27lower_bound_config_selectorIiiEEZNS1_14transform_implILb0ES3_S5_N6thrust23THRUST_200600_302600_NS6detail15normal_iteratorINS8_10device_ptrIiEEEESD_ZNS1_13binary_searchIS3_S5_SD_SD_SD_NS1_21lower_bound_search_opENS9_16wrapped_functionINS0_4lessIvEEbEEEE10hipError_tPvRmT1_T2_T3_mmT4_T5_P12ihipStream_tbEUlRKiE_EESK_SO_SP_mSQ_ST_bEUlT_E_NS1_11comp_targetILNS1_3genE4ELNS1_11target_archE910ELNS1_3gpuE8ELNS1_3repE0EEENS1_30default_config_static_selectorELNS0_4arch9wavefront6targetE1EEEvSN_, .Lfunc_end443-_ZN7rocprim17ROCPRIM_400000_NS6detail17trampoline_kernelINS0_14default_configENS1_27lower_bound_config_selectorIiiEEZNS1_14transform_implILb0ES3_S5_N6thrust23THRUST_200600_302600_NS6detail15normal_iteratorINS8_10device_ptrIiEEEESD_ZNS1_13binary_searchIS3_S5_SD_SD_SD_NS1_21lower_bound_search_opENS9_16wrapped_functionINS0_4lessIvEEbEEEE10hipError_tPvRmT1_T2_T3_mmT4_T5_P12ihipStream_tbEUlRKiE_EESK_SO_SP_mSQ_ST_bEUlT_E_NS1_11comp_targetILNS1_3genE4ELNS1_11target_archE910ELNS1_3gpuE8ELNS1_3repE0EEENS1_30default_config_static_selectorELNS0_4arch9wavefront6targetE1EEEvSN_
                                        ; -- End function
	.set _ZN7rocprim17ROCPRIM_400000_NS6detail17trampoline_kernelINS0_14default_configENS1_27lower_bound_config_selectorIiiEEZNS1_14transform_implILb0ES3_S5_N6thrust23THRUST_200600_302600_NS6detail15normal_iteratorINS8_10device_ptrIiEEEESD_ZNS1_13binary_searchIS3_S5_SD_SD_SD_NS1_21lower_bound_search_opENS9_16wrapped_functionINS0_4lessIvEEbEEEE10hipError_tPvRmT1_T2_T3_mmT4_T5_P12ihipStream_tbEUlRKiE_EESK_SO_SP_mSQ_ST_bEUlT_E_NS1_11comp_targetILNS1_3genE4ELNS1_11target_archE910ELNS1_3gpuE8ELNS1_3repE0EEENS1_30default_config_static_selectorELNS0_4arch9wavefront6targetE1EEEvSN_.num_vgpr, 0
	.set _ZN7rocprim17ROCPRIM_400000_NS6detail17trampoline_kernelINS0_14default_configENS1_27lower_bound_config_selectorIiiEEZNS1_14transform_implILb0ES3_S5_N6thrust23THRUST_200600_302600_NS6detail15normal_iteratorINS8_10device_ptrIiEEEESD_ZNS1_13binary_searchIS3_S5_SD_SD_SD_NS1_21lower_bound_search_opENS9_16wrapped_functionINS0_4lessIvEEbEEEE10hipError_tPvRmT1_T2_T3_mmT4_T5_P12ihipStream_tbEUlRKiE_EESK_SO_SP_mSQ_ST_bEUlT_E_NS1_11comp_targetILNS1_3genE4ELNS1_11target_archE910ELNS1_3gpuE8ELNS1_3repE0EEENS1_30default_config_static_selectorELNS0_4arch9wavefront6targetE1EEEvSN_.num_agpr, 0
	.set _ZN7rocprim17ROCPRIM_400000_NS6detail17trampoline_kernelINS0_14default_configENS1_27lower_bound_config_selectorIiiEEZNS1_14transform_implILb0ES3_S5_N6thrust23THRUST_200600_302600_NS6detail15normal_iteratorINS8_10device_ptrIiEEEESD_ZNS1_13binary_searchIS3_S5_SD_SD_SD_NS1_21lower_bound_search_opENS9_16wrapped_functionINS0_4lessIvEEbEEEE10hipError_tPvRmT1_T2_T3_mmT4_T5_P12ihipStream_tbEUlRKiE_EESK_SO_SP_mSQ_ST_bEUlT_E_NS1_11comp_targetILNS1_3genE4ELNS1_11target_archE910ELNS1_3gpuE8ELNS1_3repE0EEENS1_30default_config_static_selectorELNS0_4arch9wavefront6targetE1EEEvSN_.numbered_sgpr, 0
	.set _ZN7rocprim17ROCPRIM_400000_NS6detail17trampoline_kernelINS0_14default_configENS1_27lower_bound_config_selectorIiiEEZNS1_14transform_implILb0ES3_S5_N6thrust23THRUST_200600_302600_NS6detail15normal_iteratorINS8_10device_ptrIiEEEESD_ZNS1_13binary_searchIS3_S5_SD_SD_SD_NS1_21lower_bound_search_opENS9_16wrapped_functionINS0_4lessIvEEbEEEE10hipError_tPvRmT1_T2_T3_mmT4_T5_P12ihipStream_tbEUlRKiE_EESK_SO_SP_mSQ_ST_bEUlT_E_NS1_11comp_targetILNS1_3genE4ELNS1_11target_archE910ELNS1_3gpuE8ELNS1_3repE0EEENS1_30default_config_static_selectorELNS0_4arch9wavefront6targetE1EEEvSN_.num_named_barrier, 0
	.set _ZN7rocprim17ROCPRIM_400000_NS6detail17trampoline_kernelINS0_14default_configENS1_27lower_bound_config_selectorIiiEEZNS1_14transform_implILb0ES3_S5_N6thrust23THRUST_200600_302600_NS6detail15normal_iteratorINS8_10device_ptrIiEEEESD_ZNS1_13binary_searchIS3_S5_SD_SD_SD_NS1_21lower_bound_search_opENS9_16wrapped_functionINS0_4lessIvEEbEEEE10hipError_tPvRmT1_T2_T3_mmT4_T5_P12ihipStream_tbEUlRKiE_EESK_SO_SP_mSQ_ST_bEUlT_E_NS1_11comp_targetILNS1_3genE4ELNS1_11target_archE910ELNS1_3gpuE8ELNS1_3repE0EEENS1_30default_config_static_selectorELNS0_4arch9wavefront6targetE1EEEvSN_.private_seg_size, 0
	.set _ZN7rocprim17ROCPRIM_400000_NS6detail17trampoline_kernelINS0_14default_configENS1_27lower_bound_config_selectorIiiEEZNS1_14transform_implILb0ES3_S5_N6thrust23THRUST_200600_302600_NS6detail15normal_iteratorINS8_10device_ptrIiEEEESD_ZNS1_13binary_searchIS3_S5_SD_SD_SD_NS1_21lower_bound_search_opENS9_16wrapped_functionINS0_4lessIvEEbEEEE10hipError_tPvRmT1_T2_T3_mmT4_T5_P12ihipStream_tbEUlRKiE_EESK_SO_SP_mSQ_ST_bEUlT_E_NS1_11comp_targetILNS1_3genE4ELNS1_11target_archE910ELNS1_3gpuE8ELNS1_3repE0EEENS1_30default_config_static_selectorELNS0_4arch9wavefront6targetE1EEEvSN_.uses_vcc, 0
	.set _ZN7rocprim17ROCPRIM_400000_NS6detail17trampoline_kernelINS0_14default_configENS1_27lower_bound_config_selectorIiiEEZNS1_14transform_implILb0ES3_S5_N6thrust23THRUST_200600_302600_NS6detail15normal_iteratorINS8_10device_ptrIiEEEESD_ZNS1_13binary_searchIS3_S5_SD_SD_SD_NS1_21lower_bound_search_opENS9_16wrapped_functionINS0_4lessIvEEbEEEE10hipError_tPvRmT1_T2_T3_mmT4_T5_P12ihipStream_tbEUlRKiE_EESK_SO_SP_mSQ_ST_bEUlT_E_NS1_11comp_targetILNS1_3genE4ELNS1_11target_archE910ELNS1_3gpuE8ELNS1_3repE0EEENS1_30default_config_static_selectorELNS0_4arch9wavefront6targetE1EEEvSN_.uses_flat_scratch, 0
	.set _ZN7rocprim17ROCPRIM_400000_NS6detail17trampoline_kernelINS0_14default_configENS1_27lower_bound_config_selectorIiiEEZNS1_14transform_implILb0ES3_S5_N6thrust23THRUST_200600_302600_NS6detail15normal_iteratorINS8_10device_ptrIiEEEESD_ZNS1_13binary_searchIS3_S5_SD_SD_SD_NS1_21lower_bound_search_opENS9_16wrapped_functionINS0_4lessIvEEbEEEE10hipError_tPvRmT1_T2_T3_mmT4_T5_P12ihipStream_tbEUlRKiE_EESK_SO_SP_mSQ_ST_bEUlT_E_NS1_11comp_targetILNS1_3genE4ELNS1_11target_archE910ELNS1_3gpuE8ELNS1_3repE0EEENS1_30default_config_static_selectorELNS0_4arch9wavefront6targetE1EEEvSN_.has_dyn_sized_stack, 0
	.set _ZN7rocprim17ROCPRIM_400000_NS6detail17trampoline_kernelINS0_14default_configENS1_27lower_bound_config_selectorIiiEEZNS1_14transform_implILb0ES3_S5_N6thrust23THRUST_200600_302600_NS6detail15normal_iteratorINS8_10device_ptrIiEEEESD_ZNS1_13binary_searchIS3_S5_SD_SD_SD_NS1_21lower_bound_search_opENS9_16wrapped_functionINS0_4lessIvEEbEEEE10hipError_tPvRmT1_T2_T3_mmT4_T5_P12ihipStream_tbEUlRKiE_EESK_SO_SP_mSQ_ST_bEUlT_E_NS1_11comp_targetILNS1_3genE4ELNS1_11target_archE910ELNS1_3gpuE8ELNS1_3repE0EEENS1_30default_config_static_selectorELNS0_4arch9wavefront6targetE1EEEvSN_.has_recursion, 0
	.set _ZN7rocprim17ROCPRIM_400000_NS6detail17trampoline_kernelINS0_14default_configENS1_27lower_bound_config_selectorIiiEEZNS1_14transform_implILb0ES3_S5_N6thrust23THRUST_200600_302600_NS6detail15normal_iteratorINS8_10device_ptrIiEEEESD_ZNS1_13binary_searchIS3_S5_SD_SD_SD_NS1_21lower_bound_search_opENS9_16wrapped_functionINS0_4lessIvEEbEEEE10hipError_tPvRmT1_T2_T3_mmT4_T5_P12ihipStream_tbEUlRKiE_EESK_SO_SP_mSQ_ST_bEUlT_E_NS1_11comp_targetILNS1_3genE4ELNS1_11target_archE910ELNS1_3gpuE8ELNS1_3repE0EEENS1_30default_config_static_selectorELNS0_4arch9wavefront6targetE1EEEvSN_.has_indirect_call, 0
	.section	.AMDGPU.csdata,"",@progbits
; Kernel info:
; codeLenInByte = 0
; TotalNumSgprs: 4
; NumVgprs: 0
; ScratchSize: 0
; MemoryBound: 0
; FloatMode: 240
; IeeeMode: 1
; LDSByteSize: 0 bytes/workgroup (compile time only)
; SGPRBlocks: 0
; VGPRBlocks: 0
; NumSGPRsForWavesPerEU: 4
; NumVGPRsForWavesPerEU: 1
; Occupancy: 10
; WaveLimiterHint : 0
; COMPUTE_PGM_RSRC2:SCRATCH_EN: 0
; COMPUTE_PGM_RSRC2:USER_SGPR: 6
; COMPUTE_PGM_RSRC2:TRAP_HANDLER: 0
; COMPUTE_PGM_RSRC2:TGID_X_EN: 1
; COMPUTE_PGM_RSRC2:TGID_Y_EN: 0
; COMPUTE_PGM_RSRC2:TGID_Z_EN: 0
; COMPUTE_PGM_RSRC2:TIDIG_COMP_CNT: 0
	.section	.text._ZN7rocprim17ROCPRIM_400000_NS6detail17trampoline_kernelINS0_14default_configENS1_27lower_bound_config_selectorIiiEEZNS1_14transform_implILb0ES3_S5_N6thrust23THRUST_200600_302600_NS6detail15normal_iteratorINS8_10device_ptrIiEEEESD_ZNS1_13binary_searchIS3_S5_SD_SD_SD_NS1_21lower_bound_search_opENS9_16wrapped_functionINS0_4lessIvEEbEEEE10hipError_tPvRmT1_T2_T3_mmT4_T5_P12ihipStream_tbEUlRKiE_EESK_SO_SP_mSQ_ST_bEUlT_E_NS1_11comp_targetILNS1_3genE3ELNS1_11target_archE908ELNS1_3gpuE7ELNS1_3repE0EEENS1_30default_config_static_selectorELNS0_4arch9wavefront6targetE1EEEvSN_,"axG",@progbits,_ZN7rocprim17ROCPRIM_400000_NS6detail17trampoline_kernelINS0_14default_configENS1_27lower_bound_config_selectorIiiEEZNS1_14transform_implILb0ES3_S5_N6thrust23THRUST_200600_302600_NS6detail15normal_iteratorINS8_10device_ptrIiEEEESD_ZNS1_13binary_searchIS3_S5_SD_SD_SD_NS1_21lower_bound_search_opENS9_16wrapped_functionINS0_4lessIvEEbEEEE10hipError_tPvRmT1_T2_T3_mmT4_T5_P12ihipStream_tbEUlRKiE_EESK_SO_SP_mSQ_ST_bEUlT_E_NS1_11comp_targetILNS1_3genE3ELNS1_11target_archE908ELNS1_3gpuE7ELNS1_3repE0EEENS1_30default_config_static_selectorELNS0_4arch9wavefront6targetE1EEEvSN_,comdat
	.protected	_ZN7rocprim17ROCPRIM_400000_NS6detail17trampoline_kernelINS0_14default_configENS1_27lower_bound_config_selectorIiiEEZNS1_14transform_implILb0ES3_S5_N6thrust23THRUST_200600_302600_NS6detail15normal_iteratorINS8_10device_ptrIiEEEESD_ZNS1_13binary_searchIS3_S5_SD_SD_SD_NS1_21lower_bound_search_opENS9_16wrapped_functionINS0_4lessIvEEbEEEE10hipError_tPvRmT1_T2_T3_mmT4_T5_P12ihipStream_tbEUlRKiE_EESK_SO_SP_mSQ_ST_bEUlT_E_NS1_11comp_targetILNS1_3genE3ELNS1_11target_archE908ELNS1_3gpuE7ELNS1_3repE0EEENS1_30default_config_static_selectorELNS0_4arch9wavefront6targetE1EEEvSN_ ; -- Begin function _ZN7rocprim17ROCPRIM_400000_NS6detail17trampoline_kernelINS0_14default_configENS1_27lower_bound_config_selectorIiiEEZNS1_14transform_implILb0ES3_S5_N6thrust23THRUST_200600_302600_NS6detail15normal_iteratorINS8_10device_ptrIiEEEESD_ZNS1_13binary_searchIS3_S5_SD_SD_SD_NS1_21lower_bound_search_opENS9_16wrapped_functionINS0_4lessIvEEbEEEE10hipError_tPvRmT1_T2_T3_mmT4_T5_P12ihipStream_tbEUlRKiE_EESK_SO_SP_mSQ_ST_bEUlT_E_NS1_11comp_targetILNS1_3genE3ELNS1_11target_archE908ELNS1_3gpuE7ELNS1_3repE0EEENS1_30default_config_static_selectorELNS0_4arch9wavefront6targetE1EEEvSN_
	.globl	_ZN7rocprim17ROCPRIM_400000_NS6detail17trampoline_kernelINS0_14default_configENS1_27lower_bound_config_selectorIiiEEZNS1_14transform_implILb0ES3_S5_N6thrust23THRUST_200600_302600_NS6detail15normal_iteratorINS8_10device_ptrIiEEEESD_ZNS1_13binary_searchIS3_S5_SD_SD_SD_NS1_21lower_bound_search_opENS9_16wrapped_functionINS0_4lessIvEEbEEEE10hipError_tPvRmT1_T2_T3_mmT4_T5_P12ihipStream_tbEUlRKiE_EESK_SO_SP_mSQ_ST_bEUlT_E_NS1_11comp_targetILNS1_3genE3ELNS1_11target_archE908ELNS1_3gpuE7ELNS1_3repE0EEENS1_30default_config_static_selectorELNS0_4arch9wavefront6targetE1EEEvSN_
	.p2align	8
	.type	_ZN7rocprim17ROCPRIM_400000_NS6detail17trampoline_kernelINS0_14default_configENS1_27lower_bound_config_selectorIiiEEZNS1_14transform_implILb0ES3_S5_N6thrust23THRUST_200600_302600_NS6detail15normal_iteratorINS8_10device_ptrIiEEEESD_ZNS1_13binary_searchIS3_S5_SD_SD_SD_NS1_21lower_bound_search_opENS9_16wrapped_functionINS0_4lessIvEEbEEEE10hipError_tPvRmT1_T2_T3_mmT4_T5_P12ihipStream_tbEUlRKiE_EESK_SO_SP_mSQ_ST_bEUlT_E_NS1_11comp_targetILNS1_3genE3ELNS1_11target_archE908ELNS1_3gpuE7ELNS1_3repE0EEENS1_30default_config_static_selectorELNS0_4arch9wavefront6targetE1EEEvSN_,@function
_ZN7rocprim17ROCPRIM_400000_NS6detail17trampoline_kernelINS0_14default_configENS1_27lower_bound_config_selectorIiiEEZNS1_14transform_implILb0ES3_S5_N6thrust23THRUST_200600_302600_NS6detail15normal_iteratorINS8_10device_ptrIiEEEESD_ZNS1_13binary_searchIS3_S5_SD_SD_SD_NS1_21lower_bound_search_opENS9_16wrapped_functionINS0_4lessIvEEbEEEE10hipError_tPvRmT1_T2_T3_mmT4_T5_P12ihipStream_tbEUlRKiE_EESK_SO_SP_mSQ_ST_bEUlT_E_NS1_11comp_targetILNS1_3genE3ELNS1_11target_archE908ELNS1_3gpuE7ELNS1_3repE0EEENS1_30default_config_static_selectorELNS0_4arch9wavefront6targetE1EEEvSN_: ; @_ZN7rocprim17ROCPRIM_400000_NS6detail17trampoline_kernelINS0_14default_configENS1_27lower_bound_config_selectorIiiEEZNS1_14transform_implILb0ES3_S5_N6thrust23THRUST_200600_302600_NS6detail15normal_iteratorINS8_10device_ptrIiEEEESD_ZNS1_13binary_searchIS3_S5_SD_SD_SD_NS1_21lower_bound_search_opENS9_16wrapped_functionINS0_4lessIvEEbEEEE10hipError_tPvRmT1_T2_T3_mmT4_T5_P12ihipStream_tbEUlRKiE_EESK_SO_SP_mSQ_ST_bEUlT_E_NS1_11comp_targetILNS1_3genE3ELNS1_11target_archE908ELNS1_3gpuE7ELNS1_3repE0EEENS1_30default_config_static_selectorELNS0_4arch9wavefront6targetE1EEEvSN_
; %bb.0:
	.section	.rodata,"a",@progbits
	.p2align	6, 0x0
	.amdhsa_kernel _ZN7rocprim17ROCPRIM_400000_NS6detail17trampoline_kernelINS0_14default_configENS1_27lower_bound_config_selectorIiiEEZNS1_14transform_implILb0ES3_S5_N6thrust23THRUST_200600_302600_NS6detail15normal_iteratorINS8_10device_ptrIiEEEESD_ZNS1_13binary_searchIS3_S5_SD_SD_SD_NS1_21lower_bound_search_opENS9_16wrapped_functionINS0_4lessIvEEbEEEE10hipError_tPvRmT1_T2_T3_mmT4_T5_P12ihipStream_tbEUlRKiE_EESK_SO_SP_mSQ_ST_bEUlT_E_NS1_11comp_targetILNS1_3genE3ELNS1_11target_archE908ELNS1_3gpuE7ELNS1_3repE0EEENS1_30default_config_static_selectorELNS0_4arch9wavefront6targetE1EEEvSN_
		.amdhsa_group_segment_fixed_size 0
		.amdhsa_private_segment_fixed_size 0
		.amdhsa_kernarg_size 56
		.amdhsa_user_sgpr_count 6
		.amdhsa_user_sgpr_private_segment_buffer 1
		.amdhsa_user_sgpr_dispatch_ptr 0
		.amdhsa_user_sgpr_queue_ptr 0
		.amdhsa_user_sgpr_kernarg_segment_ptr 1
		.amdhsa_user_sgpr_dispatch_id 0
		.amdhsa_user_sgpr_flat_scratch_init 0
		.amdhsa_user_sgpr_private_segment_size 0
		.amdhsa_uses_dynamic_stack 0
		.amdhsa_system_sgpr_private_segment_wavefront_offset 0
		.amdhsa_system_sgpr_workgroup_id_x 1
		.amdhsa_system_sgpr_workgroup_id_y 0
		.amdhsa_system_sgpr_workgroup_id_z 0
		.amdhsa_system_sgpr_workgroup_info 0
		.amdhsa_system_vgpr_workitem_id 0
		.amdhsa_next_free_vgpr 1
		.amdhsa_next_free_sgpr 0
		.amdhsa_reserve_vcc 0
		.amdhsa_reserve_flat_scratch 0
		.amdhsa_float_round_mode_32 0
		.amdhsa_float_round_mode_16_64 0
		.amdhsa_float_denorm_mode_32 3
		.amdhsa_float_denorm_mode_16_64 3
		.amdhsa_dx10_clamp 1
		.amdhsa_ieee_mode 1
		.amdhsa_fp16_overflow 0
		.amdhsa_exception_fp_ieee_invalid_op 0
		.amdhsa_exception_fp_denorm_src 0
		.amdhsa_exception_fp_ieee_div_zero 0
		.amdhsa_exception_fp_ieee_overflow 0
		.amdhsa_exception_fp_ieee_underflow 0
		.amdhsa_exception_fp_ieee_inexact 0
		.amdhsa_exception_int_div_zero 0
	.end_amdhsa_kernel
	.section	.text._ZN7rocprim17ROCPRIM_400000_NS6detail17trampoline_kernelINS0_14default_configENS1_27lower_bound_config_selectorIiiEEZNS1_14transform_implILb0ES3_S5_N6thrust23THRUST_200600_302600_NS6detail15normal_iteratorINS8_10device_ptrIiEEEESD_ZNS1_13binary_searchIS3_S5_SD_SD_SD_NS1_21lower_bound_search_opENS9_16wrapped_functionINS0_4lessIvEEbEEEE10hipError_tPvRmT1_T2_T3_mmT4_T5_P12ihipStream_tbEUlRKiE_EESK_SO_SP_mSQ_ST_bEUlT_E_NS1_11comp_targetILNS1_3genE3ELNS1_11target_archE908ELNS1_3gpuE7ELNS1_3repE0EEENS1_30default_config_static_selectorELNS0_4arch9wavefront6targetE1EEEvSN_,"axG",@progbits,_ZN7rocprim17ROCPRIM_400000_NS6detail17trampoline_kernelINS0_14default_configENS1_27lower_bound_config_selectorIiiEEZNS1_14transform_implILb0ES3_S5_N6thrust23THRUST_200600_302600_NS6detail15normal_iteratorINS8_10device_ptrIiEEEESD_ZNS1_13binary_searchIS3_S5_SD_SD_SD_NS1_21lower_bound_search_opENS9_16wrapped_functionINS0_4lessIvEEbEEEE10hipError_tPvRmT1_T2_T3_mmT4_T5_P12ihipStream_tbEUlRKiE_EESK_SO_SP_mSQ_ST_bEUlT_E_NS1_11comp_targetILNS1_3genE3ELNS1_11target_archE908ELNS1_3gpuE7ELNS1_3repE0EEENS1_30default_config_static_selectorELNS0_4arch9wavefront6targetE1EEEvSN_,comdat
.Lfunc_end444:
	.size	_ZN7rocprim17ROCPRIM_400000_NS6detail17trampoline_kernelINS0_14default_configENS1_27lower_bound_config_selectorIiiEEZNS1_14transform_implILb0ES3_S5_N6thrust23THRUST_200600_302600_NS6detail15normal_iteratorINS8_10device_ptrIiEEEESD_ZNS1_13binary_searchIS3_S5_SD_SD_SD_NS1_21lower_bound_search_opENS9_16wrapped_functionINS0_4lessIvEEbEEEE10hipError_tPvRmT1_T2_T3_mmT4_T5_P12ihipStream_tbEUlRKiE_EESK_SO_SP_mSQ_ST_bEUlT_E_NS1_11comp_targetILNS1_3genE3ELNS1_11target_archE908ELNS1_3gpuE7ELNS1_3repE0EEENS1_30default_config_static_selectorELNS0_4arch9wavefront6targetE1EEEvSN_, .Lfunc_end444-_ZN7rocprim17ROCPRIM_400000_NS6detail17trampoline_kernelINS0_14default_configENS1_27lower_bound_config_selectorIiiEEZNS1_14transform_implILb0ES3_S5_N6thrust23THRUST_200600_302600_NS6detail15normal_iteratorINS8_10device_ptrIiEEEESD_ZNS1_13binary_searchIS3_S5_SD_SD_SD_NS1_21lower_bound_search_opENS9_16wrapped_functionINS0_4lessIvEEbEEEE10hipError_tPvRmT1_T2_T3_mmT4_T5_P12ihipStream_tbEUlRKiE_EESK_SO_SP_mSQ_ST_bEUlT_E_NS1_11comp_targetILNS1_3genE3ELNS1_11target_archE908ELNS1_3gpuE7ELNS1_3repE0EEENS1_30default_config_static_selectorELNS0_4arch9wavefront6targetE1EEEvSN_
                                        ; -- End function
	.set _ZN7rocprim17ROCPRIM_400000_NS6detail17trampoline_kernelINS0_14default_configENS1_27lower_bound_config_selectorIiiEEZNS1_14transform_implILb0ES3_S5_N6thrust23THRUST_200600_302600_NS6detail15normal_iteratorINS8_10device_ptrIiEEEESD_ZNS1_13binary_searchIS3_S5_SD_SD_SD_NS1_21lower_bound_search_opENS9_16wrapped_functionINS0_4lessIvEEbEEEE10hipError_tPvRmT1_T2_T3_mmT4_T5_P12ihipStream_tbEUlRKiE_EESK_SO_SP_mSQ_ST_bEUlT_E_NS1_11comp_targetILNS1_3genE3ELNS1_11target_archE908ELNS1_3gpuE7ELNS1_3repE0EEENS1_30default_config_static_selectorELNS0_4arch9wavefront6targetE1EEEvSN_.num_vgpr, 0
	.set _ZN7rocprim17ROCPRIM_400000_NS6detail17trampoline_kernelINS0_14default_configENS1_27lower_bound_config_selectorIiiEEZNS1_14transform_implILb0ES3_S5_N6thrust23THRUST_200600_302600_NS6detail15normal_iteratorINS8_10device_ptrIiEEEESD_ZNS1_13binary_searchIS3_S5_SD_SD_SD_NS1_21lower_bound_search_opENS9_16wrapped_functionINS0_4lessIvEEbEEEE10hipError_tPvRmT1_T2_T3_mmT4_T5_P12ihipStream_tbEUlRKiE_EESK_SO_SP_mSQ_ST_bEUlT_E_NS1_11comp_targetILNS1_3genE3ELNS1_11target_archE908ELNS1_3gpuE7ELNS1_3repE0EEENS1_30default_config_static_selectorELNS0_4arch9wavefront6targetE1EEEvSN_.num_agpr, 0
	.set _ZN7rocprim17ROCPRIM_400000_NS6detail17trampoline_kernelINS0_14default_configENS1_27lower_bound_config_selectorIiiEEZNS1_14transform_implILb0ES3_S5_N6thrust23THRUST_200600_302600_NS6detail15normal_iteratorINS8_10device_ptrIiEEEESD_ZNS1_13binary_searchIS3_S5_SD_SD_SD_NS1_21lower_bound_search_opENS9_16wrapped_functionINS0_4lessIvEEbEEEE10hipError_tPvRmT1_T2_T3_mmT4_T5_P12ihipStream_tbEUlRKiE_EESK_SO_SP_mSQ_ST_bEUlT_E_NS1_11comp_targetILNS1_3genE3ELNS1_11target_archE908ELNS1_3gpuE7ELNS1_3repE0EEENS1_30default_config_static_selectorELNS0_4arch9wavefront6targetE1EEEvSN_.numbered_sgpr, 0
	.set _ZN7rocprim17ROCPRIM_400000_NS6detail17trampoline_kernelINS0_14default_configENS1_27lower_bound_config_selectorIiiEEZNS1_14transform_implILb0ES3_S5_N6thrust23THRUST_200600_302600_NS6detail15normal_iteratorINS8_10device_ptrIiEEEESD_ZNS1_13binary_searchIS3_S5_SD_SD_SD_NS1_21lower_bound_search_opENS9_16wrapped_functionINS0_4lessIvEEbEEEE10hipError_tPvRmT1_T2_T3_mmT4_T5_P12ihipStream_tbEUlRKiE_EESK_SO_SP_mSQ_ST_bEUlT_E_NS1_11comp_targetILNS1_3genE3ELNS1_11target_archE908ELNS1_3gpuE7ELNS1_3repE0EEENS1_30default_config_static_selectorELNS0_4arch9wavefront6targetE1EEEvSN_.num_named_barrier, 0
	.set _ZN7rocprim17ROCPRIM_400000_NS6detail17trampoline_kernelINS0_14default_configENS1_27lower_bound_config_selectorIiiEEZNS1_14transform_implILb0ES3_S5_N6thrust23THRUST_200600_302600_NS6detail15normal_iteratorINS8_10device_ptrIiEEEESD_ZNS1_13binary_searchIS3_S5_SD_SD_SD_NS1_21lower_bound_search_opENS9_16wrapped_functionINS0_4lessIvEEbEEEE10hipError_tPvRmT1_T2_T3_mmT4_T5_P12ihipStream_tbEUlRKiE_EESK_SO_SP_mSQ_ST_bEUlT_E_NS1_11comp_targetILNS1_3genE3ELNS1_11target_archE908ELNS1_3gpuE7ELNS1_3repE0EEENS1_30default_config_static_selectorELNS0_4arch9wavefront6targetE1EEEvSN_.private_seg_size, 0
	.set _ZN7rocprim17ROCPRIM_400000_NS6detail17trampoline_kernelINS0_14default_configENS1_27lower_bound_config_selectorIiiEEZNS1_14transform_implILb0ES3_S5_N6thrust23THRUST_200600_302600_NS6detail15normal_iteratorINS8_10device_ptrIiEEEESD_ZNS1_13binary_searchIS3_S5_SD_SD_SD_NS1_21lower_bound_search_opENS9_16wrapped_functionINS0_4lessIvEEbEEEE10hipError_tPvRmT1_T2_T3_mmT4_T5_P12ihipStream_tbEUlRKiE_EESK_SO_SP_mSQ_ST_bEUlT_E_NS1_11comp_targetILNS1_3genE3ELNS1_11target_archE908ELNS1_3gpuE7ELNS1_3repE0EEENS1_30default_config_static_selectorELNS0_4arch9wavefront6targetE1EEEvSN_.uses_vcc, 0
	.set _ZN7rocprim17ROCPRIM_400000_NS6detail17trampoline_kernelINS0_14default_configENS1_27lower_bound_config_selectorIiiEEZNS1_14transform_implILb0ES3_S5_N6thrust23THRUST_200600_302600_NS6detail15normal_iteratorINS8_10device_ptrIiEEEESD_ZNS1_13binary_searchIS3_S5_SD_SD_SD_NS1_21lower_bound_search_opENS9_16wrapped_functionINS0_4lessIvEEbEEEE10hipError_tPvRmT1_T2_T3_mmT4_T5_P12ihipStream_tbEUlRKiE_EESK_SO_SP_mSQ_ST_bEUlT_E_NS1_11comp_targetILNS1_3genE3ELNS1_11target_archE908ELNS1_3gpuE7ELNS1_3repE0EEENS1_30default_config_static_selectorELNS0_4arch9wavefront6targetE1EEEvSN_.uses_flat_scratch, 0
	.set _ZN7rocprim17ROCPRIM_400000_NS6detail17trampoline_kernelINS0_14default_configENS1_27lower_bound_config_selectorIiiEEZNS1_14transform_implILb0ES3_S5_N6thrust23THRUST_200600_302600_NS6detail15normal_iteratorINS8_10device_ptrIiEEEESD_ZNS1_13binary_searchIS3_S5_SD_SD_SD_NS1_21lower_bound_search_opENS9_16wrapped_functionINS0_4lessIvEEbEEEE10hipError_tPvRmT1_T2_T3_mmT4_T5_P12ihipStream_tbEUlRKiE_EESK_SO_SP_mSQ_ST_bEUlT_E_NS1_11comp_targetILNS1_3genE3ELNS1_11target_archE908ELNS1_3gpuE7ELNS1_3repE0EEENS1_30default_config_static_selectorELNS0_4arch9wavefront6targetE1EEEvSN_.has_dyn_sized_stack, 0
	.set _ZN7rocprim17ROCPRIM_400000_NS6detail17trampoline_kernelINS0_14default_configENS1_27lower_bound_config_selectorIiiEEZNS1_14transform_implILb0ES3_S5_N6thrust23THRUST_200600_302600_NS6detail15normal_iteratorINS8_10device_ptrIiEEEESD_ZNS1_13binary_searchIS3_S5_SD_SD_SD_NS1_21lower_bound_search_opENS9_16wrapped_functionINS0_4lessIvEEbEEEE10hipError_tPvRmT1_T2_T3_mmT4_T5_P12ihipStream_tbEUlRKiE_EESK_SO_SP_mSQ_ST_bEUlT_E_NS1_11comp_targetILNS1_3genE3ELNS1_11target_archE908ELNS1_3gpuE7ELNS1_3repE0EEENS1_30default_config_static_selectorELNS0_4arch9wavefront6targetE1EEEvSN_.has_recursion, 0
	.set _ZN7rocprim17ROCPRIM_400000_NS6detail17trampoline_kernelINS0_14default_configENS1_27lower_bound_config_selectorIiiEEZNS1_14transform_implILb0ES3_S5_N6thrust23THRUST_200600_302600_NS6detail15normal_iteratorINS8_10device_ptrIiEEEESD_ZNS1_13binary_searchIS3_S5_SD_SD_SD_NS1_21lower_bound_search_opENS9_16wrapped_functionINS0_4lessIvEEbEEEE10hipError_tPvRmT1_T2_T3_mmT4_T5_P12ihipStream_tbEUlRKiE_EESK_SO_SP_mSQ_ST_bEUlT_E_NS1_11comp_targetILNS1_3genE3ELNS1_11target_archE908ELNS1_3gpuE7ELNS1_3repE0EEENS1_30default_config_static_selectorELNS0_4arch9wavefront6targetE1EEEvSN_.has_indirect_call, 0
	.section	.AMDGPU.csdata,"",@progbits
; Kernel info:
; codeLenInByte = 0
; TotalNumSgprs: 4
; NumVgprs: 0
; ScratchSize: 0
; MemoryBound: 0
; FloatMode: 240
; IeeeMode: 1
; LDSByteSize: 0 bytes/workgroup (compile time only)
; SGPRBlocks: 0
; VGPRBlocks: 0
; NumSGPRsForWavesPerEU: 4
; NumVGPRsForWavesPerEU: 1
; Occupancy: 10
; WaveLimiterHint : 0
; COMPUTE_PGM_RSRC2:SCRATCH_EN: 0
; COMPUTE_PGM_RSRC2:USER_SGPR: 6
; COMPUTE_PGM_RSRC2:TRAP_HANDLER: 0
; COMPUTE_PGM_RSRC2:TGID_X_EN: 1
; COMPUTE_PGM_RSRC2:TGID_Y_EN: 0
; COMPUTE_PGM_RSRC2:TGID_Z_EN: 0
; COMPUTE_PGM_RSRC2:TIDIG_COMP_CNT: 0
	.section	.text._ZN7rocprim17ROCPRIM_400000_NS6detail17trampoline_kernelINS0_14default_configENS1_27lower_bound_config_selectorIiiEEZNS1_14transform_implILb0ES3_S5_N6thrust23THRUST_200600_302600_NS6detail15normal_iteratorINS8_10device_ptrIiEEEESD_ZNS1_13binary_searchIS3_S5_SD_SD_SD_NS1_21lower_bound_search_opENS9_16wrapped_functionINS0_4lessIvEEbEEEE10hipError_tPvRmT1_T2_T3_mmT4_T5_P12ihipStream_tbEUlRKiE_EESK_SO_SP_mSQ_ST_bEUlT_E_NS1_11comp_targetILNS1_3genE2ELNS1_11target_archE906ELNS1_3gpuE6ELNS1_3repE0EEENS1_30default_config_static_selectorELNS0_4arch9wavefront6targetE1EEEvSN_,"axG",@progbits,_ZN7rocprim17ROCPRIM_400000_NS6detail17trampoline_kernelINS0_14default_configENS1_27lower_bound_config_selectorIiiEEZNS1_14transform_implILb0ES3_S5_N6thrust23THRUST_200600_302600_NS6detail15normal_iteratorINS8_10device_ptrIiEEEESD_ZNS1_13binary_searchIS3_S5_SD_SD_SD_NS1_21lower_bound_search_opENS9_16wrapped_functionINS0_4lessIvEEbEEEE10hipError_tPvRmT1_T2_T3_mmT4_T5_P12ihipStream_tbEUlRKiE_EESK_SO_SP_mSQ_ST_bEUlT_E_NS1_11comp_targetILNS1_3genE2ELNS1_11target_archE906ELNS1_3gpuE6ELNS1_3repE0EEENS1_30default_config_static_selectorELNS0_4arch9wavefront6targetE1EEEvSN_,comdat
	.protected	_ZN7rocprim17ROCPRIM_400000_NS6detail17trampoline_kernelINS0_14default_configENS1_27lower_bound_config_selectorIiiEEZNS1_14transform_implILb0ES3_S5_N6thrust23THRUST_200600_302600_NS6detail15normal_iteratorINS8_10device_ptrIiEEEESD_ZNS1_13binary_searchIS3_S5_SD_SD_SD_NS1_21lower_bound_search_opENS9_16wrapped_functionINS0_4lessIvEEbEEEE10hipError_tPvRmT1_T2_T3_mmT4_T5_P12ihipStream_tbEUlRKiE_EESK_SO_SP_mSQ_ST_bEUlT_E_NS1_11comp_targetILNS1_3genE2ELNS1_11target_archE906ELNS1_3gpuE6ELNS1_3repE0EEENS1_30default_config_static_selectorELNS0_4arch9wavefront6targetE1EEEvSN_ ; -- Begin function _ZN7rocprim17ROCPRIM_400000_NS6detail17trampoline_kernelINS0_14default_configENS1_27lower_bound_config_selectorIiiEEZNS1_14transform_implILb0ES3_S5_N6thrust23THRUST_200600_302600_NS6detail15normal_iteratorINS8_10device_ptrIiEEEESD_ZNS1_13binary_searchIS3_S5_SD_SD_SD_NS1_21lower_bound_search_opENS9_16wrapped_functionINS0_4lessIvEEbEEEE10hipError_tPvRmT1_T2_T3_mmT4_T5_P12ihipStream_tbEUlRKiE_EESK_SO_SP_mSQ_ST_bEUlT_E_NS1_11comp_targetILNS1_3genE2ELNS1_11target_archE906ELNS1_3gpuE6ELNS1_3repE0EEENS1_30default_config_static_selectorELNS0_4arch9wavefront6targetE1EEEvSN_
	.globl	_ZN7rocprim17ROCPRIM_400000_NS6detail17trampoline_kernelINS0_14default_configENS1_27lower_bound_config_selectorIiiEEZNS1_14transform_implILb0ES3_S5_N6thrust23THRUST_200600_302600_NS6detail15normal_iteratorINS8_10device_ptrIiEEEESD_ZNS1_13binary_searchIS3_S5_SD_SD_SD_NS1_21lower_bound_search_opENS9_16wrapped_functionINS0_4lessIvEEbEEEE10hipError_tPvRmT1_T2_T3_mmT4_T5_P12ihipStream_tbEUlRKiE_EESK_SO_SP_mSQ_ST_bEUlT_E_NS1_11comp_targetILNS1_3genE2ELNS1_11target_archE906ELNS1_3gpuE6ELNS1_3repE0EEENS1_30default_config_static_selectorELNS0_4arch9wavefront6targetE1EEEvSN_
	.p2align	8
	.type	_ZN7rocprim17ROCPRIM_400000_NS6detail17trampoline_kernelINS0_14default_configENS1_27lower_bound_config_selectorIiiEEZNS1_14transform_implILb0ES3_S5_N6thrust23THRUST_200600_302600_NS6detail15normal_iteratorINS8_10device_ptrIiEEEESD_ZNS1_13binary_searchIS3_S5_SD_SD_SD_NS1_21lower_bound_search_opENS9_16wrapped_functionINS0_4lessIvEEbEEEE10hipError_tPvRmT1_T2_T3_mmT4_T5_P12ihipStream_tbEUlRKiE_EESK_SO_SP_mSQ_ST_bEUlT_E_NS1_11comp_targetILNS1_3genE2ELNS1_11target_archE906ELNS1_3gpuE6ELNS1_3repE0EEENS1_30default_config_static_selectorELNS0_4arch9wavefront6targetE1EEEvSN_,@function
_ZN7rocprim17ROCPRIM_400000_NS6detail17trampoline_kernelINS0_14default_configENS1_27lower_bound_config_selectorIiiEEZNS1_14transform_implILb0ES3_S5_N6thrust23THRUST_200600_302600_NS6detail15normal_iteratorINS8_10device_ptrIiEEEESD_ZNS1_13binary_searchIS3_S5_SD_SD_SD_NS1_21lower_bound_search_opENS9_16wrapped_functionINS0_4lessIvEEbEEEE10hipError_tPvRmT1_T2_T3_mmT4_T5_P12ihipStream_tbEUlRKiE_EESK_SO_SP_mSQ_ST_bEUlT_E_NS1_11comp_targetILNS1_3genE2ELNS1_11target_archE906ELNS1_3gpuE6ELNS1_3repE0EEENS1_30default_config_static_selectorELNS0_4arch9wavefront6targetE1EEEvSN_: ; @_ZN7rocprim17ROCPRIM_400000_NS6detail17trampoline_kernelINS0_14default_configENS1_27lower_bound_config_selectorIiiEEZNS1_14transform_implILb0ES3_S5_N6thrust23THRUST_200600_302600_NS6detail15normal_iteratorINS8_10device_ptrIiEEEESD_ZNS1_13binary_searchIS3_S5_SD_SD_SD_NS1_21lower_bound_search_opENS9_16wrapped_functionINS0_4lessIvEEbEEEE10hipError_tPvRmT1_T2_T3_mmT4_T5_P12ihipStream_tbEUlRKiE_EESK_SO_SP_mSQ_ST_bEUlT_E_NS1_11comp_targetILNS1_3genE2ELNS1_11target_archE906ELNS1_3gpuE6ELNS1_3repE0EEENS1_30default_config_static_selectorELNS0_4arch9wavefront6targetE1EEEvSN_
; %bb.0:
	s_load_dwordx4 s[16:19], s[4:5], 0x0
	s_load_dwordx4 s[0:3], s[4:5], 0x18
	s_load_dwordx2 s[12:13], s[4:5], 0x28
	s_load_dword s7, s[4:5], 0x38
	s_mov_b32 s11, 0
	s_waitcnt lgkmcnt(0)
	s_lshl_b64 s[8:9], s[18:19], 2
	s_add_u32 s16, s16, s8
	s_addc_u32 s17, s17, s9
	s_lshl_b32 s10, s6, 8
	s_add_i32 s7, s7, -1
	s_cmp_lg_u32 s6, s7
	s_cbranch_scc0 .LBB445_6
; %bb.1:
	v_mov_b32_e32 v1, 0
	s_mov_b64 s[14:15], 0
	s_cmp_eq_u64 s[12:13], 0
	v_mov_b32_e32 v2, v1
	s_cbranch_scc1 .LBB445_5
; %bb.2:
	s_lshl_b64 s[6:7], s[10:11], 2
	s_add_u32 s6, s16, s6
	s_addc_u32 s7, s17, s7
	v_lshlrev_b32_e32 v2, 2, v0
	v_mov_b32_e32 v3, s7
	v_add_co_u32_e32 v2, vcc, s6, v2
	v_addc_co_u32_e32 v3, vcc, 0, v3, vcc
	flat_load_dword v6, v[2:3]
	v_mov_b32_e32 v2, 0
	v_mov_b32_e32 v4, s12
	s_mov_b64 s[6:7], 0
	v_mov_b32_e32 v3, 0
	v_mov_b32_e32 v5, s13
	;; [unrolled: 1-line block ×3, first 2 shown]
.LBB445_3:                              ; =>This Inner Loop Header: Depth=1
	v_sub_co_u32_e32 v8, vcc, v4, v2
	v_subb_co_u32_e32 v9, vcc, v5, v3, vcc
	v_lshrrev_b64 v[10:11], 1, v[8:9]
	v_lshrrev_b64 v[8:9], 6, v[8:9]
	v_add_co_u32_e32 v10, vcc, v10, v2
	v_addc_co_u32_e32 v11, vcc, v11, v3, vcc
	v_add_co_u32_e32 v8, vcc, v10, v8
	v_addc_co_u32_e32 v9, vcc, v11, v9, vcc
	v_lshlrev_b64 v[10:11], 2, v[8:9]
	v_add_co_u32_e32 v10, vcc, s2, v10
	v_addc_co_u32_e32 v11, vcc, v7, v11, vcc
	global_load_dword v10, v[10:11], off
	v_add_co_u32_e32 v11, vcc, 1, v8
	v_addc_co_u32_e32 v12, vcc, 0, v9, vcc
	s_waitcnt vmcnt(0) lgkmcnt(0)
	v_cmp_lt_i32_e32 vcc, v10, v6
	v_cndmask_b32_e32 v5, v9, v5, vcc
	v_cndmask_b32_e32 v4, v8, v4, vcc
	;; [unrolled: 1-line block ×4, first 2 shown]
	v_cmp_ge_u64_e32 vcc, v[2:3], v[4:5]
	s_or_b64 s[6:7], vcc, s[6:7]
	s_andn2_b64 exec, exec, s[6:7]
	s_cbranch_execnz .LBB445_3
; %bb.4:
	s_or_b64 exec, exec, s[6:7]
.LBB445_5:
	s_mov_b64 s[6:7], -1
	s_andn2_b64 vcc, exec, s[14:15]
	s_cbranch_vccz .LBB445_7
	s_branch .LBB445_14
.LBB445_6:
	s_mov_b64 s[6:7], 0
                                        ; implicit-def: $vgpr2
.LBB445_7:
	s_load_dword s4, s[4:5], 0x10
                                        ; implicit-def: $vgpr2
	s_waitcnt lgkmcnt(0)
	s_sub_i32 s4, s4, s10
	v_cmp_gt_u32_e32 vcc, s4, v0
	s_and_saveexec_b64 s[4:5], vcc
	s_cbranch_execz .LBB445_13
; %bb.8:
	v_mov_b32_e32 v1, 0
	s_mov_b64 s[14:15], 0
	s_cmp_eq_u64 s[12:13], 0
	v_mov_b32_e32 v2, v1
	s_cbranch_scc1 .LBB445_12
; %bb.9:
	s_lshl_b64 s[18:19], s[10:11], 2
	s_add_u32 s16, s16, s18
	s_addc_u32 s17, s17, s19
	v_lshlrev_b32_e32 v2, 2, v0
	v_mov_b32_e32 v3, s17
	v_add_co_u32_e32 v2, vcc, s16, v2
	v_addc_co_u32_e32 v3, vcc, 0, v3, vcc
	flat_load_dword v6, v[2:3]
	v_mov_b32_e32 v2, 0
	v_mov_b32_e32 v4, s12
	;; [unrolled: 1-line block ×5, first 2 shown]
.LBB445_10:                             ; =>This Inner Loop Header: Depth=1
	v_sub_co_u32_e32 v8, vcc, v4, v2
	v_subb_co_u32_e32 v9, vcc, v5, v3, vcc
	v_lshrrev_b64 v[10:11], 1, v[8:9]
	v_lshrrev_b64 v[8:9], 6, v[8:9]
	v_add_co_u32_e32 v10, vcc, v10, v2
	v_addc_co_u32_e32 v11, vcc, v11, v3, vcc
	v_add_co_u32_e32 v8, vcc, v10, v8
	v_addc_co_u32_e32 v9, vcc, v11, v9, vcc
	v_lshlrev_b64 v[10:11], 2, v[8:9]
	v_add_co_u32_e32 v10, vcc, s2, v10
	v_addc_co_u32_e32 v11, vcc, v7, v11, vcc
	global_load_dword v10, v[10:11], off
	v_add_co_u32_e32 v11, vcc, 1, v8
	v_addc_co_u32_e32 v12, vcc, 0, v9, vcc
	s_waitcnt vmcnt(0) lgkmcnt(0)
	v_cmp_lt_i32_e32 vcc, v10, v6
	v_cndmask_b32_e32 v5, v9, v5, vcc
	v_cndmask_b32_e32 v4, v8, v4, vcc
	;; [unrolled: 1-line block ×4, first 2 shown]
	v_cmp_ge_u64_e32 vcc, v[2:3], v[4:5]
	s_or_b64 s[14:15], vcc, s[14:15]
	s_andn2_b64 exec, exec, s[14:15]
	s_cbranch_execnz .LBB445_10
; %bb.11:
	s_or_b64 exec, exec, s[14:15]
.LBB445_12:
	s_or_b64 s[6:7], s[6:7], exec
.LBB445_13:
	s_or_b64 exec, exec, s[4:5]
.LBB445_14:
	s_and_saveexec_b64 s[2:3], s[6:7]
	s_cbranch_execnz .LBB445_16
; %bb.15:
	s_endpgm
.LBB445_16:
	s_add_u32 s2, s0, s8
	s_addc_u32 s3, s1, s9
	s_lshl_b64 s[0:1], s[10:11], 2
	s_add_u32 s0, s2, s0
	v_lshlrev_b64 v[0:1], 2, v[0:1]
	s_addc_u32 s1, s3, s1
	v_mov_b32_e32 v3, s1
	v_add_co_u32_e32 v0, vcc, s0, v0
	v_addc_co_u32_e32 v1, vcc, v3, v1, vcc
	flat_store_dword v[0:1], v2
	s_endpgm
	.section	.rodata,"a",@progbits
	.p2align	6, 0x0
	.amdhsa_kernel _ZN7rocprim17ROCPRIM_400000_NS6detail17trampoline_kernelINS0_14default_configENS1_27lower_bound_config_selectorIiiEEZNS1_14transform_implILb0ES3_S5_N6thrust23THRUST_200600_302600_NS6detail15normal_iteratorINS8_10device_ptrIiEEEESD_ZNS1_13binary_searchIS3_S5_SD_SD_SD_NS1_21lower_bound_search_opENS9_16wrapped_functionINS0_4lessIvEEbEEEE10hipError_tPvRmT1_T2_T3_mmT4_T5_P12ihipStream_tbEUlRKiE_EESK_SO_SP_mSQ_ST_bEUlT_E_NS1_11comp_targetILNS1_3genE2ELNS1_11target_archE906ELNS1_3gpuE6ELNS1_3repE0EEENS1_30default_config_static_selectorELNS0_4arch9wavefront6targetE1EEEvSN_
		.amdhsa_group_segment_fixed_size 0
		.amdhsa_private_segment_fixed_size 0
		.amdhsa_kernarg_size 312
		.amdhsa_user_sgpr_count 6
		.amdhsa_user_sgpr_private_segment_buffer 1
		.amdhsa_user_sgpr_dispatch_ptr 0
		.amdhsa_user_sgpr_queue_ptr 0
		.amdhsa_user_sgpr_kernarg_segment_ptr 1
		.amdhsa_user_sgpr_dispatch_id 0
		.amdhsa_user_sgpr_flat_scratch_init 0
		.amdhsa_user_sgpr_private_segment_size 0
		.amdhsa_uses_dynamic_stack 0
		.amdhsa_system_sgpr_private_segment_wavefront_offset 0
		.amdhsa_system_sgpr_workgroup_id_x 1
		.amdhsa_system_sgpr_workgroup_id_y 0
		.amdhsa_system_sgpr_workgroup_id_z 0
		.amdhsa_system_sgpr_workgroup_info 0
		.amdhsa_system_vgpr_workitem_id 0
		.amdhsa_next_free_vgpr 13
		.amdhsa_next_free_sgpr 20
		.amdhsa_reserve_vcc 1
		.amdhsa_reserve_flat_scratch 0
		.amdhsa_float_round_mode_32 0
		.amdhsa_float_round_mode_16_64 0
		.amdhsa_float_denorm_mode_32 3
		.amdhsa_float_denorm_mode_16_64 3
		.amdhsa_dx10_clamp 1
		.amdhsa_ieee_mode 1
		.amdhsa_fp16_overflow 0
		.amdhsa_exception_fp_ieee_invalid_op 0
		.amdhsa_exception_fp_denorm_src 0
		.amdhsa_exception_fp_ieee_div_zero 0
		.amdhsa_exception_fp_ieee_overflow 0
		.amdhsa_exception_fp_ieee_underflow 0
		.amdhsa_exception_fp_ieee_inexact 0
		.amdhsa_exception_int_div_zero 0
	.end_amdhsa_kernel
	.section	.text._ZN7rocprim17ROCPRIM_400000_NS6detail17trampoline_kernelINS0_14default_configENS1_27lower_bound_config_selectorIiiEEZNS1_14transform_implILb0ES3_S5_N6thrust23THRUST_200600_302600_NS6detail15normal_iteratorINS8_10device_ptrIiEEEESD_ZNS1_13binary_searchIS3_S5_SD_SD_SD_NS1_21lower_bound_search_opENS9_16wrapped_functionINS0_4lessIvEEbEEEE10hipError_tPvRmT1_T2_T3_mmT4_T5_P12ihipStream_tbEUlRKiE_EESK_SO_SP_mSQ_ST_bEUlT_E_NS1_11comp_targetILNS1_3genE2ELNS1_11target_archE906ELNS1_3gpuE6ELNS1_3repE0EEENS1_30default_config_static_selectorELNS0_4arch9wavefront6targetE1EEEvSN_,"axG",@progbits,_ZN7rocprim17ROCPRIM_400000_NS6detail17trampoline_kernelINS0_14default_configENS1_27lower_bound_config_selectorIiiEEZNS1_14transform_implILb0ES3_S5_N6thrust23THRUST_200600_302600_NS6detail15normal_iteratorINS8_10device_ptrIiEEEESD_ZNS1_13binary_searchIS3_S5_SD_SD_SD_NS1_21lower_bound_search_opENS9_16wrapped_functionINS0_4lessIvEEbEEEE10hipError_tPvRmT1_T2_T3_mmT4_T5_P12ihipStream_tbEUlRKiE_EESK_SO_SP_mSQ_ST_bEUlT_E_NS1_11comp_targetILNS1_3genE2ELNS1_11target_archE906ELNS1_3gpuE6ELNS1_3repE0EEENS1_30default_config_static_selectorELNS0_4arch9wavefront6targetE1EEEvSN_,comdat
.Lfunc_end445:
	.size	_ZN7rocprim17ROCPRIM_400000_NS6detail17trampoline_kernelINS0_14default_configENS1_27lower_bound_config_selectorIiiEEZNS1_14transform_implILb0ES3_S5_N6thrust23THRUST_200600_302600_NS6detail15normal_iteratorINS8_10device_ptrIiEEEESD_ZNS1_13binary_searchIS3_S5_SD_SD_SD_NS1_21lower_bound_search_opENS9_16wrapped_functionINS0_4lessIvEEbEEEE10hipError_tPvRmT1_T2_T3_mmT4_T5_P12ihipStream_tbEUlRKiE_EESK_SO_SP_mSQ_ST_bEUlT_E_NS1_11comp_targetILNS1_3genE2ELNS1_11target_archE906ELNS1_3gpuE6ELNS1_3repE0EEENS1_30default_config_static_selectorELNS0_4arch9wavefront6targetE1EEEvSN_, .Lfunc_end445-_ZN7rocprim17ROCPRIM_400000_NS6detail17trampoline_kernelINS0_14default_configENS1_27lower_bound_config_selectorIiiEEZNS1_14transform_implILb0ES3_S5_N6thrust23THRUST_200600_302600_NS6detail15normal_iteratorINS8_10device_ptrIiEEEESD_ZNS1_13binary_searchIS3_S5_SD_SD_SD_NS1_21lower_bound_search_opENS9_16wrapped_functionINS0_4lessIvEEbEEEE10hipError_tPvRmT1_T2_T3_mmT4_T5_P12ihipStream_tbEUlRKiE_EESK_SO_SP_mSQ_ST_bEUlT_E_NS1_11comp_targetILNS1_3genE2ELNS1_11target_archE906ELNS1_3gpuE6ELNS1_3repE0EEENS1_30default_config_static_selectorELNS0_4arch9wavefront6targetE1EEEvSN_
                                        ; -- End function
	.set _ZN7rocprim17ROCPRIM_400000_NS6detail17trampoline_kernelINS0_14default_configENS1_27lower_bound_config_selectorIiiEEZNS1_14transform_implILb0ES3_S5_N6thrust23THRUST_200600_302600_NS6detail15normal_iteratorINS8_10device_ptrIiEEEESD_ZNS1_13binary_searchIS3_S5_SD_SD_SD_NS1_21lower_bound_search_opENS9_16wrapped_functionINS0_4lessIvEEbEEEE10hipError_tPvRmT1_T2_T3_mmT4_T5_P12ihipStream_tbEUlRKiE_EESK_SO_SP_mSQ_ST_bEUlT_E_NS1_11comp_targetILNS1_3genE2ELNS1_11target_archE906ELNS1_3gpuE6ELNS1_3repE0EEENS1_30default_config_static_selectorELNS0_4arch9wavefront6targetE1EEEvSN_.num_vgpr, 13
	.set _ZN7rocprim17ROCPRIM_400000_NS6detail17trampoline_kernelINS0_14default_configENS1_27lower_bound_config_selectorIiiEEZNS1_14transform_implILb0ES3_S5_N6thrust23THRUST_200600_302600_NS6detail15normal_iteratorINS8_10device_ptrIiEEEESD_ZNS1_13binary_searchIS3_S5_SD_SD_SD_NS1_21lower_bound_search_opENS9_16wrapped_functionINS0_4lessIvEEbEEEE10hipError_tPvRmT1_T2_T3_mmT4_T5_P12ihipStream_tbEUlRKiE_EESK_SO_SP_mSQ_ST_bEUlT_E_NS1_11comp_targetILNS1_3genE2ELNS1_11target_archE906ELNS1_3gpuE6ELNS1_3repE0EEENS1_30default_config_static_selectorELNS0_4arch9wavefront6targetE1EEEvSN_.num_agpr, 0
	.set _ZN7rocprim17ROCPRIM_400000_NS6detail17trampoline_kernelINS0_14default_configENS1_27lower_bound_config_selectorIiiEEZNS1_14transform_implILb0ES3_S5_N6thrust23THRUST_200600_302600_NS6detail15normal_iteratorINS8_10device_ptrIiEEEESD_ZNS1_13binary_searchIS3_S5_SD_SD_SD_NS1_21lower_bound_search_opENS9_16wrapped_functionINS0_4lessIvEEbEEEE10hipError_tPvRmT1_T2_T3_mmT4_T5_P12ihipStream_tbEUlRKiE_EESK_SO_SP_mSQ_ST_bEUlT_E_NS1_11comp_targetILNS1_3genE2ELNS1_11target_archE906ELNS1_3gpuE6ELNS1_3repE0EEENS1_30default_config_static_selectorELNS0_4arch9wavefront6targetE1EEEvSN_.numbered_sgpr, 20
	.set _ZN7rocprim17ROCPRIM_400000_NS6detail17trampoline_kernelINS0_14default_configENS1_27lower_bound_config_selectorIiiEEZNS1_14transform_implILb0ES3_S5_N6thrust23THRUST_200600_302600_NS6detail15normal_iteratorINS8_10device_ptrIiEEEESD_ZNS1_13binary_searchIS3_S5_SD_SD_SD_NS1_21lower_bound_search_opENS9_16wrapped_functionINS0_4lessIvEEbEEEE10hipError_tPvRmT1_T2_T3_mmT4_T5_P12ihipStream_tbEUlRKiE_EESK_SO_SP_mSQ_ST_bEUlT_E_NS1_11comp_targetILNS1_3genE2ELNS1_11target_archE906ELNS1_3gpuE6ELNS1_3repE0EEENS1_30default_config_static_selectorELNS0_4arch9wavefront6targetE1EEEvSN_.num_named_barrier, 0
	.set _ZN7rocprim17ROCPRIM_400000_NS6detail17trampoline_kernelINS0_14default_configENS1_27lower_bound_config_selectorIiiEEZNS1_14transform_implILb0ES3_S5_N6thrust23THRUST_200600_302600_NS6detail15normal_iteratorINS8_10device_ptrIiEEEESD_ZNS1_13binary_searchIS3_S5_SD_SD_SD_NS1_21lower_bound_search_opENS9_16wrapped_functionINS0_4lessIvEEbEEEE10hipError_tPvRmT1_T2_T3_mmT4_T5_P12ihipStream_tbEUlRKiE_EESK_SO_SP_mSQ_ST_bEUlT_E_NS1_11comp_targetILNS1_3genE2ELNS1_11target_archE906ELNS1_3gpuE6ELNS1_3repE0EEENS1_30default_config_static_selectorELNS0_4arch9wavefront6targetE1EEEvSN_.private_seg_size, 0
	.set _ZN7rocprim17ROCPRIM_400000_NS6detail17trampoline_kernelINS0_14default_configENS1_27lower_bound_config_selectorIiiEEZNS1_14transform_implILb0ES3_S5_N6thrust23THRUST_200600_302600_NS6detail15normal_iteratorINS8_10device_ptrIiEEEESD_ZNS1_13binary_searchIS3_S5_SD_SD_SD_NS1_21lower_bound_search_opENS9_16wrapped_functionINS0_4lessIvEEbEEEE10hipError_tPvRmT1_T2_T3_mmT4_T5_P12ihipStream_tbEUlRKiE_EESK_SO_SP_mSQ_ST_bEUlT_E_NS1_11comp_targetILNS1_3genE2ELNS1_11target_archE906ELNS1_3gpuE6ELNS1_3repE0EEENS1_30default_config_static_selectorELNS0_4arch9wavefront6targetE1EEEvSN_.uses_vcc, 1
	.set _ZN7rocprim17ROCPRIM_400000_NS6detail17trampoline_kernelINS0_14default_configENS1_27lower_bound_config_selectorIiiEEZNS1_14transform_implILb0ES3_S5_N6thrust23THRUST_200600_302600_NS6detail15normal_iteratorINS8_10device_ptrIiEEEESD_ZNS1_13binary_searchIS3_S5_SD_SD_SD_NS1_21lower_bound_search_opENS9_16wrapped_functionINS0_4lessIvEEbEEEE10hipError_tPvRmT1_T2_T3_mmT4_T5_P12ihipStream_tbEUlRKiE_EESK_SO_SP_mSQ_ST_bEUlT_E_NS1_11comp_targetILNS1_3genE2ELNS1_11target_archE906ELNS1_3gpuE6ELNS1_3repE0EEENS1_30default_config_static_selectorELNS0_4arch9wavefront6targetE1EEEvSN_.uses_flat_scratch, 0
	.set _ZN7rocprim17ROCPRIM_400000_NS6detail17trampoline_kernelINS0_14default_configENS1_27lower_bound_config_selectorIiiEEZNS1_14transform_implILb0ES3_S5_N6thrust23THRUST_200600_302600_NS6detail15normal_iteratorINS8_10device_ptrIiEEEESD_ZNS1_13binary_searchIS3_S5_SD_SD_SD_NS1_21lower_bound_search_opENS9_16wrapped_functionINS0_4lessIvEEbEEEE10hipError_tPvRmT1_T2_T3_mmT4_T5_P12ihipStream_tbEUlRKiE_EESK_SO_SP_mSQ_ST_bEUlT_E_NS1_11comp_targetILNS1_3genE2ELNS1_11target_archE906ELNS1_3gpuE6ELNS1_3repE0EEENS1_30default_config_static_selectorELNS0_4arch9wavefront6targetE1EEEvSN_.has_dyn_sized_stack, 0
	.set _ZN7rocprim17ROCPRIM_400000_NS6detail17trampoline_kernelINS0_14default_configENS1_27lower_bound_config_selectorIiiEEZNS1_14transform_implILb0ES3_S5_N6thrust23THRUST_200600_302600_NS6detail15normal_iteratorINS8_10device_ptrIiEEEESD_ZNS1_13binary_searchIS3_S5_SD_SD_SD_NS1_21lower_bound_search_opENS9_16wrapped_functionINS0_4lessIvEEbEEEE10hipError_tPvRmT1_T2_T3_mmT4_T5_P12ihipStream_tbEUlRKiE_EESK_SO_SP_mSQ_ST_bEUlT_E_NS1_11comp_targetILNS1_3genE2ELNS1_11target_archE906ELNS1_3gpuE6ELNS1_3repE0EEENS1_30default_config_static_selectorELNS0_4arch9wavefront6targetE1EEEvSN_.has_recursion, 0
	.set _ZN7rocprim17ROCPRIM_400000_NS6detail17trampoline_kernelINS0_14default_configENS1_27lower_bound_config_selectorIiiEEZNS1_14transform_implILb0ES3_S5_N6thrust23THRUST_200600_302600_NS6detail15normal_iteratorINS8_10device_ptrIiEEEESD_ZNS1_13binary_searchIS3_S5_SD_SD_SD_NS1_21lower_bound_search_opENS9_16wrapped_functionINS0_4lessIvEEbEEEE10hipError_tPvRmT1_T2_T3_mmT4_T5_P12ihipStream_tbEUlRKiE_EESK_SO_SP_mSQ_ST_bEUlT_E_NS1_11comp_targetILNS1_3genE2ELNS1_11target_archE906ELNS1_3gpuE6ELNS1_3repE0EEENS1_30default_config_static_selectorELNS0_4arch9wavefront6targetE1EEEvSN_.has_indirect_call, 0
	.section	.AMDGPU.csdata,"",@progbits
; Kernel info:
; codeLenInByte = 576
; TotalNumSgprs: 24
; NumVgprs: 13
; ScratchSize: 0
; MemoryBound: 0
; FloatMode: 240
; IeeeMode: 1
; LDSByteSize: 0 bytes/workgroup (compile time only)
; SGPRBlocks: 2
; VGPRBlocks: 3
; NumSGPRsForWavesPerEU: 24
; NumVGPRsForWavesPerEU: 13
; Occupancy: 10
; WaveLimiterHint : 0
; COMPUTE_PGM_RSRC2:SCRATCH_EN: 0
; COMPUTE_PGM_RSRC2:USER_SGPR: 6
; COMPUTE_PGM_RSRC2:TRAP_HANDLER: 0
; COMPUTE_PGM_RSRC2:TGID_X_EN: 1
; COMPUTE_PGM_RSRC2:TGID_Y_EN: 0
; COMPUTE_PGM_RSRC2:TGID_Z_EN: 0
; COMPUTE_PGM_RSRC2:TIDIG_COMP_CNT: 0
	.section	.text._ZN7rocprim17ROCPRIM_400000_NS6detail17trampoline_kernelINS0_14default_configENS1_27lower_bound_config_selectorIiiEEZNS1_14transform_implILb0ES3_S5_N6thrust23THRUST_200600_302600_NS6detail15normal_iteratorINS8_10device_ptrIiEEEESD_ZNS1_13binary_searchIS3_S5_SD_SD_SD_NS1_21lower_bound_search_opENS9_16wrapped_functionINS0_4lessIvEEbEEEE10hipError_tPvRmT1_T2_T3_mmT4_T5_P12ihipStream_tbEUlRKiE_EESK_SO_SP_mSQ_ST_bEUlT_E_NS1_11comp_targetILNS1_3genE10ELNS1_11target_archE1201ELNS1_3gpuE5ELNS1_3repE0EEENS1_30default_config_static_selectorELNS0_4arch9wavefront6targetE1EEEvSN_,"axG",@progbits,_ZN7rocprim17ROCPRIM_400000_NS6detail17trampoline_kernelINS0_14default_configENS1_27lower_bound_config_selectorIiiEEZNS1_14transform_implILb0ES3_S5_N6thrust23THRUST_200600_302600_NS6detail15normal_iteratorINS8_10device_ptrIiEEEESD_ZNS1_13binary_searchIS3_S5_SD_SD_SD_NS1_21lower_bound_search_opENS9_16wrapped_functionINS0_4lessIvEEbEEEE10hipError_tPvRmT1_T2_T3_mmT4_T5_P12ihipStream_tbEUlRKiE_EESK_SO_SP_mSQ_ST_bEUlT_E_NS1_11comp_targetILNS1_3genE10ELNS1_11target_archE1201ELNS1_3gpuE5ELNS1_3repE0EEENS1_30default_config_static_selectorELNS0_4arch9wavefront6targetE1EEEvSN_,comdat
	.protected	_ZN7rocprim17ROCPRIM_400000_NS6detail17trampoline_kernelINS0_14default_configENS1_27lower_bound_config_selectorIiiEEZNS1_14transform_implILb0ES3_S5_N6thrust23THRUST_200600_302600_NS6detail15normal_iteratorINS8_10device_ptrIiEEEESD_ZNS1_13binary_searchIS3_S5_SD_SD_SD_NS1_21lower_bound_search_opENS9_16wrapped_functionINS0_4lessIvEEbEEEE10hipError_tPvRmT1_T2_T3_mmT4_T5_P12ihipStream_tbEUlRKiE_EESK_SO_SP_mSQ_ST_bEUlT_E_NS1_11comp_targetILNS1_3genE10ELNS1_11target_archE1201ELNS1_3gpuE5ELNS1_3repE0EEENS1_30default_config_static_selectorELNS0_4arch9wavefront6targetE1EEEvSN_ ; -- Begin function _ZN7rocprim17ROCPRIM_400000_NS6detail17trampoline_kernelINS0_14default_configENS1_27lower_bound_config_selectorIiiEEZNS1_14transform_implILb0ES3_S5_N6thrust23THRUST_200600_302600_NS6detail15normal_iteratorINS8_10device_ptrIiEEEESD_ZNS1_13binary_searchIS3_S5_SD_SD_SD_NS1_21lower_bound_search_opENS9_16wrapped_functionINS0_4lessIvEEbEEEE10hipError_tPvRmT1_T2_T3_mmT4_T5_P12ihipStream_tbEUlRKiE_EESK_SO_SP_mSQ_ST_bEUlT_E_NS1_11comp_targetILNS1_3genE10ELNS1_11target_archE1201ELNS1_3gpuE5ELNS1_3repE0EEENS1_30default_config_static_selectorELNS0_4arch9wavefront6targetE1EEEvSN_
	.globl	_ZN7rocprim17ROCPRIM_400000_NS6detail17trampoline_kernelINS0_14default_configENS1_27lower_bound_config_selectorIiiEEZNS1_14transform_implILb0ES3_S5_N6thrust23THRUST_200600_302600_NS6detail15normal_iteratorINS8_10device_ptrIiEEEESD_ZNS1_13binary_searchIS3_S5_SD_SD_SD_NS1_21lower_bound_search_opENS9_16wrapped_functionINS0_4lessIvEEbEEEE10hipError_tPvRmT1_T2_T3_mmT4_T5_P12ihipStream_tbEUlRKiE_EESK_SO_SP_mSQ_ST_bEUlT_E_NS1_11comp_targetILNS1_3genE10ELNS1_11target_archE1201ELNS1_3gpuE5ELNS1_3repE0EEENS1_30default_config_static_selectorELNS0_4arch9wavefront6targetE1EEEvSN_
	.p2align	8
	.type	_ZN7rocprim17ROCPRIM_400000_NS6detail17trampoline_kernelINS0_14default_configENS1_27lower_bound_config_selectorIiiEEZNS1_14transform_implILb0ES3_S5_N6thrust23THRUST_200600_302600_NS6detail15normal_iteratorINS8_10device_ptrIiEEEESD_ZNS1_13binary_searchIS3_S5_SD_SD_SD_NS1_21lower_bound_search_opENS9_16wrapped_functionINS0_4lessIvEEbEEEE10hipError_tPvRmT1_T2_T3_mmT4_T5_P12ihipStream_tbEUlRKiE_EESK_SO_SP_mSQ_ST_bEUlT_E_NS1_11comp_targetILNS1_3genE10ELNS1_11target_archE1201ELNS1_3gpuE5ELNS1_3repE0EEENS1_30default_config_static_selectorELNS0_4arch9wavefront6targetE1EEEvSN_,@function
_ZN7rocprim17ROCPRIM_400000_NS6detail17trampoline_kernelINS0_14default_configENS1_27lower_bound_config_selectorIiiEEZNS1_14transform_implILb0ES3_S5_N6thrust23THRUST_200600_302600_NS6detail15normal_iteratorINS8_10device_ptrIiEEEESD_ZNS1_13binary_searchIS3_S5_SD_SD_SD_NS1_21lower_bound_search_opENS9_16wrapped_functionINS0_4lessIvEEbEEEE10hipError_tPvRmT1_T2_T3_mmT4_T5_P12ihipStream_tbEUlRKiE_EESK_SO_SP_mSQ_ST_bEUlT_E_NS1_11comp_targetILNS1_3genE10ELNS1_11target_archE1201ELNS1_3gpuE5ELNS1_3repE0EEENS1_30default_config_static_selectorELNS0_4arch9wavefront6targetE1EEEvSN_: ; @_ZN7rocprim17ROCPRIM_400000_NS6detail17trampoline_kernelINS0_14default_configENS1_27lower_bound_config_selectorIiiEEZNS1_14transform_implILb0ES3_S5_N6thrust23THRUST_200600_302600_NS6detail15normal_iteratorINS8_10device_ptrIiEEEESD_ZNS1_13binary_searchIS3_S5_SD_SD_SD_NS1_21lower_bound_search_opENS9_16wrapped_functionINS0_4lessIvEEbEEEE10hipError_tPvRmT1_T2_T3_mmT4_T5_P12ihipStream_tbEUlRKiE_EESK_SO_SP_mSQ_ST_bEUlT_E_NS1_11comp_targetILNS1_3genE10ELNS1_11target_archE1201ELNS1_3gpuE5ELNS1_3repE0EEENS1_30default_config_static_selectorELNS0_4arch9wavefront6targetE1EEEvSN_
; %bb.0:
	.section	.rodata,"a",@progbits
	.p2align	6, 0x0
	.amdhsa_kernel _ZN7rocprim17ROCPRIM_400000_NS6detail17trampoline_kernelINS0_14default_configENS1_27lower_bound_config_selectorIiiEEZNS1_14transform_implILb0ES3_S5_N6thrust23THRUST_200600_302600_NS6detail15normal_iteratorINS8_10device_ptrIiEEEESD_ZNS1_13binary_searchIS3_S5_SD_SD_SD_NS1_21lower_bound_search_opENS9_16wrapped_functionINS0_4lessIvEEbEEEE10hipError_tPvRmT1_T2_T3_mmT4_T5_P12ihipStream_tbEUlRKiE_EESK_SO_SP_mSQ_ST_bEUlT_E_NS1_11comp_targetILNS1_3genE10ELNS1_11target_archE1201ELNS1_3gpuE5ELNS1_3repE0EEENS1_30default_config_static_selectorELNS0_4arch9wavefront6targetE1EEEvSN_
		.amdhsa_group_segment_fixed_size 0
		.amdhsa_private_segment_fixed_size 0
		.amdhsa_kernarg_size 56
		.amdhsa_user_sgpr_count 6
		.amdhsa_user_sgpr_private_segment_buffer 1
		.amdhsa_user_sgpr_dispatch_ptr 0
		.amdhsa_user_sgpr_queue_ptr 0
		.amdhsa_user_sgpr_kernarg_segment_ptr 1
		.amdhsa_user_sgpr_dispatch_id 0
		.amdhsa_user_sgpr_flat_scratch_init 0
		.amdhsa_user_sgpr_private_segment_size 0
		.amdhsa_uses_dynamic_stack 0
		.amdhsa_system_sgpr_private_segment_wavefront_offset 0
		.amdhsa_system_sgpr_workgroup_id_x 1
		.amdhsa_system_sgpr_workgroup_id_y 0
		.amdhsa_system_sgpr_workgroup_id_z 0
		.amdhsa_system_sgpr_workgroup_info 0
		.amdhsa_system_vgpr_workitem_id 0
		.amdhsa_next_free_vgpr 1
		.amdhsa_next_free_sgpr 0
		.amdhsa_reserve_vcc 0
		.amdhsa_reserve_flat_scratch 0
		.amdhsa_float_round_mode_32 0
		.amdhsa_float_round_mode_16_64 0
		.amdhsa_float_denorm_mode_32 3
		.amdhsa_float_denorm_mode_16_64 3
		.amdhsa_dx10_clamp 1
		.amdhsa_ieee_mode 1
		.amdhsa_fp16_overflow 0
		.amdhsa_exception_fp_ieee_invalid_op 0
		.amdhsa_exception_fp_denorm_src 0
		.amdhsa_exception_fp_ieee_div_zero 0
		.amdhsa_exception_fp_ieee_overflow 0
		.amdhsa_exception_fp_ieee_underflow 0
		.amdhsa_exception_fp_ieee_inexact 0
		.amdhsa_exception_int_div_zero 0
	.end_amdhsa_kernel
	.section	.text._ZN7rocprim17ROCPRIM_400000_NS6detail17trampoline_kernelINS0_14default_configENS1_27lower_bound_config_selectorIiiEEZNS1_14transform_implILb0ES3_S5_N6thrust23THRUST_200600_302600_NS6detail15normal_iteratorINS8_10device_ptrIiEEEESD_ZNS1_13binary_searchIS3_S5_SD_SD_SD_NS1_21lower_bound_search_opENS9_16wrapped_functionINS0_4lessIvEEbEEEE10hipError_tPvRmT1_T2_T3_mmT4_T5_P12ihipStream_tbEUlRKiE_EESK_SO_SP_mSQ_ST_bEUlT_E_NS1_11comp_targetILNS1_3genE10ELNS1_11target_archE1201ELNS1_3gpuE5ELNS1_3repE0EEENS1_30default_config_static_selectorELNS0_4arch9wavefront6targetE1EEEvSN_,"axG",@progbits,_ZN7rocprim17ROCPRIM_400000_NS6detail17trampoline_kernelINS0_14default_configENS1_27lower_bound_config_selectorIiiEEZNS1_14transform_implILb0ES3_S5_N6thrust23THRUST_200600_302600_NS6detail15normal_iteratorINS8_10device_ptrIiEEEESD_ZNS1_13binary_searchIS3_S5_SD_SD_SD_NS1_21lower_bound_search_opENS9_16wrapped_functionINS0_4lessIvEEbEEEE10hipError_tPvRmT1_T2_T3_mmT4_T5_P12ihipStream_tbEUlRKiE_EESK_SO_SP_mSQ_ST_bEUlT_E_NS1_11comp_targetILNS1_3genE10ELNS1_11target_archE1201ELNS1_3gpuE5ELNS1_3repE0EEENS1_30default_config_static_selectorELNS0_4arch9wavefront6targetE1EEEvSN_,comdat
.Lfunc_end446:
	.size	_ZN7rocprim17ROCPRIM_400000_NS6detail17trampoline_kernelINS0_14default_configENS1_27lower_bound_config_selectorIiiEEZNS1_14transform_implILb0ES3_S5_N6thrust23THRUST_200600_302600_NS6detail15normal_iteratorINS8_10device_ptrIiEEEESD_ZNS1_13binary_searchIS3_S5_SD_SD_SD_NS1_21lower_bound_search_opENS9_16wrapped_functionINS0_4lessIvEEbEEEE10hipError_tPvRmT1_T2_T3_mmT4_T5_P12ihipStream_tbEUlRKiE_EESK_SO_SP_mSQ_ST_bEUlT_E_NS1_11comp_targetILNS1_3genE10ELNS1_11target_archE1201ELNS1_3gpuE5ELNS1_3repE0EEENS1_30default_config_static_selectorELNS0_4arch9wavefront6targetE1EEEvSN_, .Lfunc_end446-_ZN7rocprim17ROCPRIM_400000_NS6detail17trampoline_kernelINS0_14default_configENS1_27lower_bound_config_selectorIiiEEZNS1_14transform_implILb0ES3_S5_N6thrust23THRUST_200600_302600_NS6detail15normal_iteratorINS8_10device_ptrIiEEEESD_ZNS1_13binary_searchIS3_S5_SD_SD_SD_NS1_21lower_bound_search_opENS9_16wrapped_functionINS0_4lessIvEEbEEEE10hipError_tPvRmT1_T2_T3_mmT4_T5_P12ihipStream_tbEUlRKiE_EESK_SO_SP_mSQ_ST_bEUlT_E_NS1_11comp_targetILNS1_3genE10ELNS1_11target_archE1201ELNS1_3gpuE5ELNS1_3repE0EEENS1_30default_config_static_selectorELNS0_4arch9wavefront6targetE1EEEvSN_
                                        ; -- End function
	.set _ZN7rocprim17ROCPRIM_400000_NS6detail17trampoline_kernelINS0_14default_configENS1_27lower_bound_config_selectorIiiEEZNS1_14transform_implILb0ES3_S5_N6thrust23THRUST_200600_302600_NS6detail15normal_iteratorINS8_10device_ptrIiEEEESD_ZNS1_13binary_searchIS3_S5_SD_SD_SD_NS1_21lower_bound_search_opENS9_16wrapped_functionINS0_4lessIvEEbEEEE10hipError_tPvRmT1_T2_T3_mmT4_T5_P12ihipStream_tbEUlRKiE_EESK_SO_SP_mSQ_ST_bEUlT_E_NS1_11comp_targetILNS1_3genE10ELNS1_11target_archE1201ELNS1_3gpuE5ELNS1_3repE0EEENS1_30default_config_static_selectorELNS0_4arch9wavefront6targetE1EEEvSN_.num_vgpr, 0
	.set _ZN7rocprim17ROCPRIM_400000_NS6detail17trampoline_kernelINS0_14default_configENS1_27lower_bound_config_selectorIiiEEZNS1_14transform_implILb0ES3_S5_N6thrust23THRUST_200600_302600_NS6detail15normal_iteratorINS8_10device_ptrIiEEEESD_ZNS1_13binary_searchIS3_S5_SD_SD_SD_NS1_21lower_bound_search_opENS9_16wrapped_functionINS0_4lessIvEEbEEEE10hipError_tPvRmT1_T2_T3_mmT4_T5_P12ihipStream_tbEUlRKiE_EESK_SO_SP_mSQ_ST_bEUlT_E_NS1_11comp_targetILNS1_3genE10ELNS1_11target_archE1201ELNS1_3gpuE5ELNS1_3repE0EEENS1_30default_config_static_selectorELNS0_4arch9wavefront6targetE1EEEvSN_.num_agpr, 0
	.set _ZN7rocprim17ROCPRIM_400000_NS6detail17trampoline_kernelINS0_14default_configENS1_27lower_bound_config_selectorIiiEEZNS1_14transform_implILb0ES3_S5_N6thrust23THRUST_200600_302600_NS6detail15normal_iteratorINS8_10device_ptrIiEEEESD_ZNS1_13binary_searchIS3_S5_SD_SD_SD_NS1_21lower_bound_search_opENS9_16wrapped_functionINS0_4lessIvEEbEEEE10hipError_tPvRmT1_T2_T3_mmT4_T5_P12ihipStream_tbEUlRKiE_EESK_SO_SP_mSQ_ST_bEUlT_E_NS1_11comp_targetILNS1_3genE10ELNS1_11target_archE1201ELNS1_3gpuE5ELNS1_3repE0EEENS1_30default_config_static_selectorELNS0_4arch9wavefront6targetE1EEEvSN_.numbered_sgpr, 0
	.set _ZN7rocprim17ROCPRIM_400000_NS6detail17trampoline_kernelINS0_14default_configENS1_27lower_bound_config_selectorIiiEEZNS1_14transform_implILb0ES3_S5_N6thrust23THRUST_200600_302600_NS6detail15normal_iteratorINS8_10device_ptrIiEEEESD_ZNS1_13binary_searchIS3_S5_SD_SD_SD_NS1_21lower_bound_search_opENS9_16wrapped_functionINS0_4lessIvEEbEEEE10hipError_tPvRmT1_T2_T3_mmT4_T5_P12ihipStream_tbEUlRKiE_EESK_SO_SP_mSQ_ST_bEUlT_E_NS1_11comp_targetILNS1_3genE10ELNS1_11target_archE1201ELNS1_3gpuE5ELNS1_3repE0EEENS1_30default_config_static_selectorELNS0_4arch9wavefront6targetE1EEEvSN_.num_named_barrier, 0
	.set _ZN7rocprim17ROCPRIM_400000_NS6detail17trampoline_kernelINS0_14default_configENS1_27lower_bound_config_selectorIiiEEZNS1_14transform_implILb0ES3_S5_N6thrust23THRUST_200600_302600_NS6detail15normal_iteratorINS8_10device_ptrIiEEEESD_ZNS1_13binary_searchIS3_S5_SD_SD_SD_NS1_21lower_bound_search_opENS9_16wrapped_functionINS0_4lessIvEEbEEEE10hipError_tPvRmT1_T2_T3_mmT4_T5_P12ihipStream_tbEUlRKiE_EESK_SO_SP_mSQ_ST_bEUlT_E_NS1_11comp_targetILNS1_3genE10ELNS1_11target_archE1201ELNS1_3gpuE5ELNS1_3repE0EEENS1_30default_config_static_selectorELNS0_4arch9wavefront6targetE1EEEvSN_.private_seg_size, 0
	.set _ZN7rocprim17ROCPRIM_400000_NS6detail17trampoline_kernelINS0_14default_configENS1_27lower_bound_config_selectorIiiEEZNS1_14transform_implILb0ES3_S5_N6thrust23THRUST_200600_302600_NS6detail15normal_iteratorINS8_10device_ptrIiEEEESD_ZNS1_13binary_searchIS3_S5_SD_SD_SD_NS1_21lower_bound_search_opENS9_16wrapped_functionINS0_4lessIvEEbEEEE10hipError_tPvRmT1_T2_T3_mmT4_T5_P12ihipStream_tbEUlRKiE_EESK_SO_SP_mSQ_ST_bEUlT_E_NS1_11comp_targetILNS1_3genE10ELNS1_11target_archE1201ELNS1_3gpuE5ELNS1_3repE0EEENS1_30default_config_static_selectorELNS0_4arch9wavefront6targetE1EEEvSN_.uses_vcc, 0
	.set _ZN7rocprim17ROCPRIM_400000_NS6detail17trampoline_kernelINS0_14default_configENS1_27lower_bound_config_selectorIiiEEZNS1_14transform_implILb0ES3_S5_N6thrust23THRUST_200600_302600_NS6detail15normal_iteratorINS8_10device_ptrIiEEEESD_ZNS1_13binary_searchIS3_S5_SD_SD_SD_NS1_21lower_bound_search_opENS9_16wrapped_functionINS0_4lessIvEEbEEEE10hipError_tPvRmT1_T2_T3_mmT4_T5_P12ihipStream_tbEUlRKiE_EESK_SO_SP_mSQ_ST_bEUlT_E_NS1_11comp_targetILNS1_3genE10ELNS1_11target_archE1201ELNS1_3gpuE5ELNS1_3repE0EEENS1_30default_config_static_selectorELNS0_4arch9wavefront6targetE1EEEvSN_.uses_flat_scratch, 0
	.set _ZN7rocprim17ROCPRIM_400000_NS6detail17trampoline_kernelINS0_14default_configENS1_27lower_bound_config_selectorIiiEEZNS1_14transform_implILb0ES3_S5_N6thrust23THRUST_200600_302600_NS6detail15normal_iteratorINS8_10device_ptrIiEEEESD_ZNS1_13binary_searchIS3_S5_SD_SD_SD_NS1_21lower_bound_search_opENS9_16wrapped_functionINS0_4lessIvEEbEEEE10hipError_tPvRmT1_T2_T3_mmT4_T5_P12ihipStream_tbEUlRKiE_EESK_SO_SP_mSQ_ST_bEUlT_E_NS1_11comp_targetILNS1_3genE10ELNS1_11target_archE1201ELNS1_3gpuE5ELNS1_3repE0EEENS1_30default_config_static_selectorELNS0_4arch9wavefront6targetE1EEEvSN_.has_dyn_sized_stack, 0
	.set _ZN7rocprim17ROCPRIM_400000_NS6detail17trampoline_kernelINS0_14default_configENS1_27lower_bound_config_selectorIiiEEZNS1_14transform_implILb0ES3_S5_N6thrust23THRUST_200600_302600_NS6detail15normal_iteratorINS8_10device_ptrIiEEEESD_ZNS1_13binary_searchIS3_S5_SD_SD_SD_NS1_21lower_bound_search_opENS9_16wrapped_functionINS0_4lessIvEEbEEEE10hipError_tPvRmT1_T2_T3_mmT4_T5_P12ihipStream_tbEUlRKiE_EESK_SO_SP_mSQ_ST_bEUlT_E_NS1_11comp_targetILNS1_3genE10ELNS1_11target_archE1201ELNS1_3gpuE5ELNS1_3repE0EEENS1_30default_config_static_selectorELNS0_4arch9wavefront6targetE1EEEvSN_.has_recursion, 0
	.set _ZN7rocprim17ROCPRIM_400000_NS6detail17trampoline_kernelINS0_14default_configENS1_27lower_bound_config_selectorIiiEEZNS1_14transform_implILb0ES3_S5_N6thrust23THRUST_200600_302600_NS6detail15normal_iteratorINS8_10device_ptrIiEEEESD_ZNS1_13binary_searchIS3_S5_SD_SD_SD_NS1_21lower_bound_search_opENS9_16wrapped_functionINS0_4lessIvEEbEEEE10hipError_tPvRmT1_T2_T3_mmT4_T5_P12ihipStream_tbEUlRKiE_EESK_SO_SP_mSQ_ST_bEUlT_E_NS1_11comp_targetILNS1_3genE10ELNS1_11target_archE1201ELNS1_3gpuE5ELNS1_3repE0EEENS1_30default_config_static_selectorELNS0_4arch9wavefront6targetE1EEEvSN_.has_indirect_call, 0
	.section	.AMDGPU.csdata,"",@progbits
; Kernel info:
; codeLenInByte = 0
; TotalNumSgprs: 4
; NumVgprs: 0
; ScratchSize: 0
; MemoryBound: 0
; FloatMode: 240
; IeeeMode: 1
; LDSByteSize: 0 bytes/workgroup (compile time only)
; SGPRBlocks: 0
; VGPRBlocks: 0
; NumSGPRsForWavesPerEU: 4
; NumVGPRsForWavesPerEU: 1
; Occupancy: 10
; WaveLimiterHint : 0
; COMPUTE_PGM_RSRC2:SCRATCH_EN: 0
; COMPUTE_PGM_RSRC2:USER_SGPR: 6
; COMPUTE_PGM_RSRC2:TRAP_HANDLER: 0
; COMPUTE_PGM_RSRC2:TGID_X_EN: 1
; COMPUTE_PGM_RSRC2:TGID_Y_EN: 0
; COMPUTE_PGM_RSRC2:TGID_Z_EN: 0
; COMPUTE_PGM_RSRC2:TIDIG_COMP_CNT: 0
	.section	.text._ZN7rocprim17ROCPRIM_400000_NS6detail17trampoline_kernelINS0_14default_configENS1_27lower_bound_config_selectorIiiEEZNS1_14transform_implILb0ES3_S5_N6thrust23THRUST_200600_302600_NS6detail15normal_iteratorINS8_10device_ptrIiEEEESD_ZNS1_13binary_searchIS3_S5_SD_SD_SD_NS1_21lower_bound_search_opENS9_16wrapped_functionINS0_4lessIvEEbEEEE10hipError_tPvRmT1_T2_T3_mmT4_T5_P12ihipStream_tbEUlRKiE_EESK_SO_SP_mSQ_ST_bEUlT_E_NS1_11comp_targetILNS1_3genE10ELNS1_11target_archE1200ELNS1_3gpuE4ELNS1_3repE0EEENS1_30default_config_static_selectorELNS0_4arch9wavefront6targetE1EEEvSN_,"axG",@progbits,_ZN7rocprim17ROCPRIM_400000_NS6detail17trampoline_kernelINS0_14default_configENS1_27lower_bound_config_selectorIiiEEZNS1_14transform_implILb0ES3_S5_N6thrust23THRUST_200600_302600_NS6detail15normal_iteratorINS8_10device_ptrIiEEEESD_ZNS1_13binary_searchIS3_S5_SD_SD_SD_NS1_21lower_bound_search_opENS9_16wrapped_functionINS0_4lessIvEEbEEEE10hipError_tPvRmT1_T2_T3_mmT4_T5_P12ihipStream_tbEUlRKiE_EESK_SO_SP_mSQ_ST_bEUlT_E_NS1_11comp_targetILNS1_3genE10ELNS1_11target_archE1200ELNS1_3gpuE4ELNS1_3repE0EEENS1_30default_config_static_selectorELNS0_4arch9wavefront6targetE1EEEvSN_,comdat
	.protected	_ZN7rocprim17ROCPRIM_400000_NS6detail17trampoline_kernelINS0_14default_configENS1_27lower_bound_config_selectorIiiEEZNS1_14transform_implILb0ES3_S5_N6thrust23THRUST_200600_302600_NS6detail15normal_iteratorINS8_10device_ptrIiEEEESD_ZNS1_13binary_searchIS3_S5_SD_SD_SD_NS1_21lower_bound_search_opENS9_16wrapped_functionINS0_4lessIvEEbEEEE10hipError_tPvRmT1_T2_T3_mmT4_T5_P12ihipStream_tbEUlRKiE_EESK_SO_SP_mSQ_ST_bEUlT_E_NS1_11comp_targetILNS1_3genE10ELNS1_11target_archE1200ELNS1_3gpuE4ELNS1_3repE0EEENS1_30default_config_static_selectorELNS0_4arch9wavefront6targetE1EEEvSN_ ; -- Begin function _ZN7rocprim17ROCPRIM_400000_NS6detail17trampoline_kernelINS0_14default_configENS1_27lower_bound_config_selectorIiiEEZNS1_14transform_implILb0ES3_S5_N6thrust23THRUST_200600_302600_NS6detail15normal_iteratorINS8_10device_ptrIiEEEESD_ZNS1_13binary_searchIS3_S5_SD_SD_SD_NS1_21lower_bound_search_opENS9_16wrapped_functionINS0_4lessIvEEbEEEE10hipError_tPvRmT1_T2_T3_mmT4_T5_P12ihipStream_tbEUlRKiE_EESK_SO_SP_mSQ_ST_bEUlT_E_NS1_11comp_targetILNS1_3genE10ELNS1_11target_archE1200ELNS1_3gpuE4ELNS1_3repE0EEENS1_30default_config_static_selectorELNS0_4arch9wavefront6targetE1EEEvSN_
	.globl	_ZN7rocprim17ROCPRIM_400000_NS6detail17trampoline_kernelINS0_14default_configENS1_27lower_bound_config_selectorIiiEEZNS1_14transform_implILb0ES3_S5_N6thrust23THRUST_200600_302600_NS6detail15normal_iteratorINS8_10device_ptrIiEEEESD_ZNS1_13binary_searchIS3_S5_SD_SD_SD_NS1_21lower_bound_search_opENS9_16wrapped_functionINS0_4lessIvEEbEEEE10hipError_tPvRmT1_T2_T3_mmT4_T5_P12ihipStream_tbEUlRKiE_EESK_SO_SP_mSQ_ST_bEUlT_E_NS1_11comp_targetILNS1_3genE10ELNS1_11target_archE1200ELNS1_3gpuE4ELNS1_3repE0EEENS1_30default_config_static_selectorELNS0_4arch9wavefront6targetE1EEEvSN_
	.p2align	8
	.type	_ZN7rocprim17ROCPRIM_400000_NS6detail17trampoline_kernelINS0_14default_configENS1_27lower_bound_config_selectorIiiEEZNS1_14transform_implILb0ES3_S5_N6thrust23THRUST_200600_302600_NS6detail15normal_iteratorINS8_10device_ptrIiEEEESD_ZNS1_13binary_searchIS3_S5_SD_SD_SD_NS1_21lower_bound_search_opENS9_16wrapped_functionINS0_4lessIvEEbEEEE10hipError_tPvRmT1_T2_T3_mmT4_T5_P12ihipStream_tbEUlRKiE_EESK_SO_SP_mSQ_ST_bEUlT_E_NS1_11comp_targetILNS1_3genE10ELNS1_11target_archE1200ELNS1_3gpuE4ELNS1_3repE0EEENS1_30default_config_static_selectorELNS0_4arch9wavefront6targetE1EEEvSN_,@function
_ZN7rocprim17ROCPRIM_400000_NS6detail17trampoline_kernelINS0_14default_configENS1_27lower_bound_config_selectorIiiEEZNS1_14transform_implILb0ES3_S5_N6thrust23THRUST_200600_302600_NS6detail15normal_iteratorINS8_10device_ptrIiEEEESD_ZNS1_13binary_searchIS3_S5_SD_SD_SD_NS1_21lower_bound_search_opENS9_16wrapped_functionINS0_4lessIvEEbEEEE10hipError_tPvRmT1_T2_T3_mmT4_T5_P12ihipStream_tbEUlRKiE_EESK_SO_SP_mSQ_ST_bEUlT_E_NS1_11comp_targetILNS1_3genE10ELNS1_11target_archE1200ELNS1_3gpuE4ELNS1_3repE0EEENS1_30default_config_static_selectorELNS0_4arch9wavefront6targetE1EEEvSN_: ; @_ZN7rocprim17ROCPRIM_400000_NS6detail17trampoline_kernelINS0_14default_configENS1_27lower_bound_config_selectorIiiEEZNS1_14transform_implILb0ES3_S5_N6thrust23THRUST_200600_302600_NS6detail15normal_iteratorINS8_10device_ptrIiEEEESD_ZNS1_13binary_searchIS3_S5_SD_SD_SD_NS1_21lower_bound_search_opENS9_16wrapped_functionINS0_4lessIvEEbEEEE10hipError_tPvRmT1_T2_T3_mmT4_T5_P12ihipStream_tbEUlRKiE_EESK_SO_SP_mSQ_ST_bEUlT_E_NS1_11comp_targetILNS1_3genE10ELNS1_11target_archE1200ELNS1_3gpuE4ELNS1_3repE0EEENS1_30default_config_static_selectorELNS0_4arch9wavefront6targetE1EEEvSN_
; %bb.0:
	.section	.rodata,"a",@progbits
	.p2align	6, 0x0
	.amdhsa_kernel _ZN7rocprim17ROCPRIM_400000_NS6detail17trampoline_kernelINS0_14default_configENS1_27lower_bound_config_selectorIiiEEZNS1_14transform_implILb0ES3_S5_N6thrust23THRUST_200600_302600_NS6detail15normal_iteratorINS8_10device_ptrIiEEEESD_ZNS1_13binary_searchIS3_S5_SD_SD_SD_NS1_21lower_bound_search_opENS9_16wrapped_functionINS0_4lessIvEEbEEEE10hipError_tPvRmT1_T2_T3_mmT4_T5_P12ihipStream_tbEUlRKiE_EESK_SO_SP_mSQ_ST_bEUlT_E_NS1_11comp_targetILNS1_3genE10ELNS1_11target_archE1200ELNS1_3gpuE4ELNS1_3repE0EEENS1_30default_config_static_selectorELNS0_4arch9wavefront6targetE1EEEvSN_
		.amdhsa_group_segment_fixed_size 0
		.amdhsa_private_segment_fixed_size 0
		.amdhsa_kernarg_size 56
		.amdhsa_user_sgpr_count 6
		.amdhsa_user_sgpr_private_segment_buffer 1
		.amdhsa_user_sgpr_dispatch_ptr 0
		.amdhsa_user_sgpr_queue_ptr 0
		.amdhsa_user_sgpr_kernarg_segment_ptr 1
		.amdhsa_user_sgpr_dispatch_id 0
		.amdhsa_user_sgpr_flat_scratch_init 0
		.amdhsa_user_sgpr_private_segment_size 0
		.amdhsa_uses_dynamic_stack 0
		.amdhsa_system_sgpr_private_segment_wavefront_offset 0
		.amdhsa_system_sgpr_workgroup_id_x 1
		.amdhsa_system_sgpr_workgroup_id_y 0
		.amdhsa_system_sgpr_workgroup_id_z 0
		.amdhsa_system_sgpr_workgroup_info 0
		.amdhsa_system_vgpr_workitem_id 0
		.amdhsa_next_free_vgpr 1
		.amdhsa_next_free_sgpr 0
		.amdhsa_reserve_vcc 0
		.amdhsa_reserve_flat_scratch 0
		.amdhsa_float_round_mode_32 0
		.amdhsa_float_round_mode_16_64 0
		.amdhsa_float_denorm_mode_32 3
		.amdhsa_float_denorm_mode_16_64 3
		.amdhsa_dx10_clamp 1
		.amdhsa_ieee_mode 1
		.amdhsa_fp16_overflow 0
		.amdhsa_exception_fp_ieee_invalid_op 0
		.amdhsa_exception_fp_denorm_src 0
		.amdhsa_exception_fp_ieee_div_zero 0
		.amdhsa_exception_fp_ieee_overflow 0
		.amdhsa_exception_fp_ieee_underflow 0
		.amdhsa_exception_fp_ieee_inexact 0
		.amdhsa_exception_int_div_zero 0
	.end_amdhsa_kernel
	.section	.text._ZN7rocprim17ROCPRIM_400000_NS6detail17trampoline_kernelINS0_14default_configENS1_27lower_bound_config_selectorIiiEEZNS1_14transform_implILb0ES3_S5_N6thrust23THRUST_200600_302600_NS6detail15normal_iteratorINS8_10device_ptrIiEEEESD_ZNS1_13binary_searchIS3_S5_SD_SD_SD_NS1_21lower_bound_search_opENS9_16wrapped_functionINS0_4lessIvEEbEEEE10hipError_tPvRmT1_T2_T3_mmT4_T5_P12ihipStream_tbEUlRKiE_EESK_SO_SP_mSQ_ST_bEUlT_E_NS1_11comp_targetILNS1_3genE10ELNS1_11target_archE1200ELNS1_3gpuE4ELNS1_3repE0EEENS1_30default_config_static_selectorELNS0_4arch9wavefront6targetE1EEEvSN_,"axG",@progbits,_ZN7rocprim17ROCPRIM_400000_NS6detail17trampoline_kernelINS0_14default_configENS1_27lower_bound_config_selectorIiiEEZNS1_14transform_implILb0ES3_S5_N6thrust23THRUST_200600_302600_NS6detail15normal_iteratorINS8_10device_ptrIiEEEESD_ZNS1_13binary_searchIS3_S5_SD_SD_SD_NS1_21lower_bound_search_opENS9_16wrapped_functionINS0_4lessIvEEbEEEE10hipError_tPvRmT1_T2_T3_mmT4_T5_P12ihipStream_tbEUlRKiE_EESK_SO_SP_mSQ_ST_bEUlT_E_NS1_11comp_targetILNS1_3genE10ELNS1_11target_archE1200ELNS1_3gpuE4ELNS1_3repE0EEENS1_30default_config_static_selectorELNS0_4arch9wavefront6targetE1EEEvSN_,comdat
.Lfunc_end447:
	.size	_ZN7rocprim17ROCPRIM_400000_NS6detail17trampoline_kernelINS0_14default_configENS1_27lower_bound_config_selectorIiiEEZNS1_14transform_implILb0ES3_S5_N6thrust23THRUST_200600_302600_NS6detail15normal_iteratorINS8_10device_ptrIiEEEESD_ZNS1_13binary_searchIS3_S5_SD_SD_SD_NS1_21lower_bound_search_opENS9_16wrapped_functionINS0_4lessIvEEbEEEE10hipError_tPvRmT1_T2_T3_mmT4_T5_P12ihipStream_tbEUlRKiE_EESK_SO_SP_mSQ_ST_bEUlT_E_NS1_11comp_targetILNS1_3genE10ELNS1_11target_archE1200ELNS1_3gpuE4ELNS1_3repE0EEENS1_30default_config_static_selectorELNS0_4arch9wavefront6targetE1EEEvSN_, .Lfunc_end447-_ZN7rocprim17ROCPRIM_400000_NS6detail17trampoline_kernelINS0_14default_configENS1_27lower_bound_config_selectorIiiEEZNS1_14transform_implILb0ES3_S5_N6thrust23THRUST_200600_302600_NS6detail15normal_iteratorINS8_10device_ptrIiEEEESD_ZNS1_13binary_searchIS3_S5_SD_SD_SD_NS1_21lower_bound_search_opENS9_16wrapped_functionINS0_4lessIvEEbEEEE10hipError_tPvRmT1_T2_T3_mmT4_T5_P12ihipStream_tbEUlRKiE_EESK_SO_SP_mSQ_ST_bEUlT_E_NS1_11comp_targetILNS1_3genE10ELNS1_11target_archE1200ELNS1_3gpuE4ELNS1_3repE0EEENS1_30default_config_static_selectorELNS0_4arch9wavefront6targetE1EEEvSN_
                                        ; -- End function
	.set _ZN7rocprim17ROCPRIM_400000_NS6detail17trampoline_kernelINS0_14default_configENS1_27lower_bound_config_selectorIiiEEZNS1_14transform_implILb0ES3_S5_N6thrust23THRUST_200600_302600_NS6detail15normal_iteratorINS8_10device_ptrIiEEEESD_ZNS1_13binary_searchIS3_S5_SD_SD_SD_NS1_21lower_bound_search_opENS9_16wrapped_functionINS0_4lessIvEEbEEEE10hipError_tPvRmT1_T2_T3_mmT4_T5_P12ihipStream_tbEUlRKiE_EESK_SO_SP_mSQ_ST_bEUlT_E_NS1_11comp_targetILNS1_3genE10ELNS1_11target_archE1200ELNS1_3gpuE4ELNS1_3repE0EEENS1_30default_config_static_selectorELNS0_4arch9wavefront6targetE1EEEvSN_.num_vgpr, 0
	.set _ZN7rocprim17ROCPRIM_400000_NS6detail17trampoline_kernelINS0_14default_configENS1_27lower_bound_config_selectorIiiEEZNS1_14transform_implILb0ES3_S5_N6thrust23THRUST_200600_302600_NS6detail15normal_iteratorINS8_10device_ptrIiEEEESD_ZNS1_13binary_searchIS3_S5_SD_SD_SD_NS1_21lower_bound_search_opENS9_16wrapped_functionINS0_4lessIvEEbEEEE10hipError_tPvRmT1_T2_T3_mmT4_T5_P12ihipStream_tbEUlRKiE_EESK_SO_SP_mSQ_ST_bEUlT_E_NS1_11comp_targetILNS1_3genE10ELNS1_11target_archE1200ELNS1_3gpuE4ELNS1_3repE0EEENS1_30default_config_static_selectorELNS0_4arch9wavefront6targetE1EEEvSN_.num_agpr, 0
	.set _ZN7rocprim17ROCPRIM_400000_NS6detail17trampoline_kernelINS0_14default_configENS1_27lower_bound_config_selectorIiiEEZNS1_14transform_implILb0ES3_S5_N6thrust23THRUST_200600_302600_NS6detail15normal_iteratorINS8_10device_ptrIiEEEESD_ZNS1_13binary_searchIS3_S5_SD_SD_SD_NS1_21lower_bound_search_opENS9_16wrapped_functionINS0_4lessIvEEbEEEE10hipError_tPvRmT1_T2_T3_mmT4_T5_P12ihipStream_tbEUlRKiE_EESK_SO_SP_mSQ_ST_bEUlT_E_NS1_11comp_targetILNS1_3genE10ELNS1_11target_archE1200ELNS1_3gpuE4ELNS1_3repE0EEENS1_30default_config_static_selectorELNS0_4arch9wavefront6targetE1EEEvSN_.numbered_sgpr, 0
	.set _ZN7rocprim17ROCPRIM_400000_NS6detail17trampoline_kernelINS0_14default_configENS1_27lower_bound_config_selectorIiiEEZNS1_14transform_implILb0ES3_S5_N6thrust23THRUST_200600_302600_NS6detail15normal_iteratorINS8_10device_ptrIiEEEESD_ZNS1_13binary_searchIS3_S5_SD_SD_SD_NS1_21lower_bound_search_opENS9_16wrapped_functionINS0_4lessIvEEbEEEE10hipError_tPvRmT1_T2_T3_mmT4_T5_P12ihipStream_tbEUlRKiE_EESK_SO_SP_mSQ_ST_bEUlT_E_NS1_11comp_targetILNS1_3genE10ELNS1_11target_archE1200ELNS1_3gpuE4ELNS1_3repE0EEENS1_30default_config_static_selectorELNS0_4arch9wavefront6targetE1EEEvSN_.num_named_barrier, 0
	.set _ZN7rocprim17ROCPRIM_400000_NS6detail17trampoline_kernelINS0_14default_configENS1_27lower_bound_config_selectorIiiEEZNS1_14transform_implILb0ES3_S5_N6thrust23THRUST_200600_302600_NS6detail15normal_iteratorINS8_10device_ptrIiEEEESD_ZNS1_13binary_searchIS3_S5_SD_SD_SD_NS1_21lower_bound_search_opENS9_16wrapped_functionINS0_4lessIvEEbEEEE10hipError_tPvRmT1_T2_T3_mmT4_T5_P12ihipStream_tbEUlRKiE_EESK_SO_SP_mSQ_ST_bEUlT_E_NS1_11comp_targetILNS1_3genE10ELNS1_11target_archE1200ELNS1_3gpuE4ELNS1_3repE0EEENS1_30default_config_static_selectorELNS0_4arch9wavefront6targetE1EEEvSN_.private_seg_size, 0
	.set _ZN7rocprim17ROCPRIM_400000_NS6detail17trampoline_kernelINS0_14default_configENS1_27lower_bound_config_selectorIiiEEZNS1_14transform_implILb0ES3_S5_N6thrust23THRUST_200600_302600_NS6detail15normal_iteratorINS8_10device_ptrIiEEEESD_ZNS1_13binary_searchIS3_S5_SD_SD_SD_NS1_21lower_bound_search_opENS9_16wrapped_functionINS0_4lessIvEEbEEEE10hipError_tPvRmT1_T2_T3_mmT4_T5_P12ihipStream_tbEUlRKiE_EESK_SO_SP_mSQ_ST_bEUlT_E_NS1_11comp_targetILNS1_3genE10ELNS1_11target_archE1200ELNS1_3gpuE4ELNS1_3repE0EEENS1_30default_config_static_selectorELNS0_4arch9wavefront6targetE1EEEvSN_.uses_vcc, 0
	.set _ZN7rocprim17ROCPRIM_400000_NS6detail17trampoline_kernelINS0_14default_configENS1_27lower_bound_config_selectorIiiEEZNS1_14transform_implILb0ES3_S5_N6thrust23THRUST_200600_302600_NS6detail15normal_iteratorINS8_10device_ptrIiEEEESD_ZNS1_13binary_searchIS3_S5_SD_SD_SD_NS1_21lower_bound_search_opENS9_16wrapped_functionINS0_4lessIvEEbEEEE10hipError_tPvRmT1_T2_T3_mmT4_T5_P12ihipStream_tbEUlRKiE_EESK_SO_SP_mSQ_ST_bEUlT_E_NS1_11comp_targetILNS1_3genE10ELNS1_11target_archE1200ELNS1_3gpuE4ELNS1_3repE0EEENS1_30default_config_static_selectorELNS0_4arch9wavefront6targetE1EEEvSN_.uses_flat_scratch, 0
	.set _ZN7rocprim17ROCPRIM_400000_NS6detail17trampoline_kernelINS0_14default_configENS1_27lower_bound_config_selectorIiiEEZNS1_14transform_implILb0ES3_S5_N6thrust23THRUST_200600_302600_NS6detail15normal_iteratorINS8_10device_ptrIiEEEESD_ZNS1_13binary_searchIS3_S5_SD_SD_SD_NS1_21lower_bound_search_opENS9_16wrapped_functionINS0_4lessIvEEbEEEE10hipError_tPvRmT1_T2_T3_mmT4_T5_P12ihipStream_tbEUlRKiE_EESK_SO_SP_mSQ_ST_bEUlT_E_NS1_11comp_targetILNS1_3genE10ELNS1_11target_archE1200ELNS1_3gpuE4ELNS1_3repE0EEENS1_30default_config_static_selectorELNS0_4arch9wavefront6targetE1EEEvSN_.has_dyn_sized_stack, 0
	.set _ZN7rocprim17ROCPRIM_400000_NS6detail17trampoline_kernelINS0_14default_configENS1_27lower_bound_config_selectorIiiEEZNS1_14transform_implILb0ES3_S5_N6thrust23THRUST_200600_302600_NS6detail15normal_iteratorINS8_10device_ptrIiEEEESD_ZNS1_13binary_searchIS3_S5_SD_SD_SD_NS1_21lower_bound_search_opENS9_16wrapped_functionINS0_4lessIvEEbEEEE10hipError_tPvRmT1_T2_T3_mmT4_T5_P12ihipStream_tbEUlRKiE_EESK_SO_SP_mSQ_ST_bEUlT_E_NS1_11comp_targetILNS1_3genE10ELNS1_11target_archE1200ELNS1_3gpuE4ELNS1_3repE0EEENS1_30default_config_static_selectorELNS0_4arch9wavefront6targetE1EEEvSN_.has_recursion, 0
	.set _ZN7rocprim17ROCPRIM_400000_NS6detail17trampoline_kernelINS0_14default_configENS1_27lower_bound_config_selectorIiiEEZNS1_14transform_implILb0ES3_S5_N6thrust23THRUST_200600_302600_NS6detail15normal_iteratorINS8_10device_ptrIiEEEESD_ZNS1_13binary_searchIS3_S5_SD_SD_SD_NS1_21lower_bound_search_opENS9_16wrapped_functionINS0_4lessIvEEbEEEE10hipError_tPvRmT1_T2_T3_mmT4_T5_P12ihipStream_tbEUlRKiE_EESK_SO_SP_mSQ_ST_bEUlT_E_NS1_11comp_targetILNS1_3genE10ELNS1_11target_archE1200ELNS1_3gpuE4ELNS1_3repE0EEENS1_30default_config_static_selectorELNS0_4arch9wavefront6targetE1EEEvSN_.has_indirect_call, 0
	.section	.AMDGPU.csdata,"",@progbits
; Kernel info:
; codeLenInByte = 0
; TotalNumSgprs: 4
; NumVgprs: 0
; ScratchSize: 0
; MemoryBound: 0
; FloatMode: 240
; IeeeMode: 1
; LDSByteSize: 0 bytes/workgroup (compile time only)
; SGPRBlocks: 0
; VGPRBlocks: 0
; NumSGPRsForWavesPerEU: 4
; NumVGPRsForWavesPerEU: 1
; Occupancy: 10
; WaveLimiterHint : 0
; COMPUTE_PGM_RSRC2:SCRATCH_EN: 0
; COMPUTE_PGM_RSRC2:USER_SGPR: 6
; COMPUTE_PGM_RSRC2:TRAP_HANDLER: 0
; COMPUTE_PGM_RSRC2:TGID_X_EN: 1
; COMPUTE_PGM_RSRC2:TGID_Y_EN: 0
; COMPUTE_PGM_RSRC2:TGID_Z_EN: 0
; COMPUTE_PGM_RSRC2:TIDIG_COMP_CNT: 0
	.section	.text._ZN7rocprim17ROCPRIM_400000_NS6detail17trampoline_kernelINS0_14default_configENS1_27lower_bound_config_selectorIiiEEZNS1_14transform_implILb0ES3_S5_N6thrust23THRUST_200600_302600_NS6detail15normal_iteratorINS8_10device_ptrIiEEEESD_ZNS1_13binary_searchIS3_S5_SD_SD_SD_NS1_21lower_bound_search_opENS9_16wrapped_functionINS0_4lessIvEEbEEEE10hipError_tPvRmT1_T2_T3_mmT4_T5_P12ihipStream_tbEUlRKiE_EESK_SO_SP_mSQ_ST_bEUlT_E_NS1_11comp_targetILNS1_3genE9ELNS1_11target_archE1100ELNS1_3gpuE3ELNS1_3repE0EEENS1_30default_config_static_selectorELNS0_4arch9wavefront6targetE1EEEvSN_,"axG",@progbits,_ZN7rocprim17ROCPRIM_400000_NS6detail17trampoline_kernelINS0_14default_configENS1_27lower_bound_config_selectorIiiEEZNS1_14transform_implILb0ES3_S5_N6thrust23THRUST_200600_302600_NS6detail15normal_iteratorINS8_10device_ptrIiEEEESD_ZNS1_13binary_searchIS3_S5_SD_SD_SD_NS1_21lower_bound_search_opENS9_16wrapped_functionINS0_4lessIvEEbEEEE10hipError_tPvRmT1_T2_T3_mmT4_T5_P12ihipStream_tbEUlRKiE_EESK_SO_SP_mSQ_ST_bEUlT_E_NS1_11comp_targetILNS1_3genE9ELNS1_11target_archE1100ELNS1_3gpuE3ELNS1_3repE0EEENS1_30default_config_static_selectorELNS0_4arch9wavefront6targetE1EEEvSN_,comdat
	.protected	_ZN7rocprim17ROCPRIM_400000_NS6detail17trampoline_kernelINS0_14default_configENS1_27lower_bound_config_selectorIiiEEZNS1_14transform_implILb0ES3_S5_N6thrust23THRUST_200600_302600_NS6detail15normal_iteratorINS8_10device_ptrIiEEEESD_ZNS1_13binary_searchIS3_S5_SD_SD_SD_NS1_21lower_bound_search_opENS9_16wrapped_functionINS0_4lessIvEEbEEEE10hipError_tPvRmT1_T2_T3_mmT4_T5_P12ihipStream_tbEUlRKiE_EESK_SO_SP_mSQ_ST_bEUlT_E_NS1_11comp_targetILNS1_3genE9ELNS1_11target_archE1100ELNS1_3gpuE3ELNS1_3repE0EEENS1_30default_config_static_selectorELNS0_4arch9wavefront6targetE1EEEvSN_ ; -- Begin function _ZN7rocprim17ROCPRIM_400000_NS6detail17trampoline_kernelINS0_14default_configENS1_27lower_bound_config_selectorIiiEEZNS1_14transform_implILb0ES3_S5_N6thrust23THRUST_200600_302600_NS6detail15normal_iteratorINS8_10device_ptrIiEEEESD_ZNS1_13binary_searchIS3_S5_SD_SD_SD_NS1_21lower_bound_search_opENS9_16wrapped_functionINS0_4lessIvEEbEEEE10hipError_tPvRmT1_T2_T3_mmT4_T5_P12ihipStream_tbEUlRKiE_EESK_SO_SP_mSQ_ST_bEUlT_E_NS1_11comp_targetILNS1_3genE9ELNS1_11target_archE1100ELNS1_3gpuE3ELNS1_3repE0EEENS1_30default_config_static_selectorELNS0_4arch9wavefront6targetE1EEEvSN_
	.globl	_ZN7rocprim17ROCPRIM_400000_NS6detail17trampoline_kernelINS0_14default_configENS1_27lower_bound_config_selectorIiiEEZNS1_14transform_implILb0ES3_S5_N6thrust23THRUST_200600_302600_NS6detail15normal_iteratorINS8_10device_ptrIiEEEESD_ZNS1_13binary_searchIS3_S5_SD_SD_SD_NS1_21lower_bound_search_opENS9_16wrapped_functionINS0_4lessIvEEbEEEE10hipError_tPvRmT1_T2_T3_mmT4_T5_P12ihipStream_tbEUlRKiE_EESK_SO_SP_mSQ_ST_bEUlT_E_NS1_11comp_targetILNS1_3genE9ELNS1_11target_archE1100ELNS1_3gpuE3ELNS1_3repE0EEENS1_30default_config_static_selectorELNS0_4arch9wavefront6targetE1EEEvSN_
	.p2align	8
	.type	_ZN7rocprim17ROCPRIM_400000_NS6detail17trampoline_kernelINS0_14default_configENS1_27lower_bound_config_selectorIiiEEZNS1_14transform_implILb0ES3_S5_N6thrust23THRUST_200600_302600_NS6detail15normal_iteratorINS8_10device_ptrIiEEEESD_ZNS1_13binary_searchIS3_S5_SD_SD_SD_NS1_21lower_bound_search_opENS9_16wrapped_functionINS0_4lessIvEEbEEEE10hipError_tPvRmT1_T2_T3_mmT4_T5_P12ihipStream_tbEUlRKiE_EESK_SO_SP_mSQ_ST_bEUlT_E_NS1_11comp_targetILNS1_3genE9ELNS1_11target_archE1100ELNS1_3gpuE3ELNS1_3repE0EEENS1_30default_config_static_selectorELNS0_4arch9wavefront6targetE1EEEvSN_,@function
_ZN7rocprim17ROCPRIM_400000_NS6detail17trampoline_kernelINS0_14default_configENS1_27lower_bound_config_selectorIiiEEZNS1_14transform_implILb0ES3_S5_N6thrust23THRUST_200600_302600_NS6detail15normal_iteratorINS8_10device_ptrIiEEEESD_ZNS1_13binary_searchIS3_S5_SD_SD_SD_NS1_21lower_bound_search_opENS9_16wrapped_functionINS0_4lessIvEEbEEEE10hipError_tPvRmT1_T2_T3_mmT4_T5_P12ihipStream_tbEUlRKiE_EESK_SO_SP_mSQ_ST_bEUlT_E_NS1_11comp_targetILNS1_3genE9ELNS1_11target_archE1100ELNS1_3gpuE3ELNS1_3repE0EEENS1_30default_config_static_selectorELNS0_4arch9wavefront6targetE1EEEvSN_: ; @_ZN7rocprim17ROCPRIM_400000_NS6detail17trampoline_kernelINS0_14default_configENS1_27lower_bound_config_selectorIiiEEZNS1_14transform_implILb0ES3_S5_N6thrust23THRUST_200600_302600_NS6detail15normal_iteratorINS8_10device_ptrIiEEEESD_ZNS1_13binary_searchIS3_S5_SD_SD_SD_NS1_21lower_bound_search_opENS9_16wrapped_functionINS0_4lessIvEEbEEEE10hipError_tPvRmT1_T2_T3_mmT4_T5_P12ihipStream_tbEUlRKiE_EESK_SO_SP_mSQ_ST_bEUlT_E_NS1_11comp_targetILNS1_3genE9ELNS1_11target_archE1100ELNS1_3gpuE3ELNS1_3repE0EEENS1_30default_config_static_selectorELNS0_4arch9wavefront6targetE1EEEvSN_
; %bb.0:
	.section	.rodata,"a",@progbits
	.p2align	6, 0x0
	.amdhsa_kernel _ZN7rocprim17ROCPRIM_400000_NS6detail17trampoline_kernelINS0_14default_configENS1_27lower_bound_config_selectorIiiEEZNS1_14transform_implILb0ES3_S5_N6thrust23THRUST_200600_302600_NS6detail15normal_iteratorINS8_10device_ptrIiEEEESD_ZNS1_13binary_searchIS3_S5_SD_SD_SD_NS1_21lower_bound_search_opENS9_16wrapped_functionINS0_4lessIvEEbEEEE10hipError_tPvRmT1_T2_T3_mmT4_T5_P12ihipStream_tbEUlRKiE_EESK_SO_SP_mSQ_ST_bEUlT_E_NS1_11comp_targetILNS1_3genE9ELNS1_11target_archE1100ELNS1_3gpuE3ELNS1_3repE0EEENS1_30default_config_static_selectorELNS0_4arch9wavefront6targetE1EEEvSN_
		.amdhsa_group_segment_fixed_size 0
		.amdhsa_private_segment_fixed_size 0
		.amdhsa_kernarg_size 56
		.amdhsa_user_sgpr_count 6
		.amdhsa_user_sgpr_private_segment_buffer 1
		.amdhsa_user_sgpr_dispatch_ptr 0
		.amdhsa_user_sgpr_queue_ptr 0
		.amdhsa_user_sgpr_kernarg_segment_ptr 1
		.amdhsa_user_sgpr_dispatch_id 0
		.amdhsa_user_sgpr_flat_scratch_init 0
		.amdhsa_user_sgpr_private_segment_size 0
		.amdhsa_uses_dynamic_stack 0
		.amdhsa_system_sgpr_private_segment_wavefront_offset 0
		.amdhsa_system_sgpr_workgroup_id_x 1
		.amdhsa_system_sgpr_workgroup_id_y 0
		.amdhsa_system_sgpr_workgroup_id_z 0
		.amdhsa_system_sgpr_workgroup_info 0
		.amdhsa_system_vgpr_workitem_id 0
		.amdhsa_next_free_vgpr 1
		.amdhsa_next_free_sgpr 0
		.amdhsa_reserve_vcc 0
		.amdhsa_reserve_flat_scratch 0
		.amdhsa_float_round_mode_32 0
		.amdhsa_float_round_mode_16_64 0
		.amdhsa_float_denorm_mode_32 3
		.amdhsa_float_denorm_mode_16_64 3
		.amdhsa_dx10_clamp 1
		.amdhsa_ieee_mode 1
		.amdhsa_fp16_overflow 0
		.amdhsa_exception_fp_ieee_invalid_op 0
		.amdhsa_exception_fp_denorm_src 0
		.amdhsa_exception_fp_ieee_div_zero 0
		.amdhsa_exception_fp_ieee_overflow 0
		.amdhsa_exception_fp_ieee_underflow 0
		.amdhsa_exception_fp_ieee_inexact 0
		.amdhsa_exception_int_div_zero 0
	.end_amdhsa_kernel
	.section	.text._ZN7rocprim17ROCPRIM_400000_NS6detail17trampoline_kernelINS0_14default_configENS1_27lower_bound_config_selectorIiiEEZNS1_14transform_implILb0ES3_S5_N6thrust23THRUST_200600_302600_NS6detail15normal_iteratorINS8_10device_ptrIiEEEESD_ZNS1_13binary_searchIS3_S5_SD_SD_SD_NS1_21lower_bound_search_opENS9_16wrapped_functionINS0_4lessIvEEbEEEE10hipError_tPvRmT1_T2_T3_mmT4_T5_P12ihipStream_tbEUlRKiE_EESK_SO_SP_mSQ_ST_bEUlT_E_NS1_11comp_targetILNS1_3genE9ELNS1_11target_archE1100ELNS1_3gpuE3ELNS1_3repE0EEENS1_30default_config_static_selectorELNS0_4arch9wavefront6targetE1EEEvSN_,"axG",@progbits,_ZN7rocprim17ROCPRIM_400000_NS6detail17trampoline_kernelINS0_14default_configENS1_27lower_bound_config_selectorIiiEEZNS1_14transform_implILb0ES3_S5_N6thrust23THRUST_200600_302600_NS6detail15normal_iteratorINS8_10device_ptrIiEEEESD_ZNS1_13binary_searchIS3_S5_SD_SD_SD_NS1_21lower_bound_search_opENS9_16wrapped_functionINS0_4lessIvEEbEEEE10hipError_tPvRmT1_T2_T3_mmT4_T5_P12ihipStream_tbEUlRKiE_EESK_SO_SP_mSQ_ST_bEUlT_E_NS1_11comp_targetILNS1_3genE9ELNS1_11target_archE1100ELNS1_3gpuE3ELNS1_3repE0EEENS1_30default_config_static_selectorELNS0_4arch9wavefront6targetE1EEEvSN_,comdat
.Lfunc_end448:
	.size	_ZN7rocprim17ROCPRIM_400000_NS6detail17trampoline_kernelINS0_14default_configENS1_27lower_bound_config_selectorIiiEEZNS1_14transform_implILb0ES3_S5_N6thrust23THRUST_200600_302600_NS6detail15normal_iteratorINS8_10device_ptrIiEEEESD_ZNS1_13binary_searchIS3_S5_SD_SD_SD_NS1_21lower_bound_search_opENS9_16wrapped_functionINS0_4lessIvEEbEEEE10hipError_tPvRmT1_T2_T3_mmT4_T5_P12ihipStream_tbEUlRKiE_EESK_SO_SP_mSQ_ST_bEUlT_E_NS1_11comp_targetILNS1_3genE9ELNS1_11target_archE1100ELNS1_3gpuE3ELNS1_3repE0EEENS1_30default_config_static_selectorELNS0_4arch9wavefront6targetE1EEEvSN_, .Lfunc_end448-_ZN7rocprim17ROCPRIM_400000_NS6detail17trampoline_kernelINS0_14default_configENS1_27lower_bound_config_selectorIiiEEZNS1_14transform_implILb0ES3_S5_N6thrust23THRUST_200600_302600_NS6detail15normal_iteratorINS8_10device_ptrIiEEEESD_ZNS1_13binary_searchIS3_S5_SD_SD_SD_NS1_21lower_bound_search_opENS9_16wrapped_functionINS0_4lessIvEEbEEEE10hipError_tPvRmT1_T2_T3_mmT4_T5_P12ihipStream_tbEUlRKiE_EESK_SO_SP_mSQ_ST_bEUlT_E_NS1_11comp_targetILNS1_3genE9ELNS1_11target_archE1100ELNS1_3gpuE3ELNS1_3repE0EEENS1_30default_config_static_selectorELNS0_4arch9wavefront6targetE1EEEvSN_
                                        ; -- End function
	.set _ZN7rocprim17ROCPRIM_400000_NS6detail17trampoline_kernelINS0_14default_configENS1_27lower_bound_config_selectorIiiEEZNS1_14transform_implILb0ES3_S5_N6thrust23THRUST_200600_302600_NS6detail15normal_iteratorINS8_10device_ptrIiEEEESD_ZNS1_13binary_searchIS3_S5_SD_SD_SD_NS1_21lower_bound_search_opENS9_16wrapped_functionINS0_4lessIvEEbEEEE10hipError_tPvRmT1_T2_T3_mmT4_T5_P12ihipStream_tbEUlRKiE_EESK_SO_SP_mSQ_ST_bEUlT_E_NS1_11comp_targetILNS1_3genE9ELNS1_11target_archE1100ELNS1_3gpuE3ELNS1_3repE0EEENS1_30default_config_static_selectorELNS0_4arch9wavefront6targetE1EEEvSN_.num_vgpr, 0
	.set _ZN7rocprim17ROCPRIM_400000_NS6detail17trampoline_kernelINS0_14default_configENS1_27lower_bound_config_selectorIiiEEZNS1_14transform_implILb0ES3_S5_N6thrust23THRUST_200600_302600_NS6detail15normal_iteratorINS8_10device_ptrIiEEEESD_ZNS1_13binary_searchIS3_S5_SD_SD_SD_NS1_21lower_bound_search_opENS9_16wrapped_functionINS0_4lessIvEEbEEEE10hipError_tPvRmT1_T2_T3_mmT4_T5_P12ihipStream_tbEUlRKiE_EESK_SO_SP_mSQ_ST_bEUlT_E_NS1_11comp_targetILNS1_3genE9ELNS1_11target_archE1100ELNS1_3gpuE3ELNS1_3repE0EEENS1_30default_config_static_selectorELNS0_4arch9wavefront6targetE1EEEvSN_.num_agpr, 0
	.set _ZN7rocprim17ROCPRIM_400000_NS6detail17trampoline_kernelINS0_14default_configENS1_27lower_bound_config_selectorIiiEEZNS1_14transform_implILb0ES3_S5_N6thrust23THRUST_200600_302600_NS6detail15normal_iteratorINS8_10device_ptrIiEEEESD_ZNS1_13binary_searchIS3_S5_SD_SD_SD_NS1_21lower_bound_search_opENS9_16wrapped_functionINS0_4lessIvEEbEEEE10hipError_tPvRmT1_T2_T3_mmT4_T5_P12ihipStream_tbEUlRKiE_EESK_SO_SP_mSQ_ST_bEUlT_E_NS1_11comp_targetILNS1_3genE9ELNS1_11target_archE1100ELNS1_3gpuE3ELNS1_3repE0EEENS1_30default_config_static_selectorELNS0_4arch9wavefront6targetE1EEEvSN_.numbered_sgpr, 0
	.set _ZN7rocprim17ROCPRIM_400000_NS6detail17trampoline_kernelINS0_14default_configENS1_27lower_bound_config_selectorIiiEEZNS1_14transform_implILb0ES3_S5_N6thrust23THRUST_200600_302600_NS6detail15normal_iteratorINS8_10device_ptrIiEEEESD_ZNS1_13binary_searchIS3_S5_SD_SD_SD_NS1_21lower_bound_search_opENS9_16wrapped_functionINS0_4lessIvEEbEEEE10hipError_tPvRmT1_T2_T3_mmT4_T5_P12ihipStream_tbEUlRKiE_EESK_SO_SP_mSQ_ST_bEUlT_E_NS1_11comp_targetILNS1_3genE9ELNS1_11target_archE1100ELNS1_3gpuE3ELNS1_3repE0EEENS1_30default_config_static_selectorELNS0_4arch9wavefront6targetE1EEEvSN_.num_named_barrier, 0
	.set _ZN7rocprim17ROCPRIM_400000_NS6detail17trampoline_kernelINS0_14default_configENS1_27lower_bound_config_selectorIiiEEZNS1_14transform_implILb0ES3_S5_N6thrust23THRUST_200600_302600_NS6detail15normal_iteratorINS8_10device_ptrIiEEEESD_ZNS1_13binary_searchIS3_S5_SD_SD_SD_NS1_21lower_bound_search_opENS9_16wrapped_functionINS0_4lessIvEEbEEEE10hipError_tPvRmT1_T2_T3_mmT4_T5_P12ihipStream_tbEUlRKiE_EESK_SO_SP_mSQ_ST_bEUlT_E_NS1_11comp_targetILNS1_3genE9ELNS1_11target_archE1100ELNS1_3gpuE3ELNS1_3repE0EEENS1_30default_config_static_selectorELNS0_4arch9wavefront6targetE1EEEvSN_.private_seg_size, 0
	.set _ZN7rocprim17ROCPRIM_400000_NS6detail17trampoline_kernelINS0_14default_configENS1_27lower_bound_config_selectorIiiEEZNS1_14transform_implILb0ES3_S5_N6thrust23THRUST_200600_302600_NS6detail15normal_iteratorINS8_10device_ptrIiEEEESD_ZNS1_13binary_searchIS3_S5_SD_SD_SD_NS1_21lower_bound_search_opENS9_16wrapped_functionINS0_4lessIvEEbEEEE10hipError_tPvRmT1_T2_T3_mmT4_T5_P12ihipStream_tbEUlRKiE_EESK_SO_SP_mSQ_ST_bEUlT_E_NS1_11comp_targetILNS1_3genE9ELNS1_11target_archE1100ELNS1_3gpuE3ELNS1_3repE0EEENS1_30default_config_static_selectorELNS0_4arch9wavefront6targetE1EEEvSN_.uses_vcc, 0
	.set _ZN7rocprim17ROCPRIM_400000_NS6detail17trampoline_kernelINS0_14default_configENS1_27lower_bound_config_selectorIiiEEZNS1_14transform_implILb0ES3_S5_N6thrust23THRUST_200600_302600_NS6detail15normal_iteratorINS8_10device_ptrIiEEEESD_ZNS1_13binary_searchIS3_S5_SD_SD_SD_NS1_21lower_bound_search_opENS9_16wrapped_functionINS0_4lessIvEEbEEEE10hipError_tPvRmT1_T2_T3_mmT4_T5_P12ihipStream_tbEUlRKiE_EESK_SO_SP_mSQ_ST_bEUlT_E_NS1_11comp_targetILNS1_3genE9ELNS1_11target_archE1100ELNS1_3gpuE3ELNS1_3repE0EEENS1_30default_config_static_selectorELNS0_4arch9wavefront6targetE1EEEvSN_.uses_flat_scratch, 0
	.set _ZN7rocprim17ROCPRIM_400000_NS6detail17trampoline_kernelINS0_14default_configENS1_27lower_bound_config_selectorIiiEEZNS1_14transform_implILb0ES3_S5_N6thrust23THRUST_200600_302600_NS6detail15normal_iteratorINS8_10device_ptrIiEEEESD_ZNS1_13binary_searchIS3_S5_SD_SD_SD_NS1_21lower_bound_search_opENS9_16wrapped_functionINS0_4lessIvEEbEEEE10hipError_tPvRmT1_T2_T3_mmT4_T5_P12ihipStream_tbEUlRKiE_EESK_SO_SP_mSQ_ST_bEUlT_E_NS1_11comp_targetILNS1_3genE9ELNS1_11target_archE1100ELNS1_3gpuE3ELNS1_3repE0EEENS1_30default_config_static_selectorELNS0_4arch9wavefront6targetE1EEEvSN_.has_dyn_sized_stack, 0
	.set _ZN7rocprim17ROCPRIM_400000_NS6detail17trampoline_kernelINS0_14default_configENS1_27lower_bound_config_selectorIiiEEZNS1_14transform_implILb0ES3_S5_N6thrust23THRUST_200600_302600_NS6detail15normal_iteratorINS8_10device_ptrIiEEEESD_ZNS1_13binary_searchIS3_S5_SD_SD_SD_NS1_21lower_bound_search_opENS9_16wrapped_functionINS0_4lessIvEEbEEEE10hipError_tPvRmT1_T2_T3_mmT4_T5_P12ihipStream_tbEUlRKiE_EESK_SO_SP_mSQ_ST_bEUlT_E_NS1_11comp_targetILNS1_3genE9ELNS1_11target_archE1100ELNS1_3gpuE3ELNS1_3repE0EEENS1_30default_config_static_selectorELNS0_4arch9wavefront6targetE1EEEvSN_.has_recursion, 0
	.set _ZN7rocprim17ROCPRIM_400000_NS6detail17trampoline_kernelINS0_14default_configENS1_27lower_bound_config_selectorIiiEEZNS1_14transform_implILb0ES3_S5_N6thrust23THRUST_200600_302600_NS6detail15normal_iteratorINS8_10device_ptrIiEEEESD_ZNS1_13binary_searchIS3_S5_SD_SD_SD_NS1_21lower_bound_search_opENS9_16wrapped_functionINS0_4lessIvEEbEEEE10hipError_tPvRmT1_T2_T3_mmT4_T5_P12ihipStream_tbEUlRKiE_EESK_SO_SP_mSQ_ST_bEUlT_E_NS1_11comp_targetILNS1_3genE9ELNS1_11target_archE1100ELNS1_3gpuE3ELNS1_3repE0EEENS1_30default_config_static_selectorELNS0_4arch9wavefront6targetE1EEEvSN_.has_indirect_call, 0
	.section	.AMDGPU.csdata,"",@progbits
; Kernel info:
; codeLenInByte = 0
; TotalNumSgprs: 4
; NumVgprs: 0
; ScratchSize: 0
; MemoryBound: 0
; FloatMode: 240
; IeeeMode: 1
; LDSByteSize: 0 bytes/workgroup (compile time only)
; SGPRBlocks: 0
; VGPRBlocks: 0
; NumSGPRsForWavesPerEU: 4
; NumVGPRsForWavesPerEU: 1
; Occupancy: 10
; WaveLimiterHint : 0
; COMPUTE_PGM_RSRC2:SCRATCH_EN: 0
; COMPUTE_PGM_RSRC2:USER_SGPR: 6
; COMPUTE_PGM_RSRC2:TRAP_HANDLER: 0
; COMPUTE_PGM_RSRC2:TGID_X_EN: 1
; COMPUTE_PGM_RSRC2:TGID_Y_EN: 0
; COMPUTE_PGM_RSRC2:TGID_Z_EN: 0
; COMPUTE_PGM_RSRC2:TIDIG_COMP_CNT: 0
	.section	.text._ZN7rocprim17ROCPRIM_400000_NS6detail17trampoline_kernelINS0_14default_configENS1_27lower_bound_config_selectorIiiEEZNS1_14transform_implILb0ES3_S5_N6thrust23THRUST_200600_302600_NS6detail15normal_iteratorINS8_10device_ptrIiEEEESD_ZNS1_13binary_searchIS3_S5_SD_SD_SD_NS1_21lower_bound_search_opENS9_16wrapped_functionINS0_4lessIvEEbEEEE10hipError_tPvRmT1_T2_T3_mmT4_T5_P12ihipStream_tbEUlRKiE_EESK_SO_SP_mSQ_ST_bEUlT_E_NS1_11comp_targetILNS1_3genE8ELNS1_11target_archE1030ELNS1_3gpuE2ELNS1_3repE0EEENS1_30default_config_static_selectorELNS0_4arch9wavefront6targetE1EEEvSN_,"axG",@progbits,_ZN7rocprim17ROCPRIM_400000_NS6detail17trampoline_kernelINS0_14default_configENS1_27lower_bound_config_selectorIiiEEZNS1_14transform_implILb0ES3_S5_N6thrust23THRUST_200600_302600_NS6detail15normal_iteratorINS8_10device_ptrIiEEEESD_ZNS1_13binary_searchIS3_S5_SD_SD_SD_NS1_21lower_bound_search_opENS9_16wrapped_functionINS0_4lessIvEEbEEEE10hipError_tPvRmT1_T2_T3_mmT4_T5_P12ihipStream_tbEUlRKiE_EESK_SO_SP_mSQ_ST_bEUlT_E_NS1_11comp_targetILNS1_3genE8ELNS1_11target_archE1030ELNS1_3gpuE2ELNS1_3repE0EEENS1_30default_config_static_selectorELNS0_4arch9wavefront6targetE1EEEvSN_,comdat
	.protected	_ZN7rocprim17ROCPRIM_400000_NS6detail17trampoline_kernelINS0_14default_configENS1_27lower_bound_config_selectorIiiEEZNS1_14transform_implILb0ES3_S5_N6thrust23THRUST_200600_302600_NS6detail15normal_iteratorINS8_10device_ptrIiEEEESD_ZNS1_13binary_searchIS3_S5_SD_SD_SD_NS1_21lower_bound_search_opENS9_16wrapped_functionINS0_4lessIvEEbEEEE10hipError_tPvRmT1_T2_T3_mmT4_T5_P12ihipStream_tbEUlRKiE_EESK_SO_SP_mSQ_ST_bEUlT_E_NS1_11comp_targetILNS1_3genE8ELNS1_11target_archE1030ELNS1_3gpuE2ELNS1_3repE0EEENS1_30default_config_static_selectorELNS0_4arch9wavefront6targetE1EEEvSN_ ; -- Begin function _ZN7rocprim17ROCPRIM_400000_NS6detail17trampoline_kernelINS0_14default_configENS1_27lower_bound_config_selectorIiiEEZNS1_14transform_implILb0ES3_S5_N6thrust23THRUST_200600_302600_NS6detail15normal_iteratorINS8_10device_ptrIiEEEESD_ZNS1_13binary_searchIS3_S5_SD_SD_SD_NS1_21lower_bound_search_opENS9_16wrapped_functionINS0_4lessIvEEbEEEE10hipError_tPvRmT1_T2_T3_mmT4_T5_P12ihipStream_tbEUlRKiE_EESK_SO_SP_mSQ_ST_bEUlT_E_NS1_11comp_targetILNS1_3genE8ELNS1_11target_archE1030ELNS1_3gpuE2ELNS1_3repE0EEENS1_30default_config_static_selectorELNS0_4arch9wavefront6targetE1EEEvSN_
	.globl	_ZN7rocprim17ROCPRIM_400000_NS6detail17trampoline_kernelINS0_14default_configENS1_27lower_bound_config_selectorIiiEEZNS1_14transform_implILb0ES3_S5_N6thrust23THRUST_200600_302600_NS6detail15normal_iteratorINS8_10device_ptrIiEEEESD_ZNS1_13binary_searchIS3_S5_SD_SD_SD_NS1_21lower_bound_search_opENS9_16wrapped_functionINS0_4lessIvEEbEEEE10hipError_tPvRmT1_T2_T3_mmT4_T5_P12ihipStream_tbEUlRKiE_EESK_SO_SP_mSQ_ST_bEUlT_E_NS1_11comp_targetILNS1_3genE8ELNS1_11target_archE1030ELNS1_3gpuE2ELNS1_3repE0EEENS1_30default_config_static_selectorELNS0_4arch9wavefront6targetE1EEEvSN_
	.p2align	8
	.type	_ZN7rocprim17ROCPRIM_400000_NS6detail17trampoline_kernelINS0_14default_configENS1_27lower_bound_config_selectorIiiEEZNS1_14transform_implILb0ES3_S5_N6thrust23THRUST_200600_302600_NS6detail15normal_iteratorINS8_10device_ptrIiEEEESD_ZNS1_13binary_searchIS3_S5_SD_SD_SD_NS1_21lower_bound_search_opENS9_16wrapped_functionINS0_4lessIvEEbEEEE10hipError_tPvRmT1_T2_T3_mmT4_T5_P12ihipStream_tbEUlRKiE_EESK_SO_SP_mSQ_ST_bEUlT_E_NS1_11comp_targetILNS1_3genE8ELNS1_11target_archE1030ELNS1_3gpuE2ELNS1_3repE0EEENS1_30default_config_static_selectorELNS0_4arch9wavefront6targetE1EEEvSN_,@function
_ZN7rocprim17ROCPRIM_400000_NS6detail17trampoline_kernelINS0_14default_configENS1_27lower_bound_config_selectorIiiEEZNS1_14transform_implILb0ES3_S5_N6thrust23THRUST_200600_302600_NS6detail15normal_iteratorINS8_10device_ptrIiEEEESD_ZNS1_13binary_searchIS3_S5_SD_SD_SD_NS1_21lower_bound_search_opENS9_16wrapped_functionINS0_4lessIvEEbEEEE10hipError_tPvRmT1_T2_T3_mmT4_T5_P12ihipStream_tbEUlRKiE_EESK_SO_SP_mSQ_ST_bEUlT_E_NS1_11comp_targetILNS1_3genE8ELNS1_11target_archE1030ELNS1_3gpuE2ELNS1_3repE0EEENS1_30default_config_static_selectorELNS0_4arch9wavefront6targetE1EEEvSN_: ; @_ZN7rocprim17ROCPRIM_400000_NS6detail17trampoline_kernelINS0_14default_configENS1_27lower_bound_config_selectorIiiEEZNS1_14transform_implILb0ES3_S5_N6thrust23THRUST_200600_302600_NS6detail15normal_iteratorINS8_10device_ptrIiEEEESD_ZNS1_13binary_searchIS3_S5_SD_SD_SD_NS1_21lower_bound_search_opENS9_16wrapped_functionINS0_4lessIvEEbEEEE10hipError_tPvRmT1_T2_T3_mmT4_T5_P12ihipStream_tbEUlRKiE_EESK_SO_SP_mSQ_ST_bEUlT_E_NS1_11comp_targetILNS1_3genE8ELNS1_11target_archE1030ELNS1_3gpuE2ELNS1_3repE0EEENS1_30default_config_static_selectorELNS0_4arch9wavefront6targetE1EEEvSN_
; %bb.0:
	.section	.rodata,"a",@progbits
	.p2align	6, 0x0
	.amdhsa_kernel _ZN7rocprim17ROCPRIM_400000_NS6detail17trampoline_kernelINS0_14default_configENS1_27lower_bound_config_selectorIiiEEZNS1_14transform_implILb0ES3_S5_N6thrust23THRUST_200600_302600_NS6detail15normal_iteratorINS8_10device_ptrIiEEEESD_ZNS1_13binary_searchIS3_S5_SD_SD_SD_NS1_21lower_bound_search_opENS9_16wrapped_functionINS0_4lessIvEEbEEEE10hipError_tPvRmT1_T2_T3_mmT4_T5_P12ihipStream_tbEUlRKiE_EESK_SO_SP_mSQ_ST_bEUlT_E_NS1_11comp_targetILNS1_3genE8ELNS1_11target_archE1030ELNS1_3gpuE2ELNS1_3repE0EEENS1_30default_config_static_selectorELNS0_4arch9wavefront6targetE1EEEvSN_
		.amdhsa_group_segment_fixed_size 0
		.amdhsa_private_segment_fixed_size 0
		.amdhsa_kernarg_size 56
		.amdhsa_user_sgpr_count 6
		.amdhsa_user_sgpr_private_segment_buffer 1
		.amdhsa_user_sgpr_dispatch_ptr 0
		.amdhsa_user_sgpr_queue_ptr 0
		.amdhsa_user_sgpr_kernarg_segment_ptr 1
		.amdhsa_user_sgpr_dispatch_id 0
		.amdhsa_user_sgpr_flat_scratch_init 0
		.amdhsa_user_sgpr_private_segment_size 0
		.amdhsa_uses_dynamic_stack 0
		.amdhsa_system_sgpr_private_segment_wavefront_offset 0
		.amdhsa_system_sgpr_workgroup_id_x 1
		.amdhsa_system_sgpr_workgroup_id_y 0
		.amdhsa_system_sgpr_workgroup_id_z 0
		.amdhsa_system_sgpr_workgroup_info 0
		.amdhsa_system_vgpr_workitem_id 0
		.amdhsa_next_free_vgpr 1
		.amdhsa_next_free_sgpr 0
		.amdhsa_reserve_vcc 0
		.amdhsa_reserve_flat_scratch 0
		.amdhsa_float_round_mode_32 0
		.amdhsa_float_round_mode_16_64 0
		.amdhsa_float_denorm_mode_32 3
		.amdhsa_float_denorm_mode_16_64 3
		.amdhsa_dx10_clamp 1
		.amdhsa_ieee_mode 1
		.amdhsa_fp16_overflow 0
		.amdhsa_exception_fp_ieee_invalid_op 0
		.amdhsa_exception_fp_denorm_src 0
		.amdhsa_exception_fp_ieee_div_zero 0
		.amdhsa_exception_fp_ieee_overflow 0
		.amdhsa_exception_fp_ieee_underflow 0
		.amdhsa_exception_fp_ieee_inexact 0
		.amdhsa_exception_int_div_zero 0
	.end_amdhsa_kernel
	.section	.text._ZN7rocprim17ROCPRIM_400000_NS6detail17trampoline_kernelINS0_14default_configENS1_27lower_bound_config_selectorIiiEEZNS1_14transform_implILb0ES3_S5_N6thrust23THRUST_200600_302600_NS6detail15normal_iteratorINS8_10device_ptrIiEEEESD_ZNS1_13binary_searchIS3_S5_SD_SD_SD_NS1_21lower_bound_search_opENS9_16wrapped_functionINS0_4lessIvEEbEEEE10hipError_tPvRmT1_T2_T3_mmT4_T5_P12ihipStream_tbEUlRKiE_EESK_SO_SP_mSQ_ST_bEUlT_E_NS1_11comp_targetILNS1_3genE8ELNS1_11target_archE1030ELNS1_3gpuE2ELNS1_3repE0EEENS1_30default_config_static_selectorELNS0_4arch9wavefront6targetE1EEEvSN_,"axG",@progbits,_ZN7rocprim17ROCPRIM_400000_NS6detail17trampoline_kernelINS0_14default_configENS1_27lower_bound_config_selectorIiiEEZNS1_14transform_implILb0ES3_S5_N6thrust23THRUST_200600_302600_NS6detail15normal_iteratorINS8_10device_ptrIiEEEESD_ZNS1_13binary_searchIS3_S5_SD_SD_SD_NS1_21lower_bound_search_opENS9_16wrapped_functionINS0_4lessIvEEbEEEE10hipError_tPvRmT1_T2_T3_mmT4_T5_P12ihipStream_tbEUlRKiE_EESK_SO_SP_mSQ_ST_bEUlT_E_NS1_11comp_targetILNS1_3genE8ELNS1_11target_archE1030ELNS1_3gpuE2ELNS1_3repE0EEENS1_30default_config_static_selectorELNS0_4arch9wavefront6targetE1EEEvSN_,comdat
.Lfunc_end449:
	.size	_ZN7rocprim17ROCPRIM_400000_NS6detail17trampoline_kernelINS0_14default_configENS1_27lower_bound_config_selectorIiiEEZNS1_14transform_implILb0ES3_S5_N6thrust23THRUST_200600_302600_NS6detail15normal_iteratorINS8_10device_ptrIiEEEESD_ZNS1_13binary_searchIS3_S5_SD_SD_SD_NS1_21lower_bound_search_opENS9_16wrapped_functionINS0_4lessIvEEbEEEE10hipError_tPvRmT1_T2_T3_mmT4_T5_P12ihipStream_tbEUlRKiE_EESK_SO_SP_mSQ_ST_bEUlT_E_NS1_11comp_targetILNS1_3genE8ELNS1_11target_archE1030ELNS1_3gpuE2ELNS1_3repE0EEENS1_30default_config_static_selectorELNS0_4arch9wavefront6targetE1EEEvSN_, .Lfunc_end449-_ZN7rocprim17ROCPRIM_400000_NS6detail17trampoline_kernelINS0_14default_configENS1_27lower_bound_config_selectorIiiEEZNS1_14transform_implILb0ES3_S5_N6thrust23THRUST_200600_302600_NS6detail15normal_iteratorINS8_10device_ptrIiEEEESD_ZNS1_13binary_searchIS3_S5_SD_SD_SD_NS1_21lower_bound_search_opENS9_16wrapped_functionINS0_4lessIvEEbEEEE10hipError_tPvRmT1_T2_T3_mmT4_T5_P12ihipStream_tbEUlRKiE_EESK_SO_SP_mSQ_ST_bEUlT_E_NS1_11comp_targetILNS1_3genE8ELNS1_11target_archE1030ELNS1_3gpuE2ELNS1_3repE0EEENS1_30default_config_static_selectorELNS0_4arch9wavefront6targetE1EEEvSN_
                                        ; -- End function
	.set _ZN7rocprim17ROCPRIM_400000_NS6detail17trampoline_kernelINS0_14default_configENS1_27lower_bound_config_selectorIiiEEZNS1_14transform_implILb0ES3_S5_N6thrust23THRUST_200600_302600_NS6detail15normal_iteratorINS8_10device_ptrIiEEEESD_ZNS1_13binary_searchIS3_S5_SD_SD_SD_NS1_21lower_bound_search_opENS9_16wrapped_functionINS0_4lessIvEEbEEEE10hipError_tPvRmT1_T2_T3_mmT4_T5_P12ihipStream_tbEUlRKiE_EESK_SO_SP_mSQ_ST_bEUlT_E_NS1_11comp_targetILNS1_3genE8ELNS1_11target_archE1030ELNS1_3gpuE2ELNS1_3repE0EEENS1_30default_config_static_selectorELNS0_4arch9wavefront6targetE1EEEvSN_.num_vgpr, 0
	.set _ZN7rocprim17ROCPRIM_400000_NS6detail17trampoline_kernelINS0_14default_configENS1_27lower_bound_config_selectorIiiEEZNS1_14transform_implILb0ES3_S5_N6thrust23THRUST_200600_302600_NS6detail15normal_iteratorINS8_10device_ptrIiEEEESD_ZNS1_13binary_searchIS3_S5_SD_SD_SD_NS1_21lower_bound_search_opENS9_16wrapped_functionINS0_4lessIvEEbEEEE10hipError_tPvRmT1_T2_T3_mmT4_T5_P12ihipStream_tbEUlRKiE_EESK_SO_SP_mSQ_ST_bEUlT_E_NS1_11comp_targetILNS1_3genE8ELNS1_11target_archE1030ELNS1_3gpuE2ELNS1_3repE0EEENS1_30default_config_static_selectorELNS0_4arch9wavefront6targetE1EEEvSN_.num_agpr, 0
	.set _ZN7rocprim17ROCPRIM_400000_NS6detail17trampoline_kernelINS0_14default_configENS1_27lower_bound_config_selectorIiiEEZNS1_14transform_implILb0ES3_S5_N6thrust23THRUST_200600_302600_NS6detail15normal_iteratorINS8_10device_ptrIiEEEESD_ZNS1_13binary_searchIS3_S5_SD_SD_SD_NS1_21lower_bound_search_opENS9_16wrapped_functionINS0_4lessIvEEbEEEE10hipError_tPvRmT1_T2_T3_mmT4_T5_P12ihipStream_tbEUlRKiE_EESK_SO_SP_mSQ_ST_bEUlT_E_NS1_11comp_targetILNS1_3genE8ELNS1_11target_archE1030ELNS1_3gpuE2ELNS1_3repE0EEENS1_30default_config_static_selectorELNS0_4arch9wavefront6targetE1EEEvSN_.numbered_sgpr, 0
	.set _ZN7rocprim17ROCPRIM_400000_NS6detail17trampoline_kernelINS0_14default_configENS1_27lower_bound_config_selectorIiiEEZNS1_14transform_implILb0ES3_S5_N6thrust23THRUST_200600_302600_NS6detail15normal_iteratorINS8_10device_ptrIiEEEESD_ZNS1_13binary_searchIS3_S5_SD_SD_SD_NS1_21lower_bound_search_opENS9_16wrapped_functionINS0_4lessIvEEbEEEE10hipError_tPvRmT1_T2_T3_mmT4_T5_P12ihipStream_tbEUlRKiE_EESK_SO_SP_mSQ_ST_bEUlT_E_NS1_11comp_targetILNS1_3genE8ELNS1_11target_archE1030ELNS1_3gpuE2ELNS1_3repE0EEENS1_30default_config_static_selectorELNS0_4arch9wavefront6targetE1EEEvSN_.num_named_barrier, 0
	.set _ZN7rocprim17ROCPRIM_400000_NS6detail17trampoline_kernelINS0_14default_configENS1_27lower_bound_config_selectorIiiEEZNS1_14transform_implILb0ES3_S5_N6thrust23THRUST_200600_302600_NS6detail15normal_iteratorINS8_10device_ptrIiEEEESD_ZNS1_13binary_searchIS3_S5_SD_SD_SD_NS1_21lower_bound_search_opENS9_16wrapped_functionINS0_4lessIvEEbEEEE10hipError_tPvRmT1_T2_T3_mmT4_T5_P12ihipStream_tbEUlRKiE_EESK_SO_SP_mSQ_ST_bEUlT_E_NS1_11comp_targetILNS1_3genE8ELNS1_11target_archE1030ELNS1_3gpuE2ELNS1_3repE0EEENS1_30default_config_static_selectorELNS0_4arch9wavefront6targetE1EEEvSN_.private_seg_size, 0
	.set _ZN7rocprim17ROCPRIM_400000_NS6detail17trampoline_kernelINS0_14default_configENS1_27lower_bound_config_selectorIiiEEZNS1_14transform_implILb0ES3_S5_N6thrust23THRUST_200600_302600_NS6detail15normal_iteratorINS8_10device_ptrIiEEEESD_ZNS1_13binary_searchIS3_S5_SD_SD_SD_NS1_21lower_bound_search_opENS9_16wrapped_functionINS0_4lessIvEEbEEEE10hipError_tPvRmT1_T2_T3_mmT4_T5_P12ihipStream_tbEUlRKiE_EESK_SO_SP_mSQ_ST_bEUlT_E_NS1_11comp_targetILNS1_3genE8ELNS1_11target_archE1030ELNS1_3gpuE2ELNS1_3repE0EEENS1_30default_config_static_selectorELNS0_4arch9wavefront6targetE1EEEvSN_.uses_vcc, 0
	.set _ZN7rocprim17ROCPRIM_400000_NS6detail17trampoline_kernelINS0_14default_configENS1_27lower_bound_config_selectorIiiEEZNS1_14transform_implILb0ES3_S5_N6thrust23THRUST_200600_302600_NS6detail15normal_iteratorINS8_10device_ptrIiEEEESD_ZNS1_13binary_searchIS3_S5_SD_SD_SD_NS1_21lower_bound_search_opENS9_16wrapped_functionINS0_4lessIvEEbEEEE10hipError_tPvRmT1_T2_T3_mmT4_T5_P12ihipStream_tbEUlRKiE_EESK_SO_SP_mSQ_ST_bEUlT_E_NS1_11comp_targetILNS1_3genE8ELNS1_11target_archE1030ELNS1_3gpuE2ELNS1_3repE0EEENS1_30default_config_static_selectorELNS0_4arch9wavefront6targetE1EEEvSN_.uses_flat_scratch, 0
	.set _ZN7rocprim17ROCPRIM_400000_NS6detail17trampoline_kernelINS0_14default_configENS1_27lower_bound_config_selectorIiiEEZNS1_14transform_implILb0ES3_S5_N6thrust23THRUST_200600_302600_NS6detail15normal_iteratorINS8_10device_ptrIiEEEESD_ZNS1_13binary_searchIS3_S5_SD_SD_SD_NS1_21lower_bound_search_opENS9_16wrapped_functionINS0_4lessIvEEbEEEE10hipError_tPvRmT1_T2_T3_mmT4_T5_P12ihipStream_tbEUlRKiE_EESK_SO_SP_mSQ_ST_bEUlT_E_NS1_11comp_targetILNS1_3genE8ELNS1_11target_archE1030ELNS1_3gpuE2ELNS1_3repE0EEENS1_30default_config_static_selectorELNS0_4arch9wavefront6targetE1EEEvSN_.has_dyn_sized_stack, 0
	.set _ZN7rocprim17ROCPRIM_400000_NS6detail17trampoline_kernelINS0_14default_configENS1_27lower_bound_config_selectorIiiEEZNS1_14transform_implILb0ES3_S5_N6thrust23THRUST_200600_302600_NS6detail15normal_iteratorINS8_10device_ptrIiEEEESD_ZNS1_13binary_searchIS3_S5_SD_SD_SD_NS1_21lower_bound_search_opENS9_16wrapped_functionINS0_4lessIvEEbEEEE10hipError_tPvRmT1_T2_T3_mmT4_T5_P12ihipStream_tbEUlRKiE_EESK_SO_SP_mSQ_ST_bEUlT_E_NS1_11comp_targetILNS1_3genE8ELNS1_11target_archE1030ELNS1_3gpuE2ELNS1_3repE0EEENS1_30default_config_static_selectorELNS0_4arch9wavefront6targetE1EEEvSN_.has_recursion, 0
	.set _ZN7rocprim17ROCPRIM_400000_NS6detail17trampoline_kernelINS0_14default_configENS1_27lower_bound_config_selectorIiiEEZNS1_14transform_implILb0ES3_S5_N6thrust23THRUST_200600_302600_NS6detail15normal_iteratorINS8_10device_ptrIiEEEESD_ZNS1_13binary_searchIS3_S5_SD_SD_SD_NS1_21lower_bound_search_opENS9_16wrapped_functionINS0_4lessIvEEbEEEE10hipError_tPvRmT1_T2_T3_mmT4_T5_P12ihipStream_tbEUlRKiE_EESK_SO_SP_mSQ_ST_bEUlT_E_NS1_11comp_targetILNS1_3genE8ELNS1_11target_archE1030ELNS1_3gpuE2ELNS1_3repE0EEENS1_30default_config_static_selectorELNS0_4arch9wavefront6targetE1EEEvSN_.has_indirect_call, 0
	.section	.AMDGPU.csdata,"",@progbits
; Kernel info:
; codeLenInByte = 0
; TotalNumSgprs: 4
; NumVgprs: 0
; ScratchSize: 0
; MemoryBound: 0
; FloatMode: 240
; IeeeMode: 1
; LDSByteSize: 0 bytes/workgroup (compile time only)
; SGPRBlocks: 0
; VGPRBlocks: 0
; NumSGPRsForWavesPerEU: 4
; NumVGPRsForWavesPerEU: 1
; Occupancy: 10
; WaveLimiterHint : 0
; COMPUTE_PGM_RSRC2:SCRATCH_EN: 0
; COMPUTE_PGM_RSRC2:USER_SGPR: 6
; COMPUTE_PGM_RSRC2:TRAP_HANDLER: 0
; COMPUTE_PGM_RSRC2:TGID_X_EN: 1
; COMPUTE_PGM_RSRC2:TGID_Y_EN: 0
; COMPUTE_PGM_RSRC2:TGID_Z_EN: 0
; COMPUTE_PGM_RSRC2:TIDIG_COMP_CNT: 0
	.section	.text._ZN7rocprim17ROCPRIM_400000_NS6detail17trampoline_kernelINS0_14default_configENS1_22reduce_config_selectorIN6thrust23THRUST_200600_302600_NS5tupleIblNS6_9null_typeES8_S8_S8_S8_S8_S8_S8_EEEEZNS1_11reduce_implILb1ES3_PS9_SC_S9_NS6_11hip_rocprim9__find_if7functorIS9_EEEE10hipError_tPvRmT1_T2_T3_mT4_P12ihipStream_tbEUlT_E0_NS1_11comp_targetILNS1_3genE0ELNS1_11target_archE4294967295ELNS1_3gpuE0ELNS1_3repE0EEENS1_30default_config_static_selectorELNS0_4arch9wavefront6targetE1EEEvSK_,"axG",@progbits,_ZN7rocprim17ROCPRIM_400000_NS6detail17trampoline_kernelINS0_14default_configENS1_22reduce_config_selectorIN6thrust23THRUST_200600_302600_NS5tupleIblNS6_9null_typeES8_S8_S8_S8_S8_S8_S8_EEEEZNS1_11reduce_implILb1ES3_PS9_SC_S9_NS6_11hip_rocprim9__find_if7functorIS9_EEEE10hipError_tPvRmT1_T2_T3_mT4_P12ihipStream_tbEUlT_E0_NS1_11comp_targetILNS1_3genE0ELNS1_11target_archE4294967295ELNS1_3gpuE0ELNS1_3repE0EEENS1_30default_config_static_selectorELNS0_4arch9wavefront6targetE1EEEvSK_,comdat
	.protected	_ZN7rocprim17ROCPRIM_400000_NS6detail17trampoline_kernelINS0_14default_configENS1_22reduce_config_selectorIN6thrust23THRUST_200600_302600_NS5tupleIblNS6_9null_typeES8_S8_S8_S8_S8_S8_S8_EEEEZNS1_11reduce_implILb1ES3_PS9_SC_S9_NS6_11hip_rocprim9__find_if7functorIS9_EEEE10hipError_tPvRmT1_T2_T3_mT4_P12ihipStream_tbEUlT_E0_NS1_11comp_targetILNS1_3genE0ELNS1_11target_archE4294967295ELNS1_3gpuE0ELNS1_3repE0EEENS1_30default_config_static_selectorELNS0_4arch9wavefront6targetE1EEEvSK_ ; -- Begin function _ZN7rocprim17ROCPRIM_400000_NS6detail17trampoline_kernelINS0_14default_configENS1_22reduce_config_selectorIN6thrust23THRUST_200600_302600_NS5tupleIblNS6_9null_typeES8_S8_S8_S8_S8_S8_S8_EEEEZNS1_11reduce_implILb1ES3_PS9_SC_S9_NS6_11hip_rocprim9__find_if7functorIS9_EEEE10hipError_tPvRmT1_T2_T3_mT4_P12ihipStream_tbEUlT_E0_NS1_11comp_targetILNS1_3genE0ELNS1_11target_archE4294967295ELNS1_3gpuE0ELNS1_3repE0EEENS1_30default_config_static_selectorELNS0_4arch9wavefront6targetE1EEEvSK_
	.globl	_ZN7rocprim17ROCPRIM_400000_NS6detail17trampoline_kernelINS0_14default_configENS1_22reduce_config_selectorIN6thrust23THRUST_200600_302600_NS5tupleIblNS6_9null_typeES8_S8_S8_S8_S8_S8_S8_EEEEZNS1_11reduce_implILb1ES3_PS9_SC_S9_NS6_11hip_rocprim9__find_if7functorIS9_EEEE10hipError_tPvRmT1_T2_T3_mT4_P12ihipStream_tbEUlT_E0_NS1_11comp_targetILNS1_3genE0ELNS1_11target_archE4294967295ELNS1_3gpuE0ELNS1_3repE0EEENS1_30default_config_static_selectorELNS0_4arch9wavefront6targetE1EEEvSK_
	.p2align	8
	.type	_ZN7rocprim17ROCPRIM_400000_NS6detail17trampoline_kernelINS0_14default_configENS1_22reduce_config_selectorIN6thrust23THRUST_200600_302600_NS5tupleIblNS6_9null_typeES8_S8_S8_S8_S8_S8_S8_EEEEZNS1_11reduce_implILb1ES3_PS9_SC_S9_NS6_11hip_rocprim9__find_if7functorIS9_EEEE10hipError_tPvRmT1_T2_T3_mT4_P12ihipStream_tbEUlT_E0_NS1_11comp_targetILNS1_3genE0ELNS1_11target_archE4294967295ELNS1_3gpuE0ELNS1_3repE0EEENS1_30default_config_static_selectorELNS0_4arch9wavefront6targetE1EEEvSK_,@function
_ZN7rocprim17ROCPRIM_400000_NS6detail17trampoline_kernelINS0_14default_configENS1_22reduce_config_selectorIN6thrust23THRUST_200600_302600_NS5tupleIblNS6_9null_typeES8_S8_S8_S8_S8_S8_S8_EEEEZNS1_11reduce_implILb1ES3_PS9_SC_S9_NS6_11hip_rocprim9__find_if7functorIS9_EEEE10hipError_tPvRmT1_T2_T3_mT4_P12ihipStream_tbEUlT_E0_NS1_11comp_targetILNS1_3genE0ELNS1_11target_archE4294967295ELNS1_3gpuE0ELNS1_3repE0EEENS1_30default_config_static_selectorELNS0_4arch9wavefront6targetE1EEEvSK_: ; @_ZN7rocprim17ROCPRIM_400000_NS6detail17trampoline_kernelINS0_14default_configENS1_22reduce_config_selectorIN6thrust23THRUST_200600_302600_NS5tupleIblNS6_9null_typeES8_S8_S8_S8_S8_S8_S8_EEEEZNS1_11reduce_implILb1ES3_PS9_SC_S9_NS6_11hip_rocprim9__find_if7functorIS9_EEEE10hipError_tPvRmT1_T2_T3_mT4_P12ihipStream_tbEUlT_E0_NS1_11comp_targetILNS1_3genE0ELNS1_11target_archE4294967295ELNS1_3gpuE0ELNS1_3repE0EEENS1_30default_config_static_selectorELNS0_4arch9wavefront6targetE1EEEvSK_
; %bb.0:
	.section	.rodata,"a",@progbits
	.p2align	6, 0x0
	.amdhsa_kernel _ZN7rocprim17ROCPRIM_400000_NS6detail17trampoline_kernelINS0_14default_configENS1_22reduce_config_selectorIN6thrust23THRUST_200600_302600_NS5tupleIblNS6_9null_typeES8_S8_S8_S8_S8_S8_S8_EEEEZNS1_11reduce_implILb1ES3_PS9_SC_S9_NS6_11hip_rocprim9__find_if7functorIS9_EEEE10hipError_tPvRmT1_T2_T3_mT4_P12ihipStream_tbEUlT_E0_NS1_11comp_targetILNS1_3genE0ELNS1_11target_archE4294967295ELNS1_3gpuE0ELNS1_3repE0EEENS1_30default_config_static_selectorELNS0_4arch9wavefront6targetE1EEEvSK_
		.amdhsa_group_segment_fixed_size 0
		.amdhsa_private_segment_fixed_size 0
		.amdhsa_kernarg_size 72
		.amdhsa_user_sgpr_count 6
		.amdhsa_user_sgpr_private_segment_buffer 1
		.amdhsa_user_sgpr_dispatch_ptr 0
		.amdhsa_user_sgpr_queue_ptr 0
		.amdhsa_user_sgpr_kernarg_segment_ptr 1
		.amdhsa_user_sgpr_dispatch_id 0
		.amdhsa_user_sgpr_flat_scratch_init 0
		.amdhsa_user_sgpr_private_segment_size 0
		.amdhsa_uses_dynamic_stack 0
		.amdhsa_system_sgpr_private_segment_wavefront_offset 0
		.amdhsa_system_sgpr_workgroup_id_x 1
		.amdhsa_system_sgpr_workgroup_id_y 0
		.amdhsa_system_sgpr_workgroup_id_z 0
		.amdhsa_system_sgpr_workgroup_info 0
		.amdhsa_system_vgpr_workitem_id 0
		.amdhsa_next_free_vgpr 1
		.amdhsa_next_free_sgpr 0
		.amdhsa_reserve_vcc 0
		.amdhsa_reserve_flat_scratch 0
		.amdhsa_float_round_mode_32 0
		.amdhsa_float_round_mode_16_64 0
		.amdhsa_float_denorm_mode_32 3
		.amdhsa_float_denorm_mode_16_64 3
		.amdhsa_dx10_clamp 1
		.amdhsa_ieee_mode 1
		.amdhsa_fp16_overflow 0
		.amdhsa_exception_fp_ieee_invalid_op 0
		.amdhsa_exception_fp_denorm_src 0
		.amdhsa_exception_fp_ieee_div_zero 0
		.amdhsa_exception_fp_ieee_overflow 0
		.amdhsa_exception_fp_ieee_underflow 0
		.amdhsa_exception_fp_ieee_inexact 0
		.amdhsa_exception_int_div_zero 0
	.end_amdhsa_kernel
	.section	.text._ZN7rocprim17ROCPRIM_400000_NS6detail17trampoline_kernelINS0_14default_configENS1_22reduce_config_selectorIN6thrust23THRUST_200600_302600_NS5tupleIblNS6_9null_typeES8_S8_S8_S8_S8_S8_S8_EEEEZNS1_11reduce_implILb1ES3_PS9_SC_S9_NS6_11hip_rocprim9__find_if7functorIS9_EEEE10hipError_tPvRmT1_T2_T3_mT4_P12ihipStream_tbEUlT_E0_NS1_11comp_targetILNS1_3genE0ELNS1_11target_archE4294967295ELNS1_3gpuE0ELNS1_3repE0EEENS1_30default_config_static_selectorELNS0_4arch9wavefront6targetE1EEEvSK_,"axG",@progbits,_ZN7rocprim17ROCPRIM_400000_NS6detail17trampoline_kernelINS0_14default_configENS1_22reduce_config_selectorIN6thrust23THRUST_200600_302600_NS5tupleIblNS6_9null_typeES8_S8_S8_S8_S8_S8_S8_EEEEZNS1_11reduce_implILb1ES3_PS9_SC_S9_NS6_11hip_rocprim9__find_if7functorIS9_EEEE10hipError_tPvRmT1_T2_T3_mT4_P12ihipStream_tbEUlT_E0_NS1_11comp_targetILNS1_3genE0ELNS1_11target_archE4294967295ELNS1_3gpuE0ELNS1_3repE0EEENS1_30default_config_static_selectorELNS0_4arch9wavefront6targetE1EEEvSK_,comdat
.Lfunc_end450:
	.size	_ZN7rocprim17ROCPRIM_400000_NS6detail17trampoline_kernelINS0_14default_configENS1_22reduce_config_selectorIN6thrust23THRUST_200600_302600_NS5tupleIblNS6_9null_typeES8_S8_S8_S8_S8_S8_S8_EEEEZNS1_11reduce_implILb1ES3_PS9_SC_S9_NS6_11hip_rocprim9__find_if7functorIS9_EEEE10hipError_tPvRmT1_T2_T3_mT4_P12ihipStream_tbEUlT_E0_NS1_11comp_targetILNS1_3genE0ELNS1_11target_archE4294967295ELNS1_3gpuE0ELNS1_3repE0EEENS1_30default_config_static_selectorELNS0_4arch9wavefront6targetE1EEEvSK_, .Lfunc_end450-_ZN7rocprim17ROCPRIM_400000_NS6detail17trampoline_kernelINS0_14default_configENS1_22reduce_config_selectorIN6thrust23THRUST_200600_302600_NS5tupleIblNS6_9null_typeES8_S8_S8_S8_S8_S8_S8_EEEEZNS1_11reduce_implILb1ES3_PS9_SC_S9_NS6_11hip_rocprim9__find_if7functorIS9_EEEE10hipError_tPvRmT1_T2_T3_mT4_P12ihipStream_tbEUlT_E0_NS1_11comp_targetILNS1_3genE0ELNS1_11target_archE4294967295ELNS1_3gpuE0ELNS1_3repE0EEENS1_30default_config_static_selectorELNS0_4arch9wavefront6targetE1EEEvSK_
                                        ; -- End function
	.set _ZN7rocprim17ROCPRIM_400000_NS6detail17trampoline_kernelINS0_14default_configENS1_22reduce_config_selectorIN6thrust23THRUST_200600_302600_NS5tupleIblNS6_9null_typeES8_S8_S8_S8_S8_S8_S8_EEEEZNS1_11reduce_implILb1ES3_PS9_SC_S9_NS6_11hip_rocprim9__find_if7functorIS9_EEEE10hipError_tPvRmT1_T2_T3_mT4_P12ihipStream_tbEUlT_E0_NS1_11comp_targetILNS1_3genE0ELNS1_11target_archE4294967295ELNS1_3gpuE0ELNS1_3repE0EEENS1_30default_config_static_selectorELNS0_4arch9wavefront6targetE1EEEvSK_.num_vgpr, 0
	.set _ZN7rocprim17ROCPRIM_400000_NS6detail17trampoline_kernelINS0_14default_configENS1_22reduce_config_selectorIN6thrust23THRUST_200600_302600_NS5tupleIblNS6_9null_typeES8_S8_S8_S8_S8_S8_S8_EEEEZNS1_11reduce_implILb1ES3_PS9_SC_S9_NS6_11hip_rocprim9__find_if7functorIS9_EEEE10hipError_tPvRmT1_T2_T3_mT4_P12ihipStream_tbEUlT_E0_NS1_11comp_targetILNS1_3genE0ELNS1_11target_archE4294967295ELNS1_3gpuE0ELNS1_3repE0EEENS1_30default_config_static_selectorELNS0_4arch9wavefront6targetE1EEEvSK_.num_agpr, 0
	.set _ZN7rocprim17ROCPRIM_400000_NS6detail17trampoline_kernelINS0_14default_configENS1_22reduce_config_selectorIN6thrust23THRUST_200600_302600_NS5tupleIblNS6_9null_typeES8_S8_S8_S8_S8_S8_S8_EEEEZNS1_11reduce_implILb1ES3_PS9_SC_S9_NS6_11hip_rocprim9__find_if7functorIS9_EEEE10hipError_tPvRmT1_T2_T3_mT4_P12ihipStream_tbEUlT_E0_NS1_11comp_targetILNS1_3genE0ELNS1_11target_archE4294967295ELNS1_3gpuE0ELNS1_3repE0EEENS1_30default_config_static_selectorELNS0_4arch9wavefront6targetE1EEEvSK_.numbered_sgpr, 0
	.set _ZN7rocprim17ROCPRIM_400000_NS6detail17trampoline_kernelINS0_14default_configENS1_22reduce_config_selectorIN6thrust23THRUST_200600_302600_NS5tupleIblNS6_9null_typeES8_S8_S8_S8_S8_S8_S8_EEEEZNS1_11reduce_implILb1ES3_PS9_SC_S9_NS6_11hip_rocprim9__find_if7functorIS9_EEEE10hipError_tPvRmT1_T2_T3_mT4_P12ihipStream_tbEUlT_E0_NS1_11comp_targetILNS1_3genE0ELNS1_11target_archE4294967295ELNS1_3gpuE0ELNS1_3repE0EEENS1_30default_config_static_selectorELNS0_4arch9wavefront6targetE1EEEvSK_.num_named_barrier, 0
	.set _ZN7rocprim17ROCPRIM_400000_NS6detail17trampoline_kernelINS0_14default_configENS1_22reduce_config_selectorIN6thrust23THRUST_200600_302600_NS5tupleIblNS6_9null_typeES8_S8_S8_S8_S8_S8_S8_EEEEZNS1_11reduce_implILb1ES3_PS9_SC_S9_NS6_11hip_rocprim9__find_if7functorIS9_EEEE10hipError_tPvRmT1_T2_T3_mT4_P12ihipStream_tbEUlT_E0_NS1_11comp_targetILNS1_3genE0ELNS1_11target_archE4294967295ELNS1_3gpuE0ELNS1_3repE0EEENS1_30default_config_static_selectorELNS0_4arch9wavefront6targetE1EEEvSK_.private_seg_size, 0
	.set _ZN7rocprim17ROCPRIM_400000_NS6detail17trampoline_kernelINS0_14default_configENS1_22reduce_config_selectorIN6thrust23THRUST_200600_302600_NS5tupleIblNS6_9null_typeES8_S8_S8_S8_S8_S8_S8_EEEEZNS1_11reduce_implILb1ES3_PS9_SC_S9_NS6_11hip_rocprim9__find_if7functorIS9_EEEE10hipError_tPvRmT1_T2_T3_mT4_P12ihipStream_tbEUlT_E0_NS1_11comp_targetILNS1_3genE0ELNS1_11target_archE4294967295ELNS1_3gpuE0ELNS1_3repE0EEENS1_30default_config_static_selectorELNS0_4arch9wavefront6targetE1EEEvSK_.uses_vcc, 0
	.set _ZN7rocprim17ROCPRIM_400000_NS6detail17trampoline_kernelINS0_14default_configENS1_22reduce_config_selectorIN6thrust23THRUST_200600_302600_NS5tupleIblNS6_9null_typeES8_S8_S8_S8_S8_S8_S8_EEEEZNS1_11reduce_implILb1ES3_PS9_SC_S9_NS6_11hip_rocprim9__find_if7functorIS9_EEEE10hipError_tPvRmT1_T2_T3_mT4_P12ihipStream_tbEUlT_E0_NS1_11comp_targetILNS1_3genE0ELNS1_11target_archE4294967295ELNS1_3gpuE0ELNS1_3repE0EEENS1_30default_config_static_selectorELNS0_4arch9wavefront6targetE1EEEvSK_.uses_flat_scratch, 0
	.set _ZN7rocprim17ROCPRIM_400000_NS6detail17trampoline_kernelINS0_14default_configENS1_22reduce_config_selectorIN6thrust23THRUST_200600_302600_NS5tupleIblNS6_9null_typeES8_S8_S8_S8_S8_S8_S8_EEEEZNS1_11reduce_implILb1ES3_PS9_SC_S9_NS6_11hip_rocprim9__find_if7functorIS9_EEEE10hipError_tPvRmT1_T2_T3_mT4_P12ihipStream_tbEUlT_E0_NS1_11comp_targetILNS1_3genE0ELNS1_11target_archE4294967295ELNS1_3gpuE0ELNS1_3repE0EEENS1_30default_config_static_selectorELNS0_4arch9wavefront6targetE1EEEvSK_.has_dyn_sized_stack, 0
	.set _ZN7rocprim17ROCPRIM_400000_NS6detail17trampoline_kernelINS0_14default_configENS1_22reduce_config_selectorIN6thrust23THRUST_200600_302600_NS5tupleIblNS6_9null_typeES8_S8_S8_S8_S8_S8_S8_EEEEZNS1_11reduce_implILb1ES3_PS9_SC_S9_NS6_11hip_rocprim9__find_if7functorIS9_EEEE10hipError_tPvRmT1_T2_T3_mT4_P12ihipStream_tbEUlT_E0_NS1_11comp_targetILNS1_3genE0ELNS1_11target_archE4294967295ELNS1_3gpuE0ELNS1_3repE0EEENS1_30default_config_static_selectorELNS0_4arch9wavefront6targetE1EEEvSK_.has_recursion, 0
	.set _ZN7rocprim17ROCPRIM_400000_NS6detail17trampoline_kernelINS0_14default_configENS1_22reduce_config_selectorIN6thrust23THRUST_200600_302600_NS5tupleIblNS6_9null_typeES8_S8_S8_S8_S8_S8_S8_EEEEZNS1_11reduce_implILb1ES3_PS9_SC_S9_NS6_11hip_rocprim9__find_if7functorIS9_EEEE10hipError_tPvRmT1_T2_T3_mT4_P12ihipStream_tbEUlT_E0_NS1_11comp_targetILNS1_3genE0ELNS1_11target_archE4294967295ELNS1_3gpuE0ELNS1_3repE0EEENS1_30default_config_static_selectorELNS0_4arch9wavefront6targetE1EEEvSK_.has_indirect_call, 0
	.section	.AMDGPU.csdata,"",@progbits
; Kernel info:
; codeLenInByte = 0
; TotalNumSgprs: 4
; NumVgprs: 0
; ScratchSize: 0
; MemoryBound: 0
; FloatMode: 240
; IeeeMode: 1
; LDSByteSize: 0 bytes/workgroup (compile time only)
; SGPRBlocks: 0
; VGPRBlocks: 0
; NumSGPRsForWavesPerEU: 4
; NumVGPRsForWavesPerEU: 1
; Occupancy: 10
; WaveLimiterHint : 0
; COMPUTE_PGM_RSRC2:SCRATCH_EN: 0
; COMPUTE_PGM_RSRC2:USER_SGPR: 6
; COMPUTE_PGM_RSRC2:TRAP_HANDLER: 0
; COMPUTE_PGM_RSRC2:TGID_X_EN: 1
; COMPUTE_PGM_RSRC2:TGID_Y_EN: 0
; COMPUTE_PGM_RSRC2:TGID_Z_EN: 0
; COMPUTE_PGM_RSRC2:TIDIG_COMP_CNT: 0
	.section	.text._ZN7rocprim17ROCPRIM_400000_NS6detail17trampoline_kernelINS0_14default_configENS1_22reduce_config_selectorIN6thrust23THRUST_200600_302600_NS5tupleIblNS6_9null_typeES8_S8_S8_S8_S8_S8_S8_EEEEZNS1_11reduce_implILb1ES3_PS9_SC_S9_NS6_11hip_rocprim9__find_if7functorIS9_EEEE10hipError_tPvRmT1_T2_T3_mT4_P12ihipStream_tbEUlT_E0_NS1_11comp_targetILNS1_3genE5ELNS1_11target_archE942ELNS1_3gpuE9ELNS1_3repE0EEENS1_30default_config_static_selectorELNS0_4arch9wavefront6targetE1EEEvSK_,"axG",@progbits,_ZN7rocprim17ROCPRIM_400000_NS6detail17trampoline_kernelINS0_14default_configENS1_22reduce_config_selectorIN6thrust23THRUST_200600_302600_NS5tupleIblNS6_9null_typeES8_S8_S8_S8_S8_S8_S8_EEEEZNS1_11reduce_implILb1ES3_PS9_SC_S9_NS6_11hip_rocprim9__find_if7functorIS9_EEEE10hipError_tPvRmT1_T2_T3_mT4_P12ihipStream_tbEUlT_E0_NS1_11comp_targetILNS1_3genE5ELNS1_11target_archE942ELNS1_3gpuE9ELNS1_3repE0EEENS1_30default_config_static_selectorELNS0_4arch9wavefront6targetE1EEEvSK_,comdat
	.protected	_ZN7rocprim17ROCPRIM_400000_NS6detail17trampoline_kernelINS0_14default_configENS1_22reduce_config_selectorIN6thrust23THRUST_200600_302600_NS5tupleIblNS6_9null_typeES8_S8_S8_S8_S8_S8_S8_EEEEZNS1_11reduce_implILb1ES3_PS9_SC_S9_NS6_11hip_rocprim9__find_if7functorIS9_EEEE10hipError_tPvRmT1_T2_T3_mT4_P12ihipStream_tbEUlT_E0_NS1_11comp_targetILNS1_3genE5ELNS1_11target_archE942ELNS1_3gpuE9ELNS1_3repE0EEENS1_30default_config_static_selectorELNS0_4arch9wavefront6targetE1EEEvSK_ ; -- Begin function _ZN7rocprim17ROCPRIM_400000_NS6detail17trampoline_kernelINS0_14default_configENS1_22reduce_config_selectorIN6thrust23THRUST_200600_302600_NS5tupleIblNS6_9null_typeES8_S8_S8_S8_S8_S8_S8_EEEEZNS1_11reduce_implILb1ES3_PS9_SC_S9_NS6_11hip_rocprim9__find_if7functorIS9_EEEE10hipError_tPvRmT1_T2_T3_mT4_P12ihipStream_tbEUlT_E0_NS1_11comp_targetILNS1_3genE5ELNS1_11target_archE942ELNS1_3gpuE9ELNS1_3repE0EEENS1_30default_config_static_selectorELNS0_4arch9wavefront6targetE1EEEvSK_
	.globl	_ZN7rocprim17ROCPRIM_400000_NS6detail17trampoline_kernelINS0_14default_configENS1_22reduce_config_selectorIN6thrust23THRUST_200600_302600_NS5tupleIblNS6_9null_typeES8_S8_S8_S8_S8_S8_S8_EEEEZNS1_11reduce_implILb1ES3_PS9_SC_S9_NS6_11hip_rocprim9__find_if7functorIS9_EEEE10hipError_tPvRmT1_T2_T3_mT4_P12ihipStream_tbEUlT_E0_NS1_11comp_targetILNS1_3genE5ELNS1_11target_archE942ELNS1_3gpuE9ELNS1_3repE0EEENS1_30default_config_static_selectorELNS0_4arch9wavefront6targetE1EEEvSK_
	.p2align	8
	.type	_ZN7rocprim17ROCPRIM_400000_NS6detail17trampoline_kernelINS0_14default_configENS1_22reduce_config_selectorIN6thrust23THRUST_200600_302600_NS5tupleIblNS6_9null_typeES8_S8_S8_S8_S8_S8_S8_EEEEZNS1_11reduce_implILb1ES3_PS9_SC_S9_NS6_11hip_rocprim9__find_if7functorIS9_EEEE10hipError_tPvRmT1_T2_T3_mT4_P12ihipStream_tbEUlT_E0_NS1_11comp_targetILNS1_3genE5ELNS1_11target_archE942ELNS1_3gpuE9ELNS1_3repE0EEENS1_30default_config_static_selectorELNS0_4arch9wavefront6targetE1EEEvSK_,@function
_ZN7rocprim17ROCPRIM_400000_NS6detail17trampoline_kernelINS0_14default_configENS1_22reduce_config_selectorIN6thrust23THRUST_200600_302600_NS5tupleIblNS6_9null_typeES8_S8_S8_S8_S8_S8_S8_EEEEZNS1_11reduce_implILb1ES3_PS9_SC_S9_NS6_11hip_rocprim9__find_if7functorIS9_EEEE10hipError_tPvRmT1_T2_T3_mT4_P12ihipStream_tbEUlT_E0_NS1_11comp_targetILNS1_3genE5ELNS1_11target_archE942ELNS1_3gpuE9ELNS1_3repE0EEENS1_30default_config_static_selectorELNS0_4arch9wavefront6targetE1EEEvSK_: ; @_ZN7rocprim17ROCPRIM_400000_NS6detail17trampoline_kernelINS0_14default_configENS1_22reduce_config_selectorIN6thrust23THRUST_200600_302600_NS5tupleIblNS6_9null_typeES8_S8_S8_S8_S8_S8_S8_EEEEZNS1_11reduce_implILb1ES3_PS9_SC_S9_NS6_11hip_rocprim9__find_if7functorIS9_EEEE10hipError_tPvRmT1_T2_T3_mT4_P12ihipStream_tbEUlT_E0_NS1_11comp_targetILNS1_3genE5ELNS1_11target_archE942ELNS1_3gpuE9ELNS1_3repE0EEENS1_30default_config_static_selectorELNS0_4arch9wavefront6targetE1EEEvSK_
; %bb.0:
	.section	.rodata,"a",@progbits
	.p2align	6, 0x0
	.amdhsa_kernel _ZN7rocprim17ROCPRIM_400000_NS6detail17trampoline_kernelINS0_14default_configENS1_22reduce_config_selectorIN6thrust23THRUST_200600_302600_NS5tupleIblNS6_9null_typeES8_S8_S8_S8_S8_S8_S8_EEEEZNS1_11reduce_implILb1ES3_PS9_SC_S9_NS6_11hip_rocprim9__find_if7functorIS9_EEEE10hipError_tPvRmT1_T2_T3_mT4_P12ihipStream_tbEUlT_E0_NS1_11comp_targetILNS1_3genE5ELNS1_11target_archE942ELNS1_3gpuE9ELNS1_3repE0EEENS1_30default_config_static_selectorELNS0_4arch9wavefront6targetE1EEEvSK_
		.amdhsa_group_segment_fixed_size 0
		.amdhsa_private_segment_fixed_size 0
		.amdhsa_kernarg_size 72
		.amdhsa_user_sgpr_count 6
		.amdhsa_user_sgpr_private_segment_buffer 1
		.amdhsa_user_sgpr_dispatch_ptr 0
		.amdhsa_user_sgpr_queue_ptr 0
		.amdhsa_user_sgpr_kernarg_segment_ptr 1
		.amdhsa_user_sgpr_dispatch_id 0
		.amdhsa_user_sgpr_flat_scratch_init 0
		.amdhsa_user_sgpr_private_segment_size 0
		.amdhsa_uses_dynamic_stack 0
		.amdhsa_system_sgpr_private_segment_wavefront_offset 0
		.amdhsa_system_sgpr_workgroup_id_x 1
		.amdhsa_system_sgpr_workgroup_id_y 0
		.amdhsa_system_sgpr_workgroup_id_z 0
		.amdhsa_system_sgpr_workgroup_info 0
		.amdhsa_system_vgpr_workitem_id 0
		.amdhsa_next_free_vgpr 1
		.amdhsa_next_free_sgpr 0
		.amdhsa_reserve_vcc 0
		.amdhsa_reserve_flat_scratch 0
		.amdhsa_float_round_mode_32 0
		.amdhsa_float_round_mode_16_64 0
		.amdhsa_float_denorm_mode_32 3
		.amdhsa_float_denorm_mode_16_64 3
		.amdhsa_dx10_clamp 1
		.amdhsa_ieee_mode 1
		.amdhsa_fp16_overflow 0
		.amdhsa_exception_fp_ieee_invalid_op 0
		.amdhsa_exception_fp_denorm_src 0
		.amdhsa_exception_fp_ieee_div_zero 0
		.amdhsa_exception_fp_ieee_overflow 0
		.amdhsa_exception_fp_ieee_underflow 0
		.amdhsa_exception_fp_ieee_inexact 0
		.amdhsa_exception_int_div_zero 0
	.end_amdhsa_kernel
	.section	.text._ZN7rocprim17ROCPRIM_400000_NS6detail17trampoline_kernelINS0_14default_configENS1_22reduce_config_selectorIN6thrust23THRUST_200600_302600_NS5tupleIblNS6_9null_typeES8_S8_S8_S8_S8_S8_S8_EEEEZNS1_11reduce_implILb1ES3_PS9_SC_S9_NS6_11hip_rocprim9__find_if7functorIS9_EEEE10hipError_tPvRmT1_T2_T3_mT4_P12ihipStream_tbEUlT_E0_NS1_11comp_targetILNS1_3genE5ELNS1_11target_archE942ELNS1_3gpuE9ELNS1_3repE0EEENS1_30default_config_static_selectorELNS0_4arch9wavefront6targetE1EEEvSK_,"axG",@progbits,_ZN7rocprim17ROCPRIM_400000_NS6detail17trampoline_kernelINS0_14default_configENS1_22reduce_config_selectorIN6thrust23THRUST_200600_302600_NS5tupleIblNS6_9null_typeES8_S8_S8_S8_S8_S8_S8_EEEEZNS1_11reduce_implILb1ES3_PS9_SC_S9_NS6_11hip_rocprim9__find_if7functorIS9_EEEE10hipError_tPvRmT1_T2_T3_mT4_P12ihipStream_tbEUlT_E0_NS1_11comp_targetILNS1_3genE5ELNS1_11target_archE942ELNS1_3gpuE9ELNS1_3repE0EEENS1_30default_config_static_selectorELNS0_4arch9wavefront6targetE1EEEvSK_,comdat
.Lfunc_end451:
	.size	_ZN7rocprim17ROCPRIM_400000_NS6detail17trampoline_kernelINS0_14default_configENS1_22reduce_config_selectorIN6thrust23THRUST_200600_302600_NS5tupleIblNS6_9null_typeES8_S8_S8_S8_S8_S8_S8_EEEEZNS1_11reduce_implILb1ES3_PS9_SC_S9_NS6_11hip_rocprim9__find_if7functorIS9_EEEE10hipError_tPvRmT1_T2_T3_mT4_P12ihipStream_tbEUlT_E0_NS1_11comp_targetILNS1_3genE5ELNS1_11target_archE942ELNS1_3gpuE9ELNS1_3repE0EEENS1_30default_config_static_selectorELNS0_4arch9wavefront6targetE1EEEvSK_, .Lfunc_end451-_ZN7rocprim17ROCPRIM_400000_NS6detail17trampoline_kernelINS0_14default_configENS1_22reduce_config_selectorIN6thrust23THRUST_200600_302600_NS5tupleIblNS6_9null_typeES8_S8_S8_S8_S8_S8_S8_EEEEZNS1_11reduce_implILb1ES3_PS9_SC_S9_NS6_11hip_rocprim9__find_if7functorIS9_EEEE10hipError_tPvRmT1_T2_T3_mT4_P12ihipStream_tbEUlT_E0_NS1_11comp_targetILNS1_3genE5ELNS1_11target_archE942ELNS1_3gpuE9ELNS1_3repE0EEENS1_30default_config_static_selectorELNS0_4arch9wavefront6targetE1EEEvSK_
                                        ; -- End function
	.set _ZN7rocprim17ROCPRIM_400000_NS6detail17trampoline_kernelINS0_14default_configENS1_22reduce_config_selectorIN6thrust23THRUST_200600_302600_NS5tupleIblNS6_9null_typeES8_S8_S8_S8_S8_S8_S8_EEEEZNS1_11reduce_implILb1ES3_PS9_SC_S9_NS6_11hip_rocprim9__find_if7functorIS9_EEEE10hipError_tPvRmT1_T2_T3_mT4_P12ihipStream_tbEUlT_E0_NS1_11comp_targetILNS1_3genE5ELNS1_11target_archE942ELNS1_3gpuE9ELNS1_3repE0EEENS1_30default_config_static_selectorELNS0_4arch9wavefront6targetE1EEEvSK_.num_vgpr, 0
	.set _ZN7rocprim17ROCPRIM_400000_NS6detail17trampoline_kernelINS0_14default_configENS1_22reduce_config_selectorIN6thrust23THRUST_200600_302600_NS5tupleIblNS6_9null_typeES8_S8_S8_S8_S8_S8_S8_EEEEZNS1_11reduce_implILb1ES3_PS9_SC_S9_NS6_11hip_rocprim9__find_if7functorIS9_EEEE10hipError_tPvRmT1_T2_T3_mT4_P12ihipStream_tbEUlT_E0_NS1_11comp_targetILNS1_3genE5ELNS1_11target_archE942ELNS1_3gpuE9ELNS1_3repE0EEENS1_30default_config_static_selectorELNS0_4arch9wavefront6targetE1EEEvSK_.num_agpr, 0
	.set _ZN7rocprim17ROCPRIM_400000_NS6detail17trampoline_kernelINS0_14default_configENS1_22reduce_config_selectorIN6thrust23THRUST_200600_302600_NS5tupleIblNS6_9null_typeES8_S8_S8_S8_S8_S8_S8_EEEEZNS1_11reduce_implILb1ES3_PS9_SC_S9_NS6_11hip_rocprim9__find_if7functorIS9_EEEE10hipError_tPvRmT1_T2_T3_mT4_P12ihipStream_tbEUlT_E0_NS1_11comp_targetILNS1_3genE5ELNS1_11target_archE942ELNS1_3gpuE9ELNS1_3repE0EEENS1_30default_config_static_selectorELNS0_4arch9wavefront6targetE1EEEvSK_.numbered_sgpr, 0
	.set _ZN7rocprim17ROCPRIM_400000_NS6detail17trampoline_kernelINS0_14default_configENS1_22reduce_config_selectorIN6thrust23THRUST_200600_302600_NS5tupleIblNS6_9null_typeES8_S8_S8_S8_S8_S8_S8_EEEEZNS1_11reduce_implILb1ES3_PS9_SC_S9_NS6_11hip_rocprim9__find_if7functorIS9_EEEE10hipError_tPvRmT1_T2_T3_mT4_P12ihipStream_tbEUlT_E0_NS1_11comp_targetILNS1_3genE5ELNS1_11target_archE942ELNS1_3gpuE9ELNS1_3repE0EEENS1_30default_config_static_selectorELNS0_4arch9wavefront6targetE1EEEvSK_.num_named_barrier, 0
	.set _ZN7rocprim17ROCPRIM_400000_NS6detail17trampoline_kernelINS0_14default_configENS1_22reduce_config_selectorIN6thrust23THRUST_200600_302600_NS5tupleIblNS6_9null_typeES8_S8_S8_S8_S8_S8_S8_EEEEZNS1_11reduce_implILb1ES3_PS9_SC_S9_NS6_11hip_rocprim9__find_if7functorIS9_EEEE10hipError_tPvRmT1_T2_T3_mT4_P12ihipStream_tbEUlT_E0_NS1_11comp_targetILNS1_3genE5ELNS1_11target_archE942ELNS1_3gpuE9ELNS1_3repE0EEENS1_30default_config_static_selectorELNS0_4arch9wavefront6targetE1EEEvSK_.private_seg_size, 0
	.set _ZN7rocprim17ROCPRIM_400000_NS6detail17trampoline_kernelINS0_14default_configENS1_22reduce_config_selectorIN6thrust23THRUST_200600_302600_NS5tupleIblNS6_9null_typeES8_S8_S8_S8_S8_S8_S8_EEEEZNS1_11reduce_implILb1ES3_PS9_SC_S9_NS6_11hip_rocprim9__find_if7functorIS9_EEEE10hipError_tPvRmT1_T2_T3_mT4_P12ihipStream_tbEUlT_E0_NS1_11comp_targetILNS1_3genE5ELNS1_11target_archE942ELNS1_3gpuE9ELNS1_3repE0EEENS1_30default_config_static_selectorELNS0_4arch9wavefront6targetE1EEEvSK_.uses_vcc, 0
	.set _ZN7rocprim17ROCPRIM_400000_NS6detail17trampoline_kernelINS0_14default_configENS1_22reduce_config_selectorIN6thrust23THRUST_200600_302600_NS5tupleIblNS6_9null_typeES8_S8_S8_S8_S8_S8_S8_EEEEZNS1_11reduce_implILb1ES3_PS9_SC_S9_NS6_11hip_rocprim9__find_if7functorIS9_EEEE10hipError_tPvRmT1_T2_T3_mT4_P12ihipStream_tbEUlT_E0_NS1_11comp_targetILNS1_3genE5ELNS1_11target_archE942ELNS1_3gpuE9ELNS1_3repE0EEENS1_30default_config_static_selectorELNS0_4arch9wavefront6targetE1EEEvSK_.uses_flat_scratch, 0
	.set _ZN7rocprim17ROCPRIM_400000_NS6detail17trampoline_kernelINS0_14default_configENS1_22reduce_config_selectorIN6thrust23THRUST_200600_302600_NS5tupleIblNS6_9null_typeES8_S8_S8_S8_S8_S8_S8_EEEEZNS1_11reduce_implILb1ES3_PS9_SC_S9_NS6_11hip_rocprim9__find_if7functorIS9_EEEE10hipError_tPvRmT1_T2_T3_mT4_P12ihipStream_tbEUlT_E0_NS1_11comp_targetILNS1_3genE5ELNS1_11target_archE942ELNS1_3gpuE9ELNS1_3repE0EEENS1_30default_config_static_selectorELNS0_4arch9wavefront6targetE1EEEvSK_.has_dyn_sized_stack, 0
	.set _ZN7rocprim17ROCPRIM_400000_NS6detail17trampoline_kernelINS0_14default_configENS1_22reduce_config_selectorIN6thrust23THRUST_200600_302600_NS5tupleIblNS6_9null_typeES8_S8_S8_S8_S8_S8_S8_EEEEZNS1_11reduce_implILb1ES3_PS9_SC_S9_NS6_11hip_rocprim9__find_if7functorIS9_EEEE10hipError_tPvRmT1_T2_T3_mT4_P12ihipStream_tbEUlT_E0_NS1_11comp_targetILNS1_3genE5ELNS1_11target_archE942ELNS1_3gpuE9ELNS1_3repE0EEENS1_30default_config_static_selectorELNS0_4arch9wavefront6targetE1EEEvSK_.has_recursion, 0
	.set _ZN7rocprim17ROCPRIM_400000_NS6detail17trampoline_kernelINS0_14default_configENS1_22reduce_config_selectorIN6thrust23THRUST_200600_302600_NS5tupleIblNS6_9null_typeES8_S8_S8_S8_S8_S8_S8_EEEEZNS1_11reduce_implILb1ES3_PS9_SC_S9_NS6_11hip_rocprim9__find_if7functorIS9_EEEE10hipError_tPvRmT1_T2_T3_mT4_P12ihipStream_tbEUlT_E0_NS1_11comp_targetILNS1_3genE5ELNS1_11target_archE942ELNS1_3gpuE9ELNS1_3repE0EEENS1_30default_config_static_selectorELNS0_4arch9wavefront6targetE1EEEvSK_.has_indirect_call, 0
	.section	.AMDGPU.csdata,"",@progbits
; Kernel info:
; codeLenInByte = 0
; TotalNumSgprs: 4
; NumVgprs: 0
; ScratchSize: 0
; MemoryBound: 0
; FloatMode: 240
; IeeeMode: 1
; LDSByteSize: 0 bytes/workgroup (compile time only)
; SGPRBlocks: 0
; VGPRBlocks: 0
; NumSGPRsForWavesPerEU: 4
; NumVGPRsForWavesPerEU: 1
; Occupancy: 10
; WaveLimiterHint : 0
; COMPUTE_PGM_RSRC2:SCRATCH_EN: 0
; COMPUTE_PGM_RSRC2:USER_SGPR: 6
; COMPUTE_PGM_RSRC2:TRAP_HANDLER: 0
; COMPUTE_PGM_RSRC2:TGID_X_EN: 1
; COMPUTE_PGM_RSRC2:TGID_Y_EN: 0
; COMPUTE_PGM_RSRC2:TGID_Z_EN: 0
; COMPUTE_PGM_RSRC2:TIDIG_COMP_CNT: 0
	.section	.text._ZN7rocprim17ROCPRIM_400000_NS6detail17trampoline_kernelINS0_14default_configENS1_22reduce_config_selectorIN6thrust23THRUST_200600_302600_NS5tupleIblNS6_9null_typeES8_S8_S8_S8_S8_S8_S8_EEEEZNS1_11reduce_implILb1ES3_PS9_SC_S9_NS6_11hip_rocprim9__find_if7functorIS9_EEEE10hipError_tPvRmT1_T2_T3_mT4_P12ihipStream_tbEUlT_E0_NS1_11comp_targetILNS1_3genE4ELNS1_11target_archE910ELNS1_3gpuE8ELNS1_3repE0EEENS1_30default_config_static_selectorELNS0_4arch9wavefront6targetE1EEEvSK_,"axG",@progbits,_ZN7rocprim17ROCPRIM_400000_NS6detail17trampoline_kernelINS0_14default_configENS1_22reduce_config_selectorIN6thrust23THRUST_200600_302600_NS5tupleIblNS6_9null_typeES8_S8_S8_S8_S8_S8_S8_EEEEZNS1_11reduce_implILb1ES3_PS9_SC_S9_NS6_11hip_rocprim9__find_if7functorIS9_EEEE10hipError_tPvRmT1_T2_T3_mT4_P12ihipStream_tbEUlT_E0_NS1_11comp_targetILNS1_3genE4ELNS1_11target_archE910ELNS1_3gpuE8ELNS1_3repE0EEENS1_30default_config_static_selectorELNS0_4arch9wavefront6targetE1EEEvSK_,comdat
	.protected	_ZN7rocprim17ROCPRIM_400000_NS6detail17trampoline_kernelINS0_14default_configENS1_22reduce_config_selectorIN6thrust23THRUST_200600_302600_NS5tupleIblNS6_9null_typeES8_S8_S8_S8_S8_S8_S8_EEEEZNS1_11reduce_implILb1ES3_PS9_SC_S9_NS6_11hip_rocprim9__find_if7functorIS9_EEEE10hipError_tPvRmT1_T2_T3_mT4_P12ihipStream_tbEUlT_E0_NS1_11comp_targetILNS1_3genE4ELNS1_11target_archE910ELNS1_3gpuE8ELNS1_3repE0EEENS1_30default_config_static_selectorELNS0_4arch9wavefront6targetE1EEEvSK_ ; -- Begin function _ZN7rocprim17ROCPRIM_400000_NS6detail17trampoline_kernelINS0_14default_configENS1_22reduce_config_selectorIN6thrust23THRUST_200600_302600_NS5tupleIblNS6_9null_typeES8_S8_S8_S8_S8_S8_S8_EEEEZNS1_11reduce_implILb1ES3_PS9_SC_S9_NS6_11hip_rocprim9__find_if7functorIS9_EEEE10hipError_tPvRmT1_T2_T3_mT4_P12ihipStream_tbEUlT_E0_NS1_11comp_targetILNS1_3genE4ELNS1_11target_archE910ELNS1_3gpuE8ELNS1_3repE0EEENS1_30default_config_static_selectorELNS0_4arch9wavefront6targetE1EEEvSK_
	.globl	_ZN7rocprim17ROCPRIM_400000_NS6detail17trampoline_kernelINS0_14default_configENS1_22reduce_config_selectorIN6thrust23THRUST_200600_302600_NS5tupleIblNS6_9null_typeES8_S8_S8_S8_S8_S8_S8_EEEEZNS1_11reduce_implILb1ES3_PS9_SC_S9_NS6_11hip_rocprim9__find_if7functorIS9_EEEE10hipError_tPvRmT1_T2_T3_mT4_P12ihipStream_tbEUlT_E0_NS1_11comp_targetILNS1_3genE4ELNS1_11target_archE910ELNS1_3gpuE8ELNS1_3repE0EEENS1_30default_config_static_selectorELNS0_4arch9wavefront6targetE1EEEvSK_
	.p2align	8
	.type	_ZN7rocprim17ROCPRIM_400000_NS6detail17trampoline_kernelINS0_14default_configENS1_22reduce_config_selectorIN6thrust23THRUST_200600_302600_NS5tupleIblNS6_9null_typeES8_S8_S8_S8_S8_S8_S8_EEEEZNS1_11reduce_implILb1ES3_PS9_SC_S9_NS6_11hip_rocprim9__find_if7functorIS9_EEEE10hipError_tPvRmT1_T2_T3_mT4_P12ihipStream_tbEUlT_E0_NS1_11comp_targetILNS1_3genE4ELNS1_11target_archE910ELNS1_3gpuE8ELNS1_3repE0EEENS1_30default_config_static_selectorELNS0_4arch9wavefront6targetE1EEEvSK_,@function
_ZN7rocprim17ROCPRIM_400000_NS6detail17trampoline_kernelINS0_14default_configENS1_22reduce_config_selectorIN6thrust23THRUST_200600_302600_NS5tupleIblNS6_9null_typeES8_S8_S8_S8_S8_S8_S8_EEEEZNS1_11reduce_implILb1ES3_PS9_SC_S9_NS6_11hip_rocprim9__find_if7functorIS9_EEEE10hipError_tPvRmT1_T2_T3_mT4_P12ihipStream_tbEUlT_E0_NS1_11comp_targetILNS1_3genE4ELNS1_11target_archE910ELNS1_3gpuE8ELNS1_3repE0EEENS1_30default_config_static_selectorELNS0_4arch9wavefront6targetE1EEEvSK_: ; @_ZN7rocprim17ROCPRIM_400000_NS6detail17trampoline_kernelINS0_14default_configENS1_22reduce_config_selectorIN6thrust23THRUST_200600_302600_NS5tupleIblNS6_9null_typeES8_S8_S8_S8_S8_S8_S8_EEEEZNS1_11reduce_implILb1ES3_PS9_SC_S9_NS6_11hip_rocprim9__find_if7functorIS9_EEEE10hipError_tPvRmT1_T2_T3_mT4_P12ihipStream_tbEUlT_E0_NS1_11comp_targetILNS1_3genE4ELNS1_11target_archE910ELNS1_3gpuE8ELNS1_3repE0EEENS1_30default_config_static_selectorELNS0_4arch9wavefront6targetE1EEEvSK_
; %bb.0:
	.section	.rodata,"a",@progbits
	.p2align	6, 0x0
	.amdhsa_kernel _ZN7rocprim17ROCPRIM_400000_NS6detail17trampoline_kernelINS0_14default_configENS1_22reduce_config_selectorIN6thrust23THRUST_200600_302600_NS5tupleIblNS6_9null_typeES8_S8_S8_S8_S8_S8_S8_EEEEZNS1_11reduce_implILb1ES3_PS9_SC_S9_NS6_11hip_rocprim9__find_if7functorIS9_EEEE10hipError_tPvRmT1_T2_T3_mT4_P12ihipStream_tbEUlT_E0_NS1_11comp_targetILNS1_3genE4ELNS1_11target_archE910ELNS1_3gpuE8ELNS1_3repE0EEENS1_30default_config_static_selectorELNS0_4arch9wavefront6targetE1EEEvSK_
		.amdhsa_group_segment_fixed_size 0
		.amdhsa_private_segment_fixed_size 0
		.amdhsa_kernarg_size 72
		.amdhsa_user_sgpr_count 6
		.amdhsa_user_sgpr_private_segment_buffer 1
		.amdhsa_user_sgpr_dispatch_ptr 0
		.amdhsa_user_sgpr_queue_ptr 0
		.amdhsa_user_sgpr_kernarg_segment_ptr 1
		.amdhsa_user_sgpr_dispatch_id 0
		.amdhsa_user_sgpr_flat_scratch_init 0
		.amdhsa_user_sgpr_private_segment_size 0
		.amdhsa_uses_dynamic_stack 0
		.amdhsa_system_sgpr_private_segment_wavefront_offset 0
		.amdhsa_system_sgpr_workgroup_id_x 1
		.amdhsa_system_sgpr_workgroup_id_y 0
		.amdhsa_system_sgpr_workgroup_id_z 0
		.amdhsa_system_sgpr_workgroup_info 0
		.amdhsa_system_vgpr_workitem_id 0
		.amdhsa_next_free_vgpr 1
		.amdhsa_next_free_sgpr 0
		.amdhsa_reserve_vcc 0
		.amdhsa_reserve_flat_scratch 0
		.amdhsa_float_round_mode_32 0
		.amdhsa_float_round_mode_16_64 0
		.amdhsa_float_denorm_mode_32 3
		.amdhsa_float_denorm_mode_16_64 3
		.amdhsa_dx10_clamp 1
		.amdhsa_ieee_mode 1
		.amdhsa_fp16_overflow 0
		.amdhsa_exception_fp_ieee_invalid_op 0
		.amdhsa_exception_fp_denorm_src 0
		.amdhsa_exception_fp_ieee_div_zero 0
		.amdhsa_exception_fp_ieee_overflow 0
		.amdhsa_exception_fp_ieee_underflow 0
		.amdhsa_exception_fp_ieee_inexact 0
		.amdhsa_exception_int_div_zero 0
	.end_amdhsa_kernel
	.section	.text._ZN7rocprim17ROCPRIM_400000_NS6detail17trampoline_kernelINS0_14default_configENS1_22reduce_config_selectorIN6thrust23THRUST_200600_302600_NS5tupleIblNS6_9null_typeES8_S8_S8_S8_S8_S8_S8_EEEEZNS1_11reduce_implILb1ES3_PS9_SC_S9_NS6_11hip_rocprim9__find_if7functorIS9_EEEE10hipError_tPvRmT1_T2_T3_mT4_P12ihipStream_tbEUlT_E0_NS1_11comp_targetILNS1_3genE4ELNS1_11target_archE910ELNS1_3gpuE8ELNS1_3repE0EEENS1_30default_config_static_selectorELNS0_4arch9wavefront6targetE1EEEvSK_,"axG",@progbits,_ZN7rocprim17ROCPRIM_400000_NS6detail17trampoline_kernelINS0_14default_configENS1_22reduce_config_selectorIN6thrust23THRUST_200600_302600_NS5tupleIblNS6_9null_typeES8_S8_S8_S8_S8_S8_S8_EEEEZNS1_11reduce_implILb1ES3_PS9_SC_S9_NS6_11hip_rocprim9__find_if7functorIS9_EEEE10hipError_tPvRmT1_T2_T3_mT4_P12ihipStream_tbEUlT_E0_NS1_11comp_targetILNS1_3genE4ELNS1_11target_archE910ELNS1_3gpuE8ELNS1_3repE0EEENS1_30default_config_static_selectorELNS0_4arch9wavefront6targetE1EEEvSK_,comdat
.Lfunc_end452:
	.size	_ZN7rocprim17ROCPRIM_400000_NS6detail17trampoline_kernelINS0_14default_configENS1_22reduce_config_selectorIN6thrust23THRUST_200600_302600_NS5tupleIblNS6_9null_typeES8_S8_S8_S8_S8_S8_S8_EEEEZNS1_11reduce_implILb1ES3_PS9_SC_S9_NS6_11hip_rocprim9__find_if7functorIS9_EEEE10hipError_tPvRmT1_T2_T3_mT4_P12ihipStream_tbEUlT_E0_NS1_11comp_targetILNS1_3genE4ELNS1_11target_archE910ELNS1_3gpuE8ELNS1_3repE0EEENS1_30default_config_static_selectorELNS0_4arch9wavefront6targetE1EEEvSK_, .Lfunc_end452-_ZN7rocprim17ROCPRIM_400000_NS6detail17trampoline_kernelINS0_14default_configENS1_22reduce_config_selectorIN6thrust23THRUST_200600_302600_NS5tupleIblNS6_9null_typeES8_S8_S8_S8_S8_S8_S8_EEEEZNS1_11reduce_implILb1ES3_PS9_SC_S9_NS6_11hip_rocprim9__find_if7functorIS9_EEEE10hipError_tPvRmT1_T2_T3_mT4_P12ihipStream_tbEUlT_E0_NS1_11comp_targetILNS1_3genE4ELNS1_11target_archE910ELNS1_3gpuE8ELNS1_3repE0EEENS1_30default_config_static_selectorELNS0_4arch9wavefront6targetE1EEEvSK_
                                        ; -- End function
	.set _ZN7rocprim17ROCPRIM_400000_NS6detail17trampoline_kernelINS0_14default_configENS1_22reduce_config_selectorIN6thrust23THRUST_200600_302600_NS5tupleIblNS6_9null_typeES8_S8_S8_S8_S8_S8_S8_EEEEZNS1_11reduce_implILb1ES3_PS9_SC_S9_NS6_11hip_rocprim9__find_if7functorIS9_EEEE10hipError_tPvRmT1_T2_T3_mT4_P12ihipStream_tbEUlT_E0_NS1_11comp_targetILNS1_3genE4ELNS1_11target_archE910ELNS1_3gpuE8ELNS1_3repE0EEENS1_30default_config_static_selectorELNS0_4arch9wavefront6targetE1EEEvSK_.num_vgpr, 0
	.set _ZN7rocprim17ROCPRIM_400000_NS6detail17trampoline_kernelINS0_14default_configENS1_22reduce_config_selectorIN6thrust23THRUST_200600_302600_NS5tupleIblNS6_9null_typeES8_S8_S8_S8_S8_S8_S8_EEEEZNS1_11reduce_implILb1ES3_PS9_SC_S9_NS6_11hip_rocprim9__find_if7functorIS9_EEEE10hipError_tPvRmT1_T2_T3_mT4_P12ihipStream_tbEUlT_E0_NS1_11comp_targetILNS1_3genE4ELNS1_11target_archE910ELNS1_3gpuE8ELNS1_3repE0EEENS1_30default_config_static_selectorELNS0_4arch9wavefront6targetE1EEEvSK_.num_agpr, 0
	.set _ZN7rocprim17ROCPRIM_400000_NS6detail17trampoline_kernelINS0_14default_configENS1_22reduce_config_selectorIN6thrust23THRUST_200600_302600_NS5tupleIblNS6_9null_typeES8_S8_S8_S8_S8_S8_S8_EEEEZNS1_11reduce_implILb1ES3_PS9_SC_S9_NS6_11hip_rocprim9__find_if7functorIS9_EEEE10hipError_tPvRmT1_T2_T3_mT4_P12ihipStream_tbEUlT_E0_NS1_11comp_targetILNS1_3genE4ELNS1_11target_archE910ELNS1_3gpuE8ELNS1_3repE0EEENS1_30default_config_static_selectorELNS0_4arch9wavefront6targetE1EEEvSK_.numbered_sgpr, 0
	.set _ZN7rocprim17ROCPRIM_400000_NS6detail17trampoline_kernelINS0_14default_configENS1_22reduce_config_selectorIN6thrust23THRUST_200600_302600_NS5tupleIblNS6_9null_typeES8_S8_S8_S8_S8_S8_S8_EEEEZNS1_11reduce_implILb1ES3_PS9_SC_S9_NS6_11hip_rocprim9__find_if7functorIS9_EEEE10hipError_tPvRmT1_T2_T3_mT4_P12ihipStream_tbEUlT_E0_NS1_11comp_targetILNS1_3genE4ELNS1_11target_archE910ELNS1_3gpuE8ELNS1_3repE0EEENS1_30default_config_static_selectorELNS0_4arch9wavefront6targetE1EEEvSK_.num_named_barrier, 0
	.set _ZN7rocprim17ROCPRIM_400000_NS6detail17trampoline_kernelINS0_14default_configENS1_22reduce_config_selectorIN6thrust23THRUST_200600_302600_NS5tupleIblNS6_9null_typeES8_S8_S8_S8_S8_S8_S8_EEEEZNS1_11reduce_implILb1ES3_PS9_SC_S9_NS6_11hip_rocprim9__find_if7functorIS9_EEEE10hipError_tPvRmT1_T2_T3_mT4_P12ihipStream_tbEUlT_E0_NS1_11comp_targetILNS1_3genE4ELNS1_11target_archE910ELNS1_3gpuE8ELNS1_3repE0EEENS1_30default_config_static_selectorELNS0_4arch9wavefront6targetE1EEEvSK_.private_seg_size, 0
	.set _ZN7rocprim17ROCPRIM_400000_NS6detail17trampoline_kernelINS0_14default_configENS1_22reduce_config_selectorIN6thrust23THRUST_200600_302600_NS5tupleIblNS6_9null_typeES8_S8_S8_S8_S8_S8_S8_EEEEZNS1_11reduce_implILb1ES3_PS9_SC_S9_NS6_11hip_rocprim9__find_if7functorIS9_EEEE10hipError_tPvRmT1_T2_T3_mT4_P12ihipStream_tbEUlT_E0_NS1_11comp_targetILNS1_3genE4ELNS1_11target_archE910ELNS1_3gpuE8ELNS1_3repE0EEENS1_30default_config_static_selectorELNS0_4arch9wavefront6targetE1EEEvSK_.uses_vcc, 0
	.set _ZN7rocprim17ROCPRIM_400000_NS6detail17trampoline_kernelINS0_14default_configENS1_22reduce_config_selectorIN6thrust23THRUST_200600_302600_NS5tupleIblNS6_9null_typeES8_S8_S8_S8_S8_S8_S8_EEEEZNS1_11reduce_implILb1ES3_PS9_SC_S9_NS6_11hip_rocprim9__find_if7functorIS9_EEEE10hipError_tPvRmT1_T2_T3_mT4_P12ihipStream_tbEUlT_E0_NS1_11comp_targetILNS1_3genE4ELNS1_11target_archE910ELNS1_3gpuE8ELNS1_3repE0EEENS1_30default_config_static_selectorELNS0_4arch9wavefront6targetE1EEEvSK_.uses_flat_scratch, 0
	.set _ZN7rocprim17ROCPRIM_400000_NS6detail17trampoline_kernelINS0_14default_configENS1_22reduce_config_selectorIN6thrust23THRUST_200600_302600_NS5tupleIblNS6_9null_typeES8_S8_S8_S8_S8_S8_S8_EEEEZNS1_11reduce_implILb1ES3_PS9_SC_S9_NS6_11hip_rocprim9__find_if7functorIS9_EEEE10hipError_tPvRmT1_T2_T3_mT4_P12ihipStream_tbEUlT_E0_NS1_11comp_targetILNS1_3genE4ELNS1_11target_archE910ELNS1_3gpuE8ELNS1_3repE0EEENS1_30default_config_static_selectorELNS0_4arch9wavefront6targetE1EEEvSK_.has_dyn_sized_stack, 0
	.set _ZN7rocprim17ROCPRIM_400000_NS6detail17trampoline_kernelINS0_14default_configENS1_22reduce_config_selectorIN6thrust23THRUST_200600_302600_NS5tupleIblNS6_9null_typeES8_S8_S8_S8_S8_S8_S8_EEEEZNS1_11reduce_implILb1ES3_PS9_SC_S9_NS6_11hip_rocprim9__find_if7functorIS9_EEEE10hipError_tPvRmT1_T2_T3_mT4_P12ihipStream_tbEUlT_E0_NS1_11comp_targetILNS1_3genE4ELNS1_11target_archE910ELNS1_3gpuE8ELNS1_3repE0EEENS1_30default_config_static_selectorELNS0_4arch9wavefront6targetE1EEEvSK_.has_recursion, 0
	.set _ZN7rocprim17ROCPRIM_400000_NS6detail17trampoline_kernelINS0_14default_configENS1_22reduce_config_selectorIN6thrust23THRUST_200600_302600_NS5tupleIblNS6_9null_typeES8_S8_S8_S8_S8_S8_S8_EEEEZNS1_11reduce_implILb1ES3_PS9_SC_S9_NS6_11hip_rocprim9__find_if7functorIS9_EEEE10hipError_tPvRmT1_T2_T3_mT4_P12ihipStream_tbEUlT_E0_NS1_11comp_targetILNS1_3genE4ELNS1_11target_archE910ELNS1_3gpuE8ELNS1_3repE0EEENS1_30default_config_static_selectorELNS0_4arch9wavefront6targetE1EEEvSK_.has_indirect_call, 0
	.section	.AMDGPU.csdata,"",@progbits
; Kernel info:
; codeLenInByte = 0
; TotalNumSgprs: 4
; NumVgprs: 0
; ScratchSize: 0
; MemoryBound: 0
; FloatMode: 240
; IeeeMode: 1
; LDSByteSize: 0 bytes/workgroup (compile time only)
; SGPRBlocks: 0
; VGPRBlocks: 0
; NumSGPRsForWavesPerEU: 4
; NumVGPRsForWavesPerEU: 1
; Occupancy: 10
; WaveLimiterHint : 0
; COMPUTE_PGM_RSRC2:SCRATCH_EN: 0
; COMPUTE_PGM_RSRC2:USER_SGPR: 6
; COMPUTE_PGM_RSRC2:TRAP_HANDLER: 0
; COMPUTE_PGM_RSRC2:TGID_X_EN: 1
; COMPUTE_PGM_RSRC2:TGID_Y_EN: 0
; COMPUTE_PGM_RSRC2:TGID_Z_EN: 0
; COMPUTE_PGM_RSRC2:TIDIG_COMP_CNT: 0
	.section	.text._ZN7rocprim17ROCPRIM_400000_NS6detail17trampoline_kernelINS0_14default_configENS1_22reduce_config_selectorIN6thrust23THRUST_200600_302600_NS5tupleIblNS6_9null_typeES8_S8_S8_S8_S8_S8_S8_EEEEZNS1_11reduce_implILb1ES3_PS9_SC_S9_NS6_11hip_rocprim9__find_if7functorIS9_EEEE10hipError_tPvRmT1_T2_T3_mT4_P12ihipStream_tbEUlT_E0_NS1_11comp_targetILNS1_3genE3ELNS1_11target_archE908ELNS1_3gpuE7ELNS1_3repE0EEENS1_30default_config_static_selectorELNS0_4arch9wavefront6targetE1EEEvSK_,"axG",@progbits,_ZN7rocprim17ROCPRIM_400000_NS6detail17trampoline_kernelINS0_14default_configENS1_22reduce_config_selectorIN6thrust23THRUST_200600_302600_NS5tupleIblNS6_9null_typeES8_S8_S8_S8_S8_S8_S8_EEEEZNS1_11reduce_implILb1ES3_PS9_SC_S9_NS6_11hip_rocprim9__find_if7functorIS9_EEEE10hipError_tPvRmT1_T2_T3_mT4_P12ihipStream_tbEUlT_E0_NS1_11comp_targetILNS1_3genE3ELNS1_11target_archE908ELNS1_3gpuE7ELNS1_3repE0EEENS1_30default_config_static_selectorELNS0_4arch9wavefront6targetE1EEEvSK_,comdat
	.protected	_ZN7rocprim17ROCPRIM_400000_NS6detail17trampoline_kernelINS0_14default_configENS1_22reduce_config_selectorIN6thrust23THRUST_200600_302600_NS5tupleIblNS6_9null_typeES8_S8_S8_S8_S8_S8_S8_EEEEZNS1_11reduce_implILb1ES3_PS9_SC_S9_NS6_11hip_rocprim9__find_if7functorIS9_EEEE10hipError_tPvRmT1_T2_T3_mT4_P12ihipStream_tbEUlT_E0_NS1_11comp_targetILNS1_3genE3ELNS1_11target_archE908ELNS1_3gpuE7ELNS1_3repE0EEENS1_30default_config_static_selectorELNS0_4arch9wavefront6targetE1EEEvSK_ ; -- Begin function _ZN7rocprim17ROCPRIM_400000_NS6detail17trampoline_kernelINS0_14default_configENS1_22reduce_config_selectorIN6thrust23THRUST_200600_302600_NS5tupleIblNS6_9null_typeES8_S8_S8_S8_S8_S8_S8_EEEEZNS1_11reduce_implILb1ES3_PS9_SC_S9_NS6_11hip_rocprim9__find_if7functorIS9_EEEE10hipError_tPvRmT1_T2_T3_mT4_P12ihipStream_tbEUlT_E0_NS1_11comp_targetILNS1_3genE3ELNS1_11target_archE908ELNS1_3gpuE7ELNS1_3repE0EEENS1_30default_config_static_selectorELNS0_4arch9wavefront6targetE1EEEvSK_
	.globl	_ZN7rocprim17ROCPRIM_400000_NS6detail17trampoline_kernelINS0_14default_configENS1_22reduce_config_selectorIN6thrust23THRUST_200600_302600_NS5tupleIblNS6_9null_typeES8_S8_S8_S8_S8_S8_S8_EEEEZNS1_11reduce_implILb1ES3_PS9_SC_S9_NS6_11hip_rocprim9__find_if7functorIS9_EEEE10hipError_tPvRmT1_T2_T3_mT4_P12ihipStream_tbEUlT_E0_NS1_11comp_targetILNS1_3genE3ELNS1_11target_archE908ELNS1_3gpuE7ELNS1_3repE0EEENS1_30default_config_static_selectorELNS0_4arch9wavefront6targetE1EEEvSK_
	.p2align	8
	.type	_ZN7rocprim17ROCPRIM_400000_NS6detail17trampoline_kernelINS0_14default_configENS1_22reduce_config_selectorIN6thrust23THRUST_200600_302600_NS5tupleIblNS6_9null_typeES8_S8_S8_S8_S8_S8_S8_EEEEZNS1_11reduce_implILb1ES3_PS9_SC_S9_NS6_11hip_rocprim9__find_if7functorIS9_EEEE10hipError_tPvRmT1_T2_T3_mT4_P12ihipStream_tbEUlT_E0_NS1_11comp_targetILNS1_3genE3ELNS1_11target_archE908ELNS1_3gpuE7ELNS1_3repE0EEENS1_30default_config_static_selectorELNS0_4arch9wavefront6targetE1EEEvSK_,@function
_ZN7rocprim17ROCPRIM_400000_NS6detail17trampoline_kernelINS0_14default_configENS1_22reduce_config_selectorIN6thrust23THRUST_200600_302600_NS5tupleIblNS6_9null_typeES8_S8_S8_S8_S8_S8_S8_EEEEZNS1_11reduce_implILb1ES3_PS9_SC_S9_NS6_11hip_rocprim9__find_if7functorIS9_EEEE10hipError_tPvRmT1_T2_T3_mT4_P12ihipStream_tbEUlT_E0_NS1_11comp_targetILNS1_3genE3ELNS1_11target_archE908ELNS1_3gpuE7ELNS1_3repE0EEENS1_30default_config_static_selectorELNS0_4arch9wavefront6targetE1EEEvSK_: ; @_ZN7rocprim17ROCPRIM_400000_NS6detail17trampoline_kernelINS0_14default_configENS1_22reduce_config_selectorIN6thrust23THRUST_200600_302600_NS5tupleIblNS6_9null_typeES8_S8_S8_S8_S8_S8_S8_EEEEZNS1_11reduce_implILb1ES3_PS9_SC_S9_NS6_11hip_rocprim9__find_if7functorIS9_EEEE10hipError_tPvRmT1_T2_T3_mT4_P12ihipStream_tbEUlT_E0_NS1_11comp_targetILNS1_3genE3ELNS1_11target_archE908ELNS1_3gpuE7ELNS1_3repE0EEENS1_30default_config_static_selectorELNS0_4arch9wavefront6targetE1EEEvSK_
; %bb.0:
	.section	.rodata,"a",@progbits
	.p2align	6, 0x0
	.amdhsa_kernel _ZN7rocprim17ROCPRIM_400000_NS6detail17trampoline_kernelINS0_14default_configENS1_22reduce_config_selectorIN6thrust23THRUST_200600_302600_NS5tupleIblNS6_9null_typeES8_S8_S8_S8_S8_S8_S8_EEEEZNS1_11reduce_implILb1ES3_PS9_SC_S9_NS6_11hip_rocprim9__find_if7functorIS9_EEEE10hipError_tPvRmT1_T2_T3_mT4_P12ihipStream_tbEUlT_E0_NS1_11comp_targetILNS1_3genE3ELNS1_11target_archE908ELNS1_3gpuE7ELNS1_3repE0EEENS1_30default_config_static_selectorELNS0_4arch9wavefront6targetE1EEEvSK_
		.amdhsa_group_segment_fixed_size 0
		.amdhsa_private_segment_fixed_size 0
		.amdhsa_kernarg_size 72
		.amdhsa_user_sgpr_count 6
		.amdhsa_user_sgpr_private_segment_buffer 1
		.amdhsa_user_sgpr_dispatch_ptr 0
		.amdhsa_user_sgpr_queue_ptr 0
		.amdhsa_user_sgpr_kernarg_segment_ptr 1
		.amdhsa_user_sgpr_dispatch_id 0
		.amdhsa_user_sgpr_flat_scratch_init 0
		.amdhsa_user_sgpr_private_segment_size 0
		.amdhsa_uses_dynamic_stack 0
		.amdhsa_system_sgpr_private_segment_wavefront_offset 0
		.amdhsa_system_sgpr_workgroup_id_x 1
		.amdhsa_system_sgpr_workgroup_id_y 0
		.amdhsa_system_sgpr_workgroup_id_z 0
		.amdhsa_system_sgpr_workgroup_info 0
		.amdhsa_system_vgpr_workitem_id 0
		.amdhsa_next_free_vgpr 1
		.amdhsa_next_free_sgpr 0
		.amdhsa_reserve_vcc 0
		.amdhsa_reserve_flat_scratch 0
		.amdhsa_float_round_mode_32 0
		.amdhsa_float_round_mode_16_64 0
		.amdhsa_float_denorm_mode_32 3
		.amdhsa_float_denorm_mode_16_64 3
		.amdhsa_dx10_clamp 1
		.amdhsa_ieee_mode 1
		.amdhsa_fp16_overflow 0
		.amdhsa_exception_fp_ieee_invalid_op 0
		.amdhsa_exception_fp_denorm_src 0
		.amdhsa_exception_fp_ieee_div_zero 0
		.amdhsa_exception_fp_ieee_overflow 0
		.amdhsa_exception_fp_ieee_underflow 0
		.amdhsa_exception_fp_ieee_inexact 0
		.amdhsa_exception_int_div_zero 0
	.end_amdhsa_kernel
	.section	.text._ZN7rocprim17ROCPRIM_400000_NS6detail17trampoline_kernelINS0_14default_configENS1_22reduce_config_selectorIN6thrust23THRUST_200600_302600_NS5tupleIblNS6_9null_typeES8_S8_S8_S8_S8_S8_S8_EEEEZNS1_11reduce_implILb1ES3_PS9_SC_S9_NS6_11hip_rocprim9__find_if7functorIS9_EEEE10hipError_tPvRmT1_T2_T3_mT4_P12ihipStream_tbEUlT_E0_NS1_11comp_targetILNS1_3genE3ELNS1_11target_archE908ELNS1_3gpuE7ELNS1_3repE0EEENS1_30default_config_static_selectorELNS0_4arch9wavefront6targetE1EEEvSK_,"axG",@progbits,_ZN7rocprim17ROCPRIM_400000_NS6detail17trampoline_kernelINS0_14default_configENS1_22reduce_config_selectorIN6thrust23THRUST_200600_302600_NS5tupleIblNS6_9null_typeES8_S8_S8_S8_S8_S8_S8_EEEEZNS1_11reduce_implILb1ES3_PS9_SC_S9_NS6_11hip_rocprim9__find_if7functorIS9_EEEE10hipError_tPvRmT1_T2_T3_mT4_P12ihipStream_tbEUlT_E0_NS1_11comp_targetILNS1_3genE3ELNS1_11target_archE908ELNS1_3gpuE7ELNS1_3repE0EEENS1_30default_config_static_selectorELNS0_4arch9wavefront6targetE1EEEvSK_,comdat
.Lfunc_end453:
	.size	_ZN7rocprim17ROCPRIM_400000_NS6detail17trampoline_kernelINS0_14default_configENS1_22reduce_config_selectorIN6thrust23THRUST_200600_302600_NS5tupleIblNS6_9null_typeES8_S8_S8_S8_S8_S8_S8_EEEEZNS1_11reduce_implILb1ES3_PS9_SC_S9_NS6_11hip_rocprim9__find_if7functorIS9_EEEE10hipError_tPvRmT1_T2_T3_mT4_P12ihipStream_tbEUlT_E0_NS1_11comp_targetILNS1_3genE3ELNS1_11target_archE908ELNS1_3gpuE7ELNS1_3repE0EEENS1_30default_config_static_selectorELNS0_4arch9wavefront6targetE1EEEvSK_, .Lfunc_end453-_ZN7rocprim17ROCPRIM_400000_NS6detail17trampoline_kernelINS0_14default_configENS1_22reduce_config_selectorIN6thrust23THRUST_200600_302600_NS5tupleIblNS6_9null_typeES8_S8_S8_S8_S8_S8_S8_EEEEZNS1_11reduce_implILb1ES3_PS9_SC_S9_NS6_11hip_rocprim9__find_if7functorIS9_EEEE10hipError_tPvRmT1_T2_T3_mT4_P12ihipStream_tbEUlT_E0_NS1_11comp_targetILNS1_3genE3ELNS1_11target_archE908ELNS1_3gpuE7ELNS1_3repE0EEENS1_30default_config_static_selectorELNS0_4arch9wavefront6targetE1EEEvSK_
                                        ; -- End function
	.set _ZN7rocprim17ROCPRIM_400000_NS6detail17trampoline_kernelINS0_14default_configENS1_22reduce_config_selectorIN6thrust23THRUST_200600_302600_NS5tupleIblNS6_9null_typeES8_S8_S8_S8_S8_S8_S8_EEEEZNS1_11reduce_implILb1ES3_PS9_SC_S9_NS6_11hip_rocprim9__find_if7functorIS9_EEEE10hipError_tPvRmT1_T2_T3_mT4_P12ihipStream_tbEUlT_E0_NS1_11comp_targetILNS1_3genE3ELNS1_11target_archE908ELNS1_3gpuE7ELNS1_3repE0EEENS1_30default_config_static_selectorELNS0_4arch9wavefront6targetE1EEEvSK_.num_vgpr, 0
	.set _ZN7rocprim17ROCPRIM_400000_NS6detail17trampoline_kernelINS0_14default_configENS1_22reduce_config_selectorIN6thrust23THRUST_200600_302600_NS5tupleIblNS6_9null_typeES8_S8_S8_S8_S8_S8_S8_EEEEZNS1_11reduce_implILb1ES3_PS9_SC_S9_NS6_11hip_rocprim9__find_if7functorIS9_EEEE10hipError_tPvRmT1_T2_T3_mT4_P12ihipStream_tbEUlT_E0_NS1_11comp_targetILNS1_3genE3ELNS1_11target_archE908ELNS1_3gpuE7ELNS1_3repE0EEENS1_30default_config_static_selectorELNS0_4arch9wavefront6targetE1EEEvSK_.num_agpr, 0
	.set _ZN7rocprim17ROCPRIM_400000_NS6detail17trampoline_kernelINS0_14default_configENS1_22reduce_config_selectorIN6thrust23THRUST_200600_302600_NS5tupleIblNS6_9null_typeES8_S8_S8_S8_S8_S8_S8_EEEEZNS1_11reduce_implILb1ES3_PS9_SC_S9_NS6_11hip_rocprim9__find_if7functorIS9_EEEE10hipError_tPvRmT1_T2_T3_mT4_P12ihipStream_tbEUlT_E0_NS1_11comp_targetILNS1_3genE3ELNS1_11target_archE908ELNS1_3gpuE7ELNS1_3repE0EEENS1_30default_config_static_selectorELNS0_4arch9wavefront6targetE1EEEvSK_.numbered_sgpr, 0
	.set _ZN7rocprim17ROCPRIM_400000_NS6detail17trampoline_kernelINS0_14default_configENS1_22reduce_config_selectorIN6thrust23THRUST_200600_302600_NS5tupleIblNS6_9null_typeES8_S8_S8_S8_S8_S8_S8_EEEEZNS1_11reduce_implILb1ES3_PS9_SC_S9_NS6_11hip_rocprim9__find_if7functorIS9_EEEE10hipError_tPvRmT1_T2_T3_mT4_P12ihipStream_tbEUlT_E0_NS1_11comp_targetILNS1_3genE3ELNS1_11target_archE908ELNS1_3gpuE7ELNS1_3repE0EEENS1_30default_config_static_selectorELNS0_4arch9wavefront6targetE1EEEvSK_.num_named_barrier, 0
	.set _ZN7rocprim17ROCPRIM_400000_NS6detail17trampoline_kernelINS0_14default_configENS1_22reduce_config_selectorIN6thrust23THRUST_200600_302600_NS5tupleIblNS6_9null_typeES8_S8_S8_S8_S8_S8_S8_EEEEZNS1_11reduce_implILb1ES3_PS9_SC_S9_NS6_11hip_rocprim9__find_if7functorIS9_EEEE10hipError_tPvRmT1_T2_T3_mT4_P12ihipStream_tbEUlT_E0_NS1_11comp_targetILNS1_3genE3ELNS1_11target_archE908ELNS1_3gpuE7ELNS1_3repE0EEENS1_30default_config_static_selectorELNS0_4arch9wavefront6targetE1EEEvSK_.private_seg_size, 0
	.set _ZN7rocprim17ROCPRIM_400000_NS6detail17trampoline_kernelINS0_14default_configENS1_22reduce_config_selectorIN6thrust23THRUST_200600_302600_NS5tupleIblNS6_9null_typeES8_S8_S8_S8_S8_S8_S8_EEEEZNS1_11reduce_implILb1ES3_PS9_SC_S9_NS6_11hip_rocprim9__find_if7functorIS9_EEEE10hipError_tPvRmT1_T2_T3_mT4_P12ihipStream_tbEUlT_E0_NS1_11comp_targetILNS1_3genE3ELNS1_11target_archE908ELNS1_3gpuE7ELNS1_3repE0EEENS1_30default_config_static_selectorELNS0_4arch9wavefront6targetE1EEEvSK_.uses_vcc, 0
	.set _ZN7rocprim17ROCPRIM_400000_NS6detail17trampoline_kernelINS0_14default_configENS1_22reduce_config_selectorIN6thrust23THRUST_200600_302600_NS5tupleIblNS6_9null_typeES8_S8_S8_S8_S8_S8_S8_EEEEZNS1_11reduce_implILb1ES3_PS9_SC_S9_NS6_11hip_rocprim9__find_if7functorIS9_EEEE10hipError_tPvRmT1_T2_T3_mT4_P12ihipStream_tbEUlT_E0_NS1_11comp_targetILNS1_3genE3ELNS1_11target_archE908ELNS1_3gpuE7ELNS1_3repE0EEENS1_30default_config_static_selectorELNS0_4arch9wavefront6targetE1EEEvSK_.uses_flat_scratch, 0
	.set _ZN7rocprim17ROCPRIM_400000_NS6detail17trampoline_kernelINS0_14default_configENS1_22reduce_config_selectorIN6thrust23THRUST_200600_302600_NS5tupleIblNS6_9null_typeES8_S8_S8_S8_S8_S8_S8_EEEEZNS1_11reduce_implILb1ES3_PS9_SC_S9_NS6_11hip_rocprim9__find_if7functorIS9_EEEE10hipError_tPvRmT1_T2_T3_mT4_P12ihipStream_tbEUlT_E0_NS1_11comp_targetILNS1_3genE3ELNS1_11target_archE908ELNS1_3gpuE7ELNS1_3repE0EEENS1_30default_config_static_selectorELNS0_4arch9wavefront6targetE1EEEvSK_.has_dyn_sized_stack, 0
	.set _ZN7rocprim17ROCPRIM_400000_NS6detail17trampoline_kernelINS0_14default_configENS1_22reduce_config_selectorIN6thrust23THRUST_200600_302600_NS5tupleIblNS6_9null_typeES8_S8_S8_S8_S8_S8_S8_EEEEZNS1_11reduce_implILb1ES3_PS9_SC_S9_NS6_11hip_rocprim9__find_if7functorIS9_EEEE10hipError_tPvRmT1_T2_T3_mT4_P12ihipStream_tbEUlT_E0_NS1_11comp_targetILNS1_3genE3ELNS1_11target_archE908ELNS1_3gpuE7ELNS1_3repE0EEENS1_30default_config_static_selectorELNS0_4arch9wavefront6targetE1EEEvSK_.has_recursion, 0
	.set _ZN7rocprim17ROCPRIM_400000_NS6detail17trampoline_kernelINS0_14default_configENS1_22reduce_config_selectorIN6thrust23THRUST_200600_302600_NS5tupleIblNS6_9null_typeES8_S8_S8_S8_S8_S8_S8_EEEEZNS1_11reduce_implILb1ES3_PS9_SC_S9_NS6_11hip_rocprim9__find_if7functorIS9_EEEE10hipError_tPvRmT1_T2_T3_mT4_P12ihipStream_tbEUlT_E0_NS1_11comp_targetILNS1_3genE3ELNS1_11target_archE908ELNS1_3gpuE7ELNS1_3repE0EEENS1_30default_config_static_selectorELNS0_4arch9wavefront6targetE1EEEvSK_.has_indirect_call, 0
	.section	.AMDGPU.csdata,"",@progbits
; Kernel info:
; codeLenInByte = 0
; TotalNumSgprs: 4
; NumVgprs: 0
; ScratchSize: 0
; MemoryBound: 0
; FloatMode: 240
; IeeeMode: 1
; LDSByteSize: 0 bytes/workgroup (compile time only)
; SGPRBlocks: 0
; VGPRBlocks: 0
; NumSGPRsForWavesPerEU: 4
; NumVGPRsForWavesPerEU: 1
; Occupancy: 10
; WaveLimiterHint : 0
; COMPUTE_PGM_RSRC2:SCRATCH_EN: 0
; COMPUTE_PGM_RSRC2:USER_SGPR: 6
; COMPUTE_PGM_RSRC2:TRAP_HANDLER: 0
; COMPUTE_PGM_RSRC2:TGID_X_EN: 1
; COMPUTE_PGM_RSRC2:TGID_Y_EN: 0
; COMPUTE_PGM_RSRC2:TGID_Z_EN: 0
; COMPUTE_PGM_RSRC2:TIDIG_COMP_CNT: 0
	.section	.text._ZN7rocprim17ROCPRIM_400000_NS6detail17trampoline_kernelINS0_14default_configENS1_22reduce_config_selectorIN6thrust23THRUST_200600_302600_NS5tupleIblNS6_9null_typeES8_S8_S8_S8_S8_S8_S8_EEEEZNS1_11reduce_implILb1ES3_PS9_SC_S9_NS6_11hip_rocprim9__find_if7functorIS9_EEEE10hipError_tPvRmT1_T2_T3_mT4_P12ihipStream_tbEUlT_E0_NS1_11comp_targetILNS1_3genE2ELNS1_11target_archE906ELNS1_3gpuE6ELNS1_3repE0EEENS1_30default_config_static_selectorELNS0_4arch9wavefront6targetE1EEEvSK_,"axG",@progbits,_ZN7rocprim17ROCPRIM_400000_NS6detail17trampoline_kernelINS0_14default_configENS1_22reduce_config_selectorIN6thrust23THRUST_200600_302600_NS5tupleIblNS6_9null_typeES8_S8_S8_S8_S8_S8_S8_EEEEZNS1_11reduce_implILb1ES3_PS9_SC_S9_NS6_11hip_rocprim9__find_if7functorIS9_EEEE10hipError_tPvRmT1_T2_T3_mT4_P12ihipStream_tbEUlT_E0_NS1_11comp_targetILNS1_3genE2ELNS1_11target_archE906ELNS1_3gpuE6ELNS1_3repE0EEENS1_30default_config_static_selectorELNS0_4arch9wavefront6targetE1EEEvSK_,comdat
	.protected	_ZN7rocprim17ROCPRIM_400000_NS6detail17trampoline_kernelINS0_14default_configENS1_22reduce_config_selectorIN6thrust23THRUST_200600_302600_NS5tupleIblNS6_9null_typeES8_S8_S8_S8_S8_S8_S8_EEEEZNS1_11reduce_implILb1ES3_PS9_SC_S9_NS6_11hip_rocprim9__find_if7functorIS9_EEEE10hipError_tPvRmT1_T2_T3_mT4_P12ihipStream_tbEUlT_E0_NS1_11comp_targetILNS1_3genE2ELNS1_11target_archE906ELNS1_3gpuE6ELNS1_3repE0EEENS1_30default_config_static_selectorELNS0_4arch9wavefront6targetE1EEEvSK_ ; -- Begin function _ZN7rocprim17ROCPRIM_400000_NS6detail17trampoline_kernelINS0_14default_configENS1_22reduce_config_selectorIN6thrust23THRUST_200600_302600_NS5tupleIblNS6_9null_typeES8_S8_S8_S8_S8_S8_S8_EEEEZNS1_11reduce_implILb1ES3_PS9_SC_S9_NS6_11hip_rocprim9__find_if7functorIS9_EEEE10hipError_tPvRmT1_T2_T3_mT4_P12ihipStream_tbEUlT_E0_NS1_11comp_targetILNS1_3genE2ELNS1_11target_archE906ELNS1_3gpuE6ELNS1_3repE0EEENS1_30default_config_static_selectorELNS0_4arch9wavefront6targetE1EEEvSK_
	.globl	_ZN7rocprim17ROCPRIM_400000_NS6detail17trampoline_kernelINS0_14default_configENS1_22reduce_config_selectorIN6thrust23THRUST_200600_302600_NS5tupleIblNS6_9null_typeES8_S8_S8_S8_S8_S8_S8_EEEEZNS1_11reduce_implILb1ES3_PS9_SC_S9_NS6_11hip_rocprim9__find_if7functorIS9_EEEE10hipError_tPvRmT1_T2_T3_mT4_P12ihipStream_tbEUlT_E0_NS1_11comp_targetILNS1_3genE2ELNS1_11target_archE906ELNS1_3gpuE6ELNS1_3repE0EEENS1_30default_config_static_selectorELNS0_4arch9wavefront6targetE1EEEvSK_
	.p2align	8
	.type	_ZN7rocprim17ROCPRIM_400000_NS6detail17trampoline_kernelINS0_14default_configENS1_22reduce_config_selectorIN6thrust23THRUST_200600_302600_NS5tupleIblNS6_9null_typeES8_S8_S8_S8_S8_S8_S8_EEEEZNS1_11reduce_implILb1ES3_PS9_SC_S9_NS6_11hip_rocprim9__find_if7functorIS9_EEEE10hipError_tPvRmT1_T2_T3_mT4_P12ihipStream_tbEUlT_E0_NS1_11comp_targetILNS1_3genE2ELNS1_11target_archE906ELNS1_3gpuE6ELNS1_3repE0EEENS1_30default_config_static_selectorELNS0_4arch9wavefront6targetE1EEEvSK_,@function
_ZN7rocprim17ROCPRIM_400000_NS6detail17trampoline_kernelINS0_14default_configENS1_22reduce_config_selectorIN6thrust23THRUST_200600_302600_NS5tupleIblNS6_9null_typeES8_S8_S8_S8_S8_S8_S8_EEEEZNS1_11reduce_implILb1ES3_PS9_SC_S9_NS6_11hip_rocprim9__find_if7functorIS9_EEEE10hipError_tPvRmT1_T2_T3_mT4_P12ihipStream_tbEUlT_E0_NS1_11comp_targetILNS1_3genE2ELNS1_11target_archE906ELNS1_3gpuE6ELNS1_3repE0EEENS1_30default_config_static_selectorELNS0_4arch9wavefront6targetE1EEEvSK_: ; @_ZN7rocprim17ROCPRIM_400000_NS6detail17trampoline_kernelINS0_14default_configENS1_22reduce_config_selectorIN6thrust23THRUST_200600_302600_NS5tupleIblNS6_9null_typeES8_S8_S8_S8_S8_S8_S8_EEEEZNS1_11reduce_implILb1ES3_PS9_SC_S9_NS6_11hip_rocprim9__find_if7functorIS9_EEEE10hipError_tPvRmT1_T2_T3_mT4_P12ihipStream_tbEUlT_E0_NS1_11comp_targetILNS1_3genE2ELNS1_11target_archE906ELNS1_3gpuE6ELNS1_3repE0EEENS1_30default_config_static_selectorELNS0_4arch9wavefront6targetE1EEEvSK_
; %bb.0:
	s_load_dwordx8 s[12:19], s[4:5], 0x0
	s_load_dwordx4 s[20:23], s[4:5], 0x20
	s_mov_b32 s25, 0
	s_mov_b32 s7, s25
	v_lshlrev_b32_e32 v9, 4, v0
	s_waitcnt lgkmcnt(0)
	s_lshl_b64 s[0:1], s[14:15], 4
	s_add_u32 s8, s12, s0
	s_addc_u32 s9, s13, s1
	s_lshl_b32 s24, s6, 8
	s_lshr_b64 s[0:1], s[16:17], 8
	s_lshl_b64 s[2:3], s[24:25], 4
	s_add_u32 s14, s8, s2
	s_addc_u32 s15, s9, s3
	s_cmp_lg_u64 s[0:1], s[6:7]
	v_mbcnt_lo_u32_b32 v8, -1, 0
	s_cbranch_scc0 .LBB454_10
; %bb.1:
	global_load_ubyte v4, v9, s[14:15]
	global_load_ubyte v10, v9, s[14:15] offset:2048
	global_load_dwordx2 v[1:2], v9, s[14:15] offset:8
	global_load_dwordx2 v[6:7], v9, s[14:15] offset:2056
	v_mbcnt_hi_u32_b32 v3, -1, v8
	v_lshlrev_b32_e32 v5, 2, v3
	v_or_b32_e32 v12, 0xfc, v5
	s_waitcnt vmcnt(3)
	v_and_b32_e32 v4, 1, v4
	s_waitcnt vmcnt(2)
	v_and_b32_e32 v11, 1, v10
	v_cmp_eq_u32_e64 s[0:1], 1, v11
	s_waitcnt vmcnt(0)
	v_cmp_lt_i64_e32 vcc, v[6:7], v[1:2]
	v_cmp_eq_u32_e64 s[2:3], 1, v4
	s_and_b64 vcc, s[0:1], vcc
	v_cndmask_b32_e32 v1, v1, v6, vcc
	v_cndmask_b32_e32 v2, v2, v7, vcc
	v_cndmask_b32_e64 v1, v6, v1, s[2:3]
	v_cndmask_b32_e64 v2, v7, v2, s[2:3]
	v_cndmask_b32_e64 v4, v10, 1, s[2:3]
	v_mov_b32_dpp v6, v1 quad_perm:[1,0,3,2] row_mask:0xf bank_mask:0xf bound_ctrl:1
	v_mov_b32_dpp v7, v2 quad_perm:[1,0,3,2] row_mask:0xf bank_mask:0xf bound_ctrl:1
	v_and_b32_e32 v4, 1, v4
	v_cmp_lt_i64_e64 s[0:1], v[1:2], v[6:7]
	v_cmp_eq_u32_e32 vcc, 1, v4
	v_mov_b32_dpp v10, v4 quad_perm:[1,0,3,2] row_mask:0xf bank_mask:0xf bound_ctrl:1
	v_and_b32_e32 v10, 1, v10
	s_and_b64 vcc, vcc, s[0:1]
	v_cndmask_b32_e32 v6, v6, v1, vcc
	v_cndmask_b32_e32 v7, v7, v2, vcc
	v_cmp_eq_u32_e32 vcc, 1, v10
	v_cndmask_b32_e32 v2, v2, v7, vcc
	v_cndmask_b32_e32 v1, v1, v6, vcc
	v_cndmask_b32_e64 v4, v4, 1, vcc
	v_mov_b32_dpp v7, v2 quad_perm:[2,3,0,1] row_mask:0xf bank_mask:0xf bound_ctrl:1
	v_mov_b32_dpp v6, v1 quad_perm:[2,3,0,1] row_mask:0xf bank_mask:0xf bound_ctrl:1
	v_and_b32_e32 v11, 1, v4
	v_cmp_lt_i64_e64 s[0:1], v[1:2], v[6:7]
	v_mov_b32_dpp v10, v4 quad_perm:[2,3,0,1] row_mask:0xf bank_mask:0xf bound_ctrl:1
	v_cmp_eq_u32_e32 vcc, 1, v11
	v_and_b32_e32 v10, 1, v10
	s_and_b64 vcc, vcc, s[0:1]
	v_cmp_eq_u32_e64 s[2:3], 1, v10
	v_cndmask_b32_e32 v6, v6, v1, vcc
	v_cndmask_b32_e32 v7, v7, v2, vcc
	v_cndmask_b32_e64 v1, v1, v6, s[2:3]
	v_cndmask_b32_e64 v2, v2, v7, s[2:3]
	;; [unrolled: 1-line block ×3, first 2 shown]
	v_mov_b32_dpp v6, v1 row_ror:4 row_mask:0xf bank_mask:0xf bound_ctrl:1
	v_mov_b32_dpp v7, v2 row_ror:4 row_mask:0xf bank_mask:0xf bound_ctrl:1
	v_and_b32_e32 v11, 1, v4
	v_cmp_lt_i64_e64 s[2:3], v[1:2], v[6:7]
	v_mov_b32_dpp v10, v4 row_ror:4 row_mask:0xf bank_mask:0xf bound_ctrl:1
	v_cmp_eq_u32_e32 vcc, 1, v11
	v_and_b32_e32 v10, 1, v10
	s_and_b64 vcc, vcc, s[2:3]
	v_cmp_eq_u32_e64 s[0:1], 1, v10
	v_cndmask_b32_e32 v6, v6, v1, vcc
	v_cndmask_b32_e32 v7, v7, v2, vcc
	v_cndmask_b32_e64 v1, v1, v6, s[0:1]
	v_cndmask_b32_e64 v2, v2, v7, s[0:1]
	;; [unrolled: 1-line block ×3, first 2 shown]
	v_mov_b32_dpp v6, v1 row_ror:8 row_mask:0xf bank_mask:0xf bound_ctrl:1
	v_mov_b32_dpp v7, v2 row_ror:8 row_mask:0xf bank_mask:0xf bound_ctrl:1
	v_and_b32_e32 v11, 1, v4
	v_cmp_lt_i64_e64 s[2:3], v[1:2], v[6:7]
	v_mov_b32_dpp v10, v4 row_ror:8 row_mask:0xf bank_mask:0xf bound_ctrl:1
	v_cmp_eq_u32_e64 s[8:9], 1, v11
	v_and_b32_e32 v10, 1, v10
	s_and_b64 s[2:3], s[8:9], s[2:3]
	v_cmp_eq_u32_e64 s[10:11], 1, v10
	v_cndmask_b32_e64 v6, v6, v1, s[2:3]
	v_cndmask_b32_e64 v7, v7, v2, s[2:3]
	;; [unrolled: 1-line block ×5, first 2 shown]
	v_mov_b32_dpp v10, v4 row_bcast:15 row_mask:0xf bank_mask:0xf bound_ctrl:1
	v_mov_b32_dpp v6, v1 row_bcast:15 row_mask:0xf bank_mask:0xf bound_ctrl:1
	;; [unrolled: 1-line block ×3, first 2 shown]
	v_and_b32_e32 v11, 1, v4
	v_and_b32_e32 v10, 1, v10
	v_cmp_lt_i64_e64 s[2:3], v[1:2], v[6:7]
	v_cmp_eq_u32_e32 vcc, 1, v11
	v_cmp_eq_u32_e64 s[0:1], 1, v10
	v_cndmask_b32_e64 v4, v4, 1, s[0:1]
	s_and_b64 vcc, vcc, s[2:3]
	v_cndmask_b32_e32 v6, v6, v1, vcc
	v_mov_b32_dpp v10, v4 row_bcast:31 row_mask:0xf bank_mask:0xf bound_ctrl:1
	v_cndmask_b32_e32 v7, v7, v2, vcc
	v_and_b32_e32 v11, 1, v4
	v_and_b32_e32 v10, 1, v10
	v_cndmask_b32_e64 v1, v1, v6, s[0:1]
	v_cndmask_b32_e64 v2, v2, v7, s[0:1]
	v_cmp_eq_u32_e64 s[12:13], 1, v11
	v_cmp_eq_u32_e64 s[8:9], 1, v10
	v_mov_b32_dpp v10, v1 row_bcast:31 row_mask:0xf bank_mask:0xf bound_ctrl:1
	v_mov_b32_dpp v11, v2 row_bcast:31 row_mask:0xf bank_mask:0xf bound_ctrl:1
	v_cmp_lt_i64_e32 vcc, v[1:2], v[10:11]
	v_cndmask_b32_e64 v4, v4, 1, s[8:9]
	s_and_b64 vcc, s[12:13], vcc
	ds_bpermute_b32 v7, v12, v4
	v_cndmask_b32_e32 v4, v10, v1, vcc
	v_cndmask_b32_e32 v6, v11, v2, vcc
	v_cndmask_b32_e64 v1, v1, v4, s[8:9]
	v_cndmask_b32_e64 v2, v2, v6, s[8:9]
	ds_bpermute_b32 v1, v12, v1
	ds_bpermute_b32 v2, v12, v2
	v_cmp_eq_u32_e32 vcc, 0, v3
	s_and_saveexec_b64 s[0:1], vcc
	s_cbranch_execz .LBB454_3
; %bb.2:
	v_lshrrev_b32_e32 v4, 2, v0
	v_and_b32_e32 v4, 16, v4
	s_waitcnt lgkmcnt(2)
	ds_write_b8 v4, v7
	s_waitcnt lgkmcnt(1)
	ds_write_b64 v4, v[1:2] offset:8
.LBB454_3:
	s_or_b64 exec, exec, s[0:1]
	v_cmp_gt_u32_e32 vcc, 64, v0
	s_waitcnt lgkmcnt(0)
	s_barrier
	s_and_saveexec_b64 s[0:1], vcc
	s_cbranch_execz .LBB454_9
; %bb.4:
	v_and_b32_e32 v1, 1, v3
	v_lshlrev_b32_e32 v1, 4, v1
	ds_read_u8 v10, v1
	ds_read_b64 v[3:4], v1 offset:8
	v_or_b32_e32 v2, 4, v5
	s_waitcnt lgkmcnt(1)
	v_and_b32_e32 v1, 0xff, v10
	ds_bpermute_b32 v11, v2, v1
	s_waitcnt lgkmcnt(1)
	ds_bpermute_b32 v5, v2, v3
	ds_bpermute_b32 v6, v2, v4
	s_waitcnt lgkmcnt(2)
	v_and_b32_e32 v1, v10, v11
	v_and_b32_e32 v1, 1, v1
	v_cmp_eq_u32_e32 vcc, 1, v1
                                        ; implicit-def: $vgpr1_vgpr2
	s_and_saveexec_b64 s[2:3], vcc
	s_xor_b64 s[2:3], exec, s[2:3]
	s_cbranch_execz .LBB454_6
; %bb.5:
	s_waitcnt lgkmcnt(0)
	v_cmp_lt_i64_e32 vcc, v[5:6], v[3:4]
                                        ; implicit-def: $vgpr10
                                        ; implicit-def: $vgpr11
	v_cndmask_b32_e32 v2, v4, v6, vcc
	v_cndmask_b32_e32 v1, v3, v5, vcc
                                        ; implicit-def: $vgpr5_vgpr6
                                        ; implicit-def: $vgpr3_vgpr4
.LBB454_6:
	s_or_saveexec_b64 s[2:3], s[2:3]
	v_mov_b32_e32 v7, 1
	s_xor_b64 exec, exec, s[2:3]
	s_cbranch_execz .LBB454_8
; %bb.7:
	v_and_b32_e32 v1, 1, v10
	v_cmp_eq_u32_e32 vcc, 1, v1
	s_waitcnt lgkmcnt(0)
	v_cndmask_b32_e32 v2, v6, v4, vcc
	v_cndmask_b32_e32 v1, v5, v3, vcc
	v_cndmask_b32_e64 v7, v11, 1, vcc
.LBB454_8:
	s_or_b64 exec, exec, s[2:3]
.LBB454_9:
	s_or_b64 exec, exec, s[0:1]
	s_load_dword s10, s[4:5], 0x30
	s_load_dwordx2 s[8:9], s[4:5], 0x38
	s_branch .LBB454_62
.LBB454_10:
                                        ; implicit-def: $vgpr1_vgpr2
                                        ; implicit-def: $vgpr7
	s_load_dword s10, s[4:5], 0x30
	s_load_dwordx2 s[8:9], s[4:5], 0x38
	s_cbranch_execz .LBB454_62
; %bb.11:
	s_sub_i32 s11, s16, s24
	v_mov_b32_e32 v3, 0
	v_mov_b32_e32 v1, 0
	v_cmp_gt_u32_e32 vcc, s11, v0
	s_waitcnt lgkmcnt(0)
	v_mov_b32_e32 v5, 0
	v_mov_b32_e32 v4, 0
	;; [unrolled: 1-line block ×4, first 2 shown]
	s_and_saveexec_b64 s[0:1], vcc
	s_cbranch_execz .LBB454_13
; %bb.12:
	global_load_ubyte v6, v9, s[14:15]
	global_load_dwordx2 v[1:2], v9, s[14:15] offset:8
.LBB454_13:
	s_or_b64 exec, exec, s[0:1]
	v_or_b32_e32 v7, 0x80, v0
	v_cmp_gt_u32_e32 vcc, s11, v7
	s_and_saveexec_b64 s[0:1], vcc
	s_cbranch_execz .LBB454_15
; %bb.14:
	global_load_ubyte v5, v9, s[14:15] offset:2048
	global_load_dwordx2 v[3:4], v9, s[14:15] offset:2056
.LBB454_15:
	s_or_b64 exec, exec, s[0:1]
	s_waitcnt vmcnt(1)
	v_and_b32_e32 v9, 0xff, v5
	v_and_b32_e32 v5, 1, v5
	v_cmp_eq_u32_e64 s[0:1], 1, v5
	v_and_b32_e32 v5, 1, v6
	s_waitcnt vmcnt(0)
	v_cmp_lt_i64_e64 s[2:3], v[3:4], v[1:2]
	v_cmp_eq_u32_e64 s[4:5], 1, v5
	v_and_b32_e32 v7, 0xff, v6
	v_cndmask_b32_e64 v5, v9, 1, s[4:5]
	s_and_b64 s[0:1], s[0:1], s[2:3]
	v_cndmask_b32_e64 v6, v2, v4, s[0:1]
	v_cndmask_b32_e64 v9, v1, v3, s[0:1]
	v_cndmask_b32_e32 v7, v7, v5, vcc
	v_mbcnt_hi_u32_b32 v5, -1, v8
	v_cndmask_b32_e64 v3, v3, v9, s[4:5]
	v_cndmask_b32_e64 v4, v4, v6, s[4:5]
	v_and_b32_e32 v6, 63, v5
	v_cndmask_b32_e32 v2, v2, v4, vcc
	v_cndmask_b32_e32 v1, v1, v3, vcc
	v_cmp_ne_u32_e32 vcc, 63, v6
	v_addc_co_u32_e32 v3, vcc, 0, v5, vcc
	v_lshlrev_b32_e32 v4, 2, v3
	ds_bpermute_b32 v9, v4, v7
	ds_bpermute_b32 v3, v4, v1
	;; [unrolled: 1-line block ×3, first 2 shown]
	s_min_u32 s4, s11, 0x80
	v_and_b32_e32 v8, 64, v0
	v_sub_u32_e64 v8, s4, v8 clamp
	v_add_u32_e32 v10, 1, v6
	v_cmp_lt_u32_e32 vcc, v10, v8
	s_and_saveexec_b64 s[0:1], vcc
	s_cbranch_execz .LBB454_21
; %bb.16:
	s_waitcnt lgkmcnt(2)
	v_and_b32_e32 v10, v9, v7
	v_cmp_ne_u32_e32 vcc, 0, v10
	s_and_saveexec_b64 s[2:3], vcc
	s_xor_b64 s[2:3], exec, s[2:3]
	s_cbranch_execz .LBB454_18
; %bb.17:
	s_waitcnt lgkmcnt(0)
	v_cmp_lt_i64_e32 vcc, v[3:4], v[1:2]
                                        ; implicit-def: $vgpr7
                                        ; implicit-def: $vgpr9
	v_cndmask_b32_e32 v2, v2, v4, vcc
	v_cndmask_b32_e32 v1, v1, v3, vcc
                                        ; implicit-def: $vgpr3_vgpr4
.LBB454_18:
	s_or_saveexec_b64 s[2:3], s[2:3]
	v_mov_b32_e32 v10, 1
	s_xor_b64 exec, exec, s[2:3]
	s_cbranch_execz .LBB454_20
; %bb.19:
	v_and_b32_e32 v7, 1, v7
	v_cmp_eq_u32_e32 vcc, 1, v7
	s_waitcnt lgkmcnt(1)
	v_cndmask_b32_e32 v1, v3, v1, vcc
	v_and_b32_e32 v3, 0xff, v9
	s_waitcnt lgkmcnt(0)
	v_cndmask_b32_e32 v2, v4, v2, vcc
	v_cndmask_b32_e64 v10, v3, 1, vcc
.LBB454_20:
	s_or_b64 exec, exec, s[2:3]
	v_mov_b32_e32 v7, v10
.LBB454_21:
	s_or_b64 exec, exec, s[0:1]
	v_cmp_gt_u32_e32 vcc, 62, v6
	s_waitcnt lgkmcnt(1)
	v_cndmask_b32_e64 v3, 0, 2, vcc
	s_waitcnt lgkmcnt(0)
	v_add_lshl_u32 v4, v3, v5, 2
	ds_bpermute_b32 v9, v4, v7
	ds_bpermute_b32 v3, v4, v1
	ds_bpermute_b32 v4, v4, v2
	v_add_u32_e32 v10, 2, v6
	v_cmp_lt_u32_e32 vcc, v10, v8
	s_and_saveexec_b64 s[0:1], vcc
	s_cbranch_execz .LBB454_27
; %bb.22:
	s_waitcnt lgkmcnt(2)
	v_and_b32_e32 v10, v7, v9
	v_and_b32_e32 v10, 1, v10
	v_cmp_eq_u32_e32 vcc, 1, v10
	s_and_saveexec_b64 s[2:3], vcc
	s_xor_b64 s[2:3], exec, s[2:3]
	s_cbranch_execz .LBB454_24
; %bb.23:
	s_waitcnt lgkmcnt(0)
	v_cmp_lt_i64_e32 vcc, v[3:4], v[1:2]
                                        ; implicit-def: $vgpr7
                                        ; implicit-def: $vgpr9
	v_cndmask_b32_e32 v2, v2, v4, vcc
	v_cndmask_b32_e32 v1, v1, v3, vcc
                                        ; implicit-def: $vgpr3_vgpr4
.LBB454_24:
	s_or_saveexec_b64 s[2:3], s[2:3]
	v_mov_b32_e32 v10, 1
	s_xor_b64 exec, exec, s[2:3]
	s_cbranch_execz .LBB454_26
; %bb.25:
	v_and_b32_e32 v7, 1, v7
	v_cmp_eq_u32_e32 vcc, 1, v7
	s_waitcnt lgkmcnt(1)
	v_cndmask_b32_e32 v1, v3, v1, vcc
	v_and_b32_e32 v3, 0xff, v9
	s_waitcnt lgkmcnt(0)
	v_cndmask_b32_e32 v2, v4, v2, vcc
	v_cndmask_b32_e64 v10, v3, 1, vcc
.LBB454_26:
	s_or_b64 exec, exec, s[2:3]
	v_mov_b32_e32 v7, v10
.LBB454_27:
	s_or_b64 exec, exec, s[0:1]
	v_cmp_gt_u32_e32 vcc, 60, v6
	s_waitcnt lgkmcnt(1)
	v_cndmask_b32_e64 v3, 0, 4, vcc
	s_waitcnt lgkmcnt(0)
	v_add_lshl_u32 v4, v3, v5, 2
	ds_bpermute_b32 v9, v4, v7
	ds_bpermute_b32 v3, v4, v1
	ds_bpermute_b32 v4, v4, v2
	v_add_u32_e32 v10, 4, v6
	v_cmp_lt_u32_e32 vcc, v10, v8
	s_and_saveexec_b64 s[0:1], vcc
	s_cbranch_execz .LBB454_33
; %bb.28:
	s_waitcnt lgkmcnt(2)
	v_and_b32_e32 v10, v7, v9
	v_and_b32_e32 v10, 1, v10
	v_cmp_eq_u32_e32 vcc, 1, v10
	s_and_saveexec_b64 s[2:3], vcc
	s_xor_b64 s[2:3], exec, s[2:3]
	s_cbranch_execz .LBB454_30
; %bb.29:
	s_waitcnt lgkmcnt(0)
	v_cmp_lt_i64_e32 vcc, v[3:4], v[1:2]
                                        ; implicit-def: $vgpr7
                                        ; implicit-def: $vgpr9
	v_cndmask_b32_e32 v2, v2, v4, vcc
	v_cndmask_b32_e32 v1, v1, v3, vcc
                                        ; implicit-def: $vgpr3_vgpr4
.LBB454_30:
	s_or_saveexec_b64 s[2:3], s[2:3]
	v_mov_b32_e32 v10, 1
	s_xor_b64 exec, exec, s[2:3]
	s_cbranch_execz .LBB454_32
; %bb.31:
	v_and_b32_e32 v7, 1, v7
	v_cmp_eq_u32_e32 vcc, 1, v7
	s_waitcnt lgkmcnt(1)
	v_cndmask_b32_e32 v1, v3, v1, vcc
	v_and_b32_e32 v3, 0xff, v9
	s_waitcnt lgkmcnt(0)
	v_cndmask_b32_e32 v2, v4, v2, vcc
	v_cndmask_b32_e64 v10, v3, 1, vcc
.LBB454_32:
	s_or_b64 exec, exec, s[2:3]
	v_mov_b32_e32 v7, v10
.LBB454_33:
	;; [unrolled: 47-line block ×4, first 2 shown]
	s_or_b64 exec, exec, s[0:1]
	s_waitcnt lgkmcnt(2)
	v_lshlrev_b32_e32 v9, 2, v5
	s_waitcnt lgkmcnt(0)
	v_or_b32_e32 v4, 0x80, v9
	ds_bpermute_b32 v10, v4, v7
	ds_bpermute_b32 v3, v4, v1
	;; [unrolled: 1-line block ×3, first 2 shown]
	v_add_u32_e32 v6, 32, v6
	v_cmp_lt_u32_e32 vcc, v6, v8
	v_mov_b32_e32 v6, v7
	s_and_saveexec_b64 s[0:1], vcc
	s_cbranch_execz .LBB454_51
; %bb.46:
	s_waitcnt lgkmcnt(2)
	v_and_b32_e32 v6, v7, v10
	v_and_b32_e32 v6, 1, v6
	v_cmp_eq_u32_e32 vcc, 1, v6
	s_and_saveexec_b64 s[2:3], vcc
	s_xor_b64 s[2:3], exec, s[2:3]
	s_cbranch_execz .LBB454_48
; %bb.47:
	s_waitcnt lgkmcnt(0)
	v_cmp_lt_i64_e32 vcc, v[3:4], v[1:2]
                                        ; implicit-def: $vgpr7
                                        ; implicit-def: $vgpr10
	v_cndmask_b32_e32 v2, v2, v4, vcc
	v_cndmask_b32_e32 v1, v1, v3, vcc
                                        ; implicit-def: $vgpr3_vgpr4
.LBB454_48:
	s_or_saveexec_b64 s[2:3], s[2:3]
	v_mov_b32_e32 v6, 1
	s_xor_b64 exec, exec, s[2:3]
	s_cbranch_execz .LBB454_50
; %bb.49:
	v_and_b32_e32 v6, 1, v7
	v_cmp_eq_u32_e32 vcc, 1, v6
	v_cndmask_b32_e64 v6, v10, 1, vcc
	s_waitcnt lgkmcnt(0)
	v_cndmask_b32_e32 v2, v4, v2, vcc
	v_cndmask_b32_e32 v1, v3, v1, vcc
.LBB454_50:
	s_or_b64 exec, exec, s[2:3]
	v_and_b32_e32 v7, 0xff, v6
.LBB454_51:
	s_or_b64 exec, exec, s[0:1]
	v_cmp_eq_u32_e32 vcc, 0, v5
	s_and_saveexec_b64 s[0:1], vcc
	s_cbranch_execz .LBB454_53
; %bb.52:
	s_waitcnt lgkmcnt(1)
	v_lshrrev_b32_e32 v3, 2, v0
	v_and_b32_e32 v3, 16, v3
	ds_write_b8 v3, v6 offset:32
	ds_write_b64 v3, v[1:2] offset:40
.LBB454_53:
	s_or_b64 exec, exec, s[0:1]
	v_cmp_gt_u32_e32 vcc, 2, v0
	s_waitcnt lgkmcnt(0)
	s_barrier
	s_and_saveexec_b64 s[0:1], vcc
	s_cbranch_execz .LBB454_61
; %bb.54:
	v_lshlrev_b32_e32 v1, 4, v5
	ds_read_u8 v6, v1 offset:32
	ds_read_b64 v[1:2], v1 offset:40
	v_or_b32_e32 v4, 4, v9
	s_add_i32 s4, s4, 63
	v_and_b32_e32 v5, 1, v5
	s_waitcnt lgkmcnt(1)
	v_and_b32_e32 v7, 0xff, v6
	s_waitcnt lgkmcnt(0)
	ds_bpermute_b32 v3, v4, v1
	ds_bpermute_b32 v8, v4, v7
	;; [unrolled: 1-line block ×3, first 2 shown]
	s_lshr_b32 s2, s4, 6
	v_add_u32_e32 v5, 1, v5
	v_cmp_gt_u32_e32 vcc, s2, v5
	s_and_saveexec_b64 s[2:3], vcc
	s_cbranch_execz .LBB454_60
; %bb.55:
	s_waitcnt lgkmcnt(1)
	v_and_b32_e32 v5, v7, v8
	v_and_b32_e32 v5, 1, v5
	v_cmp_eq_u32_e32 vcc, 1, v5
	s_and_saveexec_b64 s[4:5], vcc
	s_xor_b64 s[4:5], exec, s[4:5]
	s_cbranch_execz .LBB454_57
; %bb.56:
	s_waitcnt lgkmcnt(0)
	v_cmp_lt_i64_e32 vcc, v[3:4], v[1:2]
                                        ; implicit-def: $vgpr6
                                        ; implicit-def: $vgpr8
	v_cndmask_b32_e32 v2, v2, v4, vcc
	v_cndmask_b32_e32 v1, v1, v3, vcc
                                        ; implicit-def: $vgpr3_vgpr4
.LBB454_57:
	s_or_saveexec_b64 s[4:5], s[4:5]
	v_mov_b32_e32 v7, 1
	s_xor_b64 exec, exec, s[4:5]
	s_cbranch_execz .LBB454_59
; %bb.58:
	v_and_b32_e32 v5, 1, v6
	v_cmp_eq_u32_e32 vcc, 1, v5
	s_waitcnt lgkmcnt(0)
	v_cndmask_b32_e32 v2, v4, v2, vcc
	v_cndmask_b32_e32 v1, v3, v1, vcc
	v_cndmask_b32_e64 v7, v8, 1, vcc
.LBB454_59:
	s_or_b64 exec, exec, s[4:5]
.LBB454_60:
	s_or_b64 exec, exec, s[2:3]
.LBB454_61:
	s_or_b64 exec, exec, s[0:1]
.LBB454_62:
	v_cmp_eq_u32_e32 vcc, 0, v0
	s_and_saveexec_b64 s[0:1], vcc
	s_cbranch_execnz .LBB454_64
; %bb.63:
	s_endpgm
.LBB454_64:
	s_mul_i32 s0, s22, s21
	s_mul_hi_u32 s1, s22, s20
	s_add_i32 s0, s1, s0
	s_mul_i32 s1, s23, s20
	s_add_i32 s1, s0, s1
	s_mul_i32 s0, s22, s20
	s_lshl_b64 s[0:1], s[0:1], 4
	s_add_u32 s2, s18, s0
	s_addc_u32 s3, s19, s1
	s_cmp_eq_u64 s[16:17], 0
	s_waitcnt lgkmcnt(0)
	v_mov_b32_e32 v0, s9
	s_cselect_b64 vcc, -1, 0
	v_cndmask_b32_e32 v2, v2, v0, vcc
	v_mov_b32_e32 v0, s8
	s_lshl_b64 s[0:1], s[6:7], 4
	v_cndmask_b32_e32 v1, v1, v0, vcc
	v_mov_b32_e32 v0, s10
	s_add_u32 s0, s2, s0
	v_cndmask_b32_e32 v0, v7, v0, vcc
	s_addc_u32 s1, s3, s1
	v_mov_b32_e32 v3, 0
	global_store_byte v3, v0, s[0:1]
	global_store_dwordx2 v3, v[1:2], s[0:1] offset:8
	s_endpgm
	.section	.rodata,"a",@progbits
	.p2align	6, 0x0
	.amdhsa_kernel _ZN7rocprim17ROCPRIM_400000_NS6detail17trampoline_kernelINS0_14default_configENS1_22reduce_config_selectorIN6thrust23THRUST_200600_302600_NS5tupleIblNS6_9null_typeES8_S8_S8_S8_S8_S8_S8_EEEEZNS1_11reduce_implILb1ES3_PS9_SC_S9_NS6_11hip_rocprim9__find_if7functorIS9_EEEE10hipError_tPvRmT1_T2_T3_mT4_P12ihipStream_tbEUlT_E0_NS1_11comp_targetILNS1_3genE2ELNS1_11target_archE906ELNS1_3gpuE6ELNS1_3repE0EEENS1_30default_config_static_selectorELNS0_4arch9wavefront6targetE1EEEvSK_
		.amdhsa_group_segment_fixed_size 64
		.amdhsa_private_segment_fixed_size 0
		.amdhsa_kernarg_size 72
		.amdhsa_user_sgpr_count 6
		.amdhsa_user_sgpr_private_segment_buffer 1
		.amdhsa_user_sgpr_dispatch_ptr 0
		.amdhsa_user_sgpr_queue_ptr 0
		.amdhsa_user_sgpr_kernarg_segment_ptr 1
		.amdhsa_user_sgpr_dispatch_id 0
		.amdhsa_user_sgpr_flat_scratch_init 0
		.amdhsa_user_sgpr_private_segment_size 0
		.amdhsa_uses_dynamic_stack 0
		.amdhsa_system_sgpr_private_segment_wavefront_offset 0
		.amdhsa_system_sgpr_workgroup_id_x 1
		.amdhsa_system_sgpr_workgroup_id_y 0
		.amdhsa_system_sgpr_workgroup_id_z 0
		.amdhsa_system_sgpr_workgroup_info 0
		.amdhsa_system_vgpr_workitem_id 0
		.amdhsa_next_free_vgpr 13
		.amdhsa_next_free_sgpr 26
		.amdhsa_reserve_vcc 1
		.amdhsa_reserve_flat_scratch 0
		.amdhsa_float_round_mode_32 0
		.amdhsa_float_round_mode_16_64 0
		.amdhsa_float_denorm_mode_32 3
		.amdhsa_float_denorm_mode_16_64 3
		.amdhsa_dx10_clamp 1
		.amdhsa_ieee_mode 1
		.amdhsa_fp16_overflow 0
		.amdhsa_exception_fp_ieee_invalid_op 0
		.amdhsa_exception_fp_denorm_src 0
		.amdhsa_exception_fp_ieee_div_zero 0
		.amdhsa_exception_fp_ieee_overflow 0
		.amdhsa_exception_fp_ieee_underflow 0
		.amdhsa_exception_fp_ieee_inexact 0
		.amdhsa_exception_int_div_zero 0
	.end_amdhsa_kernel
	.section	.text._ZN7rocprim17ROCPRIM_400000_NS6detail17trampoline_kernelINS0_14default_configENS1_22reduce_config_selectorIN6thrust23THRUST_200600_302600_NS5tupleIblNS6_9null_typeES8_S8_S8_S8_S8_S8_S8_EEEEZNS1_11reduce_implILb1ES3_PS9_SC_S9_NS6_11hip_rocprim9__find_if7functorIS9_EEEE10hipError_tPvRmT1_T2_T3_mT4_P12ihipStream_tbEUlT_E0_NS1_11comp_targetILNS1_3genE2ELNS1_11target_archE906ELNS1_3gpuE6ELNS1_3repE0EEENS1_30default_config_static_selectorELNS0_4arch9wavefront6targetE1EEEvSK_,"axG",@progbits,_ZN7rocprim17ROCPRIM_400000_NS6detail17trampoline_kernelINS0_14default_configENS1_22reduce_config_selectorIN6thrust23THRUST_200600_302600_NS5tupleIblNS6_9null_typeES8_S8_S8_S8_S8_S8_S8_EEEEZNS1_11reduce_implILb1ES3_PS9_SC_S9_NS6_11hip_rocprim9__find_if7functorIS9_EEEE10hipError_tPvRmT1_T2_T3_mT4_P12ihipStream_tbEUlT_E0_NS1_11comp_targetILNS1_3genE2ELNS1_11target_archE906ELNS1_3gpuE6ELNS1_3repE0EEENS1_30default_config_static_selectorELNS0_4arch9wavefront6targetE1EEEvSK_,comdat
.Lfunc_end454:
	.size	_ZN7rocprim17ROCPRIM_400000_NS6detail17trampoline_kernelINS0_14default_configENS1_22reduce_config_selectorIN6thrust23THRUST_200600_302600_NS5tupleIblNS6_9null_typeES8_S8_S8_S8_S8_S8_S8_EEEEZNS1_11reduce_implILb1ES3_PS9_SC_S9_NS6_11hip_rocprim9__find_if7functorIS9_EEEE10hipError_tPvRmT1_T2_T3_mT4_P12ihipStream_tbEUlT_E0_NS1_11comp_targetILNS1_3genE2ELNS1_11target_archE906ELNS1_3gpuE6ELNS1_3repE0EEENS1_30default_config_static_selectorELNS0_4arch9wavefront6targetE1EEEvSK_, .Lfunc_end454-_ZN7rocprim17ROCPRIM_400000_NS6detail17trampoline_kernelINS0_14default_configENS1_22reduce_config_selectorIN6thrust23THRUST_200600_302600_NS5tupleIblNS6_9null_typeES8_S8_S8_S8_S8_S8_S8_EEEEZNS1_11reduce_implILb1ES3_PS9_SC_S9_NS6_11hip_rocprim9__find_if7functorIS9_EEEE10hipError_tPvRmT1_T2_T3_mT4_P12ihipStream_tbEUlT_E0_NS1_11comp_targetILNS1_3genE2ELNS1_11target_archE906ELNS1_3gpuE6ELNS1_3repE0EEENS1_30default_config_static_selectorELNS0_4arch9wavefront6targetE1EEEvSK_
                                        ; -- End function
	.set _ZN7rocprim17ROCPRIM_400000_NS6detail17trampoline_kernelINS0_14default_configENS1_22reduce_config_selectorIN6thrust23THRUST_200600_302600_NS5tupleIblNS6_9null_typeES8_S8_S8_S8_S8_S8_S8_EEEEZNS1_11reduce_implILb1ES3_PS9_SC_S9_NS6_11hip_rocprim9__find_if7functorIS9_EEEE10hipError_tPvRmT1_T2_T3_mT4_P12ihipStream_tbEUlT_E0_NS1_11comp_targetILNS1_3genE2ELNS1_11target_archE906ELNS1_3gpuE6ELNS1_3repE0EEENS1_30default_config_static_selectorELNS0_4arch9wavefront6targetE1EEEvSK_.num_vgpr, 13
	.set _ZN7rocprim17ROCPRIM_400000_NS6detail17trampoline_kernelINS0_14default_configENS1_22reduce_config_selectorIN6thrust23THRUST_200600_302600_NS5tupleIblNS6_9null_typeES8_S8_S8_S8_S8_S8_S8_EEEEZNS1_11reduce_implILb1ES3_PS9_SC_S9_NS6_11hip_rocprim9__find_if7functorIS9_EEEE10hipError_tPvRmT1_T2_T3_mT4_P12ihipStream_tbEUlT_E0_NS1_11comp_targetILNS1_3genE2ELNS1_11target_archE906ELNS1_3gpuE6ELNS1_3repE0EEENS1_30default_config_static_selectorELNS0_4arch9wavefront6targetE1EEEvSK_.num_agpr, 0
	.set _ZN7rocprim17ROCPRIM_400000_NS6detail17trampoline_kernelINS0_14default_configENS1_22reduce_config_selectorIN6thrust23THRUST_200600_302600_NS5tupleIblNS6_9null_typeES8_S8_S8_S8_S8_S8_S8_EEEEZNS1_11reduce_implILb1ES3_PS9_SC_S9_NS6_11hip_rocprim9__find_if7functorIS9_EEEE10hipError_tPvRmT1_T2_T3_mT4_P12ihipStream_tbEUlT_E0_NS1_11comp_targetILNS1_3genE2ELNS1_11target_archE906ELNS1_3gpuE6ELNS1_3repE0EEENS1_30default_config_static_selectorELNS0_4arch9wavefront6targetE1EEEvSK_.numbered_sgpr, 26
	.set _ZN7rocprim17ROCPRIM_400000_NS6detail17trampoline_kernelINS0_14default_configENS1_22reduce_config_selectorIN6thrust23THRUST_200600_302600_NS5tupleIblNS6_9null_typeES8_S8_S8_S8_S8_S8_S8_EEEEZNS1_11reduce_implILb1ES3_PS9_SC_S9_NS6_11hip_rocprim9__find_if7functorIS9_EEEE10hipError_tPvRmT1_T2_T3_mT4_P12ihipStream_tbEUlT_E0_NS1_11comp_targetILNS1_3genE2ELNS1_11target_archE906ELNS1_3gpuE6ELNS1_3repE0EEENS1_30default_config_static_selectorELNS0_4arch9wavefront6targetE1EEEvSK_.num_named_barrier, 0
	.set _ZN7rocprim17ROCPRIM_400000_NS6detail17trampoline_kernelINS0_14default_configENS1_22reduce_config_selectorIN6thrust23THRUST_200600_302600_NS5tupleIblNS6_9null_typeES8_S8_S8_S8_S8_S8_S8_EEEEZNS1_11reduce_implILb1ES3_PS9_SC_S9_NS6_11hip_rocprim9__find_if7functorIS9_EEEE10hipError_tPvRmT1_T2_T3_mT4_P12ihipStream_tbEUlT_E0_NS1_11comp_targetILNS1_3genE2ELNS1_11target_archE906ELNS1_3gpuE6ELNS1_3repE0EEENS1_30default_config_static_selectorELNS0_4arch9wavefront6targetE1EEEvSK_.private_seg_size, 0
	.set _ZN7rocprim17ROCPRIM_400000_NS6detail17trampoline_kernelINS0_14default_configENS1_22reduce_config_selectorIN6thrust23THRUST_200600_302600_NS5tupleIblNS6_9null_typeES8_S8_S8_S8_S8_S8_S8_EEEEZNS1_11reduce_implILb1ES3_PS9_SC_S9_NS6_11hip_rocprim9__find_if7functorIS9_EEEE10hipError_tPvRmT1_T2_T3_mT4_P12ihipStream_tbEUlT_E0_NS1_11comp_targetILNS1_3genE2ELNS1_11target_archE906ELNS1_3gpuE6ELNS1_3repE0EEENS1_30default_config_static_selectorELNS0_4arch9wavefront6targetE1EEEvSK_.uses_vcc, 1
	.set _ZN7rocprim17ROCPRIM_400000_NS6detail17trampoline_kernelINS0_14default_configENS1_22reduce_config_selectorIN6thrust23THRUST_200600_302600_NS5tupleIblNS6_9null_typeES8_S8_S8_S8_S8_S8_S8_EEEEZNS1_11reduce_implILb1ES3_PS9_SC_S9_NS6_11hip_rocprim9__find_if7functorIS9_EEEE10hipError_tPvRmT1_T2_T3_mT4_P12ihipStream_tbEUlT_E0_NS1_11comp_targetILNS1_3genE2ELNS1_11target_archE906ELNS1_3gpuE6ELNS1_3repE0EEENS1_30default_config_static_selectorELNS0_4arch9wavefront6targetE1EEEvSK_.uses_flat_scratch, 0
	.set _ZN7rocprim17ROCPRIM_400000_NS6detail17trampoline_kernelINS0_14default_configENS1_22reduce_config_selectorIN6thrust23THRUST_200600_302600_NS5tupleIblNS6_9null_typeES8_S8_S8_S8_S8_S8_S8_EEEEZNS1_11reduce_implILb1ES3_PS9_SC_S9_NS6_11hip_rocprim9__find_if7functorIS9_EEEE10hipError_tPvRmT1_T2_T3_mT4_P12ihipStream_tbEUlT_E0_NS1_11comp_targetILNS1_3genE2ELNS1_11target_archE906ELNS1_3gpuE6ELNS1_3repE0EEENS1_30default_config_static_selectorELNS0_4arch9wavefront6targetE1EEEvSK_.has_dyn_sized_stack, 0
	.set _ZN7rocprim17ROCPRIM_400000_NS6detail17trampoline_kernelINS0_14default_configENS1_22reduce_config_selectorIN6thrust23THRUST_200600_302600_NS5tupleIblNS6_9null_typeES8_S8_S8_S8_S8_S8_S8_EEEEZNS1_11reduce_implILb1ES3_PS9_SC_S9_NS6_11hip_rocprim9__find_if7functorIS9_EEEE10hipError_tPvRmT1_T2_T3_mT4_P12ihipStream_tbEUlT_E0_NS1_11comp_targetILNS1_3genE2ELNS1_11target_archE906ELNS1_3gpuE6ELNS1_3repE0EEENS1_30default_config_static_selectorELNS0_4arch9wavefront6targetE1EEEvSK_.has_recursion, 0
	.set _ZN7rocprim17ROCPRIM_400000_NS6detail17trampoline_kernelINS0_14default_configENS1_22reduce_config_selectorIN6thrust23THRUST_200600_302600_NS5tupleIblNS6_9null_typeES8_S8_S8_S8_S8_S8_S8_EEEEZNS1_11reduce_implILb1ES3_PS9_SC_S9_NS6_11hip_rocprim9__find_if7functorIS9_EEEE10hipError_tPvRmT1_T2_T3_mT4_P12ihipStream_tbEUlT_E0_NS1_11comp_targetILNS1_3genE2ELNS1_11target_archE906ELNS1_3gpuE6ELNS1_3repE0EEENS1_30default_config_static_selectorELNS0_4arch9wavefront6targetE1EEEvSK_.has_indirect_call, 0
	.section	.AMDGPU.csdata,"",@progbits
; Kernel info:
; codeLenInByte = 2708
; TotalNumSgprs: 30
; NumVgprs: 13
; ScratchSize: 0
; MemoryBound: 0
; FloatMode: 240
; IeeeMode: 1
; LDSByteSize: 64 bytes/workgroup (compile time only)
; SGPRBlocks: 3
; VGPRBlocks: 3
; NumSGPRsForWavesPerEU: 30
; NumVGPRsForWavesPerEU: 13
; Occupancy: 10
; WaveLimiterHint : 1
; COMPUTE_PGM_RSRC2:SCRATCH_EN: 0
; COMPUTE_PGM_RSRC2:USER_SGPR: 6
; COMPUTE_PGM_RSRC2:TRAP_HANDLER: 0
; COMPUTE_PGM_RSRC2:TGID_X_EN: 1
; COMPUTE_PGM_RSRC2:TGID_Y_EN: 0
; COMPUTE_PGM_RSRC2:TGID_Z_EN: 0
; COMPUTE_PGM_RSRC2:TIDIG_COMP_CNT: 0
	.section	.text._ZN7rocprim17ROCPRIM_400000_NS6detail17trampoline_kernelINS0_14default_configENS1_22reduce_config_selectorIN6thrust23THRUST_200600_302600_NS5tupleIblNS6_9null_typeES8_S8_S8_S8_S8_S8_S8_EEEEZNS1_11reduce_implILb1ES3_PS9_SC_S9_NS6_11hip_rocprim9__find_if7functorIS9_EEEE10hipError_tPvRmT1_T2_T3_mT4_P12ihipStream_tbEUlT_E0_NS1_11comp_targetILNS1_3genE10ELNS1_11target_archE1201ELNS1_3gpuE5ELNS1_3repE0EEENS1_30default_config_static_selectorELNS0_4arch9wavefront6targetE1EEEvSK_,"axG",@progbits,_ZN7rocprim17ROCPRIM_400000_NS6detail17trampoline_kernelINS0_14default_configENS1_22reduce_config_selectorIN6thrust23THRUST_200600_302600_NS5tupleIblNS6_9null_typeES8_S8_S8_S8_S8_S8_S8_EEEEZNS1_11reduce_implILb1ES3_PS9_SC_S9_NS6_11hip_rocprim9__find_if7functorIS9_EEEE10hipError_tPvRmT1_T2_T3_mT4_P12ihipStream_tbEUlT_E0_NS1_11comp_targetILNS1_3genE10ELNS1_11target_archE1201ELNS1_3gpuE5ELNS1_3repE0EEENS1_30default_config_static_selectorELNS0_4arch9wavefront6targetE1EEEvSK_,comdat
	.protected	_ZN7rocprim17ROCPRIM_400000_NS6detail17trampoline_kernelINS0_14default_configENS1_22reduce_config_selectorIN6thrust23THRUST_200600_302600_NS5tupleIblNS6_9null_typeES8_S8_S8_S8_S8_S8_S8_EEEEZNS1_11reduce_implILb1ES3_PS9_SC_S9_NS6_11hip_rocprim9__find_if7functorIS9_EEEE10hipError_tPvRmT1_T2_T3_mT4_P12ihipStream_tbEUlT_E0_NS1_11comp_targetILNS1_3genE10ELNS1_11target_archE1201ELNS1_3gpuE5ELNS1_3repE0EEENS1_30default_config_static_selectorELNS0_4arch9wavefront6targetE1EEEvSK_ ; -- Begin function _ZN7rocprim17ROCPRIM_400000_NS6detail17trampoline_kernelINS0_14default_configENS1_22reduce_config_selectorIN6thrust23THRUST_200600_302600_NS5tupleIblNS6_9null_typeES8_S8_S8_S8_S8_S8_S8_EEEEZNS1_11reduce_implILb1ES3_PS9_SC_S9_NS6_11hip_rocprim9__find_if7functorIS9_EEEE10hipError_tPvRmT1_T2_T3_mT4_P12ihipStream_tbEUlT_E0_NS1_11comp_targetILNS1_3genE10ELNS1_11target_archE1201ELNS1_3gpuE5ELNS1_3repE0EEENS1_30default_config_static_selectorELNS0_4arch9wavefront6targetE1EEEvSK_
	.globl	_ZN7rocprim17ROCPRIM_400000_NS6detail17trampoline_kernelINS0_14default_configENS1_22reduce_config_selectorIN6thrust23THRUST_200600_302600_NS5tupleIblNS6_9null_typeES8_S8_S8_S8_S8_S8_S8_EEEEZNS1_11reduce_implILb1ES3_PS9_SC_S9_NS6_11hip_rocprim9__find_if7functorIS9_EEEE10hipError_tPvRmT1_T2_T3_mT4_P12ihipStream_tbEUlT_E0_NS1_11comp_targetILNS1_3genE10ELNS1_11target_archE1201ELNS1_3gpuE5ELNS1_3repE0EEENS1_30default_config_static_selectorELNS0_4arch9wavefront6targetE1EEEvSK_
	.p2align	8
	.type	_ZN7rocprim17ROCPRIM_400000_NS6detail17trampoline_kernelINS0_14default_configENS1_22reduce_config_selectorIN6thrust23THRUST_200600_302600_NS5tupleIblNS6_9null_typeES8_S8_S8_S8_S8_S8_S8_EEEEZNS1_11reduce_implILb1ES3_PS9_SC_S9_NS6_11hip_rocprim9__find_if7functorIS9_EEEE10hipError_tPvRmT1_T2_T3_mT4_P12ihipStream_tbEUlT_E0_NS1_11comp_targetILNS1_3genE10ELNS1_11target_archE1201ELNS1_3gpuE5ELNS1_3repE0EEENS1_30default_config_static_selectorELNS0_4arch9wavefront6targetE1EEEvSK_,@function
_ZN7rocprim17ROCPRIM_400000_NS6detail17trampoline_kernelINS0_14default_configENS1_22reduce_config_selectorIN6thrust23THRUST_200600_302600_NS5tupleIblNS6_9null_typeES8_S8_S8_S8_S8_S8_S8_EEEEZNS1_11reduce_implILb1ES3_PS9_SC_S9_NS6_11hip_rocprim9__find_if7functorIS9_EEEE10hipError_tPvRmT1_T2_T3_mT4_P12ihipStream_tbEUlT_E0_NS1_11comp_targetILNS1_3genE10ELNS1_11target_archE1201ELNS1_3gpuE5ELNS1_3repE0EEENS1_30default_config_static_selectorELNS0_4arch9wavefront6targetE1EEEvSK_: ; @_ZN7rocprim17ROCPRIM_400000_NS6detail17trampoline_kernelINS0_14default_configENS1_22reduce_config_selectorIN6thrust23THRUST_200600_302600_NS5tupleIblNS6_9null_typeES8_S8_S8_S8_S8_S8_S8_EEEEZNS1_11reduce_implILb1ES3_PS9_SC_S9_NS6_11hip_rocprim9__find_if7functorIS9_EEEE10hipError_tPvRmT1_T2_T3_mT4_P12ihipStream_tbEUlT_E0_NS1_11comp_targetILNS1_3genE10ELNS1_11target_archE1201ELNS1_3gpuE5ELNS1_3repE0EEENS1_30default_config_static_selectorELNS0_4arch9wavefront6targetE1EEEvSK_
; %bb.0:
	.section	.rodata,"a",@progbits
	.p2align	6, 0x0
	.amdhsa_kernel _ZN7rocprim17ROCPRIM_400000_NS6detail17trampoline_kernelINS0_14default_configENS1_22reduce_config_selectorIN6thrust23THRUST_200600_302600_NS5tupleIblNS6_9null_typeES8_S8_S8_S8_S8_S8_S8_EEEEZNS1_11reduce_implILb1ES3_PS9_SC_S9_NS6_11hip_rocprim9__find_if7functorIS9_EEEE10hipError_tPvRmT1_T2_T3_mT4_P12ihipStream_tbEUlT_E0_NS1_11comp_targetILNS1_3genE10ELNS1_11target_archE1201ELNS1_3gpuE5ELNS1_3repE0EEENS1_30default_config_static_selectorELNS0_4arch9wavefront6targetE1EEEvSK_
		.amdhsa_group_segment_fixed_size 0
		.amdhsa_private_segment_fixed_size 0
		.amdhsa_kernarg_size 72
		.amdhsa_user_sgpr_count 6
		.amdhsa_user_sgpr_private_segment_buffer 1
		.amdhsa_user_sgpr_dispatch_ptr 0
		.amdhsa_user_sgpr_queue_ptr 0
		.amdhsa_user_sgpr_kernarg_segment_ptr 1
		.amdhsa_user_sgpr_dispatch_id 0
		.amdhsa_user_sgpr_flat_scratch_init 0
		.amdhsa_user_sgpr_private_segment_size 0
		.amdhsa_uses_dynamic_stack 0
		.amdhsa_system_sgpr_private_segment_wavefront_offset 0
		.amdhsa_system_sgpr_workgroup_id_x 1
		.amdhsa_system_sgpr_workgroup_id_y 0
		.amdhsa_system_sgpr_workgroup_id_z 0
		.amdhsa_system_sgpr_workgroup_info 0
		.amdhsa_system_vgpr_workitem_id 0
		.amdhsa_next_free_vgpr 1
		.amdhsa_next_free_sgpr 0
		.amdhsa_reserve_vcc 0
		.amdhsa_reserve_flat_scratch 0
		.amdhsa_float_round_mode_32 0
		.amdhsa_float_round_mode_16_64 0
		.amdhsa_float_denorm_mode_32 3
		.amdhsa_float_denorm_mode_16_64 3
		.amdhsa_dx10_clamp 1
		.amdhsa_ieee_mode 1
		.amdhsa_fp16_overflow 0
		.amdhsa_exception_fp_ieee_invalid_op 0
		.amdhsa_exception_fp_denorm_src 0
		.amdhsa_exception_fp_ieee_div_zero 0
		.amdhsa_exception_fp_ieee_overflow 0
		.amdhsa_exception_fp_ieee_underflow 0
		.amdhsa_exception_fp_ieee_inexact 0
		.amdhsa_exception_int_div_zero 0
	.end_amdhsa_kernel
	.section	.text._ZN7rocprim17ROCPRIM_400000_NS6detail17trampoline_kernelINS0_14default_configENS1_22reduce_config_selectorIN6thrust23THRUST_200600_302600_NS5tupleIblNS6_9null_typeES8_S8_S8_S8_S8_S8_S8_EEEEZNS1_11reduce_implILb1ES3_PS9_SC_S9_NS6_11hip_rocprim9__find_if7functorIS9_EEEE10hipError_tPvRmT1_T2_T3_mT4_P12ihipStream_tbEUlT_E0_NS1_11comp_targetILNS1_3genE10ELNS1_11target_archE1201ELNS1_3gpuE5ELNS1_3repE0EEENS1_30default_config_static_selectorELNS0_4arch9wavefront6targetE1EEEvSK_,"axG",@progbits,_ZN7rocprim17ROCPRIM_400000_NS6detail17trampoline_kernelINS0_14default_configENS1_22reduce_config_selectorIN6thrust23THRUST_200600_302600_NS5tupleIblNS6_9null_typeES8_S8_S8_S8_S8_S8_S8_EEEEZNS1_11reduce_implILb1ES3_PS9_SC_S9_NS6_11hip_rocprim9__find_if7functorIS9_EEEE10hipError_tPvRmT1_T2_T3_mT4_P12ihipStream_tbEUlT_E0_NS1_11comp_targetILNS1_3genE10ELNS1_11target_archE1201ELNS1_3gpuE5ELNS1_3repE0EEENS1_30default_config_static_selectorELNS0_4arch9wavefront6targetE1EEEvSK_,comdat
.Lfunc_end455:
	.size	_ZN7rocprim17ROCPRIM_400000_NS6detail17trampoline_kernelINS0_14default_configENS1_22reduce_config_selectorIN6thrust23THRUST_200600_302600_NS5tupleIblNS6_9null_typeES8_S8_S8_S8_S8_S8_S8_EEEEZNS1_11reduce_implILb1ES3_PS9_SC_S9_NS6_11hip_rocprim9__find_if7functorIS9_EEEE10hipError_tPvRmT1_T2_T3_mT4_P12ihipStream_tbEUlT_E0_NS1_11comp_targetILNS1_3genE10ELNS1_11target_archE1201ELNS1_3gpuE5ELNS1_3repE0EEENS1_30default_config_static_selectorELNS0_4arch9wavefront6targetE1EEEvSK_, .Lfunc_end455-_ZN7rocprim17ROCPRIM_400000_NS6detail17trampoline_kernelINS0_14default_configENS1_22reduce_config_selectorIN6thrust23THRUST_200600_302600_NS5tupleIblNS6_9null_typeES8_S8_S8_S8_S8_S8_S8_EEEEZNS1_11reduce_implILb1ES3_PS9_SC_S9_NS6_11hip_rocprim9__find_if7functorIS9_EEEE10hipError_tPvRmT1_T2_T3_mT4_P12ihipStream_tbEUlT_E0_NS1_11comp_targetILNS1_3genE10ELNS1_11target_archE1201ELNS1_3gpuE5ELNS1_3repE0EEENS1_30default_config_static_selectorELNS0_4arch9wavefront6targetE1EEEvSK_
                                        ; -- End function
	.set _ZN7rocprim17ROCPRIM_400000_NS6detail17trampoline_kernelINS0_14default_configENS1_22reduce_config_selectorIN6thrust23THRUST_200600_302600_NS5tupleIblNS6_9null_typeES8_S8_S8_S8_S8_S8_S8_EEEEZNS1_11reduce_implILb1ES3_PS9_SC_S9_NS6_11hip_rocprim9__find_if7functorIS9_EEEE10hipError_tPvRmT1_T2_T3_mT4_P12ihipStream_tbEUlT_E0_NS1_11comp_targetILNS1_3genE10ELNS1_11target_archE1201ELNS1_3gpuE5ELNS1_3repE0EEENS1_30default_config_static_selectorELNS0_4arch9wavefront6targetE1EEEvSK_.num_vgpr, 0
	.set _ZN7rocprim17ROCPRIM_400000_NS6detail17trampoline_kernelINS0_14default_configENS1_22reduce_config_selectorIN6thrust23THRUST_200600_302600_NS5tupleIblNS6_9null_typeES8_S8_S8_S8_S8_S8_S8_EEEEZNS1_11reduce_implILb1ES3_PS9_SC_S9_NS6_11hip_rocprim9__find_if7functorIS9_EEEE10hipError_tPvRmT1_T2_T3_mT4_P12ihipStream_tbEUlT_E0_NS1_11comp_targetILNS1_3genE10ELNS1_11target_archE1201ELNS1_3gpuE5ELNS1_3repE0EEENS1_30default_config_static_selectorELNS0_4arch9wavefront6targetE1EEEvSK_.num_agpr, 0
	.set _ZN7rocprim17ROCPRIM_400000_NS6detail17trampoline_kernelINS0_14default_configENS1_22reduce_config_selectorIN6thrust23THRUST_200600_302600_NS5tupleIblNS6_9null_typeES8_S8_S8_S8_S8_S8_S8_EEEEZNS1_11reduce_implILb1ES3_PS9_SC_S9_NS6_11hip_rocprim9__find_if7functorIS9_EEEE10hipError_tPvRmT1_T2_T3_mT4_P12ihipStream_tbEUlT_E0_NS1_11comp_targetILNS1_3genE10ELNS1_11target_archE1201ELNS1_3gpuE5ELNS1_3repE0EEENS1_30default_config_static_selectorELNS0_4arch9wavefront6targetE1EEEvSK_.numbered_sgpr, 0
	.set _ZN7rocprim17ROCPRIM_400000_NS6detail17trampoline_kernelINS0_14default_configENS1_22reduce_config_selectorIN6thrust23THRUST_200600_302600_NS5tupleIblNS6_9null_typeES8_S8_S8_S8_S8_S8_S8_EEEEZNS1_11reduce_implILb1ES3_PS9_SC_S9_NS6_11hip_rocprim9__find_if7functorIS9_EEEE10hipError_tPvRmT1_T2_T3_mT4_P12ihipStream_tbEUlT_E0_NS1_11comp_targetILNS1_3genE10ELNS1_11target_archE1201ELNS1_3gpuE5ELNS1_3repE0EEENS1_30default_config_static_selectorELNS0_4arch9wavefront6targetE1EEEvSK_.num_named_barrier, 0
	.set _ZN7rocprim17ROCPRIM_400000_NS6detail17trampoline_kernelINS0_14default_configENS1_22reduce_config_selectorIN6thrust23THRUST_200600_302600_NS5tupleIblNS6_9null_typeES8_S8_S8_S8_S8_S8_S8_EEEEZNS1_11reduce_implILb1ES3_PS9_SC_S9_NS6_11hip_rocprim9__find_if7functorIS9_EEEE10hipError_tPvRmT1_T2_T3_mT4_P12ihipStream_tbEUlT_E0_NS1_11comp_targetILNS1_3genE10ELNS1_11target_archE1201ELNS1_3gpuE5ELNS1_3repE0EEENS1_30default_config_static_selectorELNS0_4arch9wavefront6targetE1EEEvSK_.private_seg_size, 0
	.set _ZN7rocprim17ROCPRIM_400000_NS6detail17trampoline_kernelINS0_14default_configENS1_22reduce_config_selectorIN6thrust23THRUST_200600_302600_NS5tupleIblNS6_9null_typeES8_S8_S8_S8_S8_S8_S8_EEEEZNS1_11reduce_implILb1ES3_PS9_SC_S9_NS6_11hip_rocprim9__find_if7functorIS9_EEEE10hipError_tPvRmT1_T2_T3_mT4_P12ihipStream_tbEUlT_E0_NS1_11comp_targetILNS1_3genE10ELNS1_11target_archE1201ELNS1_3gpuE5ELNS1_3repE0EEENS1_30default_config_static_selectorELNS0_4arch9wavefront6targetE1EEEvSK_.uses_vcc, 0
	.set _ZN7rocprim17ROCPRIM_400000_NS6detail17trampoline_kernelINS0_14default_configENS1_22reduce_config_selectorIN6thrust23THRUST_200600_302600_NS5tupleIblNS6_9null_typeES8_S8_S8_S8_S8_S8_S8_EEEEZNS1_11reduce_implILb1ES3_PS9_SC_S9_NS6_11hip_rocprim9__find_if7functorIS9_EEEE10hipError_tPvRmT1_T2_T3_mT4_P12ihipStream_tbEUlT_E0_NS1_11comp_targetILNS1_3genE10ELNS1_11target_archE1201ELNS1_3gpuE5ELNS1_3repE0EEENS1_30default_config_static_selectorELNS0_4arch9wavefront6targetE1EEEvSK_.uses_flat_scratch, 0
	.set _ZN7rocprim17ROCPRIM_400000_NS6detail17trampoline_kernelINS0_14default_configENS1_22reduce_config_selectorIN6thrust23THRUST_200600_302600_NS5tupleIblNS6_9null_typeES8_S8_S8_S8_S8_S8_S8_EEEEZNS1_11reduce_implILb1ES3_PS9_SC_S9_NS6_11hip_rocprim9__find_if7functorIS9_EEEE10hipError_tPvRmT1_T2_T3_mT4_P12ihipStream_tbEUlT_E0_NS1_11comp_targetILNS1_3genE10ELNS1_11target_archE1201ELNS1_3gpuE5ELNS1_3repE0EEENS1_30default_config_static_selectorELNS0_4arch9wavefront6targetE1EEEvSK_.has_dyn_sized_stack, 0
	.set _ZN7rocprim17ROCPRIM_400000_NS6detail17trampoline_kernelINS0_14default_configENS1_22reduce_config_selectorIN6thrust23THRUST_200600_302600_NS5tupleIblNS6_9null_typeES8_S8_S8_S8_S8_S8_S8_EEEEZNS1_11reduce_implILb1ES3_PS9_SC_S9_NS6_11hip_rocprim9__find_if7functorIS9_EEEE10hipError_tPvRmT1_T2_T3_mT4_P12ihipStream_tbEUlT_E0_NS1_11comp_targetILNS1_3genE10ELNS1_11target_archE1201ELNS1_3gpuE5ELNS1_3repE0EEENS1_30default_config_static_selectorELNS0_4arch9wavefront6targetE1EEEvSK_.has_recursion, 0
	.set _ZN7rocprim17ROCPRIM_400000_NS6detail17trampoline_kernelINS0_14default_configENS1_22reduce_config_selectorIN6thrust23THRUST_200600_302600_NS5tupleIblNS6_9null_typeES8_S8_S8_S8_S8_S8_S8_EEEEZNS1_11reduce_implILb1ES3_PS9_SC_S9_NS6_11hip_rocprim9__find_if7functorIS9_EEEE10hipError_tPvRmT1_T2_T3_mT4_P12ihipStream_tbEUlT_E0_NS1_11comp_targetILNS1_3genE10ELNS1_11target_archE1201ELNS1_3gpuE5ELNS1_3repE0EEENS1_30default_config_static_selectorELNS0_4arch9wavefront6targetE1EEEvSK_.has_indirect_call, 0
	.section	.AMDGPU.csdata,"",@progbits
; Kernel info:
; codeLenInByte = 0
; TotalNumSgprs: 4
; NumVgprs: 0
; ScratchSize: 0
; MemoryBound: 0
; FloatMode: 240
; IeeeMode: 1
; LDSByteSize: 0 bytes/workgroup (compile time only)
; SGPRBlocks: 0
; VGPRBlocks: 0
; NumSGPRsForWavesPerEU: 4
; NumVGPRsForWavesPerEU: 1
; Occupancy: 10
; WaveLimiterHint : 0
; COMPUTE_PGM_RSRC2:SCRATCH_EN: 0
; COMPUTE_PGM_RSRC2:USER_SGPR: 6
; COMPUTE_PGM_RSRC2:TRAP_HANDLER: 0
; COMPUTE_PGM_RSRC2:TGID_X_EN: 1
; COMPUTE_PGM_RSRC2:TGID_Y_EN: 0
; COMPUTE_PGM_RSRC2:TGID_Z_EN: 0
; COMPUTE_PGM_RSRC2:TIDIG_COMP_CNT: 0
	.section	.text._ZN7rocprim17ROCPRIM_400000_NS6detail17trampoline_kernelINS0_14default_configENS1_22reduce_config_selectorIN6thrust23THRUST_200600_302600_NS5tupleIblNS6_9null_typeES8_S8_S8_S8_S8_S8_S8_EEEEZNS1_11reduce_implILb1ES3_PS9_SC_S9_NS6_11hip_rocprim9__find_if7functorIS9_EEEE10hipError_tPvRmT1_T2_T3_mT4_P12ihipStream_tbEUlT_E0_NS1_11comp_targetILNS1_3genE10ELNS1_11target_archE1200ELNS1_3gpuE4ELNS1_3repE0EEENS1_30default_config_static_selectorELNS0_4arch9wavefront6targetE1EEEvSK_,"axG",@progbits,_ZN7rocprim17ROCPRIM_400000_NS6detail17trampoline_kernelINS0_14default_configENS1_22reduce_config_selectorIN6thrust23THRUST_200600_302600_NS5tupleIblNS6_9null_typeES8_S8_S8_S8_S8_S8_S8_EEEEZNS1_11reduce_implILb1ES3_PS9_SC_S9_NS6_11hip_rocprim9__find_if7functorIS9_EEEE10hipError_tPvRmT1_T2_T3_mT4_P12ihipStream_tbEUlT_E0_NS1_11comp_targetILNS1_3genE10ELNS1_11target_archE1200ELNS1_3gpuE4ELNS1_3repE0EEENS1_30default_config_static_selectorELNS0_4arch9wavefront6targetE1EEEvSK_,comdat
	.protected	_ZN7rocprim17ROCPRIM_400000_NS6detail17trampoline_kernelINS0_14default_configENS1_22reduce_config_selectorIN6thrust23THRUST_200600_302600_NS5tupleIblNS6_9null_typeES8_S8_S8_S8_S8_S8_S8_EEEEZNS1_11reduce_implILb1ES3_PS9_SC_S9_NS6_11hip_rocprim9__find_if7functorIS9_EEEE10hipError_tPvRmT1_T2_T3_mT4_P12ihipStream_tbEUlT_E0_NS1_11comp_targetILNS1_3genE10ELNS1_11target_archE1200ELNS1_3gpuE4ELNS1_3repE0EEENS1_30default_config_static_selectorELNS0_4arch9wavefront6targetE1EEEvSK_ ; -- Begin function _ZN7rocprim17ROCPRIM_400000_NS6detail17trampoline_kernelINS0_14default_configENS1_22reduce_config_selectorIN6thrust23THRUST_200600_302600_NS5tupleIblNS6_9null_typeES8_S8_S8_S8_S8_S8_S8_EEEEZNS1_11reduce_implILb1ES3_PS9_SC_S9_NS6_11hip_rocprim9__find_if7functorIS9_EEEE10hipError_tPvRmT1_T2_T3_mT4_P12ihipStream_tbEUlT_E0_NS1_11comp_targetILNS1_3genE10ELNS1_11target_archE1200ELNS1_3gpuE4ELNS1_3repE0EEENS1_30default_config_static_selectorELNS0_4arch9wavefront6targetE1EEEvSK_
	.globl	_ZN7rocprim17ROCPRIM_400000_NS6detail17trampoline_kernelINS0_14default_configENS1_22reduce_config_selectorIN6thrust23THRUST_200600_302600_NS5tupleIblNS6_9null_typeES8_S8_S8_S8_S8_S8_S8_EEEEZNS1_11reduce_implILb1ES3_PS9_SC_S9_NS6_11hip_rocprim9__find_if7functorIS9_EEEE10hipError_tPvRmT1_T2_T3_mT4_P12ihipStream_tbEUlT_E0_NS1_11comp_targetILNS1_3genE10ELNS1_11target_archE1200ELNS1_3gpuE4ELNS1_3repE0EEENS1_30default_config_static_selectorELNS0_4arch9wavefront6targetE1EEEvSK_
	.p2align	8
	.type	_ZN7rocprim17ROCPRIM_400000_NS6detail17trampoline_kernelINS0_14default_configENS1_22reduce_config_selectorIN6thrust23THRUST_200600_302600_NS5tupleIblNS6_9null_typeES8_S8_S8_S8_S8_S8_S8_EEEEZNS1_11reduce_implILb1ES3_PS9_SC_S9_NS6_11hip_rocprim9__find_if7functorIS9_EEEE10hipError_tPvRmT1_T2_T3_mT4_P12ihipStream_tbEUlT_E0_NS1_11comp_targetILNS1_3genE10ELNS1_11target_archE1200ELNS1_3gpuE4ELNS1_3repE0EEENS1_30default_config_static_selectorELNS0_4arch9wavefront6targetE1EEEvSK_,@function
_ZN7rocprim17ROCPRIM_400000_NS6detail17trampoline_kernelINS0_14default_configENS1_22reduce_config_selectorIN6thrust23THRUST_200600_302600_NS5tupleIblNS6_9null_typeES8_S8_S8_S8_S8_S8_S8_EEEEZNS1_11reduce_implILb1ES3_PS9_SC_S9_NS6_11hip_rocprim9__find_if7functorIS9_EEEE10hipError_tPvRmT1_T2_T3_mT4_P12ihipStream_tbEUlT_E0_NS1_11comp_targetILNS1_3genE10ELNS1_11target_archE1200ELNS1_3gpuE4ELNS1_3repE0EEENS1_30default_config_static_selectorELNS0_4arch9wavefront6targetE1EEEvSK_: ; @_ZN7rocprim17ROCPRIM_400000_NS6detail17trampoline_kernelINS0_14default_configENS1_22reduce_config_selectorIN6thrust23THRUST_200600_302600_NS5tupleIblNS6_9null_typeES8_S8_S8_S8_S8_S8_S8_EEEEZNS1_11reduce_implILb1ES3_PS9_SC_S9_NS6_11hip_rocprim9__find_if7functorIS9_EEEE10hipError_tPvRmT1_T2_T3_mT4_P12ihipStream_tbEUlT_E0_NS1_11comp_targetILNS1_3genE10ELNS1_11target_archE1200ELNS1_3gpuE4ELNS1_3repE0EEENS1_30default_config_static_selectorELNS0_4arch9wavefront6targetE1EEEvSK_
; %bb.0:
	.section	.rodata,"a",@progbits
	.p2align	6, 0x0
	.amdhsa_kernel _ZN7rocprim17ROCPRIM_400000_NS6detail17trampoline_kernelINS0_14default_configENS1_22reduce_config_selectorIN6thrust23THRUST_200600_302600_NS5tupleIblNS6_9null_typeES8_S8_S8_S8_S8_S8_S8_EEEEZNS1_11reduce_implILb1ES3_PS9_SC_S9_NS6_11hip_rocprim9__find_if7functorIS9_EEEE10hipError_tPvRmT1_T2_T3_mT4_P12ihipStream_tbEUlT_E0_NS1_11comp_targetILNS1_3genE10ELNS1_11target_archE1200ELNS1_3gpuE4ELNS1_3repE0EEENS1_30default_config_static_selectorELNS0_4arch9wavefront6targetE1EEEvSK_
		.amdhsa_group_segment_fixed_size 0
		.amdhsa_private_segment_fixed_size 0
		.amdhsa_kernarg_size 72
		.amdhsa_user_sgpr_count 6
		.amdhsa_user_sgpr_private_segment_buffer 1
		.amdhsa_user_sgpr_dispatch_ptr 0
		.amdhsa_user_sgpr_queue_ptr 0
		.amdhsa_user_sgpr_kernarg_segment_ptr 1
		.amdhsa_user_sgpr_dispatch_id 0
		.amdhsa_user_sgpr_flat_scratch_init 0
		.amdhsa_user_sgpr_private_segment_size 0
		.amdhsa_uses_dynamic_stack 0
		.amdhsa_system_sgpr_private_segment_wavefront_offset 0
		.amdhsa_system_sgpr_workgroup_id_x 1
		.amdhsa_system_sgpr_workgroup_id_y 0
		.amdhsa_system_sgpr_workgroup_id_z 0
		.amdhsa_system_sgpr_workgroup_info 0
		.amdhsa_system_vgpr_workitem_id 0
		.amdhsa_next_free_vgpr 1
		.amdhsa_next_free_sgpr 0
		.amdhsa_reserve_vcc 0
		.amdhsa_reserve_flat_scratch 0
		.amdhsa_float_round_mode_32 0
		.amdhsa_float_round_mode_16_64 0
		.amdhsa_float_denorm_mode_32 3
		.amdhsa_float_denorm_mode_16_64 3
		.amdhsa_dx10_clamp 1
		.amdhsa_ieee_mode 1
		.amdhsa_fp16_overflow 0
		.amdhsa_exception_fp_ieee_invalid_op 0
		.amdhsa_exception_fp_denorm_src 0
		.amdhsa_exception_fp_ieee_div_zero 0
		.amdhsa_exception_fp_ieee_overflow 0
		.amdhsa_exception_fp_ieee_underflow 0
		.amdhsa_exception_fp_ieee_inexact 0
		.amdhsa_exception_int_div_zero 0
	.end_amdhsa_kernel
	.section	.text._ZN7rocprim17ROCPRIM_400000_NS6detail17trampoline_kernelINS0_14default_configENS1_22reduce_config_selectorIN6thrust23THRUST_200600_302600_NS5tupleIblNS6_9null_typeES8_S8_S8_S8_S8_S8_S8_EEEEZNS1_11reduce_implILb1ES3_PS9_SC_S9_NS6_11hip_rocprim9__find_if7functorIS9_EEEE10hipError_tPvRmT1_T2_T3_mT4_P12ihipStream_tbEUlT_E0_NS1_11comp_targetILNS1_3genE10ELNS1_11target_archE1200ELNS1_3gpuE4ELNS1_3repE0EEENS1_30default_config_static_selectorELNS0_4arch9wavefront6targetE1EEEvSK_,"axG",@progbits,_ZN7rocprim17ROCPRIM_400000_NS6detail17trampoline_kernelINS0_14default_configENS1_22reduce_config_selectorIN6thrust23THRUST_200600_302600_NS5tupleIblNS6_9null_typeES8_S8_S8_S8_S8_S8_S8_EEEEZNS1_11reduce_implILb1ES3_PS9_SC_S9_NS6_11hip_rocprim9__find_if7functorIS9_EEEE10hipError_tPvRmT1_T2_T3_mT4_P12ihipStream_tbEUlT_E0_NS1_11comp_targetILNS1_3genE10ELNS1_11target_archE1200ELNS1_3gpuE4ELNS1_3repE0EEENS1_30default_config_static_selectorELNS0_4arch9wavefront6targetE1EEEvSK_,comdat
.Lfunc_end456:
	.size	_ZN7rocprim17ROCPRIM_400000_NS6detail17trampoline_kernelINS0_14default_configENS1_22reduce_config_selectorIN6thrust23THRUST_200600_302600_NS5tupleIblNS6_9null_typeES8_S8_S8_S8_S8_S8_S8_EEEEZNS1_11reduce_implILb1ES3_PS9_SC_S9_NS6_11hip_rocprim9__find_if7functorIS9_EEEE10hipError_tPvRmT1_T2_T3_mT4_P12ihipStream_tbEUlT_E0_NS1_11comp_targetILNS1_3genE10ELNS1_11target_archE1200ELNS1_3gpuE4ELNS1_3repE0EEENS1_30default_config_static_selectorELNS0_4arch9wavefront6targetE1EEEvSK_, .Lfunc_end456-_ZN7rocprim17ROCPRIM_400000_NS6detail17trampoline_kernelINS0_14default_configENS1_22reduce_config_selectorIN6thrust23THRUST_200600_302600_NS5tupleIblNS6_9null_typeES8_S8_S8_S8_S8_S8_S8_EEEEZNS1_11reduce_implILb1ES3_PS9_SC_S9_NS6_11hip_rocprim9__find_if7functorIS9_EEEE10hipError_tPvRmT1_T2_T3_mT4_P12ihipStream_tbEUlT_E0_NS1_11comp_targetILNS1_3genE10ELNS1_11target_archE1200ELNS1_3gpuE4ELNS1_3repE0EEENS1_30default_config_static_selectorELNS0_4arch9wavefront6targetE1EEEvSK_
                                        ; -- End function
	.set _ZN7rocprim17ROCPRIM_400000_NS6detail17trampoline_kernelINS0_14default_configENS1_22reduce_config_selectorIN6thrust23THRUST_200600_302600_NS5tupleIblNS6_9null_typeES8_S8_S8_S8_S8_S8_S8_EEEEZNS1_11reduce_implILb1ES3_PS9_SC_S9_NS6_11hip_rocprim9__find_if7functorIS9_EEEE10hipError_tPvRmT1_T2_T3_mT4_P12ihipStream_tbEUlT_E0_NS1_11comp_targetILNS1_3genE10ELNS1_11target_archE1200ELNS1_3gpuE4ELNS1_3repE0EEENS1_30default_config_static_selectorELNS0_4arch9wavefront6targetE1EEEvSK_.num_vgpr, 0
	.set _ZN7rocprim17ROCPRIM_400000_NS6detail17trampoline_kernelINS0_14default_configENS1_22reduce_config_selectorIN6thrust23THRUST_200600_302600_NS5tupleIblNS6_9null_typeES8_S8_S8_S8_S8_S8_S8_EEEEZNS1_11reduce_implILb1ES3_PS9_SC_S9_NS6_11hip_rocprim9__find_if7functorIS9_EEEE10hipError_tPvRmT1_T2_T3_mT4_P12ihipStream_tbEUlT_E0_NS1_11comp_targetILNS1_3genE10ELNS1_11target_archE1200ELNS1_3gpuE4ELNS1_3repE0EEENS1_30default_config_static_selectorELNS0_4arch9wavefront6targetE1EEEvSK_.num_agpr, 0
	.set _ZN7rocprim17ROCPRIM_400000_NS6detail17trampoline_kernelINS0_14default_configENS1_22reduce_config_selectorIN6thrust23THRUST_200600_302600_NS5tupleIblNS6_9null_typeES8_S8_S8_S8_S8_S8_S8_EEEEZNS1_11reduce_implILb1ES3_PS9_SC_S9_NS6_11hip_rocprim9__find_if7functorIS9_EEEE10hipError_tPvRmT1_T2_T3_mT4_P12ihipStream_tbEUlT_E0_NS1_11comp_targetILNS1_3genE10ELNS1_11target_archE1200ELNS1_3gpuE4ELNS1_3repE0EEENS1_30default_config_static_selectorELNS0_4arch9wavefront6targetE1EEEvSK_.numbered_sgpr, 0
	.set _ZN7rocprim17ROCPRIM_400000_NS6detail17trampoline_kernelINS0_14default_configENS1_22reduce_config_selectorIN6thrust23THRUST_200600_302600_NS5tupleIblNS6_9null_typeES8_S8_S8_S8_S8_S8_S8_EEEEZNS1_11reduce_implILb1ES3_PS9_SC_S9_NS6_11hip_rocprim9__find_if7functorIS9_EEEE10hipError_tPvRmT1_T2_T3_mT4_P12ihipStream_tbEUlT_E0_NS1_11comp_targetILNS1_3genE10ELNS1_11target_archE1200ELNS1_3gpuE4ELNS1_3repE0EEENS1_30default_config_static_selectorELNS0_4arch9wavefront6targetE1EEEvSK_.num_named_barrier, 0
	.set _ZN7rocprim17ROCPRIM_400000_NS6detail17trampoline_kernelINS0_14default_configENS1_22reduce_config_selectorIN6thrust23THRUST_200600_302600_NS5tupleIblNS6_9null_typeES8_S8_S8_S8_S8_S8_S8_EEEEZNS1_11reduce_implILb1ES3_PS9_SC_S9_NS6_11hip_rocprim9__find_if7functorIS9_EEEE10hipError_tPvRmT1_T2_T3_mT4_P12ihipStream_tbEUlT_E0_NS1_11comp_targetILNS1_3genE10ELNS1_11target_archE1200ELNS1_3gpuE4ELNS1_3repE0EEENS1_30default_config_static_selectorELNS0_4arch9wavefront6targetE1EEEvSK_.private_seg_size, 0
	.set _ZN7rocprim17ROCPRIM_400000_NS6detail17trampoline_kernelINS0_14default_configENS1_22reduce_config_selectorIN6thrust23THRUST_200600_302600_NS5tupleIblNS6_9null_typeES8_S8_S8_S8_S8_S8_S8_EEEEZNS1_11reduce_implILb1ES3_PS9_SC_S9_NS6_11hip_rocprim9__find_if7functorIS9_EEEE10hipError_tPvRmT1_T2_T3_mT4_P12ihipStream_tbEUlT_E0_NS1_11comp_targetILNS1_3genE10ELNS1_11target_archE1200ELNS1_3gpuE4ELNS1_3repE0EEENS1_30default_config_static_selectorELNS0_4arch9wavefront6targetE1EEEvSK_.uses_vcc, 0
	.set _ZN7rocprim17ROCPRIM_400000_NS6detail17trampoline_kernelINS0_14default_configENS1_22reduce_config_selectorIN6thrust23THRUST_200600_302600_NS5tupleIblNS6_9null_typeES8_S8_S8_S8_S8_S8_S8_EEEEZNS1_11reduce_implILb1ES3_PS9_SC_S9_NS6_11hip_rocprim9__find_if7functorIS9_EEEE10hipError_tPvRmT1_T2_T3_mT4_P12ihipStream_tbEUlT_E0_NS1_11comp_targetILNS1_3genE10ELNS1_11target_archE1200ELNS1_3gpuE4ELNS1_3repE0EEENS1_30default_config_static_selectorELNS0_4arch9wavefront6targetE1EEEvSK_.uses_flat_scratch, 0
	.set _ZN7rocprim17ROCPRIM_400000_NS6detail17trampoline_kernelINS0_14default_configENS1_22reduce_config_selectorIN6thrust23THRUST_200600_302600_NS5tupleIblNS6_9null_typeES8_S8_S8_S8_S8_S8_S8_EEEEZNS1_11reduce_implILb1ES3_PS9_SC_S9_NS6_11hip_rocprim9__find_if7functorIS9_EEEE10hipError_tPvRmT1_T2_T3_mT4_P12ihipStream_tbEUlT_E0_NS1_11comp_targetILNS1_3genE10ELNS1_11target_archE1200ELNS1_3gpuE4ELNS1_3repE0EEENS1_30default_config_static_selectorELNS0_4arch9wavefront6targetE1EEEvSK_.has_dyn_sized_stack, 0
	.set _ZN7rocprim17ROCPRIM_400000_NS6detail17trampoline_kernelINS0_14default_configENS1_22reduce_config_selectorIN6thrust23THRUST_200600_302600_NS5tupleIblNS6_9null_typeES8_S8_S8_S8_S8_S8_S8_EEEEZNS1_11reduce_implILb1ES3_PS9_SC_S9_NS6_11hip_rocprim9__find_if7functorIS9_EEEE10hipError_tPvRmT1_T2_T3_mT4_P12ihipStream_tbEUlT_E0_NS1_11comp_targetILNS1_3genE10ELNS1_11target_archE1200ELNS1_3gpuE4ELNS1_3repE0EEENS1_30default_config_static_selectorELNS0_4arch9wavefront6targetE1EEEvSK_.has_recursion, 0
	.set _ZN7rocprim17ROCPRIM_400000_NS6detail17trampoline_kernelINS0_14default_configENS1_22reduce_config_selectorIN6thrust23THRUST_200600_302600_NS5tupleIblNS6_9null_typeES8_S8_S8_S8_S8_S8_S8_EEEEZNS1_11reduce_implILb1ES3_PS9_SC_S9_NS6_11hip_rocprim9__find_if7functorIS9_EEEE10hipError_tPvRmT1_T2_T3_mT4_P12ihipStream_tbEUlT_E0_NS1_11comp_targetILNS1_3genE10ELNS1_11target_archE1200ELNS1_3gpuE4ELNS1_3repE0EEENS1_30default_config_static_selectorELNS0_4arch9wavefront6targetE1EEEvSK_.has_indirect_call, 0
	.section	.AMDGPU.csdata,"",@progbits
; Kernel info:
; codeLenInByte = 0
; TotalNumSgprs: 4
; NumVgprs: 0
; ScratchSize: 0
; MemoryBound: 0
; FloatMode: 240
; IeeeMode: 1
; LDSByteSize: 0 bytes/workgroup (compile time only)
; SGPRBlocks: 0
; VGPRBlocks: 0
; NumSGPRsForWavesPerEU: 4
; NumVGPRsForWavesPerEU: 1
; Occupancy: 10
; WaveLimiterHint : 0
; COMPUTE_PGM_RSRC2:SCRATCH_EN: 0
; COMPUTE_PGM_RSRC2:USER_SGPR: 6
; COMPUTE_PGM_RSRC2:TRAP_HANDLER: 0
; COMPUTE_PGM_RSRC2:TGID_X_EN: 1
; COMPUTE_PGM_RSRC2:TGID_Y_EN: 0
; COMPUTE_PGM_RSRC2:TGID_Z_EN: 0
; COMPUTE_PGM_RSRC2:TIDIG_COMP_CNT: 0
	.section	.text._ZN7rocprim17ROCPRIM_400000_NS6detail17trampoline_kernelINS0_14default_configENS1_22reduce_config_selectorIN6thrust23THRUST_200600_302600_NS5tupleIblNS6_9null_typeES8_S8_S8_S8_S8_S8_S8_EEEEZNS1_11reduce_implILb1ES3_PS9_SC_S9_NS6_11hip_rocprim9__find_if7functorIS9_EEEE10hipError_tPvRmT1_T2_T3_mT4_P12ihipStream_tbEUlT_E0_NS1_11comp_targetILNS1_3genE9ELNS1_11target_archE1100ELNS1_3gpuE3ELNS1_3repE0EEENS1_30default_config_static_selectorELNS0_4arch9wavefront6targetE1EEEvSK_,"axG",@progbits,_ZN7rocprim17ROCPRIM_400000_NS6detail17trampoline_kernelINS0_14default_configENS1_22reduce_config_selectorIN6thrust23THRUST_200600_302600_NS5tupleIblNS6_9null_typeES8_S8_S8_S8_S8_S8_S8_EEEEZNS1_11reduce_implILb1ES3_PS9_SC_S9_NS6_11hip_rocprim9__find_if7functorIS9_EEEE10hipError_tPvRmT1_T2_T3_mT4_P12ihipStream_tbEUlT_E0_NS1_11comp_targetILNS1_3genE9ELNS1_11target_archE1100ELNS1_3gpuE3ELNS1_3repE0EEENS1_30default_config_static_selectorELNS0_4arch9wavefront6targetE1EEEvSK_,comdat
	.protected	_ZN7rocprim17ROCPRIM_400000_NS6detail17trampoline_kernelINS0_14default_configENS1_22reduce_config_selectorIN6thrust23THRUST_200600_302600_NS5tupleIblNS6_9null_typeES8_S8_S8_S8_S8_S8_S8_EEEEZNS1_11reduce_implILb1ES3_PS9_SC_S9_NS6_11hip_rocprim9__find_if7functorIS9_EEEE10hipError_tPvRmT1_T2_T3_mT4_P12ihipStream_tbEUlT_E0_NS1_11comp_targetILNS1_3genE9ELNS1_11target_archE1100ELNS1_3gpuE3ELNS1_3repE0EEENS1_30default_config_static_selectorELNS0_4arch9wavefront6targetE1EEEvSK_ ; -- Begin function _ZN7rocprim17ROCPRIM_400000_NS6detail17trampoline_kernelINS0_14default_configENS1_22reduce_config_selectorIN6thrust23THRUST_200600_302600_NS5tupleIblNS6_9null_typeES8_S8_S8_S8_S8_S8_S8_EEEEZNS1_11reduce_implILb1ES3_PS9_SC_S9_NS6_11hip_rocprim9__find_if7functorIS9_EEEE10hipError_tPvRmT1_T2_T3_mT4_P12ihipStream_tbEUlT_E0_NS1_11comp_targetILNS1_3genE9ELNS1_11target_archE1100ELNS1_3gpuE3ELNS1_3repE0EEENS1_30default_config_static_selectorELNS0_4arch9wavefront6targetE1EEEvSK_
	.globl	_ZN7rocprim17ROCPRIM_400000_NS6detail17trampoline_kernelINS0_14default_configENS1_22reduce_config_selectorIN6thrust23THRUST_200600_302600_NS5tupleIblNS6_9null_typeES8_S8_S8_S8_S8_S8_S8_EEEEZNS1_11reduce_implILb1ES3_PS9_SC_S9_NS6_11hip_rocprim9__find_if7functorIS9_EEEE10hipError_tPvRmT1_T2_T3_mT4_P12ihipStream_tbEUlT_E0_NS1_11comp_targetILNS1_3genE9ELNS1_11target_archE1100ELNS1_3gpuE3ELNS1_3repE0EEENS1_30default_config_static_selectorELNS0_4arch9wavefront6targetE1EEEvSK_
	.p2align	8
	.type	_ZN7rocprim17ROCPRIM_400000_NS6detail17trampoline_kernelINS0_14default_configENS1_22reduce_config_selectorIN6thrust23THRUST_200600_302600_NS5tupleIblNS6_9null_typeES8_S8_S8_S8_S8_S8_S8_EEEEZNS1_11reduce_implILb1ES3_PS9_SC_S9_NS6_11hip_rocprim9__find_if7functorIS9_EEEE10hipError_tPvRmT1_T2_T3_mT4_P12ihipStream_tbEUlT_E0_NS1_11comp_targetILNS1_3genE9ELNS1_11target_archE1100ELNS1_3gpuE3ELNS1_3repE0EEENS1_30default_config_static_selectorELNS0_4arch9wavefront6targetE1EEEvSK_,@function
_ZN7rocprim17ROCPRIM_400000_NS6detail17trampoline_kernelINS0_14default_configENS1_22reduce_config_selectorIN6thrust23THRUST_200600_302600_NS5tupleIblNS6_9null_typeES8_S8_S8_S8_S8_S8_S8_EEEEZNS1_11reduce_implILb1ES3_PS9_SC_S9_NS6_11hip_rocprim9__find_if7functorIS9_EEEE10hipError_tPvRmT1_T2_T3_mT4_P12ihipStream_tbEUlT_E0_NS1_11comp_targetILNS1_3genE9ELNS1_11target_archE1100ELNS1_3gpuE3ELNS1_3repE0EEENS1_30default_config_static_selectorELNS0_4arch9wavefront6targetE1EEEvSK_: ; @_ZN7rocprim17ROCPRIM_400000_NS6detail17trampoline_kernelINS0_14default_configENS1_22reduce_config_selectorIN6thrust23THRUST_200600_302600_NS5tupleIblNS6_9null_typeES8_S8_S8_S8_S8_S8_S8_EEEEZNS1_11reduce_implILb1ES3_PS9_SC_S9_NS6_11hip_rocprim9__find_if7functorIS9_EEEE10hipError_tPvRmT1_T2_T3_mT4_P12ihipStream_tbEUlT_E0_NS1_11comp_targetILNS1_3genE9ELNS1_11target_archE1100ELNS1_3gpuE3ELNS1_3repE0EEENS1_30default_config_static_selectorELNS0_4arch9wavefront6targetE1EEEvSK_
; %bb.0:
	.section	.rodata,"a",@progbits
	.p2align	6, 0x0
	.amdhsa_kernel _ZN7rocprim17ROCPRIM_400000_NS6detail17trampoline_kernelINS0_14default_configENS1_22reduce_config_selectorIN6thrust23THRUST_200600_302600_NS5tupleIblNS6_9null_typeES8_S8_S8_S8_S8_S8_S8_EEEEZNS1_11reduce_implILb1ES3_PS9_SC_S9_NS6_11hip_rocprim9__find_if7functorIS9_EEEE10hipError_tPvRmT1_T2_T3_mT4_P12ihipStream_tbEUlT_E0_NS1_11comp_targetILNS1_3genE9ELNS1_11target_archE1100ELNS1_3gpuE3ELNS1_3repE0EEENS1_30default_config_static_selectorELNS0_4arch9wavefront6targetE1EEEvSK_
		.amdhsa_group_segment_fixed_size 0
		.amdhsa_private_segment_fixed_size 0
		.amdhsa_kernarg_size 72
		.amdhsa_user_sgpr_count 6
		.amdhsa_user_sgpr_private_segment_buffer 1
		.amdhsa_user_sgpr_dispatch_ptr 0
		.amdhsa_user_sgpr_queue_ptr 0
		.amdhsa_user_sgpr_kernarg_segment_ptr 1
		.amdhsa_user_sgpr_dispatch_id 0
		.amdhsa_user_sgpr_flat_scratch_init 0
		.amdhsa_user_sgpr_private_segment_size 0
		.amdhsa_uses_dynamic_stack 0
		.amdhsa_system_sgpr_private_segment_wavefront_offset 0
		.amdhsa_system_sgpr_workgroup_id_x 1
		.amdhsa_system_sgpr_workgroup_id_y 0
		.amdhsa_system_sgpr_workgroup_id_z 0
		.amdhsa_system_sgpr_workgroup_info 0
		.amdhsa_system_vgpr_workitem_id 0
		.amdhsa_next_free_vgpr 1
		.amdhsa_next_free_sgpr 0
		.amdhsa_reserve_vcc 0
		.amdhsa_reserve_flat_scratch 0
		.amdhsa_float_round_mode_32 0
		.amdhsa_float_round_mode_16_64 0
		.amdhsa_float_denorm_mode_32 3
		.amdhsa_float_denorm_mode_16_64 3
		.amdhsa_dx10_clamp 1
		.amdhsa_ieee_mode 1
		.amdhsa_fp16_overflow 0
		.amdhsa_exception_fp_ieee_invalid_op 0
		.amdhsa_exception_fp_denorm_src 0
		.amdhsa_exception_fp_ieee_div_zero 0
		.amdhsa_exception_fp_ieee_overflow 0
		.amdhsa_exception_fp_ieee_underflow 0
		.amdhsa_exception_fp_ieee_inexact 0
		.amdhsa_exception_int_div_zero 0
	.end_amdhsa_kernel
	.section	.text._ZN7rocprim17ROCPRIM_400000_NS6detail17trampoline_kernelINS0_14default_configENS1_22reduce_config_selectorIN6thrust23THRUST_200600_302600_NS5tupleIblNS6_9null_typeES8_S8_S8_S8_S8_S8_S8_EEEEZNS1_11reduce_implILb1ES3_PS9_SC_S9_NS6_11hip_rocprim9__find_if7functorIS9_EEEE10hipError_tPvRmT1_T2_T3_mT4_P12ihipStream_tbEUlT_E0_NS1_11comp_targetILNS1_3genE9ELNS1_11target_archE1100ELNS1_3gpuE3ELNS1_3repE0EEENS1_30default_config_static_selectorELNS0_4arch9wavefront6targetE1EEEvSK_,"axG",@progbits,_ZN7rocprim17ROCPRIM_400000_NS6detail17trampoline_kernelINS0_14default_configENS1_22reduce_config_selectorIN6thrust23THRUST_200600_302600_NS5tupleIblNS6_9null_typeES8_S8_S8_S8_S8_S8_S8_EEEEZNS1_11reduce_implILb1ES3_PS9_SC_S9_NS6_11hip_rocprim9__find_if7functorIS9_EEEE10hipError_tPvRmT1_T2_T3_mT4_P12ihipStream_tbEUlT_E0_NS1_11comp_targetILNS1_3genE9ELNS1_11target_archE1100ELNS1_3gpuE3ELNS1_3repE0EEENS1_30default_config_static_selectorELNS0_4arch9wavefront6targetE1EEEvSK_,comdat
.Lfunc_end457:
	.size	_ZN7rocprim17ROCPRIM_400000_NS6detail17trampoline_kernelINS0_14default_configENS1_22reduce_config_selectorIN6thrust23THRUST_200600_302600_NS5tupleIblNS6_9null_typeES8_S8_S8_S8_S8_S8_S8_EEEEZNS1_11reduce_implILb1ES3_PS9_SC_S9_NS6_11hip_rocprim9__find_if7functorIS9_EEEE10hipError_tPvRmT1_T2_T3_mT4_P12ihipStream_tbEUlT_E0_NS1_11comp_targetILNS1_3genE9ELNS1_11target_archE1100ELNS1_3gpuE3ELNS1_3repE0EEENS1_30default_config_static_selectorELNS0_4arch9wavefront6targetE1EEEvSK_, .Lfunc_end457-_ZN7rocprim17ROCPRIM_400000_NS6detail17trampoline_kernelINS0_14default_configENS1_22reduce_config_selectorIN6thrust23THRUST_200600_302600_NS5tupleIblNS6_9null_typeES8_S8_S8_S8_S8_S8_S8_EEEEZNS1_11reduce_implILb1ES3_PS9_SC_S9_NS6_11hip_rocprim9__find_if7functorIS9_EEEE10hipError_tPvRmT1_T2_T3_mT4_P12ihipStream_tbEUlT_E0_NS1_11comp_targetILNS1_3genE9ELNS1_11target_archE1100ELNS1_3gpuE3ELNS1_3repE0EEENS1_30default_config_static_selectorELNS0_4arch9wavefront6targetE1EEEvSK_
                                        ; -- End function
	.set _ZN7rocprim17ROCPRIM_400000_NS6detail17trampoline_kernelINS0_14default_configENS1_22reduce_config_selectorIN6thrust23THRUST_200600_302600_NS5tupleIblNS6_9null_typeES8_S8_S8_S8_S8_S8_S8_EEEEZNS1_11reduce_implILb1ES3_PS9_SC_S9_NS6_11hip_rocprim9__find_if7functorIS9_EEEE10hipError_tPvRmT1_T2_T3_mT4_P12ihipStream_tbEUlT_E0_NS1_11comp_targetILNS1_3genE9ELNS1_11target_archE1100ELNS1_3gpuE3ELNS1_3repE0EEENS1_30default_config_static_selectorELNS0_4arch9wavefront6targetE1EEEvSK_.num_vgpr, 0
	.set _ZN7rocprim17ROCPRIM_400000_NS6detail17trampoline_kernelINS0_14default_configENS1_22reduce_config_selectorIN6thrust23THRUST_200600_302600_NS5tupleIblNS6_9null_typeES8_S8_S8_S8_S8_S8_S8_EEEEZNS1_11reduce_implILb1ES3_PS9_SC_S9_NS6_11hip_rocprim9__find_if7functorIS9_EEEE10hipError_tPvRmT1_T2_T3_mT4_P12ihipStream_tbEUlT_E0_NS1_11comp_targetILNS1_3genE9ELNS1_11target_archE1100ELNS1_3gpuE3ELNS1_3repE0EEENS1_30default_config_static_selectorELNS0_4arch9wavefront6targetE1EEEvSK_.num_agpr, 0
	.set _ZN7rocprim17ROCPRIM_400000_NS6detail17trampoline_kernelINS0_14default_configENS1_22reduce_config_selectorIN6thrust23THRUST_200600_302600_NS5tupleIblNS6_9null_typeES8_S8_S8_S8_S8_S8_S8_EEEEZNS1_11reduce_implILb1ES3_PS9_SC_S9_NS6_11hip_rocprim9__find_if7functorIS9_EEEE10hipError_tPvRmT1_T2_T3_mT4_P12ihipStream_tbEUlT_E0_NS1_11comp_targetILNS1_3genE9ELNS1_11target_archE1100ELNS1_3gpuE3ELNS1_3repE0EEENS1_30default_config_static_selectorELNS0_4arch9wavefront6targetE1EEEvSK_.numbered_sgpr, 0
	.set _ZN7rocprim17ROCPRIM_400000_NS6detail17trampoline_kernelINS0_14default_configENS1_22reduce_config_selectorIN6thrust23THRUST_200600_302600_NS5tupleIblNS6_9null_typeES8_S8_S8_S8_S8_S8_S8_EEEEZNS1_11reduce_implILb1ES3_PS9_SC_S9_NS6_11hip_rocprim9__find_if7functorIS9_EEEE10hipError_tPvRmT1_T2_T3_mT4_P12ihipStream_tbEUlT_E0_NS1_11comp_targetILNS1_3genE9ELNS1_11target_archE1100ELNS1_3gpuE3ELNS1_3repE0EEENS1_30default_config_static_selectorELNS0_4arch9wavefront6targetE1EEEvSK_.num_named_barrier, 0
	.set _ZN7rocprim17ROCPRIM_400000_NS6detail17trampoline_kernelINS0_14default_configENS1_22reduce_config_selectorIN6thrust23THRUST_200600_302600_NS5tupleIblNS6_9null_typeES8_S8_S8_S8_S8_S8_S8_EEEEZNS1_11reduce_implILb1ES3_PS9_SC_S9_NS6_11hip_rocprim9__find_if7functorIS9_EEEE10hipError_tPvRmT1_T2_T3_mT4_P12ihipStream_tbEUlT_E0_NS1_11comp_targetILNS1_3genE9ELNS1_11target_archE1100ELNS1_3gpuE3ELNS1_3repE0EEENS1_30default_config_static_selectorELNS0_4arch9wavefront6targetE1EEEvSK_.private_seg_size, 0
	.set _ZN7rocprim17ROCPRIM_400000_NS6detail17trampoline_kernelINS0_14default_configENS1_22reduce_config_selectorIN6thrust23THRUST_200600_302600_NS5tupleIblNS6_9null_typeES8_S8_S8_S8_S8_S8_S8_EEEEZNS1_11reduce_implILb1ES3_PS9_SC_S9_NS6_11hip_rocprim9__find_if7functorIS9_EEEE10hipError_tPvRmT1_T2_T3_mT4_P12ihipStream_tbEUlT_E0_NS1_11comp_targetILNS1_3genE9ELNS1_11target_archE1100ELNS1_3gpuE3ELNS1_3repE0EEENS1_30default_config_static_selectorELNS0_4arch9wavefront6targetE1EEEvSK_.uses_vcc, 0
	.set _ZN7rocprim17ROCPRIM_400000_NS6detail17trampoline_kernelINS0_14default_configENS1_22reduce_config_selectorIN6thrust23THRUST_200600_302600_NS5tupleIblNS6_9null_typeES8_S8_S8_S8_S8_S8_S8_EEEEZNS1_11reduce_implILb1ES3_PS9_SC_S9_NS6_11hip_rocprim9__find_if7functorIS9_EEEE10hipError_tPvRmT1_T2_T3_mT4_P12ihipStream_tbEUlT_E0_NS1_11comp_targetILNS1_3genE9ELNS1_11target_archE1100ELNS1_3gpuE3ELNS1_3repE0EEENS1_30default_config_static_selectorELNS0_4arch9wavefront6targetE1EEEvSK_.uses_flat_scratch, 0
	.set _ZN7rocprim17ROCPRIM_400000_NS6detail17trampoline_kernelINS0_14default_configENS1_22reduce_config_selectorIN6thrust23THRUST_200600_302600_NS5tupleIblNS6_9null_typeES8_S8_S8_S8_S8_S8_S8_EEEEZNS1_11reduce_implILb1ES3_PS9_SC_S9_NS6_11hip_rocprim9__find_if7functorIS9_EEEE10hipError_tPvRmT1_T2_T3_mT4_P12ihipStream_tbEUlT_E0_NS1_11comp_targetILNS1_3genE9ELNS1_11target_archE1100ELNS1_3gpuE3ELNS1_3repE0EEENS1_30default_config_static_selectorELNS0_4arch9wavefront6targetE1EEEvSK_.has_dyn_sized_stack, 0
	.set _ZN7rocprim17ROCPRIM_400000_NS6detail17trampoline_kernelINS0_14default_configENS1_22reduce_config_selectorIN6thrust23THRUST_200600_302600_NS5tupleIblNS6_9null_typeES8_S8_S8_S8_S8_S8_S8_EEEEZNS1_11reduce_implILb1ES3_PS9_SC_S9_NS6_11hip_rocprim9__find_if7functorIS9_EEEE10hipError_tPvRmT1_T2_T3_mT4_P12ihipStream_tbEUlT_E0_NS1_11comp_targetILNS1_3genE9ELNS1_11target_archE1100ELNS1_3gpuE3ELNS1_3repE0EEENS1_30default_config_static_selectorELNS0_4arch9wavefront6targetE1EEEvSK_.has_recursion, 0
	.set _ZN7rocprim17ROCPRIM_400000_NS6detail17trampoline_kernelINS0_14default_configENS1_22reduce_config_selectorIN6thrust23THRUST_200600_302600_NS5tupleIblNS6_9null_typeES8_S8_S8_S8_S8_S8_S8_EEEEZNS1_11reduce_implILb1ES3_PS9_SC_S9_NS6_11hip_rocprim9__find_if7functorIS9_EEEE10hipError_tPvRmT1_T2_T3_mT4_P12ihipStream_tbEUlT_E0_NS1_11comp_targetILNS1_3genE9ELNS1_11target_archE1100ELNS1_3gpuE3ELNS1_3repE0EEENS1_30default_config_static_selectorELNS0_4arch9wavefront6targetE1EEEvSK_.has_indirect_call, 0
	.section	.AMDGPU.csdata,"",@progbits
; Kernel info:
; codeLenInByte = 0
; TotalNumSgprs: 4
; NumVgprs: 0
; ScratchSize: 0
; MemoryBound: 0
; FloatMode: 240
; IeeeMode: 1
; LDSByteSize: 0 bytes/workgroup (compile time only)
; SGPRBlocks: 0
; VGPRBlocks: 0
; NumSGPRsForWavesPerEU: 4
; NumVGPRsForWavesPerEU: 1
; Occupancy: 10
; WaveLimiterHint : 0
; COMPUTE_PGM_RSRC2:SCRATCH_EN: 0
; COMPUTE_PGM_RSRC2:USER_SGPR: 6
; COMPUTE_PGM_RSRC2:TRAP_HANDLER: 0
; COMPUTE_PGM_RSRC2:TGID_X_EN: 1
; COMPUTE_PGM_RSRC2:TGID_Y_EN: 0
; COMPUTE_PGM_RSRC2:TGID_Z_EN: 0
; COMPUTE_PGM_RSRC2:TIDIG_COMP_CNT: 0
	.section	.text._ZN7rocprim17ROCPRIM_400000_NS6detail17trampoline_kernelINS0_14default_configENS1_22reduce_config_selectorIN6thrust23THRUST_200600_302600_NS5tupleIblNS6_9null_typeES8_S8_S8_S8_S8_S8_S8_EEEEZNS1_11reduce_implILb1ES3_PS9_SC_S9_NS6_11hip_rocprim9__find_if7functorIS9_EEEE10hipError_tPvRmT1_T2_T3_mT4_P12ihipStream_tbEUlT_E0_NS1_11comp_targetILNS1_3genE8ELNS1_11target_archE1030ELNS1_3gpuE2ELNS1_3repE0EEENS1_30default_config_static_selectorELNS0_4arch9wavefront6targetE1EEEvSK_,"axG",@progbits,_ZN7rocprim17ROCPRIM_400000_NS6detail17trampoline_kernelINS0_14default_configENS1_22reduce_config_selectorIN6thrust23THRUST_200600_302600_NS5tupleIblNS6_9null_typeES8_S8_S8_S8_S8_S8_S8_EEEEZNS1_11reduce_implILb1ES3_PS9_SC_S9_NS6_11hip_rocprim9__find_if7functorIS9_EEEE10hipError_tPvRmT1_T2_T3_mT4_P12ihipStream_tbEUlT_E0_NS1_11comp_targetILNS1_3genE8ELNS1_11target_archE1030ELNS1_3gpuE2ELNS1_3repE0EEENS1_30default_config_static_selectorELNS0_4arch9wavefront6targetE1EEEvSK_,comdat
	.protected	_ZN7rocprim17ROCPRIM_400000_NS6detail17trampoline_kernelINS0_14default_configENS1_22reduce_config_selectorIN6thrust23THRUST_200600_302600_NS5tupleIblNS6_9null_typeES8_S8_S8_S8_S8_S8_S8_EEEEZNS1_11reduce_implILb1ES3_PS9_SC_S9_NS6_11hip_rocprim9__find_if7functorIS9_EEEE10hipError_tPvRmT1_T2_T3_mT4_P12ihipStream_tbEUlT_E0_NS1_11comp_targetILNS1_3genE8ELNS1_11target_archE1030ELNS1_3gpuE2ELNS1_3repE0EEENS1_30default_config_static_selectorELNS0_4arch9wavefront6targetE1EEEvSK_ ; -- Begin function _ZN7rocprim17ROCPRIM_400000_NS6detail17trampoline_kernelINS0_14default_configENS1_22reduce_config_selectorIN6thrust23THRUST_200600_302600_NS5tupleIblNS6_9null_typeES8_S8_S8_S8_S8_S8_S8_EEEEZNS1_11reduce_implILb1ES3_PS9_SC_S9_NS6_11hip_rocprim9__find_if7functorIS9_EEEE10hipError_tPvRmT1_T2_T3_mT4_P12ihipStream_tbEUlT_E0_NS1_11comp_targetILNS1_3genE8ELNS1_11target_archE1030ELNS1_3gpuE2ELNS1_3repE0EEENS1_30default_config_static_selectorELNS0_4arch9wavefront6targetE1EEEvSK_
	.globl	_ZN7rocprim17ROCPRIM_400000_NS6detail17trampoline_kernelINS0_14default_configENS1_22reduce_config_selectorIN6thrust23THRUST_200600_302600_NS5tupleIblNS6_9null_typeES8_S8_S8_S8_S8_S8_S8_EEEEZNS1_11reduce_implILb1ES3_PS9_SC_S9_NS6_11hip_rocprim9__find_if7functorIS9_EEEE10hipError_tPvRmT1_T2_T3_mT4_P12ihipStream_tbEUlT_E0_NS1_11comp_targetILNS1_3genE8ELNS1_11target_archE1030ELNS1_3gpuE2ELNS1_3repE0EEENS1_30default_config_static_selectorELNS0_4arch9wavefront6targetE1EEEvSK_
	.p2align	8
	.type	_ZN7rocprim17ROCPRIM_400000_NS6detail17trampoline_kernelINS0_14default_configENS1_22reduce_config_selectorIN6thrust23THRUST_200600_302600_NS5tupleIblNS6_9null_typeES8_S8_S8_S8_S8_S8_S8_EEEEZNS1_11reduce_implILb1ES3_PS9_SC_S9_NS6_11hip_rocprim9__find_if7functorIS9_EEEE10hipError_tPvRmT1_T2_T3_mT4_P12ihipStream_tbEUlT_E0_NS1_11comp_targetILNS1_3genE8ELNS1_11target_archE1030ELNS1_3gpuE2ELNS1_3repE0EEENS1_30default_config_static_selectorELNS0_4arch9wavefront6targetE1EEEvSK_,@function
_ZN7rocprim17ROCPRIM_400000_NS6detail17trampoline_kernelINS0_14default_configENS1_22reduce_config_selectorIN6thrust23THRUST_200600_302600_NS5tupleIblNS6_9null_typeES8_S8_S8_S8_S8_S8_S8_EEEEZNS1_11reduce_implILb1ES3_PS9_SC_S9_NS6_11hip_rocprim9__find_if7functorIS9_EEEE10hipError_tPvRmT1_T2_T3_mT4_P12ihipStream_tbEUlT_E0_NS1_11comp_targetILNS1_3genE8ELNS1_11target_archE1030ELNS1_3gpuE2ELNS1_3repE0EEENS1_30default_config_static_selectorELNS0_4arch9wavefront6targetE1EEEvSK_: ; @_ZN7rocprim17ROCPRIM_400000_NS6detail17trampoline_kernelINS0_14default_configENS1_22reduce_config_selectorIN6thrust23THRUST_200600_302600_NS5tupleIblNS6_9null_typeES8_S8_S8_S8_S8_S8_S8_EEEEZNS1_11reduce_implILb1ES3_PS9_SC_S9_NS6_11hip_rocprim9__find_if7functorIS9_EEEE10hipError_tPvRmT1_T2_T3_mT4_P12ihipStream_tbEUlT_E0_NS1_11comp_targetILNS1_3genE8ELNS1_11target_archE1030ELNS1_3gpuE2ELNS1_3repE0EEENS1_30default_config_static_selectorELNS0_4arch9wavefront6targetE1EEEvSK_
; %bb.0:
	.section	.rodata,"a",@progbits
	.p2align	6, 0x0
	.amdhsa_kernel _ZN7rocprim17ROCPRIM_400000_NS6detail17trampoline_kernelINS0_14default_configENS1_22reduce_config_selectorIN6thrust23THRUST_200600_302600_NS5tupleIblNS6_9null_typeES8_S8_S8_S8_S8_S8_S8_EEEEZNS1_11reduce_implILb1ES3_PS9_SC_S9_NS6_11hip_rocprim9__find_if7functorIS9_EEEE10hipError_tPvRmT1_T2_T3_mT4_P12ihipStream_tbEUlT_E0_NS1_11comp_targetILNS1_3genE8ELNS1_11target_archE1030ELNS1_3gpuE2ELNS1_3repE0EEENS1_30default_config_static_selectorELNS0_4arch9wavefront6targetE1EEEvSK_
		.amdhsa_group_segment_fixed_size 0
		.amdhsa_private_segment_fixed_size 0
		.amdhsa_kernarg_size 72
		.amdhsa_user_sgpr_count 6
		.amdhsa_user_sgpr_private_segment_buffer 1
		.amdhsa_user_sgpr_dispatch_ptr 0
		.amdhsa_user_sgpr_queue_ptr 0
		.amdhsa_user_sgpr_kernarg_segment_ptr 1
		.amdhsa_user_sgpr_dispatch_id 0
		.amdhsa_user_sgpr_flat_scratch_init 0
		.amdhsa_user_sgpr_private_segment_size 0
		.amdhsa_uses_dynamic_stack 0
		.amdhsa_system_sgpr_private_segment_wavefront_offset 0
		.amdhsa_system_sgpr_workgroup_id_x 1
		.amdhsa_system_sgpr_workgroup_id_y 0
		.amdhsa_system_sgpr_workgroup_id_z 0
		.amdhsa_system_sgpr_workgroup_info 0
		.amdhsa_system_vgpr_workitem_id 0
		.amdhsa_next_free_vgpr 1
		.amdhsa_next_free_sgpr 0
		.amdhsa_reserve_vcc 0
		.amdhsa_reserve_flat_scratch 0
		.amdhsa_float_round_mode_32 0
		.amdhsa_float_round_mode_16_64 0
		.amdhsa_float_denorm_mode_32 3
		.amdhsa_float_denorm_mode_16_64 3
		.amdhsa_dx10_clamp 1
		.amdhsa_ieee_mode 1
		.amdhsa_fp16_overflow 0
		.amdhsa_exception_fp_ieee_invalid_op 0
		.amdhsa_exception_fp_denorm_src 0
		.amdhsa_exception_fp_ieee_div_zero 0
		.amdhsa_exception_fp_ieee_overflow 0
		.amdhsa_exception_fp_ieee_underflow 0
		.amdhsa_exception_fp_ieee_inexact 0
		.amdhsa_exception_int_div_zero 0
	.end_amdhsa_kernel
	.section	.text._ZN7rocprim17ROCPRIM_400000_NS6detail17trampoline_kernelINS0_14default_configENS1_22reduce_config_selectorIN6thrust23THRUST_200600_302600_NS5tupleIblNS6_9null_typeES8_S8_S8_S8_S8_S8_S8_EEEEZNS1_11reduce_implILb1ES3_PS9_SC_S9_NS6_11hip_rocprim9__find_if7functorIS9_EEEE10hipError_tPvRmT1_T2_T3_mT4_P12ihipStream_tbEUlT_E0_NS1_11comp_targetILNS1_3genE8ELNS1_11target_archE1030ELNS1_3gpuE2ELNS1_3repE0EEENS1_30default_config_static_selectorELNS0_4arch9wavefront6targetE1EEEvSK_,"axG",@progbits,_ZN7rocprim17ROCPRIM_400000_NS6detail17trampoline_kernelINS0_14default_configENS1_22reduce_config_selectorIN6thrust23THRUST_200600_302600_NS5tupleIblNS6_9null_typeES8_S8_S8_S8_S8_S8_S8_EEEEZNS1_11reduce_implILb1ES3_PS9_SC_S9_NS6_11hip_rocprim9__find_if7functorIS9_EEEE10hipError_tPvRmT1_T2_T3_mT4_P12ihipStream_tbEUlT_E0_NS1_11comp_targetILNS1_3genE8ELNS1_11target_archE1030ELNS1_3gpuE2ELNS1_3repE0EEENS1_30default_config_static_selectorELNS0_4arch9wavefront6targetE1EEEvSK_,comdat
.Lfunc_end458:
	.size	_ZN7rocprim17ROCPRIM_400000_NS6detail17trampoline_kernelINS0_14default_configENS1_22reduce_config_selectorIN6thrust23THRUST_200600_302600_NS5tupleIblNS6_9null_typeES8_S8_S8_S8_S8_S8_S8_EEEEZNS1_11reduce_implILb1ES3_PS9_SC_S9_NS6_11hip_rocprim9__find_if7functorIS9_EEEE10hipError_tPvRmT1_T2_T3_mT4_P12ihipStream_tbEUlT_E0_NS1_11comp_targetILNS1_3genE8ELNS1_11target_archE1030ELNS1_3gpuE2ELNS1_3repE0EEENS1_30default_config_static_selectorELNS0_4arch9wavefront6targetE1EEEvSK_, .Lfunc_end458-_ZN7rocprim17ROCPRIM_400000_NS6detail17trampoline_kernelINS0_14default_configENS1_22reduce_config_selectorIN6thrust23THRUST_200600_302600_NS5tupleIblNS6_9null_typeES8_S8_S8_S8_S8_S8_S8_EEEEZNS1_11reduce_implILb1ES3_PS9_SC_S9_NS6_11hip_rocprim9__find_if7functorIS9_EEEE10hipError_tPvRmT1_T2_T3_mT4_P12ihipStream_tbEUlT_E0_NS1_11comp_targetILNS1_3genE8ELNS1_11target_archE1030ELNS1_3gpuE2ELNS1_3repE0EEENS1_30default_config_static_selectorELNS0_4arch9wavefront6targetE1EEEvSK_
                                        ; -- End function
	.set _ZN7rocprim17ROCPRIM_400000_NS6detail17trampoline_kernelINS0_14default_configENS1_22reduce_config_selectorIN6thrust23THRUST_200600_302600_NS5tupleIblNS6_9null_typeES8_S8_S8_S8_S8_S8_S8_EEEEZNS1_11reduce_implILb1ES3_PS9_SC_S9_NS6_11hip_rocprim9__find_if7functorIS9_EEEE10hipError_tPvRmT1_T2_T3_mT4_P12ihipStream_tbEUlT_E0_NS1_11comp_targetILNS1_3genE8ELNS1_11target_archE1030ELNS1_3gpuE2ELNS1_3repE0EEENS1_30default_config_static_selectorELNS0_4arch9wavefront6targetE1EEEvSK_.num_vgpr, 0
	.set _ZN7rocprim17ROCPRIM_400000_NS6detail17trampoline_kernelINS0_14default_configENS1_22reduce_config_selectorIN6thrust23THRUST_200600_302600_NS5tupleIblNS6_9null_typeES8_S8_S8_S8_S8_S8_S8_EEEEZNS1_11reduce_implILb1ES3_PS9_SC_S9_NS6_11hip_rocprim9__find_if7functorIS9_EEEE10hipError_tPvRmT1_T2_T3_mT4_P12ihipStream_tbEUlT_E0_NS1_11comp_targetILNS1_3genE8ELNS1_11target_archE1030ELNS1_3gpuE2ELNS1_3repE0EEENS1_30default_config_static_selectorELNS0_4arch9wavefront6targetE1EEEvSK_.num_agpr, 0
	.set _ZN7rocprim17ROCPRIM_400000_NS6detail17trampoline_kernelINS0_14default_configENS1_22reduce_config_selectorIN6thrust23THRUST_200600_302600_NS5tupleIblNS6_9null_typeES8_S8_S8_S8_S8_S8_S8_EEEEZNS1_11reduce_implILb1ES3_PS9_SC_S9_NS6_11hip_rocprim9__find_if7functorIS9_EEEE10hipError_tPvRmT1_T2_T3_mT4_P12ihipStream_tbEUlT_E0_NS1_11comp_targetILNS1_3genE8ELNS1_11target_archE1030ELNS1_3gpuE2ELNS1_3repE0EEENS1_30default_config_static_selectorELNS0_4arch9wavefront6targetE1EEEvSK_.numbered_sgpr, 0
	.set _ZN7rocprim17ROCPRIM_400000_NS6detail17trampoline_kernelINS0_14default_configENS1_22reduce_config_selectorIN6thrust23THRUST_200600_302600_NS5tupleIblNS6_9null_typeES8_S8_S8_S8_S8_S8_S8_EEEEZNS1_11reduce_implILb1ES3_PS9_SC_S9_NS6_11hip_rocprim9__find_if7functorIS9_EEEE10hipError_tPvRmT1_T2_T3_mT4_P12ihipStream_tbEUlT_E0_NS1_11comp_targetILNS1_3genE8ELNS1_11target_archE1030ELNS1_3gpuE2ELNS1_3repE0EEENS1_30default_config_static_selectorELNS0_4arch9wavefront6targetE1EEEvSK_.num_named_barrier, 0
	.set _ZN7rocprim17ROCPRIM_400000_NS6detail17trampoline_kernelINS0_14default_configENS1_22reduce_config_selectorIN6thrust23THRUST_200600_302600_NS5tupleIblNS6_9null_typeES8_S8_S8_S8_S8_S8_S8_EEEEZNS1_11reduce_implILb1ES3_PS9_SC_S9_NS6_11hip_rocprim9__find_if7functorIS9_EEEE10hipError_tPvRmT1_T2_T3_mT4_P12ihipStream_tbEUlT_E0_NS1_11comp_targetILNS1_3genE8ELNS1_11target_archE1030ELNS1_3gpuE2ELNS1_3repE0EEENS1_30default_config_static_selectorELNS0_4arch9wavefront6targetE1EEEvSK_.private_seg_size, 0
	.set _ZN7rocprim17ROCPRIM_400000_NS6detail17trampoline_kernelINS0_14default_configENS1_22reduce_config_selectorIN6thrust23THRUST_200600_302600_NS5tupleIblNS6_9null_typeES8_S8_S8_S8_S8_S8_S8_EEEEZNS1_11reduce_implILb1ES3_PS9_SC_S9_NS6_11hip_rocprim9__find_if7functorIS9_EEEE10hipError_tPvRmT1_T2_T3_mT4_P12ihipStream_tbEUlT_E0_NS1_11comp_targetILNS1_3genE8ELNS1_11target_archE1030ELNS1_3gpuE2ELNS1_3repE0EEENS1_30default_config_static_selectorELNS0_4arch9wavefront6targetE1EEEvSK_.uses_vcc, 0
	.set _ZN7rocprim17ROCPRIM_400000_NS6detail17trampoline_kernelINS0_14default_configENS1_22reduce_config_selectorIN6thrust23THRUST_200600_302600_NS5tupleIblNS6_9null_typeES8_S8_S8_S8_S8_S8_S8_EEEEZNS1_11reduce_implILb1ES3_PS9_SC_S9_NS6_11hip_rocprim9__find_if7functorIS9_EEEE10hipError_tPvRmT1_T2_T3_mT4_P12ihipStream_tbEUlT_E0_NS1_11comp_targetILNS1_3genE8ELNS1_11target_archE1030ELNS1_3gpuE2ELNS1_3repE0EEENS1_30default_config_static_selectorELNS0_4arch9wavefront6targetE1EEEvSK_.uses_flat_scratch, 0
	.set _ZN7rocprim17ROCPRIM_400000_NS6detail17trampoline_kernelINS0_14default_configENS1_22reduce_config_selectorIN6thrust23THRUST_200600_302600_NS5tupleIblNS6_9null_typeES8_S8_S8_S8_S8_S8_S8_EEEEZNS1_11reduce_implILb1ES3_PS9_SC_S9_NS6_11hip_rocprim9__find_if7functorIS9_EEEE10hipError_tPvRmT1_T2_T3_mT4_P12ihipStream_tbEUlT_E0_NS1_11comp_targetILNS1_3genE8ELNS1_11target_archE1030ELNS1_3gpuE2ELNS1_3repE0EEENS1_30default_config_static_selectorELNS0_4arch9wavefront6targetE1EEEvSK_.has_dyn_sized_stack, 0
	.set _ZN7rocprim17ROCPRIM_400000_NS6detail17trampoline_kernelINS0_14default_configENS1_22reduce_config_selectorIN6thrust23THRUST_200600_302600_NS5tupleIblNS6_9null_typeES8_S8_S8_S8_S8_S8_S8_EEEEZNS1_11reduce_implILb1ES3_PS9_SC_S9_NS6_11hip_rocprim9__find_if7functorIS9_EEEE10hipError_tPvRmT1_T2_T3_mT4_P12ihipStream_tbEUlT_E0_NS1_11comp_targetILNS1_3genE8ELNS1_11target_archE1030ELNS1_3gpuE2ELNS1_3repE0EEENS1_30default_config_static_selectorELNS0_4arch9wavefront6targetE1EEEvSK_.has_recursion, 0
	.set _ZN7rocprim17ROCPRIM_400000_NS6detail17trampoline_kernelINS0_14default_configENS1_22reduce_config_selectorIN6thrust23THRUST_200600_302600_NS5tupleIblNS6_9null_typeES8_S8_S8_S8_S8_S8_S8_EEEEZNS1_11reduce_implILb1ES3_PS9_SC_S9_NS6_11hip_rocprim9__find_if7functorIS9_EEEE10hipError_tPvRmT1_T2_T3_mT4_P12ihipStream_tbEUlT_E0_NS1_11comp_targetILNS1_3genE8ELNS1_11target_archE1030ELNS1_3gpuE2ELNS1_3repE0EEENS1_30default_config_static_selectorELNS0_4arch9wavefront6targetE1EEEvSK_.has_indirect_call, 0
	.section	.AMDGPU.csdata,"",@progbits
; Kernel info:
; codeLenInByte = 0
; TotalNumSgprs: 4
; NumVgprs: 0
; ScratchSize: 0
; MemoryBound: 0
; FloatMode: 240
; IeeeMode: 1
; LDSByteSize: 0 bytes/workgroup (compile time only)
; SGPRBlocks: 0
; VGPRBlocks: 0
; NumSGPRsForWavesPerEU: 4
; NumVGPRsForWavesPerEU: 1
; Occupancy: 10
; WaveLimiterHint : 0
; COMPUTE_PGM_RSRC2:SCRATCH_EN: 0
; COMPUTE_PGM_RSRC2:USER_SGPR: 6
; COMPUTE_PGM_RSRC2:TRAP_HANDLER: 0
; COMPUTE_PGM_RSRC2:TGID_X_EN: 1
; COMPUTE_PGM_RSRC2:TGID_Y_EN: 0
; COMPUTE_PGM_RSRC2:TGID_Z_EN: 0
; COMPUTE_PGM_RSRC2:TIDIG_COMP_CNT: 0
	.section	.text._ZN7rocprim17ROCPRIM_400000_NS6detail17trampoline_kernelINS0_14default_configENS1_22reduce_config_selectorIN6thrust23THRUST_200600_302600_NS5tupleIblNS6_9null_typeES8_S8_S8_S8_S8_S8_S8_EEEEZNS1_11reduce_implILb1ES3_PS9_SC_S9_NS6_11hip_rocprim9__find_if7functorIS9_EEEE10hipError_tPvRmT1_T2_T3_mT4_P12ihipStream_tbEUlT_E1_NS1_11comp_targetILNS1_3genE0ELNS1_11target_archE4294967295ELNS1_3gpuE0ELNS1_3repE0EEENS1_30default_config_static_selectorELNS0_4arch9wavefront6targetE1EEEvSK_,"axG",@progbits,_ZN7rocprim17ROCPRIM_400000_NS6detail17trampoline_kernelINS0_14default_configENS1_22reduce_config_selectorIN6thrust23THRUST_200600_302600_NS5tupleIblNS6_9null_typeES8_S8_S8_S8_S8_S8_S8_EEEEZNS1_11reduce_implILb1ES3_PS9_SC_S9_NS6_11hip_rocprim9__find_if7functorIS9_EEEE10hipError_tPvRmT1_T2_T3_mT4_P12ihipStream_tbEUlT_E1_NS1_11comp_targetILNS1_3genE0ELNS1_11target_archE4294967295ELNS1_3gpuE0ELNS1_3repE0EEENS1_30default_config_static_selectorELNS0_4arch9wavefront6targetE1EEEvSK_,comdat
	.protected	_ZN7rocprim17ROCPRIM_400000_NS6detail17trampoline_kernelINS0_14default_configENS1_22reduce_config_selectorIN6thrust23THRUST_200600_302600_NS5tupleIblNS6_9null_typeES8_S8_S8_S8_S8_S8_S8_EEEEZNS1_11reduce_implILb1ES3_PS9_SC_S9_NS6_11hip_rocprim9__find_if7functorIS9_EEEE10hipError_tPvRmT1_T2_T3_mT4_P12ihipStream_tbEUlT_E1_NS1_11comp_targetILNS1_3genE0ELNS1_11target_archE4294967295ELNS1_3gpuE0ELNS1_3repE0EEENS1_30default_config_static_selectorELNS0_4arch9wavefront6targetE1EEEvSK_ ; -- Begin function _ZN7rocprim17ROCPRIM_400000_NS6detail17trampoline_kernelINS0_14default_configENS1_22reduce_config_selectorIN6thrust23THRUST_200600_302600_NS5tupleIblNS6_9null_typeES8_S8_S8_S8_S8_S8_S8_EEEEZNS1_11reduce_implILb1ES3_PS9_SC_S9_NS6_11hip_rocprim9__find_if7functorIS9_EEEE10hipError_tPvRmT1_T2_T3_mT4_P12ihipStream_tbEUlT_E1_NS1_11comp_targetILNS1_3genE0ELNS1_11target_archE4294967295ELNS1_3gpuE0ELNS1_3repE0EEENS1_30default_config_static_selectorELNS0_4arch9wavefront6targetE1EEEvSK_
	.globl	_ZN7rocprim17ROCPRIM_400000_NS6detail17trampoline_kernelINS0_14default_configENS1_22reduce_config_selectorIN6thrust23THRUST_200600_302600_NS5tupleIblNS6_9null_typeES8_S8_S8_S8_S8_S8_S8_EEEEZNS1_11reduce_implILb1ES3_PS9_SC_S9_NS6_11hip_rocprim9__find_if7functorIS9_EEEE10hipError_tPvRmT1_T2_T3_mT4_P12ihipStream_tbEUlT_E1_NS1_11comp_targetILNS1_3genE0ELNS1_11target_archE4294967295ELNS1_3gpuE0ELNS1_3repE0EEENS1_30default_config_static_selectorELNS0_4arch9wavefront6targetE1EEEvSK_
	.p2align	8
	.type	_ZN7rocprim17ROCPRIM_400000_NS6detail17trampoline_kernelINS0_14default_configENS1_22reduce_config_selectorIN6thrust23THRUST_200600_302600_NS5tupleIblNS6_9null_typeES8_S8_S8_S8_S8_S8_S8_EEEEZNS1_11reduce_implILb1ES3_PS9_SC_S9_NS6_11hip_rocprim9__find_if7functorIS9_EEEE10hipError_tPvRmT1_T2_T3_mT4_P12ihipStream_tbEUlT_E1_NS1_11comp_targetILNS1_3genE0ELNS1_11target_archE4294967295ELNS1_3gpuE0ELNS1_3repE0EEENS1_30default_config_static_selectorELNS0_4arch9wavefront6targetE1EEEvSK_,@function
_ZN7rocprim17ROCPRIM_400000_NS6detail17trampoline_kernelINS0_14default_configENS1_22reduce_config_selectorIN6thrust23THRUST_200600_302600_NS5tupleIblNS6_9null_typeES8_S8_S8_S8_S8_S8_S8_EEEEZNS1_11reduce_implILb1ES3_PS9_SC_S9_NS6_11hip_rocprim9__find_if7functorIS9_EEEE10hipError_tPvRmT1_T2_T3_mT4_P12ihipStream_tbEUlT_E1_NS1_11comp_targetILNS1_3genE0ELNS1_11target_archE4294967295ELNS1_3gpuE0ELNS1_3repE0EEENS1_30default_config_static_selectorELNS0_4arch9wavefront6targetE1EEEvSK_: ; @_ZN7rocprim17ROCPRIM_400000_NS6detail17trampoline_kernelINS0_14default_configENS1_22reduce_config_selectorIN6thrust23THRUST_200600_302600_NS5tupleIblNS6_9null_typeES8_S8_S8_S8_S8_S8_S8_EEEEZNS1_11reduce_implILb1ES3_PS9_SC_S9_NS6_11hip_rocprim9__find_if7functorIS9_EEEE10hipError_tPvRmT1_T2_T3_mT4_P12ihipStream_tbEUlT_E1_NS1_11comp_targetILNS1_3genE0ELNS1_11target_archE4294967295ELNS1_3gpuE0ELNS1_3repE0EEENS1_30default_config_static_selectorELNS0_4arch9wavefront6targetE1EEEvSK_
; %bb.0:
	.section	.rodata,"a",@progbits
	.p2align	6, 0x0
	.amdhsa_kernel _ZN7rocprim17ROCPRIM_400000_NS6detail17trampoline_kernelINS0_14default_configENS1_22reduce_config_selectorIN6thrust23THRUST_200600_302600_NS5tupleIblNS6_9null_typeES8_S8_S8_S8_S8_S8_S8_EEEEZNS1_11reduce_implILb1ES3_PS9_SC_S9_NS6_11hip_rocprim9__find_if7functorIS9_EEEE10hipError_tPvRmT1_T2_T3_mT4_P12ihipStream_tbEUlT_E1_NS1_11comp_targetILNS1_3genE0ELNS1_11target_archE4294967295ELNS1_3gpuE0ELNS1_3repE0EEENS1_30default_config_static_selectorELNS0_4arch9wavefront6targetE1EEEvSK_
		.amdhsa_group_segment_fixed_size 0
		.amdhsa_private_segment_fixed_size 0
		.amdhsa_kernarg_size 56
		.amdhsa_user_sgpr_count 6
		.amdhsa_user_sgpr_private_segment_buffer 1
		.amdhsa_user_sgpr_dispatch_ptr 0
		.amdhsa_user_sgpr_queue_ptr 0
		.amdhsa_user_sgpr_kernarg_segment_ptr 1
		.amdhsa_user_sgpr_dispatch_id 0
		.amdhsa_user_sgpr_flat_scratch_init 0
		.amdhsa_user_sgpr_private_segment_size 0
		.amdhsa_uses_dynamic_stack 0
		.amdhsa_system_sgpr_private_segment_wavefront_offset 0
		.amdhsa_system_sgpr_workgroup_id_x 1
		.amdhsa_system_sgpr_workgroup_id_y 0
		.amdhsa_system_sgpr_workgroup_id_z 0
		.amdhsa_system_sgpr_workgroup_info 0
		.amdhsa_system_vgpr_workitem_id 0
		.amdhsa_next_free_vgpr 1
		.amdhsa_next_free_sgpr 0
		.amdhsa_reserve_vcc 0
		.amdhsa_reserve_flat_scratch 0
		.amdhsa_float_round_mode_32 0
		.amdhsa_float_round_mode_16_64 0
		.amdhsa_float_denorm_mode_32 3
		.amdhsa_float_denorm_mode_16_64 3
		.amdhsa_dx10_clamp 1
		.amdhsa_ieee_mode 1
		.amdhsa_fp16_overflow 0
		.amdhsa_exception_fp_ieee_invalid_op 0
		.amdhsa_exception_fp_denorm_src 0
		.amdhsa_exception_fp_ieee_div_zero 0
		.amdhsa_exception_fp_ieee_overflow 0
		.amdhsa_exception_fp_ieee_underflow 0
		.amdhsa_exception_fp_ieee_inexact 0
		.amdhsa_exception_int_div_zero 0
	.end_amdhsa_kernel
	.section	.text._ZN7rocprim17ROCPRIM_400000_NS6detail17trampoline_kernelINS0_14default_configENS1_22reduce_config_selectorIN6thrust23THRUST_200600_302600_NS5tupleIblNS6_9null_typeES8_S8_S8_S8_S8_S8_S8_EEEEZNS1_11reduce_implILb1ES3_PS9_SC_S9_NS6_11hip_rocprim9__find_if7functorIS9_EEEE10hipError_tPvRmT1_T2_T3_mT4_P12ihipStream_tbEUlT_E1_NS1_11comp_targetILNS1_3genE0ELNS1_11target_archE4294967295ELNS1_3gpuE0ELNS1_3repE0EEENS1_30default_config_static_selectorELNS0_4arch9wavefront6targetE1EEEvSK_,"axG",@progbits,_ZN7rocprim17ROCPRIM_400000_NS6detail17trampoline_kernelINS0_14default_configENS1_22reduce_config_selectorIN6thrust23THRUST_200600_302600_NS5tupleIblNS6_9null_typeES8_S8_S8_S8_S8_S8_S8_EEEEZNS1_11reduce_implILb1ES3_PS9_SC_S9_NS6_11hip_rocprim9__find_if7functorIS9_EEEE10hipError_tPvRmT1_T2_T3_mT4_P12ihipStream_tbEUlT_E1_NS1_11comp_targetILNS1_3genE0ELNS1_11target_archE4294967295ELNS1_3gpuE0ELNS1_3repE0EEENS1_30default_config_static_selectorELNS0_4arch9wavefront6targetE1EEEvSK_,comdat
.Lfunc_end459:
	.size	_ZN7rocprim17ROCPRIM_400000_NS6detail17trampoline_kernelINS0_14default_configENS1_22reduce_config_selectorIN6thrust23THRUST_200600_302600_NS5tupleIblNS6_9null_typeES8_S8_S8_S8_S8_S8_S8_EEEEZNS1_11reduce_implILb1ES3_PS9_SC_S9_NS6_11hip_rocprim9__find_if7functorIS9_EEEE10hipError_tPvRmT1_T2_T3_mT4_P12ihipStream_tbEUlT_E1_NS1_11comp_targetILNS1_3genE0ELNS1_11target_archE4294967295ELNS1_3gpuE0ELNS1_3repE0EEENS1_30default_config_static_selectorELNS0_4arch9wavefront6targetE1EEEvSK_, .Lfunc_end459-_ZN7rocprim17ROCPRIM_400000_NS6detail17trampoline_kernelINS0_14default_configENS1_22reduce_config_selectorIN6thrust23THRUST_200600_302600_NS5tupleIblNS6_9null_typeES8_S8_S8_S8_S8_S8_S8_EEEEZNS1_11reduce_implILb1ES3_PS9_SC_S9_NS6_11hip_rocprim9__find_if7functorIS9_EEEE10hipError_tPvRmT1_T2_T3_mT4_P12ihipStream_tbEUlT_E1_NS1_11comp_targetILNS1_3genE0ELNS1_11target_archE4294967295ELNS1_3gpuE0ELNS1_3repE0EEENS1_30default_config_static_selectorELNS0_4arch9wavefront6targetE1EEEvSK_
                                        ; -- End function
	.set _ZN7rocprim17ROCPRIM_400000_NS6detail17trampoline_kernelINS0_14default_configENS1_22reduce_config_selectorIN6thrust23THRUST_200600_302600_NS5tupleIblNS6_9null_typeES8_S8_S8_S8_S8_S8_S8_EEEEZNS1_11reduce_implILb1ES3_PS9_SC_S9_NS6_11hip_rocprim9__find_if7functorIS9_EEEE10hipError_tPvRmT1_T2_T3_mT4_P12ihipStream_tbEUlT_E1_NS1_11comp_targetILNS1_3genE0ELNS1_11target_archE4294967295ELNS1_3gpuE0ELNS1_3repE0EEENS1_30default_config_static_selectorELNS0_4arch9wavefront6targetE1EEEvSK_.num_vgpr, 0
	.set _ZN7rocprim17ROCPRIM_400000_NS6detail17trampoline_kernelINS0_14default_configENS1_22reduce_config_selectorIN6thrust23THRUST_200600_302600_NS5tupleIblNS6_9null_typeES8_S8_S8_S8_S8_S8_S8_EEEEZNS1_11reduce_implILb1ES3_PS9_SC_S9_NS6_11hip_rocprim9__find_if7functorIS9_EEEE10hipError_tPvRmT1_T2_T3_mT4_P12ihipStream_tbEUlT_E1_NS1_11comp_targetILNS1_3genE0ELNS1_11target_archE4294967295ELNS1_3gpuE0ELNS1_3repE0EEENS1_30default_config_static_selectorELNS0_4arch9wavefront6targetE1EEEvSK_.num_agpr, 0
	.set _ZN7rocprim17ROCPRIM_400000_NS6detail17trampoline_kernelINS0_14default_configENS1_22reduce_config_selectorIN6thrust23THRUST_200600_302600_NS5tupleIblNS6_9null_typeES8_S8_S8_S8_S8_S8_S8_EEEEZNS1_11reduce_implILb1ES3_PS9_SC_S9_NS6_11hip_rocprim9__find_if7functorIS9_EEEE10hipError_tPvRmT1_T2_T3_mT4_P12ihipStream_tbEUlT_E1_NS1_11comp_targetILNS1_3genE0ELNS1_11target_archE4294967295ELNS1_3gpuE0ELNS1_3repE0EEENS1_30default_config_static_selectorELNS0_4arch9wavefront6targetE1EEEvSK_.numbered_sgpr, 0
	.set _ZN7rocprim17ROCPRIM_400000_NS6detail17trampoline_kernelINS0_14default_configENS1_22reduce_config_selectorIN6thrust23THRUST_200600_302600_NS5tupleIblNS6_9null_typeES8_S8_S8_S8_S8_S8_S8_EEEEZNS1_11reduce_implILb1ES3_PS9_SC_S9_NS6_11hip_rocprim9__find_if7functorIS9_EEEE10hipError_tPvRmT1_T2_T3_mT4_P12ihipStream_tbEUlT_E1_NS1_11comp_targetILNS1_3genE0ELNS1_11target_archE4294967295ELNS1_3gpuE0ELNS1_3repE0EEENS1_30default_config_static_selectorELNS0_4arch9wavefront6targetE1EEEvSK_.num_named_barrier, 0
	.set _ZN7rocprim17ROCPRIM_400000_NS6detail17trampoline_kernelINS0_14default_configENS1_22reduce_config_selectorIN6thrust23THRUST_200600_302600_NS5tupleIblNS6_9null_typeES8_S8_S8_S8_S8_S8_S8_EEEEZNS1_11reduce_implILb1ES3_PS9_SC_S9_NS6_11hip_rocprim9__find_if7functorIS9_EEEE10hipError_tPvRmT1_T2_T3_mT4_P12ihipStream_tbEUlT_E1_NS1_11comp_targetILNS1_3genE0ELNS1_11target_archE4294967295ELNS1_3gpuE0ELNS1_3repE0EEENS1_30default_config_static_selectorELNS0_4arch9wavefront6targetE1EEEvSK_.private_seg_size, 0
	.set _ZN7rocprim17ROCPRIM_400000_NS6detail17trampoline_kernelINS0_14default_configENS1_22reduce_config_selectorIN6thrust23THRUST_200600_302600_NS5tupleIblNS6_9null_typeES8_S8_S8_S8_S8_S8_S8_EEEEZNS1_11reduce_implILb1ES3_PS9_SC_S9_NS6_11hip_rocprim9__find_if7functorIS9_EEEE10hipError_tPvRmT1_T2_T3_mT4_P12ihipStream_tbEUlT_E1_NS1_11comp_targetILNS1_3genE0ELNS1_11target_archE4294967295ELNS1_3gpuE0ELNS1_3repE0EEENS1_30default_config_static_selectorELNS0_4arch9wavefront6targetE1EEEvSK_.uses_vcc, 0
	.set _ZN7rocprim17ROCPRIM_400000_NS6detail17trampoline_kernelINS0_14default_configENS1_22reduce_config_selectorIN6thrust23THRUST_200600_302600_NS5tupleIblNS6_9null_typeES8_S8_S8_S8_S8_S8_S8_EEEEZNS1_11reduce_implILb1ES3_PS9_SC_S9_NS6_11hip_rocprim9__find_if7functorIS9_EEEE10hipError_tPvRmT1_T2_T3_mT4_P12ihipStream_tbEUlT_E1_NS1_11comp_targetILNS1_3genE0ELNS1_11target_archE4294967295ELNS1_3gpuE0ELNS1_3repE0EEENS1_30default_config_static_selectorELNS0_4arch9wavefront6targetE1EEEvSK_.uses_flat_scratch, 0
	.set _ZN7rocprim17ROCPRIM_400000_NS6detail17trampoline_kernelINS0_14default_configENS1_22reduce_config_selectorIN6thrust23THRUST_200600_302600_NS5tupleIblNS6_9null_typeES8_S8_S8_S8_S8_S8_S8_EEEEZNS1_11reduce_implILb1ES3_PS9_SC_S9_NS6_11hip_rocprim9__find_if7functorIS9_EEEE10hipError_tPvRmT1_T2_T3_mT4_P12ihipStream_tbEUlT_E1_NS1_11comp_targetILNS1_3genE0ELNS1_11target_archE4294967295ELNS1_3gpuE0ELNS1_3repE0EEENS1_30default_config_static_selectorELNS0_4arch9wavefront6targetE1EEEvSK_.has_dyn_sized_stack, 0
	.set _ZN7rocprim17ROCPRIM_400000_NS6detail17trampoline_kernelINS0_14default_configENS1_22reduce_config_selectorIN6thrust23THRUST_200600_302600_NS5tupleIblNS6_9null_typeES8_S8_S8_S8_S8_S8_S8_EEEEZNS1_11reduce_implILb1ES3_PS9_SC_S9_NS6_11hip_rocprim9__find_if7functorIS9_EEEE10hipError_tPvRmT1_T2_T3_mT4_P12ihipStream_tbEUlT_E1_NS1_11comp_targetILNS1_3genE0ELNS1_11target_archE4294967295ELNS1_3gpuE0ELNS1_3repE0EEENS1_30default_config_static_selectorELNS0_4arch9wavefront6targetE1EEEvSK_.has_recursion, 0
	.set _ZN7rocprim17ROCPRIM_400000_NS6detail17trampoline_kernelINS0_14default_configENS1_22reduce_config_selectorIN6thrust23THRUST_200600_302600_NS5tupleIblNS6_9null_typeES8_S8_S8_S8_S8_S8_S8_EEEEZNS1_11reduce_implILb1ES3_PS9_SC_S9_NS6_11hip_rocprim9__find_if7functorIS9_EEEE10hipError_tPvRmT1_T2_T3_mT4_P12ihipStream_tbEUlT_E1_NS1_11comp_targetILNS1_3genE0ELNS1_11target_archE4294967295ELNS1_3gpuE0ELNS1_3repE0EEENS1_30default_config_static_selectorELNS0_4arch9wavefront6targetE1EEEvSK_.has_indirect_call, 0
	.section	.AMDGPU.csdata,"",@progbits
; Kernel info:
; codeLenInByte = 0
; TotalNumSgprs: 4
; NumVgprs: 0
; ScratchSize: 0
; MemoryBound: 0
; FloatMode: 240
; IeeeMode: 1
; LDSByteSize: 0 bytes/workgroup (compile time only)
; SGPRBlocks: 0
; VGPRBlocks: 0
; NumSGPRsForWavesPerEU: 4
; NumVGPRsForWavesPerEU: 1
; Occupancy: 10
; WaveLimiterHint : 0
; COMPUTE_PGM_RSRC2:SCRATCH_EN: 0
; COMPUTE_PGM_RSRC2:USER_SGPR: 6
; COMPUTE_PGM_RSRC2:TRAP_HANDLER: 0
; COMPUTE_PGM_RSRC2:TGID_X_EN: 1
; COMPUTE_PGM_RSRC2:TGID_Y_EN: 0
; COMPUTE_PGM_RSRC2:TGID_Z_EN: 0
; COMPUTE_PGM_RSRC2:TIDIG_COMP_CNT: 0
	.section	.text._ZN7rocprim17ROCPRIM_400000_NS6detail17trampoline_kernelINS0_14default_configENS1_22reduce_config_selectorIN6thrust23THRUST_200600_302600_NS5tupleIblNS6_9null_typeES8_S8_S8_S8_S8_S8_S8_EEEEZNS1_11reduce_implILb1ES3_PS9_SC_S9_NS6_11hip_rocprim9__find_if7functorIS9_EEEE10hipError_tPvRmT1_T2_T3_mT4_P12ihipStream_tbEUlT_E1_NS1_11comp_targetILNS1_3genE5ELNS1_11target_archE942ELNS1_3gpuE9ELNS1_3repE0EEENS1_30default_config_static_selectorELNS0_4arch9wavefront6targetE1EEEvSK_,"axG",@progbits,_ZN7rocprim17ROCPRIM_400000_NS6detail17trampoline_kernelINS0_14default_configENS1_22reduce_config_selectorIN6thrust23THRUST_200600_302600_NS5tupleIblNS6_9null_typeES8_S8_S8_S8_S8_S8_S8_EEEEZNS1_11reduce_implILb1ES3_PS9_SC_S9_NS6_11hip_rocprim9__find_if7functorIS9_EEEE10hipError_tPvRmT1_T2_T3_mT4_P12ihipStream_tbEUlT_E1_NS1_11comp_targetILNS1_3genE5ELNS1_11target_archE942ELNS1_3gpuE9ELNS1_3repE0EEENS1_30default_config_static_selectorELNS0_4arch9wavefront6targetE1EEEvSK_,comdat
	.protected	_ZN7rocprim17ROCPRIM_400000_NS6detail17trampoline_kernelINS0_14default_configENS1_22reduce_config_selectorIN6thrust23THRUST_200600_302600_NS5tupleIblNS6_9null_typeES8_S8_S8_S8_S8_S8_S8_EEEEZNS1_11reduce_implILb1ES3_PS9_SC_S9_NS6_11hip_rocprim9__find_if7functorIS9_EEEE10hipError_tPvRmT1_T2_T3_mT4_P12ihipStream_tbEUlT_E1_NS1_11comp_targetILNS1_3genE5ELNS1_11target_archE942ELNS1_3gpuE9ELNS1_3repE0EEENS1_30default_config_static_selectorELNS0_4arch9wavefront6targetE1EEEvSK_ ; -- Begin function _ZN7rocprim17ROCPRIM_400000_NS6detail17trampoline_kernelINS0_14default_configENS1_22reduce_config_selectorIN6thrust23THRUST_200600_302600_NS5tupleIblNS6_9null_typeES8_S8_S8_S8_S8_S8_S8_EEEEZNS1_11reduce_implILb1ES3_PS9_SC_S9_NS6_11hip_rocprim9__find_if7functorIS9_EEEE10hipError_tPvRmT1_T2_T3_mT4_P12ihipStream_tbEUlT_E1_NS1_11comp_targetILNS1_3genE5ELNS1_11target_archE942ELNS1_3gpuE9ELNS1_3repE0EEENS1_30default_config_static_selectorELNS0_4arch9wavefront6targetE1EEEvSK_
	.globl	_ZN7rocprim17ROCPRIM_400000_NS6detail17trampoline_kernelINS0_14default_configENS1_22reduce_config_selectorIN6thrust23THRUST_200600_302600_NS5tupleIblNS6_9null_typeES8_S8_S8_S8_S8_S8_S8_EEEEZNS1_11reduce_implILb1ES3_PS9_SC_S9_NS6_11hip_rocprim9__find_if7functorIS9_EEEE10hipError_tPvRmT1_T2_T3_mT4_P12ihipStream_tbEUlT_E1_NS1_11comp_targetILNS1_3genE5ELNS1_11target_archE942ELNS1_3gpuE9ELNS1_3repE0EEENS1_30default_config_static_selectorELNS0_4arch9wavefront6targetE1EEEvSK_
	.p2align	8
	.type	_ZN7rocprim17ROCPRIM_400000_NS6detail17trampoline_kernelINS0_14default_configENS1_22reduce_config_selectorIN6thrust23THRUST_200600_302600_NS5tupleIblNS6_9null_typeES8_S8_S8_S8_S8_S8_S8_EEEEZNS1_11reduce_implILb1ES3_PS9_SC_S9_NS6_11hip_rocprim9__find_if7functorIS9_EEEE10hipError_tPvRmT1_T2_T3_mT4_P12ihipStream_tbEUlT_E1_NS1_11comp_targetILNS1_3genE5ELNS1_11target_archE942ELNS1_3gpuE9ELNS1_3repE0EEENS1_30default_config_static_selectorELNS0_4arch9wavefront6targetE1EEEvSK_,@function
_ZN7rocprim17ROCPRIM_400000_NS6detail17trampoline_kernelINS0_14default_configENS1_22reduce_config_selectorIN6thrust23THRUST_200600_302600_NS5tupleIblNS6_9null_typeES8_S8_S8_S8_S8_S8_S8_EEEEZNS1_11reduce_implILb1ES3_PS9_SC_S9_NS6_11hip_rocprim9__find_if7functorIS9_EEEE10hipError_tPvRmT1_T2_T3_mT4_P12ihipStream_tbEUlT_E1_NS1_11comp_targetILNS1_3genE5ELNS1_11target_archE942ELNS1_3gpuE9ELNS1_3repE0EEENS1_30default_config_static_selectorELNS0_4arch9wavefront6targetE1EEEvSK_: ; @_ZN7rocprim17ROCPRIM_400000_NS6detail17trampoline_kernelINS0_14default_configENS1_22reduce_config_selectorIN6thrust23THRUST_200600_302600_NS5tupleIblNS6_9null_typeES8_S8_S8_S8_S8_S8_S8_EEEEZNS1_11reduce_implILb1ES3_PS9_SC_S9_NS6_11hip_rocprim9__find_if7functorIS9_EEEE10hipError_tPvRmT1_T2_T3_mT4_P12ihipStream_tbEUlT_E1_NS1_11comp_targetILNS1_3genE5ELNS1_11target_archE942ELNS1_3gpuE9ELNS1_3repE0EEENS1_30default_config_static_selectorELNS0_4arch9wavefront6targetE1EEEvSK_
; %bb.0:
	.section	.rodata,"a",@progbits
	.p2align	6, 0x0
	.amdhsa_kernel _ZN7rocprim17ROCPRIM_400000_NS6detail17trampoline_kernelINS0_14default_configENS1_22reduce_config_selectorIN6thrust23THRUST_200600_302600_NS5tupleIblNS6_9null_typeES8_S8_S8_S8_S8_S8_S8_EEEEZNS1_11reduce_implILb1ES3_PS9_SC_S9_NS6_11hip_rocprim9__find_if7functorIS9_EEEE10hipError_tPvRmT1_T2_T3_mT4_P12ihipStream_tbEUlT_E1_NS1_11comp_targetILNS1_3genE5ELNS1_11target_archE942ELNS1_3gpuE9ELNS1_3repE0EEENS1_30default_config_static_selectorELNS0_4arch9wavefront6targetE1EEEvSK_
		.amdhsa_group_segment_fixed_size 0
		.amdhsa_private_segment_fixed_size 0
		.amdhsa_kernarg_size 56
		.amdhsa_user_sgpr_count 6
		.amdhsa_user_sgpr_private_segment_buffer 1
		.amdhsa_user_sgpr_dispatch_ptr 0
		.amdhsa_user_sgpr_queue_ptr 0
		.amdhsa_user_sgpr_kernarg_segment_ptr 1
		.amdhsa_user_sgpr_dispatch_id 0
		.amdhsa_user_sgpr_flat_scratch_init 0
		.amdhsa_user_sgpr_private_segment_size 0
		.amdhsa_uses_dynamic_stack 0
		.amdhsa_system_sgpr_private_segment_wavefront_offset 0
		.amdhsa_system_sgpr_workgroup_id_x 1
		.amdhsa_system_sgpr_workgroup_id_y 0
		.amdhsa_system_sgpr_workgroup_id_z 0
		.amdhsa_system_sgpr_workgroup_info 0
		.amdhsa_system_vgpr_workitem_id 0
		.amdhsa_next_free_vgpr 1
		.amdhsa_next_free_sgpr 0
		.amdhsa_reserve_vcc 0
		.amdhsa_reserve_flat_scratch 0
		.amdhsa_float_round_mode_32 0
		.amdhsa_float_round_mode_16_64 0
		.amdhsa_float_denorm_mode_32 3
		.amdhsa_float_denorm_mode_16_64 3
		.amdhsa_dx10_clamp 1
		.amdhsa_ieee_mode 1
		.amdhsa_fp16_overflow 0
		.amdhsa_exception_fp_ieee_invalid_op 0
		.amdhsa_exception_fp_denorm_src 0
		.amdhsa_exception_fp_ieee_div_zero 0
		.amdhsa_exception_fp_ieee_overflow 0
		.amdhsa_exception_fp_ieee_underflow 0
		.amdhsa_exception_fp_ieee_inexact 0
		.amdhsa_exception_int_div_zero 0
	.end_amdhsa_kernel
	.section	.text._ZN7rocprim17ROCPRIM_400000_NS6detail17trampoline_kernelINS0_14default_configENS1_22reduce_config_selectorIN6thrust23THRUST_200600_302600_NS5tupleIblNS6_9null_typeES8_S8_S8_S8_S8_S8_S8_EEEEZNS1_11reduce_implILb1ES3_PS9_SC_S9_NS6_11hip_rocprim9__find_if7functorIS9_EEEE10hipError_tPvRmT1_T2_T3_mT4_P12ihipStream_tbEUlT_E1_NS1_11comp_targetILNS1_3genE5ELNS1_11target_archE942ELNS1_3gpuE9ELNS1_3repE0EEENS1_30default_config_static_selectorELNS0_4arch9wavefront6targetE1EEEvSK_,"axG",@progbits,_ZN7rocprim17ROCPRIM_400000_NS6detail17trampoline_kernelINS0_14default_configENS1_22reduce_config_selectorIN6thrust23THRUST_200600_302600_NS5tupleIblNS6_9null_typeES8_S8_S8_S8_S8_S8_S8_EEEEZNS1_11reduce_implILb1ES3_PS9_SC_S9_NS6_11hip_rocprim9__find_if7functorIS9_EEEE10hipError_tPvRmT1_T2_T3_mT4_P12ihipStream_tbEUlT_E1_NS1_11comp_targetILNS1_3genE5ELNS1_11target_archE942ELNS1_3gpuE9ELNS1_3repE0EEENS1_30default_config_static_selectorELNS0_4arch9wavefront6targetE1EEEvSK_,comdat
.Lfunc_end460:
	.size	_ZN7rocprim17ROCPRIM_400000_NS6detail17trampoline_kernelINS0_14default_configENS1_22reduce_config_selectorIN6thrust23THRUST_200600_302600_NS5tupleIblNS6_9null_typeES8_S8_S8_S8_S8_S8_S8_EEEEZNS1_11reduce_implILb1ES3_PS9_SC_S9_NS6_11hip_rocprim9__find_if7functorIS9_EEEE10hipError_tPvRmT1_T2_T3_mT4_P12ihipStream_tbEUlT_E1_NS1_11comp_targetILNS1_3genE5ELNS1_11target_archE942ELNS1_3gpuE9ELNS1_3repE0EEENS1_30default_config_static_selectorELNS0_4arch9wavefront6targetE1EEEvSK_, .Lfunc_end460-_ZN7rocprim17ROCPRIM_400000_NS6detail17trampoline_kernelINS0_14default_configENS1_22reduce_config_selectorIN6thrust23THRUST_200600_302600_NS5tupleIblNS6_9null_typeES8_S8_S8_S8_S8_S8_S8_EEEEZNS1_11reduce_implILb1ES3_PS9_SC_S9_NS6_11hip_rocprim9__find_if7functorIS9_EEEE10hipError_tPvRmT1_T2_T3_mT4_P12ihipStream_tbEUlT_E1_NS1_11comp_targetILNS1_3genE5ELNS1_11target_archE942ELNS1_3gpuE9ELNS1_3repE0EEENS1_30default_config_static_selectorELNS0_4arch9wavefront6targetE1EEEvSK_
                                        ; -- End function
	.set _ZN7rocprim17ROCPRIM_400000_NS6detail17trampoline_kernelINS0_14default_configENS1_22reduce_config_selectorIN6thrust23THRUST_200600_302600_NS5tupleIblNS6_9null_typeES8_S8_S8_S8_S8_S8_S8_EEEEZNS1_11reduce_implILb1ES3_PS9_SC_S9_NS6_11hip_rocprim9__find_if7functorIS9_EEEE10hipError_tPvRmT1_T2_T3_mT4_P12ihipStream_tbEUlT_E1_NS1_11comp_targetILNS1_3genE5ELNS1_11target_archE942ELNS1_3gpuE9ELNS1_3repE0EEENS1_30default_config_static_selectorELNS0_4arch9wavefront6targetE1EEEvSK_.num_vgpr, 0
	.set _ZN7rocprim17ROCPRIM_400000_NS6detail17trampoline_kernelINS0_14default_configENS1_22reduce_config_selectorIN6thrust23THRUST_200600_302600_NS5tupleIblNS6_9null_typeES8_S8_S8_S8_S8_S8_S8_EEEEZNS1_11reduce_implILb1ES3_PS9_SC_S9_NS6_11hip_rocprim9__find_if7functorIS9_EEEE10hipError_tPvRmT1_T2_T3_mT4_P12ihipStream_tbEUlT_E1_NS1_11comp_targetILNS1_3genE5ELNS1_11target_archE942ELNS1_3gpuE9ELNS1_3repE0EEENS1_30default_config_static_selectorELNS0_4arch9wavefront6targetE1EEEvSK_.num_agpr, 0
	.set _ZN7rocprim17ROCPRIM_400000_NS6detail17trampoline_kernelINS0_14default_configENS1_22reduce_config_selectorIN6thrust23THRUST_200600_302600_NS5tupleIblNS6_9null_typeES8_S8_S8_S8_S8_S8_S8_EEEEZNS1_11reduce_implILb1ES3_PS9_SC_S9_NS6_11hip_rocprim9__find_if7functorIS9_EEEE10hipError_tPvRmT1_T2_T3_mT4_P12ihipStream_tbEUlT_E1_NS1_11comp_targetILNS1_3genE5ELNS1_11target_archE942ELNS1_3gpuE9ELNS1_3repE0EEENS1_30default_config_static_selectorELNS0_4arch9wavefront6targetE1EEEvSK_.numbered_sgpr, 0
	.set _ZN7rocprim17ROCPRIM_400000_NS6detail17trampoline_kernelINS0_14default_configENS1_22reduce_config_selectorIN6thrust23THRUST_200600_302600_NS5tupleIblNS6_9null_typeES8_S8_S8_S8_S8_S8_S8_EEEEZNS1_11reduce_implILb1ES3_PS9_SC_S9_NS6_11hip_rocprim9__find_if7functorIS9_EEEE10hipError_tPvRmT1_T2_T3_mT4_P12ihipStream_tbEUlT_E1_NS1_11comp_targetILNS1_3genE5ELNS1_11target_archE942ELNS1_3gpuE9ELNS1_3repE0EEENS1_30default_config_static_selectorELNS0_4arch9wavefront6targetE1EEEvSK_.num_named_barrier, 0
	.set _ZN7rocprim17ROCPRIM_400000_NS6detail17trampoline_kernelINS0_14default_configENS1_22reduce_config_selectorIN6thrust23THRUST_200600_302600_NS5tupleIblNS6_9null_typeES8_S8_S8_S8_S8_S8_S8_EEEEZNS1_11reduce_implILb1ES3_PS9_SC_S9_NS6_11hip_rocprim9__find_if7functorIS9_EEEE10hipError_tPvRmT1_T2_T3_mT4_P12ihipStream_tbEUlT_E1_NS1_11comp_targetILNS1_3genE5ELNS1_11target_archE942ELNS1_3gpuE9ELNS1_3repE0EEENS1_30default_config_static_selectorELNS0_4arch9wavefront6targetE1EEEvSK_.private_seg_size, 0
	.set _ZN7rocprim17ROCPRIM_400000_NS6detail17trampoline_kernelINS0_14default_configENS1_22reduce_config_selectorIN6thrust23THRUST_200600_302600_NS5tupleIblNS6_9null_typeES8_S8_S8_S8_S8_S8_S8_EEEEZNS1_11reduce_implILb1ES3_PS9_SC_S9_NS6_11hip_rocprim9__find_if7functorIS9_EEEE10hipError_tPvRmT1_T2_T3_mT4_P12ihipStream_tbEUlT_E1_NS1_11comp_targetILNS1_3genE5ELNS1_11target_archE942ELNS1_3gpuE9ELNS1_3repE0EEENS1_30default_config_static_selectorELNS0_4arch9wavefront6targetE1EEEvSK_.uses_vcc, 0
	.set _ZN7rocprim17ROCPRIM_400000_NS6detail17trampoline_kernelINS0_14default_configENS1_22reduce_config_selectorIN6thrust23THRUST_200600_302600_NS5tupleIblNS6_9null_typeES8_S8_S8_S8_S8_S8_S8_EEEEZNS1_11reduce_implILb1ES3_PS9_SC_S9_NS6_11hip_rocprim9__find_if7functorIS9_EEEE10hipError_tPvRmT1_T2_T3_mT4_P12ihipStream_tbEUlT_E1_NS1_11comp_targetILNS1_3genE5ELNS1_11target_archE942ELNS1_3gpuE9ELNS1_3repE0EEENS1_30default_config_static_selectorELNS0_4arch9wavefront6targetE1EEEvSK_.uses_flat_scratch, 0
	.set _ZN7rocprim17ROCPRIM_400000_NS6detail17trampoline_kernelINS0_14default_configENS1_22reduce_config_selectorIN6thrust23THRUST_200600_302600_NS5tupleIblNS6_9null_typeES8_S8_S8_S8_S8_S8_S8_EEEEZNS1_11reduce_implILb1ES3_PS9_SC_S9_NS6_11hip_rocprim9__find_if7functorIS9_EEEE10hipError_tPvRmT1_T2_T3_mT4_P12ihipStream_tbEUlT_E1_NS1_11comp_targetILNS1_3genE5ELNS1_11target_archE942ELNS1_3gpuE9ELNS1_3repE0EEENS1_30default_config_static_selectorELNS0_4arch9wavefront6targetE1EEEvSK_.has_dyn_sized_stack, 0
	.set _ZN7rocprim17ROCPRIM_400000_NS6detail17trampoline_kernelINS0_14default_configENS1_22reduce_config_selectorIN6thrust23THRUST_200600_302600_NS5tupleIblNS6_9null_typeES8_S8_S8_S8_S8_S8_S8_EEEEZNS1_11reduce_implILb1ES3_PS9_SC_S9_NS6_11hip_rocprim9__find_if7functorIS9_EEEE10hipError_tPvRmT1_T2_T3_mT4_P12ihipStream_tbEUlT_E1_NS1_11comp_targetILNS1_3genE5ELNS1_11target_archE942ELNS1_3gpuE9ELNS1_3repE0EEENS1_30default_config_static_selectorELNS0_4arch9wavefront6targetE1EEEvSK_.has_recursion, 0
	.set _ZN7rocprim17ROCPRIM_400000_NS6detail17trampoline_kernelINS0_14default_configENS1_22reduce_config_selectorIN6thrust23THRUST_200600_302600_NS5tupleIblNS6_9null_typeES8_S8_S8_S8_S8_S8_S8_EEEEZNS1_11reduce_implILb1ES3_PS9_SC_S9_NS6_11hip_rocprim9__find_if7functorIS9_EEEE10hipError_tPvRmT1_T2_T3_mT4_P12ihipStream_tbEUlT_E1_NS1_11comp_targetILNS1_3genE5ELNS1_11target_archE942ELNS1_3gpuE9ELNS1_3repE0EEENS1_30default_config_static_selectorELNS0_4arch9wavefront6targetE1EEEvSK_.has_indirect_call, 0
	.section	.AMDGPU.csdata,"",@progbits
; Kernel info:
; codeLenInByte = 0
; TotalNumSgprs: 4
; NumVgprs: 0
; ScratchSize: 0
; MemoryBound: 0
; FloatMode: 240
; IeeeMode: 1
; LDSByteSize: 0 bytes/workgroup (compile time only)
; SGPRBlocks: 0
; VGPRBlocks: 0
; NumSGPRsForWavesPerEU: 4
; NumVGPRsForWavesPerEU: 1
; Occupancy: 10
; WaveLimiterHint : 0
; COMPUTE_PGM_RSRC2:SCRATCH_EN: 0
; COMPUTE_PGM_RSRC2:USER_SGPR: 6
; COMPUTE_PGM_RSRC2:TRAP_HANDLER: 0
; COMPUTE_PGM_RSRC2:TGID_X_EN: 1
; COMPUTE_PGM_RSRC2:TGID_Y_EN: 0
; COMPUTE_PGM_RSRC2:TGID_Z_EN: 0
; COMPUTE_PGM_RSRC2:TIDIG_COMP_CNT: 0
	.section	.text._ZN7rocprim17ROCPRIM_400000_NS6detail17trampoline_kernelINS0_14default_configENS1_22reduce_config_selectorIN6thrust23THRUST_200600_302600_NS5tupleIblNS6_9null_typeES8_S8_S8_S8_S8_S8_S8_EEEEZNS1_11reduce_implILb1ES3_PS9_SC_S9_NS6_11hip_rocprim9__find_if7functorIS9_EEEE10hipError_tPvRmT1_T2_T3_mT4_P12ihipStream_tbEUlT_E1_NS1_11comp_targetILNS1_3genE4ELNS1_11target_archE910ELNS1_3gpuE8ELNS1_3repE0EEENS1_30default_config_static_selectorELNS0_4arch9wavefront6targetE1EEEvSK_,"axG",@progbits,_ZN7rocprim17ROCPRIM_400000_NS6detail17trampoline_kernelINS0_14default_configENS1_22reduce_config_selectorIN6thrust23THRUST_200600_302600_NS5tupleIblNS6_9null_typeES8_S8_S8_S8_S8_S8_S8_EEEEZNS1_11reduce_implILb1ES3_PS9_SC_S9_NS6_11hip_rocprim9__find_if7functorIS9_EEEE10hipError_tPvRmT1_T2_T3_mT4_P12ihipStream_tbEUlT_E1_NS1_11comp_targetILNS1_3genE4ELNS1_11target_archE910ELNS1_3gpuE8ELNS1_3repE0EEENS1_30default_config_static_selectorELNS0_4arch9wavefront6targetE1EEEvSK_,comdat
	.protected	_ZN7rocprim17ROCPRIM_400000_NS6detail17trampoline_kernelINS0_14default_configENS1_22reduce_config_selectorIN6thrust23THRUST_200600_302600_NS5tupleIblNS6_9null_typeES8_S8_S8_S8_S8_S8_S8_EEEEZNS1_11reduce_implILb1ES3_PS9_SC_S9_NS6_11hip_rocprim9__find_if7functorIS9_EEEE10hipError_tPvRmT1_T2_T3_mT4_P12ihipStream_tbEUlT_E1_NS1_11comp_targetILNS1_3genE4ELNS1_11target_archE910ELNS1_3gpuE8ELNS1_3repE0EEENS1_30default_config_static_selectorELNS0_4arch9wavefront6targetE1EEEvSK_ ; -- Begin function _ZN7rocprim17ROCPRIM_400000_NS6detail17trampoline_kernelINS0_14default_configENS1_22reduce_config_selectorIN6thrust23THRUST_200600_302600_NS5tupleIblNS6_9null_typeES8_S8_S8_S8_S8_S8_S8_EEEEZNS1_11reduce_implILb1ES3_PS9_SC_S9_NS6_11hip_rocprim9__find_if7functorIS9_EEEE10hipError_tPvRmT1_T2_T3_mT4_P12ihipStream_tbEUlT_E1_NS1_11comp_targetILNS1_3genE4ELNS1_11target_archE910ELNS1_3gpuE8ELNS1_3repE0EEENS1_30default_config_static_selectorELNS0_4arch9wavefront6targetE1EEEvSK_
	.globl	_ZN7rocprim17ROCPRIM_400000_NS6detail17trampoline_kernelINS0_14default_configENS1_22reduce_config_selectorIN6thrust23THRUST_200600_302600_NS5tupleIblNS6_9null_typeES8_S8_S8_S8_S8_S8_S8_EEEEZNS1_11reduce_implILb1ES3_PS9_SC_S9_NS6_11hip_rocprim9__find_if7functorIS9_EEEE10hipError_tPvRmT1_T2_T3_mT4_P12ihipStream_tbEUlT_E1_NS1_11comp_targetILNS1_3genE4ELNS1_11target_archE910ELNS1_3gpuE8ELNS1_3repE0EEENS1_30default_config_static_selectorELNS0_4arch9wavefront6targetE1EEEvSK_
	.p2align	8
	.type	_ZN7rocprim17ROCPRIM_400000_NS6detail17trampoline_kernelINS0_14default_configENS1_22reduce_config_selectorIN6thrust23THRUST_200600_302600_NS5tupleIblNS6_9null_typeES8_S8_S8_S8_S8_S8_S8_EEEEZNS1_11reduce_implILb1ES3_PS9_SC_S9_NS6_11hip_rocprim9__find_if7functorIS9_EEEE10hipError_tPvRmT1_T2_T3_mT4_P12ihipStream_tbEUlT_E1_NS1_11comp_targetILNS1_3genE4ELNS1_11target_archE910ELNS1_3gpuE8ELNS1_3repE0EEENS1_30default_config_static_selectorELNS0_4arch9wavefront6targetE1EEEvSK_,@function
_ZN7rocprim17ROCPRIM_400000_NS6detail17trampoline_kernelINS0_14default_configENS1_22reduce_config_selectorIN6thrust23THRUST_200600_302600_NS5tupleIblNS6_9null_typeES8_S8_S8_S8_S8_S8_S8_EEEEZNS1_11reduce_implILb1ES3_PS9_SC_S9_NS6_11hip_rocprim9__find_if7functorIS9_EEEE10hipError_tPvRmT1_T2_T3_mT4_P12ihipStream_tbEUlT_E1_NS1_11comp_targetILNS1_3genE4ELNS1_11target_archE910ELNS1_3gpuE8ELNS1_3repE0EEENS1_30default_config_static_selectorELNS0_4arch9wavefront6targetE1EEEvSK_: ; @_ZN7rocprim17ROCPRIM_400000_NS6detail17trampoline_kernelINS0_14default_configENS1_22reduce_config_selectorIN6thrust23THRUST_200600_302600_NS5tupleIblNS6_9null_typeES8_S8_S8_S8_S8_S8_S8_EEEEZNS1_11reduce_implILb1ES3_PS9_SC_S9_NS6_11hip_rocprim9__find_if7functorIS9_EEEE10hipError_tPvRmT1_T2_T3_mT4_P12ihipStream_tbEUlT_E1_NS1_11comp_targetILNS1_3genE4ELNS1_11target_archE910ELNS1_3gpuE8ELNS1_3repE0EEENS1_30default_config_static_selectorELNS0_4arch9wavefront6targetE1EEEvSK_
; %bb.0:
	.section	.rodata,"a",@progbits
	.p2align	6, 0x0
	.amdhsa_kernel _ZN7rocprim17ROCPRIM_400000_NS6detail17trampoline_kernelINS0_14default_configENS1_22reduce_config_selectorIN6thrust23THRUST_200600_302600_NS5tupleIblNS6_9null_typeES8_S8_S8_S8_S8_S8_S8_EEEEZNS1_11reduce_implILb1ES3_PS9_SC_S9_NS6_11hip_rocprim9__find_if7functorIS9_EEEE10hipError_tPvRmT1_T2_T3_mT4_P12ihipStream_tbEUlT_E1_NS1_11comp_targetILNS1_3genE4ELNS1_11target_archE910ELNS1_3gpuE8ELNS1_3repE0EEENS1_30default_config_static_selectorELNS0_4arch9wavefront6targetE1EEEvSK_
		.amdhsa_group_segment_fixed_size 0
		.amdhsa_private_segment_fixed_size 0
		.amdhsa_kernarg_size 56
		.amdhsa_user_sgpr_count 6
		.amdhsa_user_sgpr_private_segment_buffer 1
		.amdhsa_user_sgpr_dispatch_ptr 0
		.amdhsa_user_sgpr_queue_ptr 0
		.amdhsa_user_sgpr_kernarg_segment_ptr 1
		.amdhsa_user_sgpr_dispatch_id 0
		.amdhsa_user_sgpr_flat_scratch_init 0
		.amdhsa_user_sgpr_private_segment_size 0
		.amdhsa_uses_dynamic_stack 0
		.amdhsa_system_sgpr_private_segment_wavefront_offset 0
		.amdhsa_system_sgpr_workgroup_id_x 1
		.amdhsa_system_sgpr_workgroup_id_y 0
		.amdhsa_system_sgpr_workgroup_id_z 0
		.amdhsa_system_sgpr_workgroup_info 0
		.amdhsa_system_vgpr_workitem_id 0
		.amdhsa_next_free_vgpr 1
		.amdhsa_next_free_sgpr 0
		.amdhsa_reserve_vcc 0
		.amdhsa_reserve_flat_scratch 0
		.amdhsa_float_round_mode_32 0
		.amdhsa_float_round_mode_16_64 0
		.amdhsa_float_denorm_mode_32 3
		.amdhsa_float_denorm_mode_16_64 3
		.amdhsa_dx10_clamp 1
		.amdhsa_ieee_mode 1
		.amdhsa_fp16_overflow 0
		.amdhsa_exception_fp_ieee_invalid_op 0
		.amdhsa_exception_fp_denorm_src 0
		.amdhsa_exception_fp_ieee_div_zero 0
		.amdhsa_exception_fp_ieee_overflow 0
		.amdhsa_exception_fp_ieee_underflow 0
		.amdhsa_exception_fp_ieee_inexact 0
		.amdhsa_exception_int_div_zero 0
	.end_amdhsa_kernel
	.section	.text._ZN7rocprim17ROCPRIM_400000_NS6detail17trampoline_kernelINS0_14default_configENS1_22reduce_config_selectorIN6thrust23THRUST_200600_302600_NS5tupleIblNS6_9null_typeES8_S8_S8_S8_S8_S8_S8_EEEEZNS1_11reduce_implILb1ES3_PS9_SC_S9_NS6_11hip_rocprim9__find_if7functorIS9_EEEE10hipError_tPvRmT1_T2_T3_mT4_P12ihipStream_tbEUlT_E1_NS1_11comp_targetILNS1_3genE4ELNS1_11target_archE910ELNS1_3gpuE8ELNS1_3repE0EEENS1_30default_config_static_selectorELNS0_4arch9wavefront6targetE1EEEvSK_,"axG",@progbits,_ZN7rocprim17ROCPRIM_400000_NS6detail17trampoline_kernelINS0_14default_configENS1_22reduce_config_selectorIN6thrust23THRUST_200600_302600_NS5tupleIblNS6_9null_typeES8_S8_S8_S8_S8_S8_S8_EEEEZNS1_11reduce_implILb1ES3_PS9_SC_S9_NS6_11hip_rocprim9__find_if7functorIS9_EEEE10hipError_tPvRmT1_T2_T3_mT4_P12ihipStream_tbEUlT_E1_NS1_11comp_targetILNS1_3genE4ELNS1_11target_archE910ELNS1_3gpuE8ELNS1_3repE0EEENS1_30default_config_static_selectorELNS0_4arch9wavefront6targetE1EEEvSK_,comdat
.Lfunc_end461:
	.size	_ZN7rocprim17ROCPRIM_400000_NS6detail17trampoline_kernelINS0_14default_configENS1_22reduce_config_selectorIN6thrust23THRUST_200600_302600_NS5tupleIblNS6_9null_typeES8_S8_S8_S8_S8_S8_S8_EEEEZNS1_11reduce_implILb1ES3_PS9_SC_S9_NS6_11hip_rocprim9__find_if7functorIS9_EEEE10hipError_tPvRmT1_T2_T3_mT4_P12ihipStream_tbEUlT_E1_NS1_11comp_targetILNS1_3genE4ELNS1_11target_archE910ELNS1_3gpuE8ELNS1_3repE0EEENS1_30default_config_static_selectorELNS0_4arch9wavefront6targetE1EEEvSK_, .Lfunc_end461-_ZN7rocprim17ROCPRIM_400000_NS6detail17trampoline_kernelINS0_14default_configENS1_22reduce_config_selectorIN6thrust23THRUST_200600_302600_NS5tupleIblNS6_9null_typeES8_S8_S8_S8_S8_S8_S8_EEEEZNS1_11reduce_implILb1ES3_PS9_SC_S9_NS6_11hip_rocprim9__find_if7functorIS9_EEEE10hipError_tPvRmT1_T2_T3_mT4_P12ihipStream_tbEUlT_E1_NS1_11comp_targetILNS1_3genE4ELNS1_11target_archE910ELNS1_3gpuE8ELNS1_3repE0EEENS1_30default_config_static_selectorELNS0_4arch9wavefront6targetE1EEEvSK_
                                        ; -- End function
	.set _ZN7rocprim17ROCPRIM_400000_NS6detail17trampoline_kernelINS0_14default_configENS1_22reduce_config_selectorIN6thrust23THRUST_200600_302600_NS5tupleIblNS6_9null_typeES8_S8_S8_S8_S8_S8_S8_EEEEZNS1_11reduce_implILb1ES3_PS9_SC_S9_NS6_11hip_rocprim9__find_if7functorIS9_EEEE10hipError_tPvRmT1_T2_T3_mT4_P12ihipStream_tbEUlT_E1_NS1_11comp_targetILNS1_3genE4ELNS1_11target_archE910ELNS1_3gpuE8ELNS1_3repE0EEENS1_30default_config_static_selectorELNS0_4arch9wavefront6targetE1EEEvSK_.num_vgpr, 0
	.set _ZN7rocprim17ROCPRIM_400000_NS6detail17trampoline_kernelINS0_14default_configENS1_22reduce_config_selectorIN6thrust23THRUST_200600_302600_NS5tupleIblNS6_9null_typeES8_S8_S8_S8_S8_S8_S8_EEEEZNS1_11reduce_implILb1ES3_PS9_SC_S9_NS6_11hip_rocprim9__find_if7functorIS9_EEEE10hipError_tPvRmT1_T2_T3_mT4_P12ihipStream_tbEUlT_E1_NS1_11comp_targetILNS1_3genE4ELNS1_11target_archE910ELNS1_3gpuE8ELNS1_3repE0EEENS1_30default_config_static_selectorELNS0_4arch9wavefront6targetE1EEEvSK_.num_agpr, 0
	.set _ZN7rocprim17ROCPRIM_400000_NS6detail17trampoline_kernelINS0_14default_configENS1_22reduce_config_selectorIN6thrust23THRUST_200600_302600_NS5tupleIblNS6_9null_typeES8_S8_S8_S8_S8_S8_S8_EEEEZNS1_11reduce_implILb1ES3_PS9_SC_S9_NS6_11hip_rocprim9__find_if7functorIS9_EEEE10hipError_tPvRmT1_T2_T3_mT4_P12ihipStream_tbEUlT_E1_NS1_11comp_targetILNS1_3genE4ELNS1_11target_archE910ELNS1_3gpuE8ELNS1_3repE0EEENS1_30default_config_static_selectorELNS0_4arch9wavefront6targetE1EEEvSK_.numbered_sgpr, 0
	.set _ZN7rocprim17ROCPRIM_400000_NS6detail17trampoline_kernelINS0_14default_configENS1_22reduce_config_selectorIN6thrust23THRUST_200600_302600_NS5tupleIblNS6_9null_typeES8_S8_S8_S8_S8_S8_S8_EEEEZNS1_11reduce_implILb1ES3_PS9_SC_S9_NS6_11hip_rocprim9__find_if7functorIS9_EEEE10hipError_tPvRmT1_T2_T3_mT4_P12ihipStream_tbEUlT_E1_NS1_11comp_targetILNS1_3genE4ELNS1_11target_archE910ELNS1_3gpuE8ELNS1_3repE0EEENS1_30default_config_static_selectorELNS0_4arch9wavefront6targetE1EEEvSK_.num_named_barrier, 0
	.set _ZN7rocprim17ROCPRIM_400000_NS6detail17trampoline_kernelINS0_14default_configENS1_22reduce_config_selectorIN6thrust23THRUST_200600_302600_NS5tupleIblNS6_9null_typeES8_S8_S8_S8_S8_S8_S8_EEEEZNS1_11reduce_implILb1ES3_PS9_SC_S9_NS6_11hip_rocprim9__find_if7functorIS9_EEEE10hipError_tPvRmT1_T2_T3_mT4_P12ihipStream_tbEUlT_E1_NS1_11comp_targetILNS1_3genE4ELNS1_11target_archE910ELNS1_3gpuE8ELNS1_3repE0EEENS1_30default_config_static_selectorELNS0_4arch9wavefront6targetE1EEEvSK_.private_seg_size, 0
	.set _ZN7rocprim17ROCPRIM_400000_NS6detail17trampoline_kernelINS0_14default_configENS1_22reduce_config_selectorIN6thrust23THRUST_200600_302600_NS5tupleIblNS6_9null_typeES8_S8_S8_S8_S8_S8_S8_EEEEZNS1_11reduce_implILb1ES3_PS9_SC_S9_NS6_11hip_rocprim9__find_if7functorIS9_EEEE10hipError_tPvRmT1_T2_T3_mT4_P12ihipStream_tbEUlT_E1_NS1_11comp_targetILNS1_3genE4ELNS1_11target_archE910ELNS1_3gpuE8ELNS1_3repE0EEENS1_30default_config_static_selectorELNS0_4arch9wavefront6targetE1EEEvSK_.uses_vcc, 0
	.set _ZN7rocprim17ROCPRIM_400000_NS6detail17trampoline_kernelINS0_14default_configENS1_22reduce_config_selectorIN6thrust23THRUST_200600_302600_NS5tupleIblNS6_9null_typeES8_S8_S8_S8_S8_S8_S8_EEEEZNS1_11reduce_implILb1ES3_PS9_SC_S9_NS6_11hip_rocprim9__find_if7functorIS9_EEEE10hipError_tPvRmT1_T2_T3_mT4_P12ihipStream_tbEUlT_E1_NS1_11comp_targetILNS1_3genE4ELNS1_11target_archE910ELNS1_3gpuE8ELNS1_3repE0EEENS1_30default_config_static_selectorELNS0_4arch9wavefront6targetE1EEEvSK_.uses_flat_scratch, 0
	.set _ZN7rocprim17ROCPRIM_400000_NS6detail17trampoline_kernelINS0_14default_configENS1_22reduce_config_selectorIN6thrust23THRUST_200600_302600_NS5tupleIblNS6_9null_typeES8_S8_S8_S8_S8_S8_S8_EEEEZNS1_11reduce_implILb1ES3_PS9_SC_S9_NS6_11hip_rocprim9__find_if7functorIS9_EEEE10hipError_tPvRmT1_T2_T3_mT4_P12ihipStream_tbEUlT_E1_NS1_11comp_targetILNS1_3genE4ELNS1_11target_archE910ELNS1_3gpuE8ELNS1_3repE0EEENS1_30default_config_static_selectorELNS0_4arch9wavefront6targetE1EEEvSK_.has_dyn_sized_stack, 0
	.set _ZN7rocprim17ROCPRIM_400000_NS6detail17trampoline_kernelINS0_14default_configENS1_22reduce_config_selectorIN6thrust23THRUST_200600_302600_NS5tupleIblNS6_9null_typeES8_S8_S8_S8_S8_S8_S8_EEEEZNS1_11reduce_implILb1ES3_PS9_SC_S9_NS6_11hip_rocprim9__find_if7functorIS9_EEEE10hipError_tPvRmT1_T2_T3_mT4_P12ihipStream_tbEUlT_E1_NS1_11comp_targetILNS1_3genE4ELNS1_11target_archE910ELNS1_3gpuE8ELNS1_3repE0EEENS1_30default_config_static_selectorELNS0_4arch9wavefront6targetE1EEEvSK_.has_recursion, 0
	.set _ZN7rocprim17ROCPRIM_400000_NS6detail17trampoline_kernelINS0_14default_configENS1_22reduce_config_selectorIN6thrust23THRUST_200600_302600_NS5tupleIblNS6_9null_typeES8_S8_S8_S8_S8_S8_S8_EEEEZNS1_11reduce_implILb1ES3_PS9_SC_S9_NS6_11hip_rocprim9__find_if7functorIS9_EEEE10hipError_tPvRmT1_T2_T3_mT4_P12ihipStream_tbEUlT_E1_NS1_11comp_targetILNS1_3genE4ELNS1_11target_archE910ELNS1_3gpuE8ELNS1_3repE0EEENS1_30default_config_static_selectorELNS0_4arch9wavefront6targetE1EEEvSK_.has_indirect_call, 0
	.section	.AMDGPU.csdata,"",@progbits
; Kernel info:
; codeLenInByte = 0
; TotalNumSgprs: 4
; NumVgprs: 0
; ScratchSize: 0
; MemoryBound: 0
; FloatMode: 240
; IeeeMode: 1
; LDSByteSize: 0 bytes/workgroup (compile time only)
; SGPRBlocks: 0
; VGPRBlocks: 0
; NumSGPRsForWavesPerEU: 4
; NumVGPRsForWavesPerEU: 1
; Occupancy: 10
; WaveLimiterHint : 0
; COMPUTE_PGM_RSRC2:SCRATCH_EN: 0
; COMPUTE_PGM_RSRC2:USER_SGPR: 6
; COMPUTE_PGM_RSRC2:TRAP_HANDLER: 0
; COMPUTE_PGM_RSRC2:TGID_X_EN: 1
; COMPUTE_PGM_RSRC2:TGID_Y_EN: 0
; COMPUTE_PGM_RSRC2:TGID_Z_EN: 0
; COMPUTE_PGM_RSRC2:TIDIG_COMP_CNT: 0
	.section	.text._ZN7rocprim17ROCPRIM_400000_NS6detail17trampoline_kernelINS0_14default_configENS1_22reduce_config_selectorIN6thrust23THRUST_200600_302600_NS5tupleIblNS6_9null_typeES8_S8_S8_S8_S8_S8_S8_EEEEZNS1_11reduce_implILb1ES3_PS9_SC_S9_NS6_11hip_rocprim9__find_if7functorIS9_EEEE10hipError_tPvRmT1_T2_T3_mT4_P12ihipStream_tbEUlT_E1_NS1_11comp_targetILNS1_3genE3ELNS1_11target_archE908ELNS1_3gpuE7ELNS1_3repE0EEENS1_30default_config_static_selectorELNS0_4arch9wavefront6targetE1EEEvSK_,"axG",@progbits,_ZN7rocprim17ROCPRIM_400000_NS6detail17trampoline_kernelINS0_14default_configENS1_22reduce_config_selectorIN6thrust23THRUST_200600_302600_NS5tupleIblNS6_9null_typeES8_S8_S8_S8_S8_S8_S8_EEEEZNS1_11reduce_implILb1ES3_PS9_SC_S9_NS6_11hip_rocprim9__find_if7functorIS9_EEEE10hipError_tPvRmT1_T2_T3_mT4_P12ihipStream_tbEUlT_E1_NS1_11comp_targetILNS1_3genE3ELNS1_11target_archE908ELNS1_3gpuE7ELNS1_3repE0EEENS1_30default_config_static_selectorELNS0_4arch9wavefront6targetE1EEEvSK_,comdat
	.protected	_ZN7rocprim17ROCPRIM_400000_NS6detail17trampoline_kernelINS0_14default_configENS1_22reduce_config_selectorIN6thrust23THRUST_200600_302600_NS5tupleIblNS6_9null_typeES8_S8_S8_S8_S8_S8_S8_EEEEZNS1_11reduce_implILb1ES3_PS9_SC_S9_NS6_11hip_rocprim9__find_if7functorIS9_EEEE10hipError_tPvRmT1_T2_T3_mT4_P12ihipStream_tbEUlT_E1_NS1_11comp_targetILNS1_3genE3ELNS1_11target_archE908ELNS1_3gpuE7ELNS1_3repE0EEENS1_30default_config_static_selectorELNS0_4arch9wavefront6targetE1EEEvSK_ ; -- Begin function _ZN7rocprim17ROCPRIM_400000_NS6detail17trampoline_kernelINS0_14default_configENS1_22reduce_config_selectorIN6thrust23THRUST_200600_302600_NS5tupleIblNS6_9null_typeES8_S8_S8_S8_S8_S8_S8_EEEEZNS1_11reduce_implILb1ES3_PS9_SC_S9_NS6_11hip_rocprim9__find_if7functorIS9_EEEE10hipError_tPvRmT1_T2_T3_mT4_P12ihipStream_tbEUlT_E1_NS1_11comp_targetILNS1_3genE3ELNS1_11target_archE908ELNS1_3gpuE7ELNS1_3repE0EEENS1_30default_config_static_selectorELNS0_4arch9wavefront6targetE1EEEvSK_
	.globl	_ZN7rocprim17ROCPRIM_400000_NS6detail17trampoline_kernelINS0_14default_configENS1_22reduce_config_selectorIN6thrust23THRUST_200600_302600_NS5tupleIblNS6_9null_typeES8_S8_S8_S8_S8_S8_S8_EEEEZNS1_11reduce_implILb1ES3_PS9_SC_S9_NS6_11hip_rocprim9__find_if7functorIS9_EEEE10hipError_tPvRmT1_T2_T3_mT4_P12ihipStream_tbEUlT_E1_NS1_11comp_targetILNS1_3genE3ELNS1_11target_archE908ELNS1_3gpuE7ELNS1_3repE0EEENS1_30default_config_static_selectorELNS0_4arch9wavefront6targetE1EEEvSK_
	.p2align	8
	.type	_ZN7rocprim17ROCPRIM_400000_NS6detail17trampoline_kernelINS0_14default_configENS1_22reduce_config_selectorIN6thrust23THRUST_200600_302600_NS5tupleIblNS6_9null_typeES8_S8_S8_S8_S8_S8_S8_EEEEZNS1_11reduce_implILb1ES3_PS9_SC_S9_NS6_11hip_rocprim9__find_if7functorIS9_EEEE10hipError_tPvRmT1_T2_T3_mT4_P12ihipStream_tbEUlT_E1_NS1_11comp_targetILNS1_3genE3ELNS1_11target_archE908ELNS1_3gpuE7ELNS1_3repE0EEENS1_30default_config_static_selectorELNS0_4arch9wavefront6targetE1EEEvSK_,@function
_ZN7rocprim17ROCPRIM_400000_NS6detail17trampoline_kernelINS0_14default_configENS1_22reduce_config_selectorIN6thrust23THRUST_200600_302600_NS5tupleIblNS6_9null_typeES8_S8_S8_S8_S8_S8_S8_EEEEZNS1_11reduce_implILb1ES3_PS9_SC_S9_NS6_11hip_rocprim9__find_if7functorIS9_EEEE10hipError_tPvRmT1_T2_T3_mT4_P12ihipStream_tbEUlT_E1_NS1_11comp_targetILNS1_3genE3ELNS1_11target_archE908ELNS1_3gpuE7ELNS1_3repE0EEENS1_30default_config_static_selectorELNS0_4arch9wavefront6targetE1EEEvSK_: ; @_ZN7rocprim17ROCPRIM_400000_NS6detail17trampoline_kernelINS0_14default_configENS1_22reduce_config_selectorIN6thrust23THRUST_200600_302600_NS5tupleIblNS6_9null_typeES8_S8_S8_S8_S8_S8_S8_EEEEZNS1_11reduce_implILb1ES3_PS9_SC_S9_NS6_11hip_rocprim9__find_if7functorIS9_EEEE10hipError_tPvRmT1_T2_T3_mT4_P12ihipStream_tbEUlT_E1_NS1_11comp_targetILNS1_3genE3ELNS1_11target_archE908ELNS1_3gpuE7ELNS1_3repE0EEENS1_30default_config_static_selectorELNS0_4arch9wavefront6targetE1EEEvSK_
; %bb.0:
	.section	.rodata,"a",@progbits
	.p2align	6, 0x0
	.amdhsa_kernel _ZN7rocprim17ROCPRIM_400000_NS6detail17trampoline_kernelINS0_14default_configENS1_22reduce_config_selectorIN6thrust23THRUST_200600_302600_NS5tupleIblNS6_9null_typeES8_S8_S8_S8_S8_S8_S8_EEEEZNS1_11reduce_implILb1ES3_PS9_SC_S9_NS6_11hip_rocprim9__find_if7functorIS9_EEEE10hipError_tPvRmT1_T2_T3_mT4_P12ihipStream_tbEUlT_E1_NS1_11comp_targetILNS1_3genE3ELNS1_11target_archE908ELNS1_3gpuE7ELNS1_3repE0EEENS1_30default_config_static_selectorELNS0_4arch9wavefront6targetE1EEEvSK_
		.amdhsa_group_segment_fixed_size 0
		.amdhsa_private_segment_fixed_size 0
		.amdhsa_kernarg_size 56
		.amdhsa_user_sgpr_count 6
		.amdhsa_user_sgpr_private_segment_buffer 1
		.amdhsa_user_sgpr_dispatch_ptr 0
		.amdhsa_user_sgpr_queue_ptr 0
		.amdhsa_user_sgpr_kernarg_segment_ptr 1
		.amdhsa_user_sgpr_dispatch_id 0
		.amdhsa_user_sgpr_flat_scratch_init 0
		.amdhsa_user_sgpr_private_segment_size 0
		.amdhsa_uses_dynamic_stack 0
		.amdhsa_system_sgpr_private_segment_wavefront_offset 0
		.amdhsa_system_sgpr_workgroup_id_x 1
		.amdhsa_system_sgpr_workgroup_id_y 0
		.amdhsa_system_sgpr_workgroup_id_z 0
		.amdhsa_system_sgpr_workgroup_info 0
		.amdhsa_system_vgpr_workitem_id 0
		.amdhsa_next_free_vgpr 1
		.amdhsa_next_free_sgpr 0
		.amdhsa_reserve_vcc 0
		.amdhsa_reserve_flat_scratch 0
		.amdhsa_float_round_mode_32 0
		.amdhsa_float_round_mode_16_64 0
		.amdhsa_float_denorm_mode_32 3
		.amdhsa_float_denorm_mode_16_64 3
		.amdhsa_dx10_clamp 1
		.amdhsa_ieee_mode 1
		.amdhsa_fp16_overflow 0
		.amdhsa_exception_fp_ieee_invalid_op 0
		.amdhsa_exception_fp_denorm_src 0
		.amdhsa_exception_fp_ieee_div_zero 0
		.amdhsa_exception_fp_ieee_overflow 0
		.amdhsa_exception_fp_ieee_underflow 0
		.amdhsa_exception_fp_ieee_inexact 0
		.amdhsa_exception_int_div_zero 0
	.end_amdhsa_kernel
	.section	.text._ZN7rocprim17ROCPRIM_400000_NS6detail17trampoline_kernelINS0_14default_configENS1_22reduce_config_selectorIN6thrust23THRUST_200600_302600_NS5tupleIblNS6_9null_typeES8_S8_S8_S8_S8_S8_S8_EEEEZNS1_11reduce_implILb1ES3_PS9_SC_S9_NS6_11hip_rocprim9__find_if7functorIS9_EEEE10hipError_tPvRmT1_T2_T3_mT4_P12ihipStream_tbEUlT_E1_NS1_11comp_targetILNS1_3genE3ELNS1_11target_archE908ELNS1_3gpuE7ELNS1_3repE0EEENS1_30default_config_static_selectorELNS0_4arch9wavefront6targetE1EEEvSK_,"axG",@progbits,_ZN7rocprim17ROCPRIM_400000_NS6detail17trampoline_kernelINS0_14default_configENS1_22reduce_config_selectorIN6thrust23THRUST_200600_302600_NS5tupleIblNS6_9null_typeES8_S8_S8_S8_S8_S8_S8_EEEEZNS1_11reduce_implILb1ES3_PS9_SC_S9_NS6_11hip_rocprim9__find_if7functorIS9_EEEE10hipError_tPvRmT1_T2_T3_mT4_P12ihipStream_tbEUlT_E1_NS1_11comp_targetILNS1_3genE3ELNS1_11target_archE908ELNS1_3gpuE7ELNS1_3repE0EEENS1_30default_config_static_selectorELNS0_4arch9wavefront6targetE1EEEvSK_,comdat
.Lfunc_end462:
	.size	_ZN7rocprim17ROCPRIM_400000_NS6detail17trampoline_kernelINS0_14default_configENS1_22reduce_config_selectorIN6thrust23THRUST_200600_302600_NS5tupleIblNS6_9null_typeES8_S8_S8_S8_S8_S8_S8_EEEEZNS1_11reduce_implILb1ES3_PS9_SC_S9_NS6_11hip_rocprim9__find_if7functorIS9_EEEE10hipError_tPvRmT1_T2_T3_mT4_P12ihipStream_tbEUlT_E1_NS1_11comp_targetILNS1_3genE3ELNS1_11target_archE908ELNS1_3gpuE7ELNS1_3repE0EEENS1_30default_config_static_selectorELNS0_4arch9wavefront6targetE1EEEvSK_, .Lfunc_end462-_ZN7rocprim17ROCPRIM_400000_NS6detail17trampoline_kernelINS0_14default_configENS1_22reduce_config_selectorIN6thrust23THRUST_200600_302600_NS5tupleIblNS6_9null_typeES8_S8_S8_S8_S8_S8_S8_EEEEZNS1_11reduce_implILb1ES3_PS9_SC_S9_NS6_11hip_rocprim9__find_if7functorIS9_EEEE10hipError_tPvRmT1_T2_T3_mT4_P12ihipStream_tbEUlT_E1_NS1_11comp_targetILNS1_3genE3ELNS1_11target_archE908ELNS1_3gpuE7ELNS1_3repE0EEENS1_30default_config_static_selectorELNS0_4arch9wavefront6targetE1EEEvSK_
                                        ; -- End function
	.set _ZN7rocprim17ROCPRIM_400000_NS6detail17trampoline_kernelINS0_14default_configENS1_22reduce_config_selectorIN6thrust23THRUST_200600_302600_NS5tupleIblNS6_9null_typeES8_S8_S8_S8_S8_S8_S8_EEEEZNS1_11reduce_implILb1ES3_PS9_SC_S9_NS6_11hip_rocprim9__find_if7functorIS9_EEEE10hipError_tPvRmT1_T2_T3_mT4_P12ihipStream_tbEUlT_E1_NS1_11comp_targetILNS1_3genE3ELNS1_11target_archE908ELNS1_3gpuE7ELNS1_3repE0EEENS1_30default_config_static_selectorELNS0_4arch9wavefront6targetE1EEEvSK_.num_vgpr, 0
	.set _ZN7rocprim17ROCPRIM_400000_NS6detail17trampoline_kernelINS0_14default_configENS1_22reduce_config_selectorIN6thrust23THRUST_200600_302600_NS5tupleIblNS6_9null_typeES8_S8_S8_S8_S8_S8_S8_EEEEZNS1_11reduce_implILb1ES3_PS9_SC_S9_NS6_11hip_rocprim9__find_if7functorIS9_EEEE10hipError_tPvRmT1_T2_T3_mT4_P12ihipStream_tbEUlT_E1_NS1_11comp_targetILNS1_3genE3ELNS1_11target_archE908ELNS1_3gpuE7ELNS1_3repE0EEENS1_30default_config_static_selectorELNS0_4arch9wavefront6targetE1EEEvSK_.num_agpr, 0
	.set _ZN7rocprim17ROCPRIM_400000_NS6detail17trampoline_kernelINS0_14default_configENS1_22reduce_config_selectorIN6thrust23THRUST_200600_302600_NS5tupleIblNS6_9null_typeES8_S8_S8_S8_S8_S8_S8_EEEEZNS1_11reduce_implILb1ES3_PS9_SC_S9_NS6_11hip_rocprim9__find_if7functorIS9_EEEE10hipError_tPvRmT1_T2_T3_mT4_P12ihipStream_tbEUlT_E1_NS1_11comp_targetILNS1_3genE3ELNS1_11target_archE908ELNS1_3gpuE7ELNS1_3repE0EEENS1_30default_config_static_selectorELNS0_4arch9wavefront6targetE1EEEvSK_.numbered_sgpr, 0
	.set _ZN7rocprim17ROCPRIM_400000_NS6detail17trampoline_kernelINS0_14default_configENS1_22reduce_config_selectorIN6thrust23THRUST_200600_302600_NS5tupleIblNS6_9null_typeES8_S8_S8_S8_S8_S8_S8_EEEEZNS1_11reduce_implILb1ES3_PS9_SC_S9_NS6_11hip_rocprim9__find_if7functorIS9_EEEE10hipError_tPvRmT1_T2_T3_mT4_P12ihipStream_tbEUlT_E1_NS1_11comp_targetILNS1_3genE3ELNS1_11target_archE908ELNS1_3gpuE7ELNS1_3repE0EEENS1_30default_config_static_selectorELNS0_4arch9wavefront6targetE1EEEvSK_.num_named_barrier, 0
	.set _ZN7rocprim17ROCPRIM_400000_NS6detail17trampoline_kernelINS0_14default_configENS1_22reduce_config_selectorIN6thrust23THRUST_200600_302600_NS5tupleIblNS6_9null_typeES8_S8_S8_S8_S8_S8_S8_EEEEZNS1_11reduce_implILb1ES3_PS9_SC_S9_NS6_11hip_rocprim9__find_if7functorIS9_EEEE10hipError_tPvRmT1_T2_T3_mT4_P12ihipStream_tbEUlT_E1_NS1_11comp_targetILNS1_3genE3ELNS1_11target_archE908ELNS1_3gpuE7ELNS1_3repE0EEENS1_30default_config_static_selectorELNS0_4arch9wavefront6targetE1EEEvSK_.private_seg_size, 0
	.set _ZN7rocprim17ROCPRIM_400000_NS6detail17trampoline_kernelINS0_14default_configENS1_22reduce_config_selectorIN6thrust23THRUST_200600_302600_NS5tupleIblNS6_9null_typeES8_S8_S8_S8_S8_S8_S8_EEEEZNS1_11reduce_implILb1ES3_PS9_SC_S9_NS6_11hip_rocprim9__find_if7functorIS9_EEEE10hipError_tPvRmT1_T2_T3_mT4_P12ihipStream_tbEUlT_E1_NS1_11comp_targetILNS1_3genE3ELNS1_11target_archE908ELNS1_3gpuE7ELNS1_3repE0EEENS1_30default_config_static_selectorELNS0_4arch9wavefront6targetE1EEEvSK_.uses_vcc, 0
	.set _ZN7rocprim17ROCPRIM_400000_NS6detail17trampoline_kernelINS0_14default_configENS1_22reduce_config_selectorIN6thrust23THRUST_200600_302600_NS5tupleIblNS6_9null_typeES8_S8_S8_S8_S8_S8_S8_EEEEZNS1_11reduce_implILb1ES3_PS9_SC_S9_NS6_11hip_rocprim9__find_if7functorIS9_EEEE10hipError_tPvRmT1_T2_T3_mT4_P12ihipStream_tbEUlT_E1_NS1_11comp_targetILNS1_3genE3ELNS1_11target_archE908ELNS1_3gpuE7ELNS1_3repE0EEENS1_30default_config_static_selectorELNS0_4arch9wavefront6targetE1EEEvSK_.uses_flat_scratch, 0
	.set _ZN7rocprim17ROCPRIM_400000_NS6detail17trampoline_kernelINS0_14default_configENS1_22reduce_config_selectorIN6thrust23THRUST_200600_302600_NS5tupleIblNS6_9null_typeES8_S8_S8_S8_S8_S8_S8_EEEEZNS1_11reduce_implILb1ES3_PS9_SC_S9_NS6_11hip_rocprim9__find_if7functorIS9_EEEE10hipError_tPvRmT1_T2_T3_mT4_P12ihipStream_tbEUlT_E1_NS1_11comp_targetILNS1_3genE3ELNS1_11target_archE908ELNS1_3gpuE7ELNS1_3repE0EEENS1_30default_config_static_selectorELNS0_4arch9wavefront6targetE1EEEvSK_.has_dyn_sized_stack, 0
	.set _ZN7rocprim17ROCPRIM_400000_NS6detail17trampoline_kernelINS0_14default_configENS1_22reduce_config_selectorIN6thrust23THRUST_200600_302600_NS5tupleIblNS6_9null_typeES8_S8_S8_S8_S8_S8_S8_EEEEZNS1_11reduce_implILb1ES3_PS9_SC_S9_NS6_11hip_rocprim9__find_if7functorIS9_EEEE10hipError_tPvRmT1_T2_T3_mT4_P12ihipStream_tbEUlT_E1_NS1_11comp_targetILNS1_3genE3ELNS1_11target_archE908ELNS1_3gpuE7ELNS1_3repE0EEENS1_30default_config_static_selectorELNS0_4arch9wavefront6targetE1EEEvSK_.has_recursion, 0
	.set _ZN7rocprim17ROCPRIM_400000_NS6detail17trampoline_kernelINS0_14default_configENS1_22reduce_config_selectorIN6thrust23THRUST_200600_302600_NS5tupleIblNS6_9null_typeES8_S8_S8_S8_S8_S8_S8_EEEEZNS1_11reduce_implILb1ES3_PS9_SC_S9_NS6_11hip_rocprim9__find_if7functorIS9_EEEE10hipError_tPvRmT1_T2_T3_mT4_P12ihipStream_tbEUlT_E1_NS1_11comp_targetILNS1_3genE3ELNS1_11target_archE908ELNS1_3gpuE7ELNS1_3repE0EEENS1_30default_config_static_selectorELNS0_4arch9wavefront6targetE1EEEvSK_.has_indirect_call, 0
	.section	.AMDGPU.csdata,"",@progbits
; Kernel info:
; codeLenInByte = 0
; TotalNumSgprs: 4
; NumVgprs: 0
; ScratchSize: 0
; MemoryBound: 0
; FloatMode: 240
; IeeeMode: 1
; LDSByteSize: 0 bytes/workgroup (compile time only)
; SGPRBlocks: 0
; VGPRBlocks: 0
; NumSGPRsForWavesPerEU: 4
; NumVGPRsForWavesPerEU: 1
; Occupancy: 10
; WaveLimiterHint : 0
; COMPUTE_PGM_RSRC2:SCRATCH_EN: 0
; COMPUTE_PGM_RSRC2:USER_SGPR: 6
; COMPUTE_PGM_RSRC2:TRAP_HANDLER: 0
; COMPUTE_PGM_RSRC2:TGID_X_EN: 1
; COMPUTE_PGM_RSRC2:TGID_Y_EN: 0
; COMPUTE_PGM_RSRC2:TGID_Z_EN: 0
; COMPUTE_PGM_RSRC2:TIDIG_COMP_CNT: 0
	.section	.text._ZN7rocprim17ROCPRIM_400000_NS6detail17trampoline_kernelINS0_14default_configENS1_22reduce_config_selectorIN6thrust23THRUST_200600_302600_NS5tupleIblNS6_9null_typeES8_S8_S8_S8_S8_S8_S8_EEEEZNS1_11reduce_implILb1ES3_PS9_SC_S9_NS6_11hip_rocprim9__find_if7functorIS9_EEEE10hipError_tPvRmT1_T2_T3_mT4_P12ihipStream_tbEUlT_E1_NS1_11comp_targetILNS1_3genE2ELNS1_11target_archE906ELNS1_3gpuE6ELNS1_3repE0EEENS1_30default_config_static_selectorELNS0_4arch9wavefront6targetE1EEEvSK_,"axG",@progbits,_ZN7rocprim17ROCPRIM_400000_NS6detail17trampoline_kernelINS0_14default_configENS1_22reduce_config_selectorIN6thrust23THRUST_200600_302600_NS5tupleIblNS6_9null_typeES8_S8_S8_S8_S8_S8_S8_EEEEZNS1_11reduce_implILb1ES3_PS9_SC_S9_NS6_11hip_rocprim9__find_if7functorIS9_EEEE10hipError_tPvRmT1_T2_T3_mT4_P12ihipStream_tbEUlT_E1_NS1_11comp_targetILNS1_3genE2ELNS1_11target_archE906ELNS1_3gpuE6ELNS1_3repE0EEENS1_30default_config_static_selectorELNS0_4arch9wavefront6targetE1EEEvSK_,comdat
	.protected	_ZN7rocprim17ROCPRIM_400000_NS6detail17trampoline_kernelINS0_14default_configENS1_22reduce_config_selectorIN6thrust23THRUST_200600_302600_NS5tupleIblNS6_9null_typeES8_S8_S8_S8_S8_S8_S8_EEEEZNS1_11reduce_implILb1ES3_PS9_SC_S9_NS6_11hip_rocprim9__find_if7functorIS9_EEEE10hipError_tPvRmT1_T2_T3_mT4_P12ihipStream_tbEUlT_E1_NS1_11comp_targetILNS1_3genE2ELNS1_11target_archE906ELNS1_3gpuE6ELNS1_3repE0EEENS1_30default_config_static_selectorELNS0_4arch9wavefront6targetE1EEEvSK_ ; -- Begin function _ZN7rocprim17ROCPRIM_400000_NS6detail17trampoline_kernelINS0_14default_configENS1_22reduce_config_selectorIN6thrust23THRUST_200600_302600_NS5tupleIblNS6_9null_typeES8_S8_S8_S8_S8_S8_S8_EEEEZNS1_11reduce_implILb1ES3_PS9_SC_S9_NS6_11hip_rocprim9__find_if7functorIS9_EEEE10hipError_tPvRmT1_T2_T3_mT4_P12ihipStream_tbEUlT_E1_NS1_11comp_targetILNS1_3genE2ELNS1_11target_archE906ELNS1_3gpuE6ELNS1_3repE0EEENS1_30default_config_static_selectorELNS0_4arch9wavefront6targetE1EEEvSK_
	.globl	_ZN7rocprim17ROCPRIM_400000_NS6detail17trampoline_kernelINS0_14default_configENS1_22reduce_config_selectorIN6thrust23THRUST_200600_302600_NS5tupleIblNS6_9null_typeES8_S8_S8_S8_S8_S8_S8_EEEEZNS1_11reduce_implILb1ES3_PS9_SC_S9_NS6_11hip_rocprim9__find_if7functorIS9_EEEE10hipError_tPvRmT1_T2_T3_mT4_P12ihipStream_tbEUlT_E1_NS1_11comp_targetILNS1_3genE2ELNS1_11target_archE906ELNS1_3gpuE6ELNS1_3repE0EEENS1_30default_config_static_selectorELNS0_4arch9wavefront6targetE1EEEvSK_
	.p2align	8
	.type	_ZN7rocprim17ROCPRIM_400000_NS6detail17trampoline_kernelINS0_14default_configENS1_22reduce_config_selectorIN6thrust23THRUST_200600_302600_NS5tupleIblNS6_9null_typeES8_S8_S8_S8_S8_S8_S8_EEEEZNS1_11reduce_implILb1ES3_PS9_SC_S9_NS6_11hip_rocprim9__find_if7functorIS9_EEEE10hipError_tPvRmT1_T2_T3_mT4_P12ihipStream_tbEUlT_E1_NS1_11comp_targetILNS1_3genE2ELNS1_11target_archE906ELNS1_3gpuE6ELNS1_3repE0EEENS1_30default_config_static_selectorELNS0_4arch9wavefront6targetE1EEEvSK_,@function
_ZN7rocprim17ROCPRIM_400000_NS6detail17trampoline_kernelINS0_14default_configENS1_22reduce_config_selectorIN6thrust23THRUST_200600_302600_NS5tupleIblNS6_9null_typeES8_S8_S8_S8_S8_S8_S8_EEEEZNS1_11reduce_implILb1ES3_PS9_SC_S9_NS6_11hip_rocprim9__find_if7functorIS9_EEEE10hipError_tPvRmT1_T2_T3_mT4_P12ihipStream_tbEUlT_E1_NS1_11comp_targetILNS1_3genE2ELNS1_11target_archE906ELNS1_3gpuE6ELNS1_3repE0EEENS1_30default_config_static_selectorELNS0_4arch9wavefront6targetE1EEEvSK_: ; @_ZN7rocprim17ROCPRIM_400000_NS6detail17trampoline_kernelINS0_14default_configENS1_22reduce_config_selectorIN6thrust23THRUST_200600_302600_NS5tupleIblNS6_9null_typeES8_S8_S8_S8_S8_S8_S8_EEEEZNS1_11reduce_implILb1ES3_PS9_SC_S9_NS6_11hip_rocprim9__find_if7functorIS9_EEEE10hipError_tPvRmT1_T2_T3_mT4_P12ihipStream_tbEUlT_E1_NS1_11comp_targetILNS1_3genE2ELNS1_11target_archE906ELNS1_3gpuE6ELNS1_3repE0EEENS1_30default_config_static_selectorELNS0_4arch9wavefront6targetE1EEEvSK_
; %bb.0:
	s_load_dword s29, s[4:5], 0x4
	s_load_dwordx4 s[20:23], s[4:5], 0x8
	s_load_dword s28, s[4:5], 0x20
	s_load_dwordx2 s[18:19], s[4:5], 0x28
	s_waitcnt lgkmcnt(0)
	s_cmp_lt_i32 s29, 4
	s_cbranch_scc1 .LBB463_37
; %bb.1:
	s_cmp_gt_i32 s29, 7
	s_cbranch_scc0 .LBB463_38
; %bb.2:
	s_cmp_eq_u32 s29, 8
	s_mov_b64 s[24:25], 0
	s_cbranch_scc0 .LBB463_39
; %bb.3:
	s_mov_b32 s7, 0
	s_lshl_b32 s8, s6, 10
	s_mov_b32 s9, s7
	s_lshr_b64 s[0:1], s[22:23], 10
	s_lshl_b64 s[2:3], s[8:9], 4
	s_add_u32 s16, s20, s2
	s_addc_u32 s17, s21, s3
	s_cmp_lg_u64 s[0:1], s[6:7]
	s_cbranch_scc0 .LBB463_60
; %bb.4:
	v_lshlrev_b32_e32 v1, 4, v0
	global_load_ubyte v25, v1, s[16:17]
	global_load_ubyte v26, v1, s[16:17] offset:2048
	v_mov_b32_e32 v2, s17
	v_add_co_u32_e32 v5, vcc, s16, v1
	v_addc_co_u32_e32 v18, vcc, 0, v2, vcc
	global_load_dwordx2 v[13:14], v1, s[16:17] offset:2056
	global_load_dwordx2 v[15:16], v1, s[16:17] offset:8
	v_add_co_u32_e32 v1, vcc, 0x1000, v5
	v_addc_co_u32_e32 v2, vcc, 0, v18, vcc
	v_add_co_u32_e32 v3, vcc, 0x2000, v5
	v_addc_co_u32_e32 v4, vcc, 0, v18, vcc
	global_load_ubyte v24, v[1:2], off
	global_load_dwordx2 v[11:12], v[1:2], off offset:8
	global_load_ubyte v23, v[1:2], off offset:2048
	global_load_dwordx2 v[9:10], v[1:2], off offset:2056
	v_add_co_u32_e32 v17, vcc, 0x3000, v5
	v_addc_co_u32_e32 v18, vcc, 0, v18, vcc
	global_load_ubyte v22, v[3:4], off
	global_load_dwordx2 v[7:8], v[3:4], off offset:8
	global_load_ubyte v21, v[3:4], off offset:2048
	global_load_dwordx2 v[5:6], v[3:4], off offset:2056
	s_waitcnt vmcnt(10)
	v_and_b32_e32 v1, v26, v25
	v_and_b32_e32 v1, 1, v1
	v_cmp_eq_u32_e32 vcc, 1, v1
	global_load_ubyte v20, v[17:18], off
	global_load_dwordx2 v[3:4], v[17:18], off offset:8
	global_load_ubyte v19, v[17:18], off offset:2048
	global_load_dwordx2 v[1:2], v[17:18], off offset:2056
                                        ; implicit-def: $vgpr17_vgpr18
	s_and_saveexec_b64 s[0:1], vcc
	s_xor_b64 s[0:1], exec, s[0:1]
	s_cbranch_execz .LBB463_6
; %bb.5:
	s_waitcnt vmcnt(12)
	v_cmp_lt_i64_e32 vcc, v[13:14], v[15:16]
                                        ; implicit-def: $vgpr25
                                        ; implicit-def: $vgpr26
	v_cndmask_b32_e32 v18, v16, v14, vcc
	v_cndmask_b32_e32 v17, v15, v13, vcc
                                        ; implicit-def: $vgpr13_vgpr14
                                        ; implicit-def: $vgpr15_vgpr16
.LBB463_6:
	s_or_saveexec_b64 s[0:1], s[0:1]
	s_mov_b64 s[2:3], -1
	s_xor_b64 exec, exec, s[0:1]
	s_cbranch_execz .LBB463_8
; %bb.7:
	v_and_b32_e32 v17, 1, v25
	v_or_b32_e32 v18, v26, v25
	v_mov_b32_e32 v25, 0
	v_cmp_ne_u16_sdwa s[2:3], v18, v25 src0_sel:BYTE_0 src1_sel:DWORD
	v_cmp_eq_u32_e32 vcc, 1, v17
	s_waitcnt vmcnt(12)
	v_cndmask_b32_e32 v18, v14, v16, vcc
	v_cndmask_b32_e32 v17, v13, v15, vcc
	s_orn2_b64 s[2:3], s[2:3], exec
.LBB463_8:
	s_or_b64 exec, exec, s[0:1]
	s_waitcnt vmcnt(11)
	v_and_b32_e32 v13, 1, v24
	v_cmp_eq_u32_e32 vcc, 1, v13
	s_and_b64 s[0:1], s[2:3], vcc
	s_xor_b64 s[10:11], s[0:1], -1
                                        ; implicit-def: $sgpr0_sgpr1
                                        ; implicit-def: $vgpr13_vgpr14
	s_and_saveexec_b64 s[12:13], s[10:11]
	s_xor_b64 s[10:11], exec, s[12:13]
	s_cbranch_execz .LBB463_10
; %bb.9:
	s_or_b64 s[0:1], s[2:3], vcc
	s_waitcnt vmcnt(10)
	v_cndmask_b32_e64 v14, v12, v18, s[2:3]
	v_cndmask_b32_e64 v13, v11, v17, s[2:3]
                                        ; implicit-def: $vgpr11_vgpr12
                                        ; implicit-def: $vgpr17_vgpr18
.LBB463_10:
	s_andn2_saveexec_b64 s[2:3], s[10:11]
	s_cbranch_execz .LBB463_12
; %bb.11:
	s_waitcnt vmcnt(10)
	v_cmp_lt_i64_e32 vcc, v[11:12], v[17:18]
	s_or_b64 s[0:1], s[0:1], exec
	v_cndmask_b32_e32 v14, v18, v12, vcc
	v_cndmask_b32_e32 v13, v17, v11, vcc
.LBB463_12:
	s_or_b64 exec, exec, s[2:3]
	s_waitcnt vmcnt(9)
	v_and_b32_e32 v11, 1, v23
	v_cmp_eq_u32_e32 vcc, 1, v11
	s_and_b64 s[2:3], s[0:1], vcc
	s_xor_b64 s[10:11], s[2:3], -1
                                        ; implicit-def: $sgpr2_sgpr3
                                        ; implicit-def: $vgpr11_vgpr12
	s_and_saveexec_b64 s[12:13], s[10:11]
	s_xor_b64 s[10:11], exec, s[12:13]
	s_cbranch_execz .LBB463_14
; %bb.13:
	s_or_b64 s[2:3], s[0:1], vcc
	s_waitcnt vmcnt(8)
	v_cndmask_b32_e64 v12, v10, v14, s[0:1]
	v_cndmask_b32_e64 v11, v9, v13, s[0:1]
                                        ; implicit-def: $vgpr9_vgpr10
                                        ; implicit-def: $vgpr13_vgpr14
.LBB463_14:
	s_andn2_saveexec_b64 s[0:1], s[10:11]
	s_cbranch_execz .LBB463_16
; %bb.15:
	s_waitcnt vmcnt(8)
	v_cmp_lt_i64_e32 vcc, v[9:10], v[13:14]
	s_or_b64 s[2:3], s[2:3], exec
	v_cndmask_b32_e32 v12, v14, v10, vcc
	v_cndmask_b32_e32 v11, v13, v9, vcc
.LBB463_16:
	s_or_b64 exec, exec, s[0:1]
	s_waitcnt vmcnt(7)
	v_and_b32_e32 v9, 1, v22
	v_cmp_eq_u32_e32 vcc, 1, v9
	s_and_b64 s[0:1], s[2:3], vcc
	s_xor_b64 s[10:11], s[0:1], -1
                                        ; implicit-def: $sgpr0_sgpr1
                                        ; implicit-def: $vgpr9_vgpr10
	s_and_saveexec_b64 s[12:13], s[10:11]
	s_xor_b64 s[10:11], exec, s[12:13]
	s_cbranch_execz .LBB463_18
; %bb.17:
	s_or_b64 s[0:1], s[2:3], vcc
	s_waitcnt vmcnt(6)
	v_cndmask_b32_e64 v10, v8, v12, s[2:3]
	v_cndmask_b32_e64 v9, v7, v11, s[2:3]
                                        ; implicit-def: $vgpr7_vgpr8
                                        ; implicit-def: $vgpr11_vgpr12
.LBB463_18:
	s_andn2_saveexec_b64 s[2:3], s[10:11]
	s_cbranch_execz .LBB463_20
; %bb.19:
	s_waitcnt vmcnt(6)
	v_cmp_lt_i64_e32 vcc, v[7:8], v[11:12]
	s_or_b64 s[0:1], s[0:1], exec
	v_cndmask_b32_e32 v10, v12, v8, vcc
	v_cndmask_b32_e32 v9, v11, v7, vcc
.LBB463_20:
	s_or_b64 exec, exec, s[2:3]
	s_waitcnt vmcnt(5)
	v_and_b32_e32 v7, 1, v21
	v_cmp_eq_u32_e32 vcc, 1, v7
	s_and_b64 s[2:3], s[0:1], vcc
	s_xor_b64 s[10:11], s[2:3], -1
                                        ; implicit-def: $sgpr2_sgpr3
                                        ; implicit-def: $vgpr7_vgpr8
	s_and_saveexec_b64 s[12:13], s[10:11]
	s_xor_b64 s[10:11], exec, s[12:13]
	s_cbranch_execz .LBB463_22
; %bb.21:
	s_or_b64 s[2:3], s[0:1], vcc
	s_waitcnt vmcnt(4)
	v_cndmask_b32_e64 v8, v6, v10, s[0:1]
	v_cndmask_b32_e64 v7, v5, v9, s[0:1]
                                        ; implicit-def: $vgpr5_vgpr6
                                        ; implicit-def: $vgpr9_vgpr10
.LBB463_22:
	s_andn2_saveexec_b64 s[0:1], s[10:11]
	s_cbranch_execz .LBB463_24
; %bb.23:
	s_waitcnt vmcnt(4)
	v_cmp_lt_i64_e32 vcc, v[5:6], v[9:10]
	s_or_b64 s[2:3], s[2:3], exec
	v_cndmask_b32_e32 v8, v10, v6, vcc
	v_cndmask_b32_e32 v7, v9, v5, vcc
.LBB463_24:
	s_or_b64 exec, exec, s[0:1]
	s_waitcnt vmcnt(3)
	v_and_b32_e32 v5, 1, v20
	v_cmp_eq_u32_e32 vcc, 1, v5
	s_and_b64 s[0:1], s[2:3], vcc
	s_xor_b64 s[0:1], s[0:1], -1
                                        ; implicit-def: $sgpr10_sgpr11
                                        ; implicit-def: $vgpr5_vgpr6
	s_and_saveexec_b64 s[12:13], s[0:1]
	s_xor_b64 s[0:1], exec, s[12:13]
	s_cbranch_execz .LBB463_26
; %bb.25:
	s_or_b64 s[10:11], s[2:3], vcc
	s_waitcnt vmcnt(2)
	v_cndmask_b32_e64 v6, v4, v8, s[2:3]
	v_cndmask_b32_e64 v5, v3, v7, s[2:3]
                                        ; implicit-def: $vgpr3_vgpr4
                                        ; implicit-def: $vgpr7_vgpr8
.LBB463_26:
	s_andn2_saveexec_b64 s[0:1], s[0:1]
	s_cbranch_execz .LBB463_28
; %bb.27:
	s_waitcnt vmcnt(2)
	v_cmp_lt_i64_e32 vcc, v[3:4], v[7:8]
	s_or_b64 s[10:11], s[10:11], exec
	v_cndmask_b32_e32 v6, v8, v4, vcc
	v_cndmask_b32_e32 v5, v7, v3, vcc
.LBB463_28:
	s_or_b64 exec, exec, s[0:1]
	s_waitcnt vmcnt(1)
	v_and_b32_e32 v3, 1, v19
	s_waitcnt vmcnt(0)
	v_cmp_lt_i64_e64 s[0:1], v[1:2], v[5:6]
	v_cmp_eq_u32_e32 vcc, 1, v3
	s_and_b64 vcc, vcc, s[0:1]
	v_cndmask_b32_e32 v3, v5, v1, vcc
	v_cndmask_b32_e32 v4, v6, v2, vcc
	v_cndmask_b32_e64 v2, v2, v4, s[10:11]
	v_cndmask_b32_e64 v1, v1, v3, s[10:11]
	;; [unrolled: 1-line block ×3, first 2 shown]
	v_mov_b32_dpp v5, v2 quad_perm:[1,0,3,2] row_mask:0xf bank_mask:0xf bound_ctrl:1
	v_mov_b32_dpp v4, v1 quad_perm:[1,0,3,2] row_mask:0xf bank_mask:0xf bound_ctrl:1
	v_and_b32_e32 v6, 0xff, v7
	v_and_b32_e32 v7, 1, v7
	v_cmp_lt_i64_e32 vcc, v[1:2], v[4:5]
	v_mov_b32_dpp v8, v6 quad_perm:[1,0,3,2] row_mask:0xf bank_mask:0xf bound_ctrl:1
	v_cmp_eq_u32_e64 s[0:1], 1, v7
	v_and_b32_e32 v8, 1, v8
	s_and_b64 vcc, s[0:1], vcc
	v_cndmask_b32_e32 v4, v4, v1, vcc
	v_cndmask_b32_e32 v5, v5, v2, vcc
	v_cmp_eq_u32_e32 vcc, 1, v8
	v_cndmask_b32_e32 v2, v2, v5, vcc
	v_cndmask_b32_e32 v1, v1, v4, vcc
	v_cndmask_b32_e64 v6, v6, 1, vcc
	v_mov_b32_dpp v5, v2 quad_perm:[2,3,0,1] row_mask:0xf bank_mask:0xf bound_ctrl:1
	v_mov_b32_dpp v4, v1 quad_perm:[2,3,0,1] row_mask:0xf bank_mask:0xf bound_ctrl:1
	v_and_b32_e32 v8, 1, v6
	v_cmp_lt_i64_e64 s[0:1], v[1:2], v[4:5]
	v_mov_b32_dpp v7, v6 quad_perm:[2,3,0,1] row_mask:0xf bank_mask:0xf bound_ctrl:1
	v_cmp_eq_u32_e32 vcc, 1, v8
	v_and_b32_e32 v7, 1, v7
	s_and_b64 vcc, vcc, s[0:1]
	v_cmp_eq_u32_e64 s[2:3], 1, v7
	v_cndmask_b32_e32 v4, v4, v1, vcc
	v_cndmask_b32_e32 v5, v5, v2, vcc
	v_cndmask_b32_e64 v2, v2, v5, s[2:3]
	v_cndmask_b32_e64 v1, v1, v4, s[2:3]
	;; [unrolled: 1-line block ×3, first 2 shown]
	v_mov_b32_dpp v5, v2 row_ror:4 row_mask:0xf bank_mask:0xf bound_ctrl:1
	v_mov_b32_dpp v4, v1 row_ror:4 row_mask:0xf bank_mask:0xf bound_ctrl:1
	v_and_b32_e32 v8, 1, v6
	v_cmp_lt_i64_e64 s[0:1], v[1:2], v[4:5]
	v_mov_b32_dpp v7, v6 row_ror:4 row_mask:0xf bank_mask:0xf bound_ctrl:1
	v_cmp_eq_u32_e32 vcc, 1, v8
	v_and_b32_e32 v7, 1, v7
	s_and_b64 vcc, vcc, s[0:1]
	v_cmp_eq_u32_e64 s[2:3], 1, v7
	v_cndmask_b32_e32 v4, v4, v1, vcc
	v_cndmask_b32_e32 v5, v5, v2, vcc
	v_cndmask_b32_e64 v2, v2, v5, s[2:3]
	v_cndmask_b32_e64 v1, v1, v4, s[2:3]
	;; [unrolled: 1-line block ×3, first 2 shown]
	v_mov_b32_dpp v5, v2 row_ror:8 row_mask:0xf bank_mask:0xf bound_ctrl:1
	v_mov_b32_dpp v4, v1 row_ror:8 row_mask:0xf bank_mask:0xf bound_ctrl:1
	v_and_b32_e32 v8, 1, v6
	v_cmp_lt_i64_e64 s[0:1], v[1:2], v[4:5]
	v_mov_b32_dpp v7, v6 row_ror:8 row_mask:0xf bank_mask:0xf bound_ctrl:1
	v_cmp_eq_u32_e32 vcc, 1, v8
	v_and_b32_e32 v7, 1, v7
	s_and_b64 vcc, vcc, s[0:1]
	v_cmp_eq_u32_e64 s[2:3], 1, v7
	v_cndmask_b32_e32 v4, v4, v1, vcc
	v_cndmask_b32_e32 v5, v5, v2, vcc
	v_cndmask_b32_e64 v2, v2, v5, s[2:3]
	v_cndmask_b32_e64 v1, v1, v4, s[2:3]
	;; [unrolled: 1-line block ×3, first 2 shown]
	v_mov_b32_dpp v5, v2 row_bcast:15 row_mask:0xf bank_mask:0xf bound_ctrl:1
	v_mov_b32_dpp v4, v1 row_bcast:15 row_mask:0xf bank_mask:0xf bound_ctrl:1
	v_and_b32_e32 v8, 1, v6
	v_cmp_lt_i64_e64 s[0:1], v[1:2], v[4:5]
	v_mov_b32_dpp v7, v6 row_bcast:15 row_mask:0xf bank_mask:0xf bound_ctrl:1
	v_cmp_eq_u32_e32 vcc, 1, v8
	v_and_b32_e32 v7, 1, v7
	s_and_b64 vcc, vcc, s[0:1]
	v_cmp_eq_u32_e64 s[2:3], 1, v7
	v_cndmask_b32_e32 v4, v4, v1, vcc
	v_cndmask_b32_e32 v5, v5, v2, vcc
	v_cndmask_b32_e64 v2, v2, v5, s[2:3]
	v_cndmask_b32_e64 v1, v1, v4, s[2:3]
	;; [unrolled: 1-line block ×3, first 2 shown]
	v_mov_b32_dpp v5, v2 row_bcast:31 row_mask:0xf bank_mask:0xf bound_ctrl:1
	v_mov_b32_dpp v4, v1 row_bcast:31 row_mask:0xf bank_mask:0xf bound_ctrl:1
	v_and_b32_e32 v8, 1, v6
	v_cmp_lt_i64_e64 s[0:1], v[1:2], v[4:5]
	v_mov_b32_dpp v7, v6 row_bcast:31 row_mask:0xf bank_mask:0xf bound_ctrl:1
	v_cmp_eq_u32_e32 vcc, 1, v8
	v_mbcnt_lo_u32_b32 v3, -1, 0
	v_and_b32_e32 v7, 1, v7
	s_and_b64 vcc, vcc, s[0:1]
	v_mbcnt_hi_u32_b32 v3, -1, v3
	v_cmp_eq_u32_e64 s[2:3], 1, v7
	v_cndmask_b32_e32 v5, v5, v2, vcc
	v_cndmask_b32_e32 v4, v4, v1, vcc
	v_cndmask_b32_e64 v2, v2, v5, s[2:3]
	v_lshlrev_b32_e32 v5, 2, v3
	v_cndmask_b32_e64 v6, v6, 1, s[2:3]
	v_cndmask_b32_e64 v1, v1, v4, s[2:3]
	v_or_b32_e32 v4, 0xfc, v5
	ds_bpermute_b32 v17, v4, v6
	ds_bpermute_b32 v1, v4, v1
	;; [unrolled: 1-line block ×3, first 2 shown]
	v_cmp_eq_u32_e32 vcc, 0, v3
	s_and_saveexec_b64 s[0:1], vcc
	s_xor_b64 s[0:1], exec, s[0:1]
	s_cbranch_execz .LBB463_30
; %bb.29:
	v_lshrrev_b32_e32 v4, 2, v0
	v_and_b32_e32 v4, 16, v4
	s_waitcnt lgkmcnt(2)
	ds_write_b8 v4, v17 offset:96
	s_waitcnt lgkmcnt(1)
	ds_write_b64 v4, v[1:2] offset:104
.LBB463_30:
	s_or_b64 exec, exec, s[0:1]
	v_cmp_gt_u32_e32 vcc, 64, v0
	s_waitcnt lgkmcnt(0)
	s_barrier
	s_and_saveexec_b64 s[0:1], vcc
	s_cbranch_execz .LBB463_36
; %bb.31:
	v_and_b32_e32 v1, 1, v3
	v_lshlrev_b32_e32 v1, 4, v1
	ds_read_u8 v7, v1 offset:96
	ds_read_b64 v[3:4], v1 offset:104
	v_or_b32_e32 v2, 4, v5
	s_waitcnt lgkmcnt(1)
	v_and_b32_e32 v1, 0xff, v7
	ds_bpermute_b32 v8, v2, v1
	s_waitcnt lgkmcnt(1)
	ds_bpermute_b32 v5, v2, v3
	ds_bpermute_b32 v6, v2, v4
	s_waitcnt lgkmcnt(2)
	v_and_b32_e32 v1, v7, v8
	v_and_b32_e32 v1, 1, v1
	v_cmp_eq_u32_e32 vcc, 1, v1
                                        ; implicit-def: $vgpr1_vgpr2
	s_and_saveexec_b64 s[2:3], vcc
	s_xor_b64 s[2:3], exec, s[2:3]
	s_cbranch_execz .LBB463_33
; %bb.32:
	s_waitcnt lgkmcnt(0)
	v_cmp_lt_i64_e32 vcc, v[5:6], v[3:4]
                                        ; implicit-def: $vgpr7
                                        ; implicit-def: $vgpr8
	v_cndmask_b32_e32 v2, v4, v6, vcc
	v_cndmask_b32_e32 v1, v3, v5, vcc
                                        ; implicit-def: $vgpr5_vgpr6
                                        ; implicit-def: $vgpr3_vgpr4
.LBB463_33:
	s_or_saveexec_b64 s[2:3], s[2:3]
	v_mov_b32_e32 v17, 1
	s_xor_b64 exec, exec, s[2:3]
	s_cbranch_execz .LBB463_35
; %bb.34:
	v_and_b32_e32 v1, 1, v7
	v_cmp_eq_u32_e32 vcc, 1, v1
	s_waitcnt lgkmcnt(0)
	v_cndmask_b32_e32 v2, v6, v4, vcc
	v_cndmask_b32_e32 v1, v5, v3, vcc
	v_cndmask_b32_e64 v17, v8, 1, vcc
.LBB463_35:
	s_or_b64 exec, exec, s[2:3]
.LBB463_36:
	s_or_b64 exec, exec, s[0:1]
	s_branch .LBB463_177
.LBB463_37:
	s_mov_b64 s[14:15], 0
                                        ; implicit-def: $vgpr3_vgpr4
                                        ; implicit-def: $vgpr5
                                        ; implicit-def: $vgpr1_vgpr2
	s_cbranch_execnz .LBB463_251
	s_branch .LBB463_334
.LBB463_38:
	s_mov_b64 s[24:25], -1
.LBB463_39:
	s_mov_b64 s[14:15], 0
                                        ; implicit-def: $vgpr3_vgpr4
                                        ; implicit-def: $vgpr5
                                        ; implicit-def: $vgpr1_vgpr2
	s_and_b64 vcc, exec, s[24:25]
	s_cbranch_vccz .LBB463_182
.LBB463_40:
	s_cmp_eq_u32 s29, 4
	s_cbranch_scc0 .LBB463_59
; %bb.41:
	s_mov_b32 s7, 0
	s_lshl_b32 s10, s6, 9
	s_mov_b32 s11, s7
	s_lshr_b64 s[0:1], s[22:23], 9
	s_lshl_b64 s[2:3], s[10:11], 4
	s_add_u32 s8, s20, s2
	s_addc_u32 s9, s21, s3
	s_cmp_lg_u64 s[0:1], s[6:7]
	s_cbranch_scc0 .LBB463_83
; %bb.42:
	v_lshlrev_b32_e32 v1, 4, v0
	v_mov_b32_e32 v2, s9
	s_waitcnt lgkmcnt(2)
	v_add_co_u32_e32 v3, vcc, s8, v1
	v_addc_co_u32_e32 v2, vcc, 0, v2, vcc
	s_waitcnt lgkmcnt(1)
	v_add_co_u32_e32 v5, vcc, 0x1000, v3
	s_waitcnt lgkmcnt(0)
	v_addc_co_u32_e32 v6, vcc, 0, v2, vcc
	global_load_ubyte v13, v1, s[8:9]
	global_load_dwordx2 v[7:8], v1, s[8:9] offset:8
	global_load_ubyte v14, v1, s[8:9] offset:2048
	global_load_dwordx2 v[9:10], v1, s[8:9] offset:2056
	global_load_ubyte v12, v[5:6], off
	global_load_dwordx2 v[3:4], v[5:6], off offset:8
	global_load_ubyte v11, v[5:6], off offset:2048
	s_nop 0
	global_load_dwordx2 v[1:2], v[5:6], off offset:2056
	s_waitcnt vmcnt(5)
	v_and_b32_e32 v5, v14, v13
	v_and_b32_e32 v5, 1, v5
	v_cmp_eq_u32_e32 vcc, 1, v5
                                        ; implicit-def: $vgpr5_vgpr6
	s_and_saveexec_b64 s[0:1], vcc
	s_xor_b64 s[0:1], exec, s[0:1]
	s_cbranch_execz .LBB463_44
; %bb.43:
	s_waitcnt vmcnt(4)
	v_cmp_lt_i64_e32 vcc, v[9:10], v[7:8]
                                        ; implicit-def: $vgpr13
                                        ; implicit-def: $vgpr14
	v_cndmask_b32_e32 v6, v8, v10, vcc
	v_cndmask_b32_e32 v5, v7, v9, vcc
                                        ; implicit-def: $vgpr9_vgpr10
                                        ; implicit-def: $vgpr7_vgpr8
.LBB463_44:
	s_or_saveexec_b64 s[0:1], s[0:1]
	s_mov_b64 s[12:13], -1
	s_xor_b64 exec, exec, s[0:1]
	s_cbranch_execz .LBB463_46
; %bb.45:
	v_and_b32_e32 v5, 1, v13
	v_or_b32_e32 v6, v14, v13
	v_mov_b32_e32 v13, 0
	v_cmp_ne_u16_sdwa s[2:3], v6, v13 src0_sel:BYTE_0 src1_sel:DWORD
	v_cmp_eq_u32_e32 vcc, 1, v5
	s_waitcnt vmcnt(4)
	v_cndmask_b32_e32 v6, v10, v8, vcc
	v_cndmask_b32_e32 v5, v9, v7, vcc
	s_orn2_b64 s[12:13], s[2:3], exec
.LBB463_46:
	s_or_b64 exec, exec, s[0:1]
	s_waitcnt vmcnt(3)
	v_and_b32_e32 v7, 1, v12
	v_cmp_eq_u32_e32 vcc, 1, v7
	s_and_b64 s[0:1], s[12:13], vcc
	s_xor_b64 s[0:1], s[0:1], -1
                                        ; implicit-def: $sgpr2_sgpr3
                                        ; implicit-def: $vgpr7_vgpr8
	s_and_saveexec_b64 s[16:17], s[0:1]
	s_xor_b64 s[0:1], exec, s[16:17]
	s_cbranch_execz .LBB463_48
; %bb.47:
	s_or_b64 s[2:3], s[12:13], vcc
	s_waitcnt vmcnt(2)
	v_cndmask_b32_e64 v8, v4, v6, s[12:13]
	v_cndmask_b32_e64 v7, v3, v5, s[12:13]
                                        ; implicit-def: $vgpr3_vgpr4
                                        ; implicit-def: $vgpr5_vgpr6
.LBB463_48:
	s_andn2_saveexec_b64 s[0:1], s[0:1]
	s_cbranch_execz .LBB463_50
; %bb.49:
	s_waitcnt vmcnt(2)
	v_cmp_lt_i64_e32 vcc, v[3:4], v[5:6]
	s_or_b64 s[2:3], s[2:3], exec
	v_cndmask_b32_e32 v8, v6, v4, vcc
	v_cndmask_b32_e32 v7, v5, v3, vcc
.LBB463_50:
	s_or_b64 exec, exec, s[0:1]
	s_waitcnt vmcnt(1)
	v_and_b32_e32 v3, 1, v11
	s_waitcnt vmcnt(0)
	v_cmp_lt_i64_e64 s[0:1], v[1:2], v[7:8]
	v_cmp_eq_u32_e32 vcc, 1, v3
	s_and_b64 vcc, vcc, s[0:1]
	v_cndmask_b32_e32 v3, v7, v1, vcc
	v_cndmask_b32_e32 v4, v8, v2, vcc
	v_cndmask_b32_e64 v2, v2, v4, s[2:3]
	v_cndmask_b32_e64 v1, v1, v3, s[2:3]
	;; [unrolled: 1-line block ×3, first 2 shown]
	v_mov_b32_dpp v5, v2 quad_perm:[1,0,3,2] row_mask:0xf bank_mask:0xf bound_ctrl:1
	v_mov_b32_dpp v4, v1 quad_perm:[1,0,3,2] row_mask:0xf bank_mask:0xf bound_ctrl:1
	v_and_b32_e32 v7, 0xff, v6
	v_and_b32_e32 v6, 1, v6
	v_cmp_lt_i64_e32 vcc, v[1:2], v[4:5]
	v_mov_b32_dpp v8, v7 quad_perm:[1,0,3,2] row_mask:0xf bank_mask:0xf bound_ctrl:1
	v_cmp_eq_u32_e64 s[0:1], 1, v6
	v_and_b32_e32 v8, 1, v8
	s_and_b64 vcc, s[0:1], vcc
	v_cndmask_b32_e32 v4, v4, v1, vcc
	v_cndmask_b32_e32 v5, v5, v2, vcc
	v_cmp_eq_u32_e32 vcc, 1, v8
	v_cndmask_b32_e32 v2, v2, v5, vcc
	v_cndmask_b32_e32 v1, v1, v4, vcc
	v_cndmask_b32_e64 v6, v7, 1, vcc
	v_mov_b32_dpp v5, v2 quad_perm:[2,3,0,1] row_mask:0xf bank_mask:0xf bound_ctrl:1
	v_mov_b32_dpp v4, v1 quad_perm:[2,3,0,1] row_mask:0xf bank_mask:0xf bound_ctrl:1
	v_and_b32_e32 v8, 1, v6
	v_cmp_lt_i64_e64 s[0:1], v[1:2], v[4:5]
	v_mov_b32_dpp v7, v6 quad_perm:[2,3,0,1] row_mask:0xf bank_mask:0xf bound_ctrl:1
	v_cmp_eq_u32_e32 vcc, 1, v8
	v_and_b32_e32 v7, 1, v7
	s_and_b64 vcc, vcc, s[0:1]
	v_cmp_eq_u32_e64 s[2:3], 1, v7
	v_cndmask_b32_e32 v4, v4, v1, vcc
	v_cndmask_b32_e32 v5, v5, v2, vcc
	v_cndmask_b32_e64 v2, v2, v5, s[2:3]
	v_cndmask_b32_e64 v1, v1, v4, s[2:3]
	;; [unrolled: 1-line block ×3, first 2 shown]
	v_mov_b32_dpp v5, v2 row_ror:4 row_mask:0xf bank_mask:0xf bound_ctrl:1
	v_mov_b32_dpp v4, v1 row_ror:4 row_mask:0xf bank_mask:0xf bound_ctrl:1
	v_and_b32_e32 v8, 1, v6
	v_cmp_lt_i64_e64 s[0:1], v[1:2], v[4:5]
	v_mov_b32_dpp v7, v6 row_ror:4 row_mask:0xf bank_mask:0xf bound_ctrl:1
	v_cmp_eq_u32_e32 vcc, 1, v8
	v_and_b32_e32 v7, 1, v7
	s_and_b64 vcc, vcc, s[0:1]
	v_cmp_eq_u32_e64 s[2:3], 1, v7
	v_cndmask_b32_e32 v4, v4, v1, vcc
	v_cndmask_b32_e32 v5, v5, v2, vcc
	v_cndmask_b32_e64 v2, v2, v5, s[2:3]
	v_cndmask_b32_e64 v1, v1, v4, s[2:3]
	;; [unrolled: 1-line block ×3, first 2 shown]
	v_mov_b32_dpp v5, v2 row_ror:8 row_mask:0xf bank_mask:0xf bound_ctrl:1
	v_mov_b32_dpp v4, v1 row_ror:8 row_mask:0xf bank_mask:0xf bound_ctrl:1
	v_and_b32_e32 v8, 1, v6
	v_cmp_lt_i64_e64 s[0:1], v[1:2], v[4:5]
	v_mov_b32_dpp v7, v6 row_ror:8 row_mask:0xf bank_mask:0xf bound_ctrl:1
	v_cmp_eq_u32_e32 vcc, 1, v8
	v_and_b32_e32 v7, 1, v7
	s_and_b64 vcc, vcc, s[0:1]
	v_cmp_eq_u32_e64 s[2:3], 1, v7
	v_cndmask_b32_e32 v4, v4, v1, vcc
	v_cndmask_b32_e32 v5, v5, v2, vcc
	v_cndmask_b32_e64 v2, v2, v5, s[2:3]
	v_cndmask_b32_e64 v1, v1, v4, s[2:3]
	;; [unrolled: 1-line block ×3, first 2 shown]
	v_mov_b32_dpp v5, v2 row_bcast:15 row_mask:0xf bank_mask:0xf bound_ctrl:1
	v_mov_b32_dpp v4, v1 row_bcast:15 row_mask:0xf bank_mask:0xf bound_ctrl:1
	v_and_b32_e32 v8, 1, v6
	v_cmp_lt_i64_e64 s[0:1], v[1:2], v[4:5]
	v_mov_b32_dpp v7, v6 row_bcast:15 row_mask:0xf bank_mask:0xf bound_ctrl:1
	v_cmp_eq_u32_e32 vcc, 1, v8
	v_and_b32_e32 v7, 1, v7
	s_and_b64 vcc, vcc, s[0:1]
	v_cmp_eq_u32_e64 s[2:3], 1, v7
	v_cndmask_b32_e32 v4, v4, v1, vcc
	v_cndmask_b32_e32 v5, v5, v2, vcc
	v_cndmask_b32_e64 v2, v2, v5, s[2:3]
	v_cndmask_b32_e64 v1, v1, v4, s[2:3]
	;; [unrolled: 1-line block ×3, first 2 shown]
	v_mov_b32_dpp v5, v2 row_bcast:31 row_mask:0xf bank_mask:0xf bound_ctrl:1
	v_mov_b32_dpp v4, v1 row_bcast:31 row_mask:0xf bank_mask:0xf bound_ctrl:1
	v_and_b32_e32 v8, 1, v6
	v_cmp_lt_i64_e64 s[0:1], v[1:2], v[4:5]
	v_mov_b32_dpp v7, v6 row_bcast:31 row_mask:0xf bank_mask:0xf bound_ctrl:1
	v_cmp_eq_u32_e32 vcc, 1, v8
	v_mbcnt_lo_u32_b32 v3, -1, 0
	v_and_b32_e32 v7, 1, v7
	s_and_b64 vcc, vcc, s[0:1]
	v_mbcnt_hi_u32_b32 v3, -1, v3
	v_cmp_eq_u32_e64 s[2:3], 1, v7
	v_cndmask_b32_e32 v5, v5, v2, vcc
	v_cndmask_b32_e32 v4, v4, v1, vcc
	v_cndmask_b32_e64 v2, v2, v5, s[2:3]
	v_lshlrev_b32_e32 v5, 2, v3
	v_cndmask_b32_e64 v6, v6, 1, s[2:3]
	v_cndmask_b32_e64 v1, v1, v4, s[2:3]
	v_or_b32_e32 v4, 0xfc, v5
	ds_bpermute_b32 v9, v4, v6
	ds_bpermute_b32 v1, v4, v1
	;; [unrolled: 1-line block ×3, first 2 shown]
	v_cmp_eq_u32_e32 vcc, 0, v3
	s_and_saveexec_b64 s[0:1], vcc
	s_xor_b64 s[0:1], exec, s[0:1]
	s_cbranch_execz .LBB463_52
; %bb.51:
	v_lshrrev_b32_e32 v4, 2, v0
	v_and_b32_e32 v4, 16, v4
	s_waitcnt lgkmcnt(2)
	ds_write_b8 v4, v9 offset:64
	s_waitcnt lgkmcnt(1)
	ds_write_b64 v4, v[1:2] offset:72
.LBB463_52:
	s_or_b64 exec, exec, s[0:1]
	v_cmp_gt_u32_e32 vcc, 64, v0
	s_waitcnt lgkmcnt(0)
	s_barrier
	s_and_saveexec_b64 s[0:1], vcc
	s_cbranch_execz .LBB463_58
; %bb.53:
	v_and_b32_e32 v1, 1, v3
	v_lshlrev_b32_e32 v1, 4, v1
	ds_read_u8 v7, v1 offset:64
	ds_read_b64 v[3:4], v1 offset:72
	v_or_b32_e32 v2, 4, v5
	s_waitcnt lgkmcnt(1)
	v_and_b32_e32 v1, 0xff, v7
	ds_bpermute_b32 v8, v2, v1
	s_waitcnt lgkmcnt(1)
	ds_bpermute_b32 v5, v2, v3
	ds_bpermute_b32 v6, v2, v4
	s_waitcnt lgkmcnt(2)
	v_and_b32_e32 v1, v7, v8
	v_and_b32_e32 v1, 1, v1
	v_cmp_eq_u32_e32 vcc, 1, v1
                                        ; implicit-def: $vgpr1_vgpr2
	s_and_saveexec_b64 s[2:3], vcc
	s_xor_b64 s[2:3], exec, s[2:3]
	s_cbranch_execz .LBB463_55
; %bb.54:
	s_waitcnt lgkmcnt(0)
	v_cmp_lt_i64_e32 vcc, v[5:6], v[3:4]
                                        ; implicit-def: $vgpr7
                                        ; implicit-def: $vgpr8
	v_cndmask_b32_e32 v2, v4, v6, vcc
	v_cndmask_b32_e32 v1, v3, v5, vcc
                                        ; implicit-def: $vgpr5_vgpr6
                                        ; implicit-def: $vgpr3_vgpr4
.LBB463_55:
	s_or_saveexec_b64 s[2:3], s[2:3]
	v_mov_b32_e32 v9, 1
	s_xor_b64 exec, exec, s[2:3]
	s_cbranch_execz .LBB463_57
; %bb.56:
	v_and_b32_e32 v1, 1, v7
	v_cmp_eq_u32_e32 vcc, 1, v1
	s_waitcnt lgkmcnt(0)
	v_cndmask_b32_e32 v2, v6, v4, vcc
	v_cndmask_b32_e32 v1, v5, v3, vcc
	v_cndmask_b32_e64 v9, v8, 1, vcc
.LBB463_57:
	s_or_b64 exec, exec, s[2:3]
.LBB463_58:
	s_or_b64 exec, exec, s[0:1]
	s_branch .LBB463_246
.LBB463_59:
                                        ; implicit-def: $vgpr3_vgpr4
                                        ; implicit-def: $vgpr5
                                        ; implicit-def: $vgpr1_vgpr2
	s_branch .LBB463_334
.LBB463_60:
                                        ; implicit-def: $vgpr1_vgpr2
                                        ; implicit-def: $vgpr17
	s_cbranch_execz .LBB463_177
; %bb.61:
	s_sub_i32 s30, s22, s8
	v_mov_b32_e32 v15, 0
	v_mov_b32_e32 v1, 0
	v_cmp_gt_u32_e32 vcc, s30, v0
	v_mov_b32_e32 v24, 0
	v_mov_b32_e32 v16, 0
	;; [unrolled: 1-line block ×4, first 2 shown]
	s_and_saveexec_b64 s[0:1], vcc
	s_cbranch_execz .LBB463_63
; %bb.62:
	v_lshlrev_b32_e32 v3, 4, v0
	global_load_ubyte v17, v3, s[16:17]
	global_load_dwordx2 v[1:2], v3, s[16:17] offset:8
.LBB463_63:
	s_or_b64 exec, exec, s[0:1]
	v_or_b32_e32 v3, 0x80, v0
	v_cmp_gt_u32_e64 s[14:15], s30, v3
	s_and_saveexec_b64 s[0:1], s[14:15]
	s_cbranch_execz .LBB463_65
; %bb.64:
	v_lshlrev_b32_e32 v3, 4, v0
	global_load_ubyte v24, v3, s[16:17] offset:2048
	global_load_dwordx2 v[15:16], v3, s[16:17] offset:2056
.LBB463_65:
	s_or_b64 exec, exec, s[0:1]
	v_or_b32_e32 v3, 0x100, v0
	v_mov_b32_e32 v11, 0
	v_mov_b32_e32 v13, 0
	v_cmp_gt_u32_e64 s[12:13], s30, v3
	v_mov_b32_e32 v22, 0
	v_mov_b32_e32 v12, 0
	;; [unrolled: 1-line block ×4, first 2 shown]
	s_and_saveexec_b64 s[0:1], s[12:13]
	s_cbranch_execz .LBB463_67
; %bb.66:
	v_lshlrev_b32_e32 v3, 4, v3
	global_load_ubyte v23, v3, s[16:17]
	global_load_dwordx2 v[13:14], v3, s[16:17] offset:8
.LBB463_67:
	s_or_b64 exec, exec, s[0:1]
	v_or_b32_e32 v3, 0x180, v0
	v_cmp_gt_u32_e64 s[10:11], s30, v3
	s_and_saveexec_b64 s[0:1], s[10:11]
	s_cbranch_execz .LBB463_69
; %bb.68:
	v_lshlrev_b32_e32 v3, 4, v3
	global_load_ubyte v22, v3, s[16:17]
	global_load_dwordx2 v[11:12], v3, s[16:17] offset:8
.LBB463_69:
	s_or_b64 exec, exec, s[0:1]
	v_or_b32_e32 v3, 0x200, v0
	v_mov_b32_e32 v7, 0
	v_mov_b32_e32 v9, 0
	v_cmp_gt_u32_e64 s[8:9], s30, v3
	v_mov_b32_e32 v20, 0
	v_mov_b32_e32 v8, 0
	;; [unrolled: 1-line block ×4, first 2 shown]
	s_and_saveexec_b64 s[0:1], s[8:9]
	s_cbranch_execz .LBB463_71
; %bb.70:
	v_lshlrev_b32_e32 v3, 4, v3
	global_load_ubyte v21, v3, s[16:17]
	global_load_dwordx2 v[9:10], v3, s[16:17] offset:8
.LBB463_71:
	s_or_b64 exec, exec, s[0:1]
	v_or_b32_e32 v3, 0x280, v0
	v_cmp_gt_u32_e64 s[2:3], s30, v3
	s_and_saveexec_b64 s[0:1], s[2:3]
	s_cbranch_execz .LBB463_73
; %bb.72:
	v_lshlrev_b32_e32 v3, 4, v3
	global_load_ubyte v20, v3, s[16:17]
	global_load_dwordx2 v[7:8], v3, s[16:17] offset:8
.LBB463_73:
	s_or_b64 exec, exec, s[0:1]
	v_or_b32_e32 v25, 0x300, v0
	v_mov_b32_e32 v3, 0
	s_waitcnt lgkmcnt(0)
	v_mov_b32_e32 v5, 0
	v_cmp_gt_u32_e64 s[0:1], s30, v25
	v_mov_b32_e32 v4, 0
	v_mov_b32_e32 v18, 0
	;; [unrolled: 1-line block ×4, first 2 shown]
	s_and_saveexec_b64 s[26:27], s[0:1]
	s_cbranch_execz .LBB463_75
; %bb.74:
	v_lshlrev_b32_e32 v25, 4, v25
	global_load_ubyte v19, v25, s[16:17]
	global_load_dwordx2 v[5:6], v25, s[16:17] offset:8
.LBB463_75:
	s_or_b64 exec, exec, s[26:27]
	v_or_b32_e32 v25, 0x380, v0
	v_cmp_gt_u32_e32 vcc, s30, v25
	s_and_saveexec_b64 s[26:27], vcc
	s_cbranch_execnz .LBB463_94
; %bb.76:
	s_or_b64 exec, exec, s[26:27]
	s_and_saveexec_b64 s[26:27], s[14:15]
	s_cbranch_execnz .LBB463_95
.LBB463_77:
	s_or_b64 exec, exec, s[26:27]
	s_and_saveexec_b64 s[16:17], s[12:13]
	s_cbranch_execnz .LBB463_100
.LBB463_78:
	s_or_b64 exec, exec, s[16:17]
	s_and_saveexec_b64 s[14:15], s[10:11]
	s_cbranch_execnz .LBB463_105
.LBB463_79:
	s_or_b64 exec, exec, s[14:15]
	s_and_saveexec_b64 s[12:13], s[8:9]
	s_cbranch_execnz .LBB463_110
.LBB463_80:
	s_or_b64 exec, exec, s[12:13]
	s_and_saveexec_b64 s[10:11], s[2:3]
	s_cbranch_execnz .LBB463_115
.LBB463_81:
	s_or_b64 exec, exec, s[10:11]
	s_and_saveexec_b64 s[8:9], s[0:1]
	s_cbranch_execnz .LBB463_120
.LBB463_82:
	s_or_b64 exec, exec, s[8:9]
	s_and_saveexec_b64 s[2:3], vcc
	s_cbranch_execnz .LBB463_125
	s_branch .LBB463_130
.LBB463_83:
                                        ; implicit-def: $vgpr1_vgpr2
                                        ; implicit-def: $vgpr9
	s_cbranch_execz .LBB463_246
; %bb.84:
	s_sub_i32 s12, s22, s10
	s_waitcnt lgkmcnt(1)
	v_mov_b32_e32 v7, 0
	v_mov_b32_e32 v1, 0
	v_cmp_gt_u32_e32 vcc, s12, v0
	v_mov_b32_e32 v12, 0
	v_mov_b32_e32 v8, 0
	;; [unrolled: 1-line block ×4, first 2 shown]
	s_and_saveexec_b64 s[0:1], vcc
	s_cbranch_execz .LBB463_86
; %bb.85:
	v_lshlrev_b32_e32 v3, 4, v0
	global_load_ubyte v9, v3, s[8:9]
	global_load_dwordx2 v[1:2], v3, s[8:9] offset:8
.LBB463_86:
	s_or_b64 exec, exec, s[0:1]
	v_or_b32_e32 v3, 0x80, v0
	v_cmp_gt_u32_e64 s[2:3], s12, v3
	s_and_saveexec_b64 s[0:1], s[2:3]
	s_cbranch_execz .LBB463_88
; %bb.87:
	v_lshlrev_b32_e32 v3, 4, v0
	global_load_ubyte v12, v3, s[8:9] offset:2048
	global_load_dwordx2 v[7:8], v3, s[8:9] offset:2056
.LBB463_88:
	s_or_b64 exec, exec, s[0:1]
	v_or_b32_e32 v13, 0x100, v0
	s_waitcnt lgkmcnt(0)
	v_mov_b32_e32 v3, 0
	v_mov_b32_e32 v5, 0
	v_cmp_gt_u32_e64 s[0:1], s12, v13
	v_mov_b32_e32 v10, 0
	v_mov_b32_e32 v4, 0
	;; [unrolled: 1-line block ×4, first 2 shown]
	s_and_saveexec_b64 s[10:11], s[0:1]
	s_cbranch_execz .LBB463_90
; %bb.89:
	v_lshlrev_b32_e32 v13, 4, v13
	global_load_ubyte v11, v13, s[8:9]
	global_load_dwordx2 v[5:6], v13, s[8:9] offset:8
.LBB463_90:
	s_or_b64 exec, exec, s[10:11]
	v_or_b32_e32 v13, 0x180, v0
	v_cmp_gt_u32_e32 vcc, s12, v13
	s_and_saveexec_b64 s[10:11], vcc
	s_cbranch_execnz .LBB463_183
; %bb.91:
	s_or_b64 exec, exec, s[10:11]
	s_and_saveexec_b64 s[10:11], s[2:3]
	s_cbranch_execnz .LBB463_184
.LBB463_92:
	s_or_b64 exec, exec, s[10:11]
	s_and_saveexec_b64 s[8:9], s[0:1]
	s_cbranch_execnz .LBB463_189
.LBB463_93:
	s_or_b64 exec, exec, s[8:9]
	s_and_saveexec_b64 s[2:3], vcc
	s_cbranch_execnz .LBB463_194
	s_branch .LBB463_199
.LBB463_94:
	v_lshlrev_b32_e32 v25, 4, v25
	global_load_ubyte v18, v25, s[16:17]
	global_load_dwordx2 v[3:4], v25, s[16:17] offset:8
	s_or_b64 exec, exec, s[26:27]
	s_and_saveexec_b64 s[26:27], s[14:15]
	s_cbranch_execz .LBB463_77
.LBB463_95:
	s_waitcnt vmcnt(1)
	v_and_b32_e32 v17, 1, v17
	v_cmp_eq_u32_e64 s[14:15], 1, v17
	v_and_b32_e32 v17, 1, v24
	v_cmp_eq_u32_e64 s[16:17], 1, v17
	s_and_b64 s[16:17], s[14:15], s[16:17]
	s_xor_b64 s[16:17], s[16:17], -1
                                        ; implicit-def: $vgpr17
	s_and_saveexec_b64 s[34:35], s[16:17]
	s_xor_b64 s[16:17], exec, s[34:35]
	s_cbranch_execz .LBB463_97
; %bb.96:
	v_and_b32_e32 v17, 0xff, v24
	v_cndmask_b32_e64 v17, v17, 1, s[14:15]
	s_waitcnt vmcnt(0)
	v_cndmask_b32_e64 v2, v16, v2, s[14:15]
	v_cndmask_b32_e64 v1, v15, v1, s[14:15]
                                        ; implicit-def: $vgpr15_vgpr16
.LBB463_97:
	s_andn2_saveexec_b64 s[16:17], s[16:17]
	s_cbranch_execz .LBB463_99
; %bb.98:
	s_waitcnt vmcnt(0)
	v_cmp_lt_i64_e64 s[14:15], v[15:16], v[1:2]
	v_mov_b32_e32 v17, 1
	v_cndmask_b32_e64 v2, v2, v16, s[14:15]
	v_cndmask_b32_e64 v1, v1, v15, s[14:15]
.LBB463_99:
	s_or_b64 exec, exec, s[16:17]
	s_or_b64 exec, exec, s[26:27]
	s_and_saveexec_b64 s[16:17], s[12:13]
	s_cbranch_execz .LBB463_78
.LBB463_100:
	s_waitcnt vmcnt(0)
	v_and_b32_e32 v15, 1, v17
	v_cmp_eq_u32_e64 s[12:13], 1, v15
	v_and_b32_e32 v15, 1, v23
	v_cmp_eq_u32_e64 s[14:15], 1, v15
	s_and_b64 s[14:15], s[12:13], s[14:15]
	s_xor_b64 s[14:15], s[14:15], -1
                                        ; implicit-def: $vgpr17
	s_and_saveexec_b64 s[26:27], s[14:15]
	s_xor_b64 s[14:15], exec, s[26:27]
; %bb.101:
	v_and_b32_e32 v15, 0xff, v23
	v_cndmask_b32_e64 v17, v15, 1, s[12:13]
	v_cndmask_b32_e64 v2, v14, v2, s[12:13]
	;; [unrolled: 1-line block ×3, first 2 shown]
                                        ; implicit-def: $vgpr13_vgpr14
; %bb.102:
	s_andn2_saveexec_b64 s[14:15], s[14:15]
; %bb.103:
	v_cmp_lt_i64_e64 s[12:13], v[13:14], v[1:2]
	v_mov_b32_e32 v17, 1
	v_cndmask_b32_e64 v2, v2, v14, s[12:13]
	v_cndmask_b32_e64 v1, v1, v13, s[12:13]
; %bb.104:
	s_or_b64 exec, exec, s[14:15]
	s_or_b64 exec, exec, s[16:17]
	s_and_saveexec_b64 s[14:15], s[10:11]
	s_cbranch_execz .LBB463_79
.LBB463_105:
	s_waitcnt vmcnt(0)
	v_and_b32_e32 v13, 1, v17
	v_cmp_eq_u32_e64 s[10:11], 1, v13
	v_and_b32_e32 v13, 1, v22
	v_cmp_eq_u32_e64 s[12:13], 1, v13
	s_and_b64 s[12:13], s[10:11], s[12:13]
	s_xor_b64 s[12:13], s[12:13], -1
                                        ; implicit-def: $vgpr17
	s_and_saveexec_b64 s[16:17], s[12:13]
	s_xor_b64 s[12:13], exec, s[16:17]
; %bb.106:
	v_and_b32_e32 v13, 0xff, v22
	v_cndmask_b32_e64 v17, v13, 1, s[10:11]
	v_cndmask_b32_e64 v2, v12, v2, s[10:11]
	;; [unrolled: 1-line block ×3, first 2 shown]
                                        ; implicit-def: $vgpr11_vgpr12
; %bb.107:
	s_andn2_saveexec_b64 s[12:13], s[12:13]
; %bb.108:
	v_cmp_lt_i64_e64 s[10:11], v[11:12], v[1:2]
	v_mov_b32_e32 v17, 1
	v_cndmask_b32_e64 v2, v2, v12, s[10:11]
	v_cndmask_b32_e64 v1, v1, v11, s[10:11]
; %bb.109:
	s_or_b64 exec, exec, s[12:13]
	s_or_b64 exec, exec, s[14:15]
	s_and_saveexec_b64 s[12:13], s[8:9]
	s_cbranch_execz .LBB463_80
.LBB463_110:
	s_waitcnt vmcnt(0)
	v_and_b32_e32 v11, 1, v17
	v_cmp_eq_u32_e64 s[8:9], 1, v11
	v_and_b32_e32 v11, 1, v21
	v_cmp_eq_u32_e64 s[10:11], 1, v11
	s_and_b64 s[10:11], s[8:9], s[10:11]
	s_xor_b64 s[10:11], s[10:11], -1
                                        ; implicit-def: $vgpr17
	s_and_saveexec_b64 s[14:15], s[10:11]
	s_xor_b64 s[10:11], exec, s[14:15]
; %bb.111:
	v_and_b32_e32 v11, 0xff, v21
	v_cndmask_b32_e64 v17, v11, 1, s[8:9]
	v_cndmask_b32_e64 v2, v10, v2, s[8:9]
	;; [unrolled: 1-line block ×3, first 2 shown]
                                        ; implicit-def: $vgpr9_vgpr10
; %bb.112:
	s_andn2_saveexec_b64 s[10:11], s[10:11]
; %bb.113:
	v_cmp_lt_i64_e64 s[8:9], v[9:10], v[1:2]
	v_mov_b32_e32 v17, 1
	v_cndmask_b32_e64 v2, v2, v10, s[8:9]
	v_cndmask_b32_e64 v1, v1, v9, s[8:9]
; %bb.114:
	s_or_b64 exec, exec, s[10:11]
	s_or_b64 exec, exec, s[12:13]
	s_and_saveexec_b64 s[10:11], s[2:3]
	s_cbranch_execz .LBB463_81
.LBB463_115:
	s_waitcnt vmcnt(0)
	v_and_b32_e32 v9, 1, v17
	v_cmp_eq_u32_e64 s[2:3], 1, v9
	v_and_b32_e32 v9, 1, v20
	v_cmp_eq_u32_e64 s[8:9], 1, v9
	s_and_b64 s[8:9], s[2:3], s[8:9]
	s_xor_b64 s[8:9], s[8:9], -1
                                        ; implicit-def: $vgpr17
	s_and_saveexec_b64 s[12:13], s[8:9]
	s_xor_b64 s[8:9], exec, s[12:13]
; %bb.116:
	v_and_b32_e32 v9, 0xff, v20
	v_cndmask_b32_e64 v17, v9, 1, s[2:3]
	v_cndmask_b32_e64 v2, v8, v2, s[2:3]
	;; [unrolled: 1-line block ×3, first 2 shown]
                                        ; implicit-def: $vgpr7_vgpr8
; %bb.117:
	s_andn2_saveexec_b64 s[8:9], s[8:9]
; %bb.118:
	v_cmp_lt_i64_e64 s[2:3], v[7:8], v[1:2]
	v_mov_b32_e32 v17, 1
	v_cndmask_b32_e64 v2, v2, v8, s[2:3]
	v_cndmask_b32_e64 v1, v1, v7, s[2:3]
; %bb.119:
	s_or_b64 exec, exec, s[8:9]
	s_or_b64 exec, exec, s[10:11]
	s_and_saveexec_b64 s[8:9], s[0:1]
	s_cbranch_execz .LBB463_82
.LBB463_120:
	s_waitcnt vmcnt(0)
	v_and_b32_e32 v7, 1, v17
	v_cmp_eq_u32_e64 s[0:1], 1, v7
	v_and_b32_e32 v7, 1, v19
	v_cmp_eq_u32_e64 s[2:3], 1, v7
	s_and_b64 s[2:3], s[0:1], s[2:3]
	s_xor_b64 s[2:3], s[2:3], -1
                                        ; implicit-def: $vgpr17
	s_and_saveexec_b64 s[10:11], s[2:3]
	s_xor_b64 s[2:3], exec, s[10:11]
; %bb.121:
	v_and_b32_e32 v7, 0xff, v19
	v_cndmask_b32_e64 v17, v7, 1, s[0:1]
	v_cndmask_b32_e64 v2, v6, v2, s[0:1]
	;; [unrolled: 1-line block ×3, first 2 shown]
                                        ; implicit-def: $vgpr5_vgpr6
; %bb.122:
	s_andn2_saveexec_b64 s[2:3], s[2:3]
; %bb.123:
	v_cmp_lt_i64_e64 s[0:1], v[5:6], v[1:2]
	v_mov_b32_e32 v17, 1
	v_cndmask_b32_e64 v2, v2, v6, s[0:1]
	v_cndmask_b32_e64 v1, v1, v5, s[0:1]
; %bb.124:
	s_or_b64 exec, exec, s[2:3]
	s_or_b64 exec, exec, s[8:9]
	s_and_saveexec_b64 s[2:3], vcc
	s_cbranch_execz .LBB463_130
.LBB463_125:
	s_waitcnt vmcnt(0)
	v_and_b32_e32 v5, 1, v17
	v_cmp_eq_u32_e32 vcc, 1, v5
	v_and_b32_e32 v5, 1, v18
	v_cmp_eq_u32_e64 s[0:1], 1, v5
	s_and_b64 s[0:1], vcc, s[0:1]
	s_xor_b64 s[0:1], s[0:1], -1
                                        ; implicit-def: $vgpr17
	s_and_saveexec_b64 s[8:9], s[0:1]
	s_xor_b64 s[0:1], exec, s[8:9]
; %bb.126:
	v_and_b32_e32 v5, 0xff, v18
	v_cndmask_b32_e64 v17, v5, 1, vcc
	v_cndmask_b32_e32 v2, v4, v2, vcc
	v_cndmask_b32_e32 v1, v3, v1, vcc
                                        ; implicit-def: $vgpr3_vgpr4
; %bb.127:
	s_andn2_saveexec_b64 s[0:1], s[0:1]
; %bb.128:
	v_cmp_lt_i64_e32 vcc, v[3:4], v[1:2]
	v_mov_b32_e32 v17, 1
	v_cndmask_b32_e32 v2, v2, v4, vcc
	v_cndmask_b32_e32 v1, v1, v3, vcc
; %bb.129:
	s_or_b64 exec, exec, s[0:1]
.LBB463_130:
	s_or_b64 exec, exec, s[2:3]
	s_waitcnt vmcnt(0)
	v_mbcnt_lo_u32_b32 v3, -1, 0
	v_mbcnt_hi_u32_b32 v5, -1, v3
	v_and_b32_e32 v6, 63, v5
	v_cmp_ne_u32_e32 vcc, 63, v6
	v_addc_co_u32_e32 v3, vcc, 0, v5, vcc
	v_lshlrev_b32_e32 v4, 2, v3
	ds_bpermute_b32 v8, v4, v17
	ds_bpermute_b32 v3, v4, v1
	;; [unrolled: 1-line block ×3, first 2 shown]
	s_min_u32 s8, s30, 0x80
	v_and_b32_e32 v7, 64, v0
	v_sub_u32_e64 v7, s8, v7 clamp
	v_add_u32_e32 v9, 1, v6
	v_cmp_lt_u32_e32 vcc, v9, v7
	s_and_saveexec_b64 s[0:1], vcc
	s_xor_b64 s[0:1], exec, s[0:1]
	s_cbranch_execz .LBB463_136
; %bb.131:
	s_waitcnt lgkmcnt(2)
	v_and_b32_e32 v9, v8, v17
	v_cmp_ne_u32_e32 vcc, 0, v9
	s_and_saveexec_b64 s[2:3], vcc
	s_xor_b64 s[2:3], exec, s[2:3]
	s_cbranch_execz .LBB463_133
; %bb.132:
	s_waitcnt lgkmcnt(0)
	v_cmp_lt_i64_e32 vcc, v[3:4], v[1:2]
                                        ; implicit-def: $vgpr17
                                        ; implicit-def: $vgpr8
	v_cndmask_b32_e32 v2, v2, v4, vcc
	v_cndmask_b32_e32 v1, v1, v3, vcc
                                        ; implicit-def: $vgpr3_vgpr4
.LBB463_133:
	s_or_saveexec_b64 s[2:3], s[2:3]
	v_mov_b32_e32 v9, 1
	s_xor_b64 exec, exec, s[2:3]
	s_cbranch_execz .LBB463_135
; %bb.134:
	v_and_b32_e32 v9, 1, v17
	v_cmp_eq_u32_e32 vcc, 1, v9
	s_waitcnt lgkmcnt(1)
	v_cndmask_b32_e32 v1, v3, v1, vcc
	v_and_b32_e32 v3, 0xff, v8
	s_waitcnt lgkmcnt(0)
	v_cndmask_b32_e32 v2, v4, v2, vcc
	v_cndmask_b32_e64 v9, v3, 1, vcc
.LBB463_135:
	s_or_b64 exec, exec, s[2:3]
	v_mov_b32_e32 v17, v9
.LBB463_136:
	s_or_b64 exec, exec, s[0:1]
	v_cmp_gt_u32_e32 vcc, 62, v6
	s_waitcnt lgkmcnt(1)
	v_cndmask_b32_e64 v3, 0, 2, vcc
	s_waitcnt lgkmcnt(0)
	v_add_lshl_u32 v4, v3, v5, 2
	ds_bpermute_b32 v8, v4, v17
	ds_bpermute_b32 v3, v4, v1
	ds_bpermute_b32 v4, v4, v2
	v_add_u32_e32 v9, 2, v6
	v_cmp_lt_u32_e32 vcc, v9, v7
	s_and_saveexec_b64 s[0:1], vcc
	s_cbranch_execz .LBB463_142
; %bb.137:
	s_waitcnt lgkmcnt(2)
	v_and_b32_e32 v9, v17, v8
	v_and_b32_e32 v9, 1, v9
	v_cmp_eq_u32_e32 vcc, 1, v9
	s_and_saveexec_b64 s[2:3], vcc
	s_xor_b64 s[2:3], exec, s[2:3]
	s_cbranch_execz .LBB463_139
; %bb.138:
	s_waitcnt lgkmcnt(0)
	v_cmp_lt_i64_e32 vcc, v[3:4], v[1:2]
                                        ; implicit-def: $vgpr17
                                        ; implicit-def: $vgpr8
	v_cndmask_b32_e32 v2, v2, v4, vcc
	v_cndmask_b32_e32 v1, v1, v3, vcc
                                        ; implicit-def: $vgpr3_vgpr4
.LBB463_139:
	s_or_saveexec_b64 s[2:3], s[2:3]
	v_mov_b32_e32 v9, 1
	s_xor_b64 exec, exec, s[2:3]
	s_cbranch_execz .LBB463_141
; %bb.140:
	v_and_b32_e32 v9, 1, v17
	v_cmp_eq_u32_e32 vcc, 1, v9
	s_waitcnt lgkmcnt(1)
	v_cndmask_b32_e32 v1, v3, v1, vcc
	v_and_b32_e32 v3, 0xff, v8
	s_waitcnt lgkmcnt(0)
	v_cndmask_b32_e32 v2, v4, v2, vcc
	v_cndmask_b32_e64 v9, v3, 1, vcc
.LBB463_141:
	s_or_b64 exec, exec, s[2:3]
	v_mov_b32_e32 v17, v9
.LBB463_142:
	s_or_b64 exec, exec, s[0:1]
	v_cmp_gt_u32_e32 vcc, 60, v6
	s_waitcnt lgkmcnt(1)
	v_cndmask_b32_e64 v3, 0, 4, vcc
	s_waitcnt lgkmcnt(0)
	v_add_lshl_u32 v4, v3, v5, 2
	ds_bpermute_b32 v8, v4, v17
	ds_bpermute_b32 v3, v4, v1
	ds_bpermute_b32 v4, v4, v2
	v_add_u32_e32 v9, 4, v6
	v_cmp_lt_u32_e32 vcc, v9, v7
	s_and_saveexec_b64 s[0:1], vcc
	s_cbranch_execz .LBB463_148
; %bb.143:
	s_waitcnt lgkmcnt(2)
	v_and_b32_e32 v9, v17, v8
	v_and_b32_e32 v9, 1, v9
	v_cmp_eq_u32_e32 vcc, 1, v9
	s_and_saveexec_b64 s[2:3], vcc
	s_xor_b64 s[2:3], exec, s[2:3]
	s_cbranch_execz .LBB463_145
; %bb.144:
	s_waitcnt lgkmcnt(0)
	v_cmp_lt_i64_e32 vcc, v[3:4], v[1:2]
                                        ; implicit-def: $vgpr17
                                        ; implicit-def: $vgpr8
	v_cndmask_b32_e32 v2, v2, v4, vcc
	v_cndmask_b32_e32 v1, v1, v3, vcc
                                        ; implicit-def: $vgpr3_vgpr4
.LBB463_145:
	s_or_saveexec_b64 s[2:3], s[2:3]
	v_mov_b32_e32 v9, 1
	s_xor_b64 exec, exec, s[2:3]
	s_cbranch_execz .LBB463_147
; %bb.146:
	v_and_b32_e32 v9, 1, v17
	v_cmp_eq_u32_e32 vcc, 1, v9
	s_waitcnt lgkmcnt(1)
	v_cndmask_b32_e32 v1, v3, v1, vcc
	v_and_b32_e32 v3, 0xff, v8
	s_waitcnt lgkmcnt(0)
	v_cndmask_b32_e32 v2, v4, v2, vcc
	v_cndmask_b32_e64 v9, v3, 1, vcc
.LBB463_147:
	s_or_b64 exec, exec, s[2:3]
	v_mov_b32_e32 v17, v9
.LBB463_148:
	;; [unrolled: 47-line block ×4, first 2 shown]
	s_or_b64 exec, exec, s[0:1]
	s_waitcnt lgkmcnt(2)
	v_lshlrev_b32_e32 v8, 2, v5
	s_waitcnt lgkmcnt(0)
	v_or_b32_e32 v4, 0x80, v8
	ds_bpermute_b32 v9, v4, v17
	ds_bpermute_b32 v3, v4, v1
	;; [unrolled: 1-line block ×3, first 2 shown]
	v_add_u32_e32 v6, 32, v6
	v_cmp_lt_u32_e32 vcc, v6, v7
	v_mov_b32_e32 v6, v17
	s_and_saveexec_b64 s[0:1], vcc
	s_cbranch_execz .LBB463_166
; %bb.161:
	s_waitcnt lgkmcnt(2)
	v_and_b32_e32 v6, v17, v9
	v_and_b32_e32 v6, 1, v6
	v_cmp_eq_u32_e32 vcc, 1, v6
	s_and_saveexec_b64 s[2:3], vcc
	s_xor_b64 s[2:3], exec, s[2:3]
	s_cbranch_execz .LBB463_163
; %bb.162:
	s_waitcnt lgkmcnt(0)
	v_cmp_lt_i64_e32 vcc, v[3:4], v[1:2]
                                        ; implicit-def: $vgpr17
                                        ; implicit-def: $vgpr9
	v_cndmask_b32_e32 v2, v2, v4, vcc
	v_cndmask_b32_e32 v1, v1, v3, vcc
                                        ; implicit-def: $vgpr3_vgpr4
.LBB463_163:
	s_or_saveexec_b64 s[2:3], s[2:3]
	v_mov_b32_e32 v6, 1
	s_xor_b64 exec, exec, s[2:3]
	s_cbranch_execz .LBB463_165
; %bb.164:
	v_and_b32_e32 v6, 1, v17
	v_cmp_eq_u32_e32 vcc, 1, v6
	v_cndmask_b32_e64 v6, v9, 1, vcc
	s_waitcnt lgkmcnt(0)
	v_cndmask_b32_e32 v2, v4, v2, vcc
	v_cndmask_b32_e32 v1, v3, v1, vcc
.LBB463_165:
	s_or_b64 exec, exec, s[2:3]
	v_and_b32_e32 v17, 0xff, v6
.LBB463_166:
	s_or_b64 exec, exec, s[0:1]
	v_cmp_eq_u32_e32 vcc, 0, v5
	s_and_saveexec_b64 s[0:1], vcc
	s_cbranch_execz .LBB463_168
; %bb.167:
	s_waitcnt lgkmcnt(1)
	v_lshrrev_b32_e32 v3, 2, v0
	v_and_b32_e32 v3, 16, v3
	ds_write_b8 v3, v6 offset:128
	ds_write_b64 v3, v[1:2] offset:136
.LBB463_168:
	s_or_b64 exec, exec, s[0:1]
	v_cmp_gt_u32_e32 vcc, 2, v0
	s_waitcnt lgkmcnt(0)
	s_barrier
	s_and_saveexec_b64 s[0:1], vcc
	s_cbranch_execz .LBB463_176
; %bb.169:
	v_lshlrev_b32_e32 v1, 4, v5
	ds_read_u8 v6, v1 offset:128
	ds_read_b64 v[1:2], v1 offset:136
	v_or_b32_e32 v4, 4, v8
	s_add_i32 s8, s8, 63
	v_and_b32_e32 v5, 1, v5
	s_waitcnt lgkmcnt(1)
	v_and_b32_e32 v17, 0xff, v6
	s_waitcnt lgkmcnt(0)
	ds_bpermute_b32 v3, v4, v1
	ds_bpermute_b32 v7, v4, v17
	;; [unrolled: 1-line block ×3, first 2 shown]
	s_lshr_b32 s2, s8, 6
	v_add_u32_e32 v5, 1, v5
	v_cmp_gt_u32_e32 vcc, s2, v5
	s_and_saveexec_b64 s[2:3], vcc
	s_cbranch_execz .LBB463_175
; %bb.170:
	s_waitcnt lgkmcnt(1)
	v_and_b32_e32 v5, v17, v7
	v_and_b32_e32 v5, 1, v5
	v_cmp_eq_u32_e32 vcc, 1, v5
	s_and_saveexec_b64 s[8:9], vcc
	s_xor_b64 s[8:9], exec, s[8:9]
	s_cbranch_execz .LBB463_172
; %bb.171:
	s_waitcnt lgkmcnt(0)
	v_cmp_lt_i64_e32 vcc, v[3:4], v[1:2]
                                        ; implicit-def: $vgpr6
                                        ; implicit-def: $vgpr7
	v_cndmask_b32_e32 v2, v2, v4, vcc
	v_cndmask_b32_e32 v1, v1, v3, vcc
                                        ; implicit-def: $vgpr3_vgpr4
.LBB463_172:
	s_or_saveexec_b64 s[8:9], s[8:9]
	v_mov_b32_e32 v17, 1
	s_xor_b64 exec, exec, s[8:9]
	s_cbranch_execz .LBB463_174
; %bb.173:
	v_and_b32_e32 v5, 1, v6
	v_cmp_eq_u32_e32 vcc, 1, v5
	s_waitcnt lgkmcnt(0)
	v_cndmask_b32_e32 v2, v4, v2, vcc
	v_cndmask_b32_e32 v1, v3, v1, vcc
	v_cndmask_b32_e64 v17, v7, 1, vcc
.LBB463_174:
	s_or_b64 exec, exec, s[8:9]
.LBB463_175:
	s_or_b64 exec, exec, s[2:3]
.LBB463_176:
	s_or_b64 exec, exec, s[0:1]
.LBB463_177:
	v_cmp_eq_u32_e32 vcc, 0, v0
	s_mov_b64 s[14:15], 0
                                        ; implicit-def: $vgpr3_vgpr4
                                        ; implicit-def: $vgpr5
	s_and_saveexec_b64 s[0:1], vcc
	s_xor_b64 s[8:9], exec, s[0:1]
	s_cbranch_execz .LBB463_181
; %bb.178:
	s_waitcnt lgkmcnt(0)
	v_mov_b32_e32 v3, s18
	s_cmp_eq_u64 s[22:23], 0
	v_mov_b32_e32 v4, s19
	v_mov_b32_e32 v5, s28
	s_cbranch_scc1 .LBB463_180
; %bb.179:
	v_and_b32_e32 v3, 1, v17
	v_cmp_gt_i64_e64 s[0:1], s[18:19], v[1:2]
	s_bitcmp1_b32 s28, 0
	v_cmp_eq_u32_e32 vcc, 1, v3
	s_cselect_b64 s[2:3], -1, 0
	v_mov_b32_e32 v3, s18
	s_and_b64 vcc, vcc, s[0:1]
	v_mov_b32_e32 v4, s19
	v_cndmask_b32_e32 v3, v3, v1, vcc
	v_cndmask_b32_e32 v4, v4, v2, vcc
	v_cndmask_b32_e64 v5, v17, 1, s[2:3]
	v_cndmask_b32_e64 v4, v2, v4, s[2:3]
	;; [unrolled: 1-line block ×3, first 2 shown]
.LBB463_180:
	s_mov_b64 s[14:15], exec
.LBB463_181:
	s_or_b64 exec, exec, s[8:9]
	v_mov_b32_e32 v1, s6
	v_mov_b32_e32 v2, s7
	s_and_b64 vcc, exec, s[24:25]
	s_cbranch_vccnz .LBB463_40
.LBB463_182:
	s_branch .LBB463_334
.LBB463_183:
	v_lshlrev_b32_e32 v13, 4, v13
	global_load_ubyte v10, v13, s[8:9]
	global_load_dwordx2 v[3:4], v13, s[8:9] offset:8
	s_or_b64 exec, exec, s[10:11]
	s_and_saveexec_b64 s[10:11], s[2:3]
	s_cbranch_execz .LBB463_92
.LBB463_184:
	s_waitcnt vmcnt(1)
	v_and_b32_e32 v9, 1, v9
	v_cmp_eq_u32_e64 s[2:3], 1, v9
	v_and_b32_e32 v9, 1, v12
	v_cmp_eq_u32_e64 s[8:9], 1, v9
	s_and_b64 s[8:9], s[2:3], s[8:9]
	s_xor_b64 s[8:9], s[8:9], -1
                                        ; implicit-def: $vgpr9
	s_and_saveexec_b64 s[16:17], s[8:9]
	s_xor_b64 s[8:9], exec, s[16:17]
	s_cbranch_execz .LBB463_186
; %bb.185:
	v_and_b32_e32 v9, 0xff, v12
	v_cndmask_b32_e64 v9, v9, 1, s[2:3]
	s_waitcnt vmcnt(0)
	v_cndmask_b32_e64 v2, v8, v2, s[2:3]
	v_cndmask_b32_e64 v1, v7, v1, s[2:3]
                                        ; implicit-def: $vgpr7_vgpr8
.LBB463_186:
	s_andn2_saveexec_b64 s[8:9], s[8:9]
	s_cbranch_execz .LBB463_188
; %bb.187:
	s_waitcnt vmcnt(0)
	v_cmp_lt_i64_e64 s[2:3], v[7:8], v[1:2]
	v_mov_b32_e32 v9, 1
	v_cndmask_b32_e64 v2, v2, v8, s[2:3]
	v_cndmask_b32_e64 v1, v1, v7, s[2:3]
.LBB463_188:
	s_or_b64 exec, exec, s[8:9]
	s_or_b64 exec, exec, s[10:11]
	s_and_saveexec_b64 s[8:9], s[0:1]
	s_cbranch_execz .LBB463_93
.LBB463_189:
	s_waitcnt vmcnt(0)
	v_and_b32_e32 v7, 1, v9
	v_cmp_eq_u32_e64 s[0:1], 1, v7
	v_and_b32_e32 v7, 1, v11
	v_cmp_eq_u32_e64 s[2:3], 1, v7
	s_and_b64 s[2:3], s[0:1], s[2:3]
	s_xor_b64 s[2:3], s[2:3], -1
                                        ; implicit-def: $vgpr9
	s_and_saveexec_b64 s[10:11], s[2:3]
	s_xor_b64 s[2:3], exec, s[10:11]
; %bb.190:
	v_and_b32_e32 v7, 0xff, v11
	v_cndmask_b32_e64 v9, v7, 1, s[0:1]
	v_cndmask_b32_e64 v2, v6, v2, s[0:1]
	;; [unrolled: 1-line block ×3, first 2 shown]
                                        ; implicit-def: $vgpr5_vgpr6
; %bb.191:
	s_andn2_saveexec_b64 s[2:3], s[2:3]
; %bb.192:
	v_cmp_lt_i64_e64 s[0:1], v[5:6], v[1:2]
	v_mov_b32_e32 v9, 1
	v_cndmask_b32_e64 v2, v2, v6, s[0:1]
	v_cndmask_b32_e64 v1, v1, v5, s[0:1]
; %bb.193:
	s_or_b64 exec, exec, s[2:3]
	s_or_b64 exec, exec, s[8:9]
	s_and_saveexec_b64 s[2:3], vcc
	s_cbranch_execz .LBB463_199
.LBB463_194:
	s_waitcnt vmcnt(0)
	v_and_b32_e32 v5, 1, v9
	v_cmp_eq_u32_e32 vcc, 1, v5
	v_and_b32_e32 v5, 1, v10
	v_cmp_eq_u32_e64 s[0:1], 1, v5
	s_and_b64 s[0:1], vcc, s[0:1]
	s_xor_b64 s[0:1], s[0:1], -1
                                        ; implicit-def: $vgpr9
	s_and_saveexec_b64 s[8:9], s[0:1]
	s_xor_b64 s[0:1], exec, s[8:9]
; %bb.195:
	v_and_b32_e32 v5, 0xff, v10
	v_cndmask_b32_e64 v9, v5, 1, vcc
	v_cndmask_b32_e32 v2, v4, v2, vcc
	v_cndmask_b32_e32 v1, v3, v1, vcc
                                        ; implicit-def: $vgpr3_vgpr4
; %bb.196:
	s_andn2_saveexec_b64 s[0:1], s[0:1]
; %bb.197:
	v_cmp_lt_i64_e32 vcc, v[3:4], v[1:2]
	v_mov_b32_e32 v9, 1
	v_cndmask_b32_e32 v2, v2, v4, vcc
	v_cndmask_b32_e32 v1, v1, v3, vcc
; %bb.198:
	s_or_b64 exec, exec, s[0:1]
.LBB463_199:
	s_or_b64 exec, exec, s[2:3]
	s_waitcnt vmcnt(0)
	v_mbcnt_lo_u32_b32 v3, -1, 0
	v_mbcnt_hi_u32_b32 v5, -1, v3
	v_and_b32_e32 v6, 63, v5
	v_cmp_ne_u32_e32 vcc, 63, v6
	v_addc_co_u32_e32 v3, vcc, 0, v5, vcc
	v_lshlrev_b32_e32 v4, 2, v3
	ds_bpermute_b32 v8, v4, v9
	ds_bpermute_b32 v3, v4, v1
	;; [unrolled: 1-line block ×3, first 2 shown]
	s_min_u32 s8, s12, 0x80
	v_and_b32_e32 v7, 64, v0
	v_sub_u32_e64 v7, s8, v7 clamp
	v_add_u32_e32 v10, 1, v6
	v_cmp_lt_u32_e32 vcc, v10, v7
	s_and_saveexec_b64 s[0:1], vcc
	s_xor_b64 s[0:1], exec, s[0:1]
	s_cbranch_execz .LBB463_205
; %bb.200:
	s_waitcnt lgkmcnt(2)
	v_and_b32_e32 v10, v8, v9
	v_cmp_ne_u32_e32 vcc, 0, v10
	s_and_saveexec_b64 s[2:3], vcc
	s_xor_b64 s[2:3], exec, s[2:3]
	s_cbranch_execz .LBB463_202
; %bb.201:
	s_waitcnt lgkmcnt(0)
	v_cmp_lt_i64_e32 vcc, v[3:4], v[1:2]
                                        ; implicit-def: $vgpr9
                                        ; implicit-def: $vgpr8
	v_cndmask_b32_e32 v2, v2, v4, vcc
	v_cndmask_b32_e32 v1, v1, v3, vcc
                                        ; implicit-def: $vgpr3_vgpr4
.LBB463_202:
	s_or_saveexec_b64 s[2:3], s[2:3]
	v_mov_b32_e32 v10, 1
	s_xor_b64 exec, exec, s[2:3]
	s_cbranch_execz .LBB463_204
; %bb.203:
	v_and_b32_e32 v9, 1, v9
	v_cmp_eq_u32_e32 vcc, 1, v9
	s_waitcnt lgkmcnt(1)
	v_cndmask_b32_e32 v1, v3, v1, vcc
	v_and_b32_e32 v3, 0xff, v8
	s_waitcnt lgkmcnt(0)
	v_cndmask_b32_e32 v2, v4, v2, vcc
	v_cndmask_b32_e64 v10, v3, 1, vcc
.LBB463_204:
	s_or_b64 exec, exec, s[2:3]
	v_mov_b32_e32 v9, v10
.LBB463_205:
	s_or_b64 exec, exec, s[0:1]
	v_cmp_gt_u32_e32 vcc, 62, v6
	s_waitcnt lgkmcnt(1)
	v_cndmask_b32_e64 v3, 0, 2, vcc
	s_waitcnt lgkmcnt(0)
	v_add_lshl_u32 v4, v3, v5, 2
	ds_bpermute_b32 v8, v4, v9
	ds_bpermute_b32 v3, v4, v1
	ds_bpermute_b32 v4, v4, v2
	v_add_u32_e32 v10, 2, v6
	v_cmp_lt_u32_e32 vcc, v10, v7
	s_and_saveexec_b64 s[0:1], vcc
	s_cbranch_execz .LBB463_211
; %bb.206:
	s_waitcnt lgkmcnt(2)
	v_and_b32_e32 v10, v9, v8
	v_and_b32_e32 v10, 1, v10
	v_cmp_eq_u32_e32 vcc, 1, v10
	s_and_saveexec_b64 s[2:3], vcc
	s_xor_b64 s[2:3], exec, s[2:3]
	s_cbranch_execz .LBB463_208
; %bb.207:
	s_waitcnt lgkmcnt(0)
	v_cmp_lt_i64_e32 vcc, v[3:4], v[1:2]
                                        ; implicit-def: $vgpr9
                                        ; implicit-def: $vgpr8
	v_cndmask_b32_e32 v2, v2, v4, vcc
	v_cndmask_b32_e32 v1, v1, v3, vcc
                                        ; implicit-def: $vgpr3_vgpr4
.LBB463_208:
	s_or_saveexec_b64 s[2:3], s[2:3]
	v_mov_b32_e32 v10, 1
	s_xor_b64 exec, exec, s[2:3]
	s_cbranch_execz .LBB463_210
; %bb.209:
	v_and_b32_e32 v9, 1, v9
	v_cmp_eq_u32_e32 vcc, 1, v9
	s_waitcnt lgkmcnt(1)
	v_cndmask_b32_e32 v1, v3, v1, vcc
	v_and_b32_e32 v3, 0xff, v8
	s_waitcnt lgkmcnt(0)
	v_cndmask_b32_e32 v2, v4, v2, vcc
	v_cndmask_b32_e64 v10, v3, 1, vcc
.LBB463_210:
	s_or_b64 exec, exec, s[2:3]
	v_mov_b32_e32 v9, v10
.LBB463_211:
	s_or_b64 exec, exec, s[0:1]
	v_cmp_gt_u32_e32 vcc, 60, v6
	s_waitcnt lgkmcnt(1)
	v_cndmask_b32_e64 v3, 0, 4, vcc
	s_waitcnt lgkmcnt(0)
	v_add_lshl_u32 v4, v3, v5, 2
	ds_bpermute_b32 v8, v4, v9
	ds_bpermute_b32 v3, v4, v1
	ds_bpermute_b32 v4, v4, v2
	v_add_u32_e32 v10, 4, v6
	v_cmp_lt_u32_e32 vcc, v10, v7
	s_and_saveexec_b64 s[0:1], vcc
	s_cbranch_execz .LBB463_217
; %bb.212:
	s_waitcnt lgkmcnt(2)
	v_and_b32_e32 v10, v9, v8
	v_and_b32_e32 v10, 1, v10
	v_cmp_eq_u32_e32 vcc, 1, v10
	s_and_saveexec_b64 s[2:3], vcc
	s_xor_b64 s[2:3], exec, s[2:3]
	s_cbranch_execz .LBB463_214
; %bb.213:
	s_waitcnt lgkmcnt(0)
	v_cmp_lt_i64_e32 vcc, v[3:4], v[1:2]
                                        ; implicit-def: $vgpr9
                                        ; implicit-def: $vgpr8
	v_cndmask_b32_e32 v2, v2, v4, vcc
	v_cndmask_b32_e32 v1, v1, v3, vcc
                                        ; implicit-def: $vgpr3_vgpr4
.LBB463_214:
	s_or_saveexec_b64 s[2:3], s[2:3]
	v_mov_b32_e32 v10, 1
	s_xor_b64 exec, exec, s[2:3]
	s_cbranch_execz .LBB463_216
; %bb.215:
	v_and_b32_e32 v9, 1, v9
	v_cmp_eq_u32_e32 vcc, 1, v9
	s_waitcnt lgkmcnt(1)
	v_cndmask_b32_e32 v1, v3, v1, vcc
	v_and_b32_e32 v3, 0xff, v8
	s_waitcnt lgkmcnt(0)
	v_cndmask_b32_e32 v2, v4, v2, vcc
	v_cndmask_b32_e64 v10, v3, 1, vcc
.LBB463_216:
	s_or_b64 exec, exec, s[2:3]
	v_mov_b32_e32 v9, v10
.LBB463_217:
	;; [unrolled: 47-line block ×4, first 2 shown]
	s_or_b64 exec, exec, s[0:1]
	s_waitcnt lgkmcnt(2)
	v_lshlrev_b32_e32 v8, 2, v5
	s_waitcnt lgkmcnt(0)
	v_or_b32_e32 v4, 0x80, v8
	ds_bpermute_b32 v10, v4, v9
	ds_bpermute_b32 v3, v4, v1
	;; [unrolled: 1-line block ×3, first 2 shown]
	v_add_u32_e32 v6, 32, v6
	v_cmp_lt_u32_e32 vcc, v6, v7
	v_mov_b32_e32 v6, v9
	s_and_saveexec_b64 s[0:1], vcc
	s_cbranch_execz .LBB463_235
; %bb.230:
	s_waitcnt lgkmcnt(2)
	v_and_b32_e32 v6, v9, v10
	v_and_b32_e32 v6, 1, v6
	v_cmp_eq_u32_e32 vcc, 1, v6
	s_and_saveexec_b64 s[2:3], vcc
	s_xor_b64 s[2:3], exec, s[2:3]
	s_cbranch_execz .LBB463_232
; %bb.231:
	s_waitcnt lgkmcnt(0)
	v_cmp_lt_i64_e32 vcc, v[3:4], v[1:2]
                                        ; implicit-def: $vgpr9
                                        ; implicit-def: $vgpr10
	v_cndmask_b32_e32 v2, v2, v4, vcc
	v_cndmask_b32_e32 v1, v1, v3, vcc
                                        ; implicit-def: $vgpr3_vgpr4
.LBB463_232:
	s_or_saveexec_b64 s[2:3], s[2:3]
	v_mov_b32_e32 v6, 1
	s_xor_b64 exec, exec, s[2:3]
	s_cbranch_execz .LBB463_234
; %bb.233:
	v_and_b32_e32 v6, 1, v9
	v_cmp_eq_u32_e32 vcc, 1, v6
	v_cndmask_b32_e64 v6, v10, 1, vcc
	s_waitcnt lgkmcnt(0)
	v_cndmask_b32_e32 v2, v4, v2, vcc
	v_cndmask_b32_e32 v1, v3, v1, vcc
.LBB463_234:
	s_or_b64 exec, exec, s[2:3]
	v_and_b32_e32 v9, 0xff, v6
.LBB463_235:
	s_or_b64 exec, exec, s[0:1]
	v_cmp_eq_u32_e32 vcc, 0, v5
	s_and_saveexec_b64 s[0:1], vcc
	s_cbranch_execz .LBB463_237
; %bb.236:
	s_waitcnt lgkmcnt(1)
	v_lshrrev_b32_e32 v3, 2, v0
	v_and_b32_e32 v3, 16, v3
	ds_write_b8 v3, v6 offset:128
	ds_write_b64 v3, v[1:2] offset:136
.LBB463_237:
	s_or_b64 exec, exec, s[0:1]
	v_cmp_gt_u32_e32 vcc, 2, v0
	s_waitcnt lgkmcnt(0)
	s_barrier
	s_and_saveexec_b64 s[0:1], vcc
	s_cbranch_execz .LBB463_245
; %bb.238:
	v_lshlrev_b32_e32 v1, 4, v5
	ds_read_u8 v6, v1 offset:128
	ds_read_b64 v[1:2], v1 offset:136
	v_or_b32_e32 v4, 4, v8
	s_add_i32 s8, s8, 63
	v_and_b32_e32 v5, 1, v5
	s_waitcnt lgkmcnt(1)
	v_and_b32_e32 v9, 0xff, v6
	s_waitcnt lgkmcnt(0)
	ds_bpermute_b32 v3, v4, v1
	ds_bpermute_b32 v7, v4, v9
	;; [unrolled: 1-line block ×3, first 2 shown]
	s_lshr_b32 s2, s8, 6
	v_add_u32_e32 v5, 1, v5
	v_cmp_gt_u32_e32 vcc, s2, v5
	s_and_saveexec_b64 s[2:3], vcc
	s_cbranch_execz .LBB463_244
; %bb.239:
	s_waitcnt lgkmcnt(1)
	v_and_b32_e32 v5, v9, v7
	v_and_b32_e32 v5, 1, v5
	v_cmp_eq_u32_e32 vcc, 1, v5
	s_and_saveexec_b64 s[8:9], vcc
	s_xor_b64 s[8:9], exec, s[8:9]
	s_cbranch_execz .LBB463_241
; %bb.240:
	s_waitcnt lgkmcnt(0)
	v_cmp_lt_i64_e32 vcc, v[3:4], v[1:2]
                                        ; implicit-def: $vgpr6
                                        ; implicit-def: $vgpr7
	v_cndmask_b32_e32 v2, v2, v4, vcc
	v_cndmask_b32_e32 v1, v1, v3, vcc
                                        ; implicit-def: $vgpr3_vgpr4
.LBB463_241:
	s_or_saveexec_b64 s[8:9], s[8:9]
	v_mov_b32_e32 v9, 1
	s_xor_b64 exec, exec, s[8:9]
	s_cbranch_execz .LBB463_243
; %bb.242:
	v_and_b32_e32 v5, 1, v6
	v_cmp_eq_u32_e32 vcc, 1, v5
	s_waitcnt lgkmcnt(0)
	v_cndmask_b32_e32 v2, v4, v2, vcc
	v_cndmask_b32_e32 v1, v3, v1, vcc
	v_cndmask_b32_e64 v9, v7, 1, vcc
.LBB463_243:
	s_or_b64 exec, exec, s[8:9]
.LBB463_244:
	s_or_b64 exec, exec, s[2:3]
.LBB463_245:
	s_or_b64 exec, exec, s[0:1]
.LBB463_246:
	v_cmp_eq_u32_e32 vcc, 0, v0
                                        ; implicit-def: $vgpr3_vgpr4
                                        ; implicit-def: $vgpr5
	s_and_saveexec_b64 s[0:1], vcc
	s_xor_b64 s[8:9], exec, s[0:1]
	s_cbranch_execz .LBB463_250
; %bb.247:
	s_waitcnt lgkmcnt(0)
	v_mov_b32_e32 v3, s18
	s_cmp_eq_u64 s[22:23], 0
	v_mov_b32_e32 v4, s19
	v_mov_b32_e32 v5, s28
	s_cbranch_scc1 .LBB463_249
; %bb.248:
	v_and_b32_e32 v3, 1, v9
	v_cmp_gt_i64_e64 s[0:1], s[18:19], v[1:2]
	s_bitcmp1_b32 s28, 0
	v_cmp_eq_u32_e32 vcc, 1, v3
	s_cselect_b64 s[2:3], -1, 0
	v_mov_b32_e32 v3, s18
	s_and_b64 vcc, vcc, s[0:1]
	v_mov_b32_e32 v4, s19
	v_cndmask_b32_e32 v3, v3, v1, vcc
	v_cndmask_b32_e32 v4, v4, v2, vcc
	v_cndmask_b32_e64 v5, v9, 1, s[2:3]
	v_cndmask_b32_e64 v4, v2, v4, s[2:3]
	;; [unrolled: 1-line block ×3, first 2 shown]
.LBB463_249:
	s_or_b64 s[14:15], s[14:15], exec
.LBB463_250:
	s_or_b64 exec, exec, s[8:9]
	v_mov_b32_e32 v1, s6
	v_mov_b32_e32 v2, s7
	s_branch .LBB463_334
.LBB463_251:
	s_cmp_gt_i32 s29, 1
	s_cbranch_scc0 .LBB463_263
; %bb.252:
	s_cmp_eq_u32 s29, 2
	s_cbranch_scc0 .LBB463_264
; %bb.253:
	s_mov_b32 s7, 0
	s_lshl_b32 s24, s6, 8
	s_mov_b32 s25, s7
	s_lshr_b64 s[0:1], s[22:23], 8
	s_lshl_b64 s[2:3], s[24:25], 4
	s_add_u32 s16, s20, s2
	s_addc_u32 s17, s21, s3
	s_cmp_lg_u64 s[0:1], s[6:7]
	s_cbranch_scc0 .LBB463_265
; %bb.254:
	s_waitcnt lgkmcnt(2)
	v_lshlrev_b32_e32 v3, 4, v0
	s_waitcnt lgkmcnt(0)
	global_load_ubyte v4, v3, s[16:17]
	global_load_ubyte v8, v3, s[16:17] offset:2048
	global_load_dwordx2 v[1:2], v3, s[16:17] offset:8
	global_load_dwordx2 v[6:7], v3, s[16:17] offset:2056
	v_mbcnt_lo_u32_b32 v3, -1, 0
	v_mbcnt_hi_u32_b32 v3, -1, v3
	v_lshlrev_b32_e32 v5, 2, v3
	v_or_b32_e32 v10, 0xfc, v5
	s_waitcnt vmcnt(3)
	v_and_b32_e32 v4, 1, v4
	s_waitcnt vmcnt(2)
	v_and_b32_e32 v9, 1, v8
	v_cmp_eq_u32_e64 s[0:1], 1, v9
	s_waitcnt vmcnt(0)
	v_cmp_lt_i64_e32 vcc, v[6:7], v[1:2]
	v_cmp_eq_u32_e64 s[2:3], 1, v4
	s_and_b64 vcc, s[0:1], vcc
	v_cndmask_b32_e32 v1, v1, v6, vcc
	v_cndmask_b32_e32 v2, v2, v7, vcc
	v_cndmask_b32_e64 v1, v6, v1, s[2:3]
	v_cndmask_b32_e64 v2, v7, v2, s[2:3]
	;; [unrolled: 1-line block ×3, first 2 shown]
	v_mov_b32_dpp v6, v1 quad_perm:[1,0,3,2] row_mask:0xf bank_mask:0xf bound_ctrl:1
	v_mov_b32_dpp v7, v2 quad_perm:[1,0,3,2] row_mask:0xf bank_mask:0xf bound_ctrl:1
	v_and_b32_e32 v4, 1, v4
	v_cmp_lt_i64_e64 s[0:1], v[1:2], v[6:7]
	v_cmp_eq_u32_e32 vcc, 1, v4
	v_mov_b32_dpp v8, v4 quad_perm:[1,0,3,2] row_mask:0xf bank_mask:0xf bound_ctrl:1
	v_and_b32_e32 v8, 1, v8
	s_and_b64 vcc, vcc, s[0:1]
	v_cndmask_b32_e32 v6, v6, v1, vcc
	v_cndmask_b32_e32 v7, v7, v2, vcc
	v_cmp_eq_u32_e32 vcc, 1, v8
	v_cndmask_b32_e32 v2, v2, v7, vcc
	v_cndmask_b32_e32 v1, v1, v6, vcc
	v_cndmask_b32_e64 v4, v4, 1, vcc
	v_mov_b32_dpp v7, v2 quad_perm:[2,3,0,1] row_mask:0xf bank_mask:0xf bound_ctrl:1
	v_mov_b32_dpp v6, v1 quad_perm:[2,3,0,1] row_mask:0xf bank_mask:0xf bound_ctrl:1
	v_and_b32_e32 v9, 1, v4
	v_cmp_lt_i64_e64 s[0:1], v[1:2], v[6:7]
	v_mov_b32_dpp v8, v4 quad_perm:[2,3,0,1] row_mask:0xf bank_mask:0xf bound_ctrl:1
	v_cmp_eq_u32_e32 vcc, 1, v9
	v_and_b32_e32 v8, 1, v8
	s_and_b64 vcc, vcc, s[0:1]
	v_cmp_eq_u32_e64 s[2:3], 1, v8
	v_cndmask_b32_e32 v6, v6, v1, vcc
	v_cndmask_b32_e32 v7, v7, v2, vcc
	v_cndmask_b32_e64 v1, v1, v6, s[2:3]
	v_cndmask_b32_e64 v2, v2, v7, s[2:3]
	;; [unrolled: 1-line block ×3, first 2 shown]
	v_mov_b32_dpp v6, v1 row_ror:4 row_mask:0xf bank_mask:0xf bound_ctrl:1
	v_mov_b32_dpp v7, v2 row_ror:4 row_mask:0xf bank_mask:0xf bound_ctrl:1
	v_and_b32_e32 v9, 1, v4
	v_cmp_lt_i64_e64 s[2:3], v[1:2], v[6:7]
	v_mov_b32_dpp v8, v4 row_ror:4 row_mask:0xf bank_mask:0xf bound_ctrl:1
	v_cmp_eq_u32_e32 vcc, 1, v9
	v_and_b32_e32 v8, 1, v8
	s_and_b64 vcc, vcc, s[2:3]
	v_cmp_eq_u32_e64 s[0:1], 1, v8
	v_cndmask_b32_e32 v6, v6, v1, vcc
	v_cndmask_b32_e32 v7, v7, v2, vcc
	v_cndmask_b32_e64 v1, v1, v6, s[0:1]
	v_cndmask_b32_e64 v2, v2, v7, s[0:1]
	;; [unrolled: 1-line block ×3, first 2 shown]
	v_mov_b32_dpp v6, v1 row_ror:8 row_mask:0xf bank_mask:0xf bound_ctrl:1
	v_mov_b32_dpp v7, v2 row_ror:8 row_mask:0xf bank_mask:0xf bound_ctrl:1
	v_and_b32_e32 v9, 1, v4
	v_cmp_lt_i64_e64 s[2:3], v[1:2], v[6:7]
	v_mov_b32_dpp v8, v4 row_ror:8 row_mask:0xf bank_mask:0xf bound_ctrl:1
	v_cmp_eq_u32_e64 s[8:9], 1, v9
	v_and_b32_e32 v8, 1, v8
	s_and_b64 s[2:3], s[8:9], s[2:3]
	v_cmp_eq_u32_e64 s[10:11], 1, v8
	v_cndmask_b32_e64 v6, v6, v1, s[2:3]
	v_cndmask_b32_e64 v7, v7, v2, s[2:3]
	;; [unrolled: 1-line block ×5, first 2 shown]
	v_mov_b32_dpp v8, v4 row_bcast:15 row_mask:0xf bank_mask:0xf bound_ctrl:1
	v_mov_b32_dpp v6, v1 row_bcast:15 row_mask:0xf bank_mask:0xf bound_ctrl:1
	;; [unrolled: 1-line block ×3, first 2 shown]
	v_and_b32_e32 v9, 1, v4
	v_and_b32_e32 v8, 1, v8
	v_cmp_lt_i64_e64 s[2:3], v[1:2], v[6:7]
	v_cmp_eq_u32_e32 vcc, 1, v9
	v_cmp_eq_u32_e64 s[0:1], 1, v8
	v_cndmask_b32_e64 v4, v4, 1, s[0:1]
	s_and_b64 vcc, vcc, s[2:3]
	v_cndmask_b32_e32 v6, v6, v1, vcc
	v_mov_b32_dpp v8, v4 row_bcast:31 row_mask:0xf bank_mask:0xf bound_ctrl:1
	v_cndmask_b32_e32 v7, v7, v2, vcc
	v_and_b32_e32 v9, 1, v4
	v_and_b32_e32 v8, 1, v8
	v_cndmask_b32_e64 v1, v1, v6, s[0:1]
	v_cndmask_b32_e64 v2, v2, v7, s[0:1]
	v_cmp_eq_u32_e64 s[12:13], 1, v9
	v_cmp_eq_u32_e64 s[8:9], 1, v8
	v_mov_b32_dpp v8, v1 row_bcast:31 row_mask:0xf bank_mask:0xf bound_ctrl:1
	v_mov_b32_dpp v9, v2 row_bcast:31 row_mask:0xf bank_mask:0xf bound_ctrl:1
	v_cmp_lt_i64_e32 vcc, v[1:2], v[8:9]
	v_cndmask_b32_e64 v4, v4, 1, s[8:9]
	s_and_b64 vcc, s[12:13], vcc
	ds_bpermute_b32 v7, v10, v4
	v_cndmask_b32_e32 v4, v8, v1, vcc
	v_cndmask_b32_e32 v6, v9, v2, vcc
	v_cndmask_b32_e64 v1, v1, v4, s[8:9]
	v_cndmask_b32_e64 v2, v2, v6, s[8:9]
	ds_bpermute_b32 v1, v10, v1
	ds_bpermute_b32 v2, v10, v2
	v_cmp_eq_u32_e32 vcc, 0, v3
	s_and_saveexec_b64 s[0:1], vcc
	s_cbranch_execz .LBB463_256
; %bb.255:
	v_lshrrev_b32_e32 v4, 2, v0
	v_and_b32_e32 v4, 16, v4
	s_waitcnt lgkmcnt(2)
	ds_write_b8 v4, v7 offset:32
	s_waitcnt lgkmcnt(1)
	ds_write_b64 v4, v[1:2] offset:40
.LBB463_256:
	s_or_b64 exec, exec, s[0:1]
	v_cmp_gt_u32_e32 vcc, 64, v0
	s_waitcnt lgkmcnt(0)
	s_barrier
	s_and_saveexec_b64 s[0:1], vcc
	s_cbranch_execz .LBB463_262
; %bb.257:
	v_and_b32_e32 v1, 1, v3
	v_lshlrev_b32_e32 v1, 4, v1
	ds_read_u8 v8, v1 offset:32
	ds_read_b64 v[3:4], v1 offset:40
	v_or_b32_e32 v2, 4, v5
	s_waitcnt lgkmcnt(1)
	v_and_b32_e32 v1, 0xff, v8
	ds_bpermute_b32 v9, v2, v1
	s_waitcnt lgkmcnt(1)
	ds_bpermute_b32 v5, v2, v3
	ds_bpermute_b32 v6, v2, v4
	s_waitcnt lgkmcnt(2)
	v_and_b32_e32 v1, v8, v9
	v_and_b32_e32 v1, 1, v1
	v_cmp_eq_u32_e32 vcc, 1, v1
                                        ; implicit-def: $vgpr1_vgpr2
	s_and_saveexec_b64 s[2:3], vcc
	s_xor_b64 s[2:3], exec, s[2:3]
	s_cbranch_execz .LBB463_259
; %bb.258:
	s_waitcnt lgkmcnt(0)
	v_cmp_lt_i64_e32 vcc, v[5:6], v[3:4]
                                        ; implicit-def: $vgpr8
                                        ; implicit-def: $vgpr9
	v_cndmask_b32_e32 v2, v4, v6, vcc
	v_cndmask_b32_e32 v1, v3, v5, vcc
                                        ; implicit-def: $vgpr5_vgpr6
                                        ; implicit-def: $vgpr3_vgpr4
.LBB463_259:
	s_or_saveexec_b64 s[2:3], s[2:3]
	v_mov_b32_e32 v7, 1
	s_xor_b64 exec, exec, s[2:3]
	s_cbranch_execz .LBB463_261
; %bb.260:
	v_and_b32_e32 v1, 1, v8
	v_cmp_eq_u32_e32 vcc, 1, v1
	s_waitcnt lgkmcnt(0)
	v_cndmask_b32_e32 v2, v6, v4, vcc
	v_cndmask_b32_e32 v1, v5, v3, vcc
	v_cndmask_b32_e64 v7, v9, 1, vcc
.LBB463_261:
	s_or_b64 exec, exec, s[2:3]
.LBB463_262:
	s_or_b64 exec, exec, s[0:1]
	s_branch .LBB463_317
.LBB463_263:
                                        ; implicit-def: $vgpr3_vgpr4
                                        ; implicit-def: $vgpr5
                                        ; implicit-def: $vgpr1_vgpr2
	s_cbranch_execnz .LBB463_322
	s_branch .LBB463_334
.LBB463_264:
                                        ; implicit-def: $vgpr3_vgpr4
                                        ; implicit-def: $vgpr5
                                        ; implicit-def: $vgpr1_vgpr2
	s_branch .LBB463_334
.LBB463_265:
                                        ; implicit-def: $vgpr1_vgpr2
                                        ; implicit-def: $vgpr7
	s_cbranch_execz .LBB463_317
; %bb.266:
	s_sub_i32 s10, s22, s24
	s_waitcnt lgkmcnt(0)
	v_mov_b32_e32 v3, 0
	v_mov_b32_e32 v1, 0
	v_cmp_gt_u32_e32 vcc, s10, v0
	v_mov_b32_e32 v5, 0
	v_mov_b32_e32 v4, 0
	;; [unrolled: 1-line block ×4, first 2 shown]
	s_and_saveexec_b64 s[0:1], vcc
	s_cbranch_execz .LBB463_268
; %bb.267:
	v_lshlrev_b32_e32 v7, 4, v0
	global_load_ubyte v6, v7, s[16:17]
	global_load_dwordx2 v[1:2], v7, s[16:17] offset:8
.LBB463_268:
	s_or_b64 exec, exec, s[0:1]
	v_or_b32_e32 v7, 0x80, v0
	v_cmp_gt_u32_e32 vcc, s10, v7
	s_and_saveexec_b64 s[0:1], vcc
	s_cbranch_execz .LBB463_270
; %bb.269:
	v_lshlrev_b32_e32 v7, 4, v0
	global_load_ubyte v5, v7, s[16:17] offset:2048
	global_load_dwordx2 v[3:4], v7, s[16:17] offset:2056
.LBB463_270:
	s_or_b64 exec, exec, s[0:1]
	s_waitcnt vmcnt(1)
	v_and_b32_e32 v8, 0xff, v5
	v_and_b32_e32 v5, 1, v5
	s_waitcnt vmcnt(0)
	v_cmp_lt_i64_e64 s[2:3], v[3:4], v[1:2]
	v_cmp_eq_u32_e64 s[0:1], 1, v5
	v_and_b32_e32 v5, 1, v6
	v_cmp_eq_u32_e64 s[8:9], 1, v5
	s_and_b64 s[0:1], s[0:1], s[2:3]
	v_cndmask_b32_e64 v5, v8, 1, s[8:9]
	v_cndmask_b32_e64 v8, v1, v3, s[0:1]
	;; [unrolled: 1-line block ×3, first 2 shown]
	v_and_b32_e32 v7, 0xff, v6
	v_cndmask_b32_e32 v1, v1, v3, vcc
	v_mbcnt_lo_u32_b32 v3, -1, 0
	v_cndmask_b32_e64 v6, v2, v4, s[0:1]
	v_cndmask_b32_e32 v7, v7, v5, vcc
	v_mbcnt_hi_u32_b32 v5, -1, v3
	v_cndmask_b32_e64 v4, v4, v6, s[8:9]
	v_and_b32_e32 v6, 63, v5
	v_cndmask_b32_e32 v2, v2, v4, vcc
	v_cmp_ne_u32_e32 vcc, 63, v6
	v_addc_co_u32_e32 v3, vcc, 0, v5, vcc
	v_lshlrev_b32_e32 v4, 2, v3
	ds_bpermute_b32 v9, v4, v7
	ds_bpermute_b32 v3, v4, v1
	;; [unrolled: 1-line block ×3, first 2 shown]
	s_min_u32 s8, s10, 0x80
	v_and_b32_e32 v8, 64, v0
	v_sub_u32_e64 v8, s8, v8 clamp
	v_add_u32_e32 v10, 1, v6
	v_cmp_lt_u32_e32 vcc, v10, v8
	s_and_saveexec_b64 s[0:1], vcc
	s_cbranch_execz .LBB463_276
; %bb.271:
	s_waitcnt lgkmcnt(2)
	v_and_b32_e32 v10, v9, v7
	v_cmp_ne_u32_e32 vcc, 0, v10
	s_and_saveexec_b64 s[2:3], vcc
	s_xor_b64 s[2:3], exec, s[2:3]
	s_cbranch_execz .LBB463_273
; %bb.272:
	s_waitcnt lgkmcnt(0)
	v_cmp_lt_i64_e32 vcc, v[3:4], v[1:2]
                                        ; implicit-def: $vgpr7
                                        ; implicit-def: $vgpr9
	v_cndmask_b32_e32 v2, v2, v4, vcc
	v_cndmask_b32_e32 v1, v1, v3, vcc
                                        ; implicit-def: $vgpr3_vgpr4
.LBB463_273:
	s_or_saveexec_b64 s[2:3], s[2:3]
	v_mov_b32_e32 v10, 1
	s_xor_b64 exec, exec, s[2:3]
	s_cbranch_execz .LBB463_275
; %bb.274:
	v_and_b32_e32 v7, 1, v7
	v_cmp_eq_u32_e32 vcc, 1, v7
	s_waitcnt lgkmcnt(1)
	v_cndmask_b32_e32 v1, v3, v1, vcc
	v_and_b32_e32 v3, 0xff, v9
	s_waitcnt lgkmcnt(0)
	v_cndmask_b32_e32 v2, v4, v2, vcc
	v_cndmask_b32_e64 v10, v3, 1, vcc
.LBB463_275:
	s_or_b64 exec, exec, s[2:3]
	v_mov_b32_e32 v7, v10
.LBB463_276:
	s_or_b64 exec, exec, s[0:1]
	v_cmp_gt_u32_e32 vcc, 62, v6
	s_waitcnt lgkmcnt(1)
	v_cndmask_b32_e64 v3, 0, 2, vcc
	s_waitcnt lgkmcnt(0)
	v_add_lshl_u32 v4, v3, v5, 2
	ds_bpermute_b32 v9, v4, v7
	ds_bpermute_b32 v3, v4, v1
	ds_bpermute_b32 v4, v4, v2
	v_add_u32_e32 v10, 2, v6
	v_cmp_lt_u32_e32 vcc, v10, v8
	s_and_saveexec_b64 s[0:1], vcc
	s_cbranch_execz .LBB463_282
; %bb.277:
	s_waitcnt lgkmcnt(2)
	v_and_b32_e32 v10, v7, v9
	v_and_b32_e32 v10, 1, v10
	v_cmp_eq_u32_e32 vcc, 1, v10
	s_and_saveexec_b64 s[2:3], vcc
	s_xor_b64 s[2:3], exec, s[2:3]
	s_cbranch_execz .LBB463_279
; %bb.278:
	s_waitcnt lgkmcnt(0)
	v_cmp_lt_i64_e32 vcc, v[3:4], v[1:2]
                                        ; implicit-def: $vgpr7
                                        ; implicit-def: $vgpr9
	v_cndmask_b32_e32 v2, v2, v4, vcc
	v_cndmask_b32_e32 v1, v1, v3, vcc
                                        ; implicit-def: $vgpr3_vgpr4
.LBB463_279:
	s_or_saveexec_b64 s[2:3], s[2:3]
	v_mov_b32_e32 v10, 1
	s_xor_b64 exec, exec, s[2:3]
	s_cbranch_execz .LBB463_281
; %bb.280:
	v_and_b32_e32 v7, 1, v7
	v_cmp_eq_u32_e32 vcc, 1, v7
	s_waitcnt lgkmcnt(1)
	v_cndmask_b32_e32 v1, v3, v1, vcc
	v_and_b32_e32 v3, 0xff, v9
	s_waitcnt lgkmcnt(0)
	v_cndmask_b32_e32 v2, v4, v2, vcc
	v_cndmask_b32_e64 v10, v3, 1, vcc
.LBB463_281:
	s_or_b64 exec, exec, s[2:3]
	v_mov_b32_e32 v7, v10
.LBB463_282:
	s_or_b64 exec, exec, s[0:1]
	v_cmp_gt_u32_e32 vcc, 60, v6
	s_waitcnt lgkmcnt(1)
	v_cndmask_b32_e64 v3, 0, 4, vcc
	s_waitcnt lgkmcnt(0)
	v_add_lshl_u32 v4, v3, v5, 2
	ds_bpermute_b32 v9, v4, v7
	ds_bpermute_b32 v3, v4, v1
	ds_bpermute_b32 v4, v4, v2
	v_add_u32_e32 v10, 4, v6
	v_cmp_lt_u32_e32 vcc, v10, v8
	s_and_saveexec_b64 s[0:1], vcc
	s_cbranch_execz .LBB463_288
; %bb.283:
	s_waitcnt lgkmcnt(2)
	v_and_b32_e32 v10, v7, v9
	v_and_b32_e32 v10, 1, v10
	v_cmp_eq_u32_e32 vcc, 1, v10
	s_and_saveexec_b64 s[2:3], vcc
	s_xor_b64 s[2:3], exec, s[2:3]
	s_cbranch_execz .LBB463_285
; %bb.284:
	s_waitcnt lgkmcnt(0)
	v_cmp_lt_i64_e32 vcc, v[3:4], v[1:2]
                                        ; implicit-def: $vgpr7
                                        ; implicit-def: $vgpr9
	v_cndmask_b32_e32 v2, v2, v4, vcc
	v_cndmask_b32_e32 v1, v1, v3, vcc
                                        ; implicit-def: $vgpr3_vgpr4
.LBB463_285:
	s_or_saveexec_b64 s[2:3], s[2:3]
	v_mov_b32_e32 v10, 1
	s_xor_b64 exec, exec, s[2:3]
	s_cbranch_execz .LBB463_287
; %bb.286:
	v_and_b32_e32 v7, 1, v7
	v_cmp_eq_u32_e32 vcc, 1, v7
	s_waitcnt lgkmcnt(1)
	v_cndmask_b32_e32 v1, v3, v1, vcc
	v_and_b32_e32 v3, 0xff, v9
	s_waitcnt lgkmcnt(0)
	v_cndmask_b32_e32 v2, v4, v2, vcc
	v_cndmask_b32_e64 v10, v3, 1, vcc
.LBB463_287:
	s_or_b64 exec, exec, s[2:3]
	v_mov_b32_e32 v7, v10
.LBB463_288:
	;; [unrolled: 47-line block ×4, first 2 shown]
	s_or_b64 exec, exec, s[0:1]
	s_waitcnt lgkmcnt(2)
	v_lshlrev_b32_e32 v9, 2, v5
	s_waitcnt lgkmcnt(0)
	v_or_b32_e32 v4, 0x80, v9
	ds_bpermute_b32 v10, v4, v7
	ds_bpermute_b32 v3, v4, v1
	;; [unrolled: 1-line block ×3, first 2 shown]
	v_add_u32_e32 v6, 32, v6
	v_cmp_lt_u32_e32 vcc, v6, v8
	v_mov_b32_e32 v6, v7
	s_and_saveexec_b64 s[0:1], vcc
	s_cbranch_execz .LBB463_306
; %bb.301:
	s_waitcnt lgkmcnt(2)
	v_and_b32_e32 v6, v7, v10
	v_and_b32_e32 v6, 1, v6
	v_cmp_eq_u32_e32 vcc, 1, v6
	s_and_saveexec_b64 s[2:3], vcc
	s_xor_b64 s[2:3], exec, s[2:3]
	s_cbranch_execz .LBB463_303
; %bb.302:
	s_waitcnt lgkmcnt(0)
	v_cmp_lt_i64_e32 vcc, v[3:4], v[1:2]
                                        ; implicit-def: $vgpr7
                                        ; implicit-def: $vgpr10
	v_cndmask_b32_e32 v2, v2, v4, vcc
	v_cndmask_b32_e32 v1, v1, v3, vcc
                                        ; implicit-def: $vgpr3_vgpr4
.LBB463_303:
	s_or_saveexec_b64 s[2:3], s[2:3]
	v_mov_b32_e32 v6, 1
	s_xor_b64 exec, exec, s[2:3]
	s_cbranch_execz .LBB463_305
; %bb.304:
	v_and_b32_e32 v6, 1, v7
	v_cmp_eq_u32_e32 vcc, 1, v6
	v_cndmask_b32_e64 v6, v10, 1, vcc
	s_waitcnt lgkmcnt(0)
	v_cndmask_b32_e32 v2, v4, v2, vcc
	v_cndmask_b32_e32 v1, v3, v1, vcc
.LBB463_305:
	s_or_b64 exec, exec, s[2:3]
	v_and_b32_e32 v7, 0xff, v6
.LBB463_306:
	s_or_b64 exec, exec, s[0:1]
	v_cmp_eq_u32_e32 vcc, 0, v5
	s_and_saveexec_b64 s[0:1], vcc
	s_cbranch_execz .LBB463_308
; %bb.307:
	s_waitcnt lgkmcnt(1)
	v_lshrrev_b32_e32 v3, 2, v0
	v_and_b32_e32 v3, 16, v3
	ds_write_b8 v3, v6 offset:128
	ds_write_b64 v3, v[1:2] offset:136
.LBB463_308:
	s_or_b64 exec, exec, s[0:1]
	v_cmp_gt_u32_e32 vcc, 2, v0
	s_waitcnt lgkmcnt(0)
	s_barrier
	s_and_saveexec_b64 s[0:1], vcc
	s_cbranch_execz .LBB463_316
; %bb.309:
	v_lshlrev_b32_e32 v1, 4, v5
	ds_read_u8 v6, v1 offset:128
	ds_read_b64 v[1:2], v1 offset:136
	v_or_b32_e32 v4, 4, v9
	s_add_i32 s8, s8, 63
	v_and_b32_e32 v5, 1, v5
	s_waitcnt lgkmcnt(1)
	v_and_b32_e32 v7, 0xff, v6
	s_waitcnt lgkmcnt(0)
	ds_bpermute_b32 v3, v4, v1
	ds_bpermute_b32 v8, v4, v7
	;; [unrolled: 1-line block ×3, first 2 shown]
	s_lshr_b32 s2, s8, 6
	v_add_u32_e32 v5, 1, v5
	v_cmp_gt_u32_e32 vcc, s2, v5
	s_and_saveexec_b64 s[2:3], vcc
	s_cbranch_execz .LBB463_315
; %bb.310:
	s_waitcnt lgkmcnt(1)
	v_and_b32_e32 v5, v7, v8
	v_and_b32_e32 v5, 1, v5
	v_cmp_eq_u32_e32 vcc, 1, v5
	s_and_saveexec_b64 s[8:9], vcc
	s_xor_b64 s[8:9], exec, s[8:9]
	s_cbranch_execz .LBB463_312
; %bb.311:
	s_waitcnt lgkmcnt(0)
	v_cmp_lt_i64_e32 vcc, v[3:4], v[1:2]
                                        ; implicit-def: $vgpr6
                                        ; implicit-def: $vgpr8
	v_cndmask_b32_e32 v2, v2, v4, vcc
	v_cndmask_b32_e32 v1, v1, v3, vcc
                                        ; implicit-def: $vgpr3_vgpr4
.LBB463_312:
	s_or_saveexec_b64 s[8:9], s[8:9]
	v_mov_b32_e32 v7, 1
	s_xor_b64 exec, exec, s[8:9]
	s_cbranch_execz .LBB463_314
; %bb.313:
	v_and_b32_e32 v5, 1, v6
	v_cmp_eq_u32_e32 vcc, 1, v5
	s_waitcnt lgkmcnt(0)
	v_cndmask_b32_e32 v2, v4, v2, vcc
	v_cndmask_b32_e32 v1, v3, v1, vcc
	v_cndmask_b32_e64 v7, v8, 1, vcc
.LBB463_314:
	s_or_b64 exec, exec, s[8:9]
.LBB463_315:
	s_or_b64 exec, exec, s[2:3]
.LBB463_316:
	s_or_b64 exec, exec, s[0:1]
.LBB463_317:
	v_cmp_eq_u32_e32 vcc, 0, v0
                                        ; implicit-def: $vgpr3_vgpr4
                                        ; implicit-def: $vgpr5
	s_and_saveexec_b64 s[0:1], vcc
	s_xor_b64 s[8:9], exec, s[0:1]
	s_cbranch_execz .LBB463_321
; %bb.318:
	s_waitcnt lgkmcnt(0)
	v_mov_b32_e32 v3, s18
	s_cmp_eq_u64 s[22:23], 0
	v_mov_b32_e32 v4, s19
	v_mov_b32_e32 v5, s28
	s_cbranch_scc1 .LBB463_320
; %bb.319:
	v_and_b32_e32 v3, 1, v7
	v_cmp_gt_i64_e64 s[0:1], s[18:19], v[1:2]
	s_bitcmp1_b32 s28, 0
	v_cmp_eq_u32_e32 vcc, 1, v3
	s_cselect_b64 s[2:3], -1, 0
	v_mov_b32_e32 v3, s18
	s_and_b64 vcc, vcc, s[0:1]
	v_mov_b32_e32 v4, s19
	v_cndmask_b32_e32 v3, v3, v1, vcc
	v_cndmask_b32_e32 v4, v4, v2, vcc
	v_cndmask_b32_e64 v5, v7, 1, s[2:3]
	v_cndmask_b32_e64 v4, v2, v4, s[2:3]
	;; [unrolled: 1-line block ×3, first 2 shown]
.LBB463_320:
	s_or_b64 s[14:15], s[14:15], exec
.LBB463_321:
	s_or_b64 exec, exec, s[8:9]
	v_mov_b32_e32 v1, s6
	v_mov_b32_e32 v2, s7
	s_branch .LBB463_334
.LBB463_322:
	s_cmp_eq_u32 s29, 1
	s_cbranch_scc0 .LBB463_333
; %bb.323:
	s_mov_b32 s17, 0
	s_lshl_b32 s16, s6, 7
	s_mov_b32 s7, s17
	s_lshr_b64 s[0:1], s[22:23], 7
	s_cmp_lg_u64 s[0:1], s[6:7]
	s_waitcnt lgkmcnt(1)
	v_mbcnt_lo_u32_b32 v8, -1, 0
	s_cbranch_scc0 .LBB463_337
; %bb.324:
	s_lshl_b64 s[0:1], s[16:17], 4
	s_add_u32 s0, s20, s0
	s_addc_u32 s1, s21, s1
	v_lshlrev_b32_e32 v3, 4, v0
	s_waitcnt lgkmcnt(0)
	global_load_ubyte v4, v3, s[0:1]
	global_load_dwordx2 v[1:2], v3, s[0:1] offset:8
	v_mbcnt_hi_u32_b32 v3, -1, v8
	v_lshlrev_b32_e32 v5, 2, v3
	v_or_b32_e32 v11, 0xfc, v5
	s_waitcnt vmcnt(1)
	v_and_b32_e32 v4, 1, v4
	s_waitcnt vmcnt(0)
	v_mov_b32_dpp v6, v1 quad_perm:[1,0,3,2] row_mask:0xf bank_mask:0xf bound_ctrl:1
	v_mov_b32_dpp v7, v2 quad_perm:[1,0,3,2] row_mask:0xf bank_mask:0xf bound_ctrl:1
	v_cmp_lt_i64_e64 s[0:1], v[1:2], v[6:7]
	v_mov_b32_dpp v9, v4 quad_perm:[1,0,3,2] row_mask:0xf bank_mask:0xf bound_ctrl:1
	v_cmp_eq_u32_e32 vcc, 1, v4
	v_and_b32_e32 v9, 1, v9
	s_and_b64 vcc, vcc, s[0:1]
	v_cndmask_b32_e32 v6, v6, v1, vcc
	v_cndmask_b32_e32 v7, v7, v2, vcc
	v_cmp_eq_u32_e32 vcc, 1, v9
	v_cndmask_b32_e32 v2, v2, v7, vcc
	v_cndmask_b32_e32 v1, v1, v6, vcc
	v_cndmask_b32_e64 v4, v4, 1, vcc
	v_mov_b32_dpp v7, v2 quad_perm:[2,3,0,1] row_mask:0xf bank_mask:0xf bound_ctrl:1
	v_mov_b32_dpp v6, v1 quad_perm:[2,3,0,1] row_mask:0xf bank_mask:0xf bound_ctrl:1
	v_and_b32_e32 v10, 1, v4
	v_cmp_lt_i64_e64 s[0:1], v[1:2], v[6:7]
	v_mov_b32_dpp v9, v4 quad_perm:[2,3,0,1] row_mask:0xf bank_mask:0xf bound_ctrl:1
	v_cmp_eq_u32_e32 vcc, 1, v10
	v_and_b32_e32 v9, 1, v9
	s_and_b64 vcc, vcc, s[0:1]
	v_cmp_eq_u32_e64 s[2:3], 1, v9
	v_cndmask_b32_e32 v6, v6, v1, vcc
	v_cndmask_b32_e32 v7, v7, v2, vcc
	v_cndmask_b32_e64 v1, v1, v6, s[2:3]
	v_cndmask_b32_e64 v2, v2, v7, s[2:3]
	;; [unrolled: 1-line block ×3, first 2 shown]
	v_mov_b32_dpp v6, v1 row_ror:4 row_mask:0xf bank_mask:0xf bound_ctrl:1
	v_mov_b32_dpp v7, v2 row_ror:4 row_mask:0xf bank_mask:0xf bound_ctrl:1
	v_and_b32_e32 v10, 1, v4
	v_cmp_lt_i64_e64 s[2:3], v[1:2], v[6:7]
	v_mov_b32_dpp v9, v4 row_ror:4 row_mask:0xf bank_mask:0xf bound_ctrl:1
	v_cmp_eq_u32_e32 vcc, 1, v10
	v_and_b32_e32 v9, 1, v9
	s_and_b64 vcc, vcc, s[2:3]
	v_cmp_eq_u32_e64 s[0:1], 1, v9
	v_cndmask_b32_e32 v6, v6, v1, vcc
	v_cndmask_b32_e32 v7, v7, v2, vcc
	v_cndmask_b32_e64 v1, v1, v6, s[0:1]
	v_cndmask_b32_e64 v2, v2, v7, s[0:1]
	v_cndmask_b32_e64 v4, v4, 1, s[0:1]
	v_mov_b32_dpp v6, v1 row_ror:8 row_mask:0xf bank_mask:0xf bound_ctrl:1
	v_mov_b32_dpp v7, v2 row_ror:8 row_mask:0xf bank_mask:0xf bound_ctrl:1
	v_and_b32_e32 v10, 1, v4
	v_cmp_lt_i64_e64 s[2:3], v[1:2], v[6:7]
	v_mov_b32_dpp v9, v4 row_ror:8 row_mask:0xf bank_mask:0xf bound_ctrl:1
	v_cmp_eq_u32_e64 s[8:9], 1, v10
	v_and_b32_e32 v9, 1, v9
	s_and_b64 s[2:3], s[8:9], s[2:3]
	v_cmp_eq_u32_e64 s[10:11], 1, v9
	v_cndmask_b32_e64 v6, v6, v1, s[2:3]
	v_cndmask_b32_e64 v7, v7, v2, s[2:3]
	;; [unrolled: 1-line block ×5, first 2 shown]
	v_mov_b32_dpp v9, v4 row_bcast:15 row_mask:0xf bank_mask:0xf bound_ctrl:1
	v_mov_b32_dpp v6, v1 row_bcast:15 row_mask:0xf bank_mask:0xf bound_ctrl:1
	;; [unrolled: 1-line block ×3, first 2 shown]
	v_and_b32_e32 v10, 1, v4
	v_and_b32_e32 v9, 1, v9
	v_cmp_lt_i64_e64 s[2:3], v[1:2], v[6:7]
	v_cmp_eq_u32_e32 vcc, 1, v10
	v_cmp_eq_u32_e64 s[0:1], 1, v9
	v_cndmask_b32_e64 v4, v4, 1, s[0:1]
	s_and_b64 vcc, vcc, s[2:3]
	v_cndmask_b32_e32 v6, v6, v1, vcc
	v_mov_b32_dpp v9, v4 row_bcast:31 row_mask:0xf bank_mask:0xf bound_ctrl:1
	v_cndmask_b32_e32 v7, v7, v2, vcc
	v_and_b32_e32 v10, 1, v4
	v_and_b32_e32 v9, 1, v9
	v_cndmask_b32_e64 v1, v1, v6, s[0:1]
	v_cndmask_b32_e64 v2, v2, v7, s[0:1]
	v_cmp_eq_u32_e64 s[12:13], 1, v10
	v_cmp_eq_u32_e64 s[8:9], 1, v9
	v_mov_b32_dpp v9, v1 row_bcast:31 row_mask:0xf bank_mask:0xf bound_ctrl:1
	v_mov_b32_dpp v10, v2 row_bcast:31 row_mask:0xf bank_mask:0xf bound_ctrl:1
	v_cmp_lt_i64_e32 vcc, v[1:2], v[9:10]
	v_cndmask_b32_e64 v4, v4, 1, s[8:9]
	s_and_b64 vcc, s[12:13], vcc
	ds_bpermute_b32 v7, v11, v4
	v_cndmask_b32_e32 v4, v9, v1, vcc
	v_cndmask_b32_e32 v6, v10, v2, vcc
	v_cndmask_b32_e64 v1, v1, v4, s[8:9]
	v_cndmask_b32_e64 v2, v2, v6, s[8:9]
	ds_bpermute_b32 v1, v11, v1
	ds_bpermute_b32 v2, v11, v2
	v_cmp_eq_u32_e32 vcc, 0, v3
	s_and_saveexec_b64 s[0:1], vcc
	s_cbranch_execz .LBB463_326
; %bb.325:
	v_lshrrev_b32_e32 v4, 2, v0
	v_and_b32_e32 v4, 16, v4
	s_waitcnt lgkmcnt(2)
	ds_write_b8 v4, v7
	s_waitcnt lgkmcnt(1)
	ds_write_b64 v4, v[1:2] offset:8
.LBB463_326:
	s_or_b64 exec, exec, s[0:1]
	v_cmp_gt_u32_e32 vcc, 64, v0
	s_waitcnt lgkmcnt(0)
	s_barrier
	s_and_saveexec_b64 s[0:1], vcc
	s_cbranch_execz .LBB463_332
; %bb.327:
	v_and_b32_e32 v1, 1, v3
	v_lshlrev_b32_e32 v1, 4, v1
	ds_read_u8 v9, v1
	ds_read_b64 v[3:4], v1 offset:8
	v_or_b32_e32 v2, 4, v5
	s_waitcnt lgkmcnt(1)
	v_and_b32_e32 v1, 0xff, v9
	ds_bpermute_b32 v10, v2, v1
	s_waitcnt lgkmcnt(1)
	ds_bpermute_b32 v5, v2, v3
	ds_bpermute_b32 v6, v2, v4
	s_waitcnt lgkmcnt(2)
	v_and_b32_e32 v1, v9, v10
	v_and_b32_e32 v1, 1, v1
	v_cmp_eq_u32_e32 vcc, 1, v1
                                        ; implicit-def: $vgpr1_vgpr2
	s_and_saveexec_b64 s[2:3], vcc
	s_xor_b64 s[2:3], exec, s[2:3]
	s_cbranch_execz .LBB463_329
; %bb.328:
	s_waitcnt lgkmcnt(0)
	v_cmp_lt_i64_e32 vcc, v[5:6], v[3:4]
                                        ; implicit-def: $vgpr9
                                        ; implicit-def: $vgpr10
	v_cndmask_b32_e32 v2, v4, v6, vcc
	v_cndmask_b32_e32 v1, v3, v5, vcc
                                        ; implicit-def: $vgpr5_vgpr6
                                        ; implicit-def: $vgpr3_vgpr4
.LBB463_329:
	s_or_saveexec_b64 s[2:3], s[2:3]
	v_mov_b32_e32 v7, 1
	s_xor_b64 exec, exec, s[2:3]
	s_cbranch_execz .LBB463_331
; %bb.330:
	v_and_b32_e32 v1, 1, v9
	v_cmp_eq_u32_e32 vcc, 1, v1
	s_waitcnt lgkmcnt(0)
	v_cndmask_b32_e32 v2, v6, v4, vcc
	v_cndmask_b32_e32 v1, v5, v3, vcc
	v_cndmask_b32_e64 v7, v10, 1, vcc
.LBB463_331:
	s_or_b64 exec, exec, s[2:3]
.LBB463_332:
	s_or_b64 exec, exec, s[0:1]
	s_branch .LBB463_387
.LBB463_333:
                                        ; implicit-def: $vgpr3_vgpr4
                                        ; implicit-def: $vgpr5
                                        ; implicit-def: $vgpr1_vgpr2
.LBB463_334:
	s_and_saveexec_b64 s[0:1], s[14:15]
	s_cbranch_execz .LBB463_336
.LBB463_335:
	s_load_dwordx2 s[0:1], s[4:5], 0x18
	v_lshlrev_b64 v[0:1], 4, v[1:2]
	s_waitcnt lgkmcnt(0)
	v_mov_b32_e32 v2, s1
	v_add_co_u32_e32 v0, vcc, s0, v0
	v_addc_co_u32_e32 v1, vcc, v2, v1, vcc
	global_store_byte v[0:1], v5, off
	global_store_dwordx2 v[0:1], v[3:4], off offset:8
.LBB463_336:
	s_endpgm
.LBB463_337:
                                        ; implicit-def: $vgpr1_vgpr2
                                        ; implicit-def: $vgpr7
	s_cbranch_execz .LBB463_387
; %bb.338:
	s_sub_i32 s2, s22, s16
	v_mov_b32_e32 v1, 0
	v_cmp_gt_u32_e32 vcc, s2, v0
	v_mov_b32_e32 v2, 0
	v_mov_b32_e32 v9, 0
	s_and_saveexec_b64 s[0:1], vcc
	s_cbranch_execz .LBB463_340
; %bb.339:
	s_lshl_b64 s[8:9], s[16:17], 4
	s_add_u32 s8, s20, s8
	s_addc_u32 s9, s21, s9
	v_lshlrev_b32_e32 v3, 4, v0
	global_load_ubyte v9, v3, s[8:9]
	global_load_dwordx2 v[1:2], v3, s[8:9] offset:8
.LBB463_340:
	s_or_b64 exec, exec, s[0:1]
	s_waitcnt lgkmcnt(1)
	v_mbcnt_hi_u32_b32 v5, -1, v8
	s_waitcnt lgkmcnt(0)
	v_and_b32_e32 v6, 63, v5
	v_cmp_ne_u32_e32 vcc, 63, v6
	v_addc_co_u32_e32 v3, vcc, 0, v5, vcc
	s_waitcnt vmcnt(1)
	v_and_b32_e32 v7, 0xff, v9
	v_lshlrev_b32_e32 v4, 2, v3
	ds_bpermute_b32 v10, v4, v7
	s_waitcnt vmcnt(0)
	ds_bpermute_b32 v3, v4, v1
	ds_bpermute_b32 v4, v4, v2
	s_min_u32 s8, s2, 0x80
	v_and_b32_e32 v8, 64, v0
	v_sub_u32_e64 v8, s8, v8 clamp
	v_add_u32_e32 v11, 1, v6
	v_cmp_lt_u32_e32 vcc, v11, v8
	s_and_saveexec_b64 s[0:1], vcc
	s_cbranch_execz .LBB463_346
; %bb.341:
	s_waitcnt lgkmcnt(2)
	v_and_b32_e32 v7, v10, v7
	v_cmp_ne_u32_e32 vcc, 0, v7
	s_and_saveexec_b64 s[2:3], vcc
	s_xor_b64 s[2:3], exec, s[2:3]
	s_cbranch_execz .LBB463_343
; %bb.342:
	s_waitcnt lgkmcnt(0)
	v_cmp_lt_i64_e32 vcc, v[3:4], v[1:2]
                                        ; implicit-def: $vgpr9
                                        ; implicit-def: $vgpr10
	v_cndmask_b32_e32 v2, v2, v4, vcc
	v_cndmask_b32_e32 v1, v1, v3, vcc
                                        ; implicit-def: $vgpr3_vgpr4
.LBB463_343:
	s_or_saveexec_b64 s[2:3], s[2:3]
	v_mov_b32_e32 v7, 1
	s_xor_b64 exec, exec, s[2:3]
	s_cbranch_execz .LBB463_345
; %bb.344:
	v_and_b32_e32 v7, 1, v9
	v_cmp_eq_u32_e32 vcc, 1, v7
	s_waitcnt lgkmcnt(1)
	v_cndmask_b32_e32 v1, v3, v1, vcc
	v_and_b32_e32 v3, 0xff, v10
	s_waitcnt lgkmcnt(0)
	v_cndmask_b32_e32 v2, v4, v2, vcc
	v_cndmask_b32_e64 v7, v3, 1, vcc
.LBB463_345:
	s_or_b64 exec, exec, s[2:3]
.LBB463_346:
	s_or_b64 exec, exec, s[0:1]
	v_cmp_gt_u32_e32 vcc, 62, v6
	s_waitcnt lgkmcnt(1)
	v_cndmask_b32_e64 v3, 0, 2, vcc
	s_waitcnt lgkmcnt(0)
	v_add_lshl_u32 v4, v3, v5, 2
	ds_bpermute_b32 v9, v4, v7
	ds_bpermute_b32 v3, v4, v1
	ds_bpermute_b32 v4, v4, v2
	v_add_u32_e32 v10, 2, v6
	v_cmp_lt_u32_e32 vcc, v10, v8
	s_and_saveexec_b64 s[0:1], vcc
	s_cbranch_execz .LBB463_352
; %bb.347:
	s_waitcnt lgkmcnt(2)
	v_and_b32_e32 v10, v7, v9
	v_and_b32_e32 v10, 1, v10
	v_cmp_eq_u32_e32 vcc, 1, v10
	s_and_saveexec_b64 s[2:3], vcc
	s_xor_b64 s[2:3], exec, s[2:3]
	s_cbranch_execz .LBB463_349
; %bb.348:
	s_waitcnt lgkmcnt(0)
	v_cmp_lt_i64_e32 vcc, v[3:4], v[1:2]
                                        ; implicit-def: $vgpr7
                                        ; implicit-def: $vgpr9
	v_cndmask_b32_e32 v2, v2, v4, vcc
	v_cndmask_b32_e32 v1, v1, v3, vcc
                                        ; implicit-def: $vgpr3_vgpr4
.LBB463_349:
	s_or_saveexec_b64 s[2:3], s[2:3]
	v_mov_b32_e32 v10, 1
	s_xor_b64 exec, exec, s[2:3]
	s_cbranch_execz .LBB463_351
; %bb.350:
	v_and_b32_e32 v7, 1, v7
	v_cmp_eq_u32_e32 vcc, 1, v7
	s_waitcnt lgkmcnt(1)
	v_cndmask_b32_e32 v1, v3, v1, vcc
	v_and_b32_e32 v3, 0xff, v9
	s_waitcnt lgkmcnt(0)
	v_cndmask_b32_e32 v2, v4, v2, vcc
	v_cndmask_b32_e64 v10, v3, 1, vcc
.LBB463_351:
	s_or_b64 exec, exec, s[2:3]
	v_mov_b32_e32 v7, v10
.LBB463_352:
	s_or_b64 exec, exec, s[0:1]
	v_cmp_gt_u32_e32 vcc, 60, v6
	s_waitcnt lgkmcnt(1)
	v_cndmask_b32_e64 v3, 0, 4, vcc
	s_waitcnt lgkmcnt(0)
	v_add_lshl_u32 v4, v3, v5, 2
	ds_bpermute_b32 v9, v4, v7
	ds_bpermute_b32 v3, v4, v1
	ds_bpermute_b32 v4, v4, v2
	v_add_u32_e32 v10, 4, v6
	v_cmp_lt_u32_e32 vcc, v10, v8
	s_and_saveexec_b64 s[0:1], vcc
	s_cbranch_execz .LBB463_358
; %bb.353:
	s_waitcnt lgkmcnt(2)
	v_and_b32_e32 v10, v7, v9
	v_and_b32_e32 v10, 1, v10
	v_cmp_eq_u32_e32 vcc, 1, v10
	s_and_saveexec_b64 s[2:3], vcc
	s_xor_b64 s[2:3], exec, s[2:3]
	s_cbranch_execz .LBB463_355
; %bb.354:
	s_waitcnt lgkmcnt(0)
	v_cmp_lt_i64_e32 vcc, v[3:4], v[1:2]
                                        ; implicit-def: $vgpr7
                                        ; implicit-def: $vgpr9
	v_cndmask_b32_e32 v2, v2, v4, vcc
	v_cndmask_b32_e32 v1, v1, v3, vcc
                                        ; implicit-def: $vgpr3_vgpr4
.LBB463_355:
	s_or_saveexec_b64 s[2:3], s[2:3]
	v_mov_b32_e32 v10, 1
	s_xor_b64 exec, exec, s[2:3]
	s_cbranch_execz .LBB463_357
; %bb.356:
	v_and_b32_e32 v7, 1, v7
	v_cmp_eq_u32_e32 vcc, 1, v7
	s_waitcnt lgkmcnt(1)
	v_cndmask_b32_e32 v1, v3, v1, vcc
	v_and_b32_e32 v3, 0xff, v9
	s_waitcnt lgkmcnt(0)
	v_cndmask_b32_e32 v2, v4, v2, vcc
	v_cndmask_b32_e64 v10, v3, 1, vcc
.LBB463_357:
	s_or_b64 exec, exec, s[2:3]
	v_mov_b32_e32 v7, v10
.LBB463_358:
	;; [unrolled: 47-line block ×4, first 2 shown]
	s_or_b64 exec, exec, s[0:1]
	s_waitcnt lgkmcnt(2)
	v_lshlrev_b32_e32 v9, 2, v5
	s_waitcnt lgkmcnt(0)
	v_or_b32_e32 v4, 0x80, v9
	ds_bpermute_b32 v10, v4, v7
	ds_bpermute_b32 v3, v4, v1
	;; [unrolled: 1-line block ×3, first 2 shown]
	v_add_u32_e32 v6, 32, v6
	v_cmp_lt_u32_e32 vcc, v6, v8
	v_mov_b32_e32 v6, v7
	s_and_saveexec_b64 s[0:1], vcc
	s_cbranch_execz .LBB463_376
; %bb.371:
	s_waitcnt lgkmcnt(2)
	v_and_b32_e32 v6, v7, v10
	v_and_b32_e32 v6, 1, v6
	v_cmp_eq_u32_e32 vcc, 1, v6
	s_and_saveexec_b64 s[2:3], vcc
	s_xor_b64 s[2:3], exec, s[2:3]
	s_cbranch_execz .LBB463_373
; %bb.372:
	s_waitcnt lgkmcnt(0)
	v_cmp_lt_i64_e32 vcc, v[3:4], v[1:2]
                                        ; implicit-def: $vgpr7
                                        ; implicit-def: $vgpr10
	v_cndmask_b32_e32 v2, v2, v4, vcc
	v_cndmask_b32_e32 v1, v1, v3, vcc
                                        ; implicit-def: $vgpr3_vgpr4
.LBB463_373:
	s_or_saveexec_b64 s[2:3], s[2:3]
	v_mov_b32_e32 v6, 1
	s_xor_b64 exec, exec, s[2:3]
	s_cbranch_execz .LBB463_375
; %bb.374:
	v_and_b32_e32 v6, 1, v7
	v_cmp_eq_u32_e32 vcc, 1, v6
	v_cndmask_b32_e64 v6, v10, 1, vcc
	s_waitcnt lgkmcnt(0)
	v_cndmask_b32_e32 v2, v4, v2, vcc
	v_cndmask_b32_e32 v1, v3, v1, vcc
.LBB463_375:
	s_or_b64 exec, exec, s[2:3]
	v_and_b32_e32 v7, 0xff, v6
.LBB463_376:
	s_or_b64 exec, exec, s[0:1]
	v_cmp_eq_u32_e32 vcc, 0, v5
	s_and_saveexec_b64 s[0:1], vcc
	s_cbranch_execz .LBB463_378
; %bb.377:
	s_waitcnt lgkmcnt(1)
	v_lshrrev_b32_e32 v3, 2, v0
	v_and_b32_e32 v3, 16, v3
	ds_write_b8 v3, v6 offset:128
	ds_write_b64 v3, v[1:2] offset:136
.LBB463_378:
	s_or_b64 exec, exec, s[0:1]
	v_cmp_gt_u32_e32 vcc, 2, v0
	s_waitcnt lgkmcnt(0)
	s_barrier
	s_and_saveexec_b64 s[0:1], vcc
	s_cbranch_execz .LBB463_386
; %bb.379:
	v_lshlrev_b32_e32 v1, 4, v5
	ds_read_u8 v6, v1 offset:128
	ds_read_b64 v[1:2], v1 offset:136
	v_or_b32_e32 v4, 4, v9
	s_add_i32 s8, s8, 63
	v_and_b32_e32 v5, 1, v5
	s_waitcnt lgkmcnt(1)
	v_and_b32_e32 v7, 0xff, v6
	s_waitcnt lgkmcnt(0)
	ds_bpermute_b32 v3, v4, v1
	ds_bpermute_b32 v8, v4, v7
	;; [unrolled: 1-line block ×3, first 2 shown]
	s_lshr_b32 s2, s8, 6
	v_add_u32_e32 v5, 1, v5
	v_cmp_gt_u32_e32 vcc, s2, v5
	s_and_saveexec_b64 s[2:3], vcc
	s_cbranch_execz .LBB463_385
; %bb.380:
	s_waitcnt lgkmcnt(1)
	v_and_b32_e32 v5, v7, v8
	v_and_b32_e32 v5, 1, v5
	v_cmp_eq_u32_e32 vcc, 1, v5
	s_and_saveexec_b64 s[8:9], vcc
	s_xor_b64 s[8:9], exec, s[8:9]
	s_cbranch_execz .LBB463_382
; %bb.381:
	s_waitcnt lgkmcnt(0)
	v_cmp_lt_i64_e32 vcc, v[3:4], v[1:2]
                                        ; implicit-def: $vgpr6
                                        ; implicit-def: $vgpr8
	v_cndmask_b32_e32 v2, v2, v4, vcc
	v_cndmask_b32_e32 v1, v1, v3, vcc
                                        ; implicit-def: $vgpr3_vgpr4
.LBB463_382:
	s_or_saveexec_b64 s[8:9], s[8:9]
	v_mov_b32_e32 v7, 1
	s_xor_b64 exec, exec, s[8:9]
	s_cbranch_execz .LBB463_384
; %bb.383:
	v_and_b32_e32 v5, 1, v6
	v_cmp_eq_u32_e32 vcc, 1, v5
	s_waitcnt lgkmcnt(0)
	v_cndmask_b32_e32 v2, v4, v2, vcc
	v_cndmask_b32_e32 v1, v3, v1, vcc
	v_cndmask_b32_e64 v7, v8, 1, vcc
.LBB463_384:
	s_or_b64 exec, exec, s[8:9]
.LBB463_385:
	s_or_b64 exec, exec, s[2:3]
.LBB463_386:
	s_or_b64 exec, exec, s[0:1]
.LBB463_387:
	v_cmp_eq_u32_e32 vcc, 0, v0
                                        ; implicit-def: $vgpr3_vgpr4
                                        ; implicit-def: $vgpr5
	s_and_saveexec_b64 s[8:9], vcc
	s_cbranch_execz .LBB463_391
; %bb.388:
	s_waitcnt lgkmcnt(0)
	v_mov_b32_e32 v3, s18
	s_cmp_eq_u64 s[22:23], 0
	v_mov_b32_e32 v4, s19
	v_mov_b32_e32 v5, s28
	s_cbranch_scc1 .LBB463_390
; %bb.389:
	v_and_b32_e32 v0, 1, v7
	v_cmp_gt_i64_e64 s[0:1], s[18:19], v[1:2]
	s_bitcmp1_b32 s28, 0
	v_cmp_eq_u32_e32 vcc, 1, v0
	s_cselect_b64 s[2:3], -1, 0
	v_mov_b32_e32 v0, s18
	s_and_b64 vcc, vcc, s[0:1]
	v_mov_b32_e32 v3, s19
	v_cndmask_b32_e32 v0, v0, v1, vcc
	v_cndmask_b32_e32 v3, v3, v2, vcc
	v_cndmask_b32_e64 v5, v7, 1, s[2:3]
	v_cndmask_b32_e64 v4, v2, v3, s[2:3]
	;; [unrolled: 1-line block ×3, first 2 shown]
.LBB463_390:
	s_or_b64 s[14:15], s[14:15], exec
.LBB463_391:
	s_or_b64 exec, exec, s[8:9]
	v_mov_b32_e32 v1, s6
	v_mov_b32_e32 v2, s7
	s_and_saveexec_b64 s[0:1], s[14:15]
	s_cbranch_execnz .LBB463_335
	s_branch .LBB463_336
	.section	.rodata,"a",@progbits
	.p2align	6, 0x0
	.amdhsa_kernel _ZN7rocprim17ROCPRIM_400000_NS6detail17trampoline_kernelINS0_14default_configENS1_22reduce_config_selectorIN6thrust23THRUST_200600_302600_NS5tupleIblNS6_9null_typeES8_S8_S8_S8_S8_S8_S8_EEEEZNS1_11reduce_implILb1ES3_PS9_SC_S9_NS6_11hip_rocprim9__find_if7functorIS9_EEEE10hipError_tPvRmT1_T2_T3_mT4_P12ihipStream_tbEUlT_E1_NS1_11comp_targetILNS1_3genE2ELNS1_11target_archE906ELNS1_3gpuE6ELNS1_3repE0EEENS1_30default_config_static_selectorELNS0_4arch9wavefront6targetE1EEEvSK_
		.amdhsa_group_segment_fixed_size 160
		.amdhsa_private_segment_fixed_size 0
		.amdhsa_kernarg_size 56
		.amdhsa_user_sgpr_count 6
		.amdhsa_user_sgpr_private_segment_buffer 1
		.amdhsa_user_sgpr_dispatch_ptr 0
		.amdhsa_user_sgpr_queue_ptr 0
		.amdhsa_user_sgpr_kernarg_segment_ptr 1
		.amdhsa_user_sgpr_dispatch_id 0
		.amdhsa_user_sgpr_flat_scratch_init 0
		.amdhsa_user_sgpr_private_segment_size 0
		.amdhsa_uses_dynamic_stack 0
		.amdhsa_system_sgpr_private_segment_wavefront_offset 0
		.amdhsa_system_sgpr_workgroup_id_x 1
		.amdhsa_system_sgpr_workgroup_id_y 0
		.amdhsa_system_sgpr_workgroup_id_z 0
		.amdhsa_system_sgpr_workgroup_info 0
		.amdhsa_system_vgpr_workitem_id 0
		.amdhsa_next_free_vgpr 27
		.amdhsa_next_free_sgpr 36
		.amdhsa_reserve_vcc 1
		.amdhsa_reserve_flat_scratch 0
		.amdhsa_float_round_mode_32 0
		.amdhsa_float_round_mode_16_64 0
		.amdhsa_float_denorm_mode_32 3
		.amdhsa_float_denorm_mode_16_64 3
		.amdhsa_dx10_clamp 1
		.amdhsa_ieee_mode 1
		.amdhsa_fp16_overflow 0
		.amdhsa_exception_fp_ieee_invalid_op 0
		.amdhsa_exception_fp_denorm_src 0
		.amdhsa_exception_fp_ieee_div_zero 0
		.amdhsa_exception_fp_ieee_overflow 0
		.amdhsa_exception_fp_ieee_underflow 0
		.amdhsa_exception_fp_ieee_inexact 0
		.amdhsa_exception_int_div_zero 0
	.end_amdhsa_kernel
	.section	.text._ZN7rocprim17ROCPRIM_400000_NS6detail17trampoline_kernelINS0_14default_configENS1_22reduce_config_selectorIN6thrust23THRUST_200600_302600_NS5tupleIblNS6_9null_typeES8_S8_S8_S8_S8_S8_S8_EEEEZNS1_11reduce_implILb1ES3_PS9_SC_S9_NS6_11hip_rocprim9__find_if7functorIS9_EEEE10hipError_tPvRmT1_T2_T3_mT4_P12ihipStream_tbEUlT_E1_NS1_11comp_targetILNS1_3genE2ELNS1_11target_archE906ELNS1_3gpuE6ELNS1_3repE0EEENS1_30default_config_static_selectorELNS0_4arch9wavefront6targetE1EEEvSK_,"axG",@progbits,_ZN7rocprim17ROCPRIM_400000_NS6detail17trampoline_kernelINS0_14default_configENS1_22reduce_config_selectorIN6thrust23THRUST_200600_302600_NS5tupleIblNS6_9null_typeES8_S8_S8_S8_S8_S8_S8_EEEEZNS1_11reduce_implILb1ES3_PS9_SC_S9_NS6_11hip_rocprim9__find_if7functorIS9_EEEE10hipError_tPvRmT1_T2_T3_mT4_P12ihipStream_tbEUlT_E1_NS1_11comp_targetILNS1_3genE2ELNS1_11target_archE906ELNS1_3gpuE6ELNS1_3repE0EEENS1_30default_config_static_selectorELNS0_4arch9wavefront6targetE1EEEvSK_,comdat
.Lfunc_end463:
	.size	_ZN7rocprim17ROCPRIM_400000_NS6detail17trampoline_kernelINS0_14default_configENS1_22reduce_config_selectorIN6thrust23THRUST_200600_302600_NS5tupleIblNS6_9null_typeES8_S8_S8_S8_S8_S8_S8_EEEEZNS1_11reduce_implILb1ES3_PS9_SC_S9_NS6_11hip_rocprim9__find_if7functorIS9_EEEE10hipError_tPvRmT1_T2_T3_mT4_P12ihipStream_tbEUlT_E1_NS1_11comp_targetILNS1_3genE2ELNS1_11target_archE906ELNS1_3gpuE6ELNS1_3repE0EEENS1_30default_config_static_selectorELNS0_4arch9wavefront6targetE1EEEvSK_, .Lfunc_end463-_ZN7rocprim17ROCPRIM_400000_NS6detail17trampoline_kernelINS0_14default_configENS1_22reduce_config_selectorIN6thrust23THRUST_200600_302600_NS5tupleIblNS6_9null_typeES8_S8_S8_S8_S8_S8_S8_EEEEZNS1_11reduce_implILb1ES3_PS9_SC_S9_NS6_11hip_rocprim9__find_if7functorIS9_EEEE10hipError_tPvRmT1_T2_T3_mT4_P12ihipStream_tbEUlT_E1_NS1_11comp_targetILNS1_3genE2ELNS1_11target_archE906ELNS1_3gpuE6ELNS1_3repE0EEENS1_30default_config_static_selectorELNS0_4arch9wavefront6targetE1EEEvSK_
                                        ; -- End function
	.set _ZN7rocprim17ROCPRIM_400000_NS6detail17trampoline_kernelINS0_14default_configENS1_22reduce_config_selectorIN6thrust23THRUST_200600_302600_NS5tupleIblNS6_9null_typeES8_S8_S8_S8_S8_S8_S8_EEEEZNS1_11reduce_implILb1ES3_PS9_SC_S9_NS6_11hip_rocprim9__find_if7functorIS9_EEEE10hipError_tPvRmT1_T2_T3_mT4_P12ihipStream_tbEUlT_E1_NS1_11comp_targetILNS1_3genE2ELNS1_11target_archE906ELNS1_3gpuE6ELNS1_3repE0EEENS1_30default_config_static_selectorELNS0_4arch9wavefront6targetE1EEEvSK_.num_vgpr, 27
	.set _ZN7rocprim17ROCPRIM_400000_NS6detail17trampoline_kernelINS0_14default_configENS1_22reduce_config_selectorIN6thrust23THRUST_200600_302600_NS5tupleIblNS6_9null_typeES8_S8_S8_S8_S8_S8_S8_EEEEZNS1_11reduce_implILb1ES3_PS9_SC_S9_NS6_11hip_rocprim9__find_if7functorIS9_EEEE10hipError_tPvRmT1_T2_T3_mT4_P12ihipStream_tbEUlT_E1_NS1_11comp_targetILNS1_3genE2ELNS1_11target_archE906ELNS1_3gpuE6ELNS1_3repE0EEENS1_30default_config_static_selectorELNS0_4arch9wavefront6targetE1EEEvSK_.num_agpr, 0
	.set _ZN7rocprim17ROCPRIM_400000_NS6detail17trampoline_kernelINS0_14default_configENS1_22reduce_config_selectorIN6thrust23THRUST_200600_302600_NS5tupleIblNS6_9null_typeES8_S8_S8_S8_S8_S8_S8_EEEEZNS1_11reduce_implILb1ES3_PS9_SC_S9_NS6_11hip_rocprim9__find_if7functorIS9_EEEE10hipError_tPvRmT1_T2_T3_mT4_P12ihipStream_tbEUlT_E1_NS1_11comp_targetILNS1_3genE2ELNS1_11target_archE906ELNS1_3gpuE6ELNS1_3repE0EEENS1_30default_config_static_selectorELNS0_4arch9wavefront6targetE1EEEvSK_.numbered_sgpr, 36
	.set _ZN7rocprim17ROCPRIM_400000_NS6detail17trampoline_kernelINS0_14default_configENS1_22reduce_config_selectorIN6thrust23THRUST_200600_302600_NS5tupleIblNS6_9null_typeES8_S8_S8_S8_S8_S8_S8_EEEEZNS1_11reduce_implILb1ES3_PS9_SC_S9_NS6_11hip_rocprim9__find_if7functorIS9_EEEE10hipError_tPvRmT1_T2_T3_mT4_P12ihipStream_tbEUlT_E1_NS1_11comp_targetILNS1_3genE2ELNS1_11target_archE906ELNS1_3gpuE6ELNS1_3repE0EEENS1_30default_config_static_selectorELNS0_4arch9wavefront6targetE1EEEvSK_.num_named_barrier, 0
	.set _ZN7rocprim17ROCPRIM_400000_NS6detail17trampoline_kernelINS0_14default_configENS1_22reduce_config_selectorIN6thrust23THRUST_200600_302600_NS5tupleIblNS6_9null_typeES8_S8_S8_S8_S8_S8_S8_EEEEZNS1_11reduce_implILb1ES3_PS9_SC_S9_NS6_11hip_rocprim9__find_if7functorIS9_EEEE10hipError_tPvRmT1_T2_T3_mT4_P12ihipStream_tbEUlT_E1_NS1_11comp_targetILNS1_3genE2ELNS1_11target_archE906ELNS1_3gpuE6ELNS1_3repE0EEENS1_30default_config_static_selectorELNS0_4arch9wavefront6targetE1EEEvSK_.private_seg_size, 0
	.set _ZN7rocprim17ROCPRIM_400000_NS6detail17trampoline_kernelINS0_14default_configENS1_22reduce_config_selectorIN6thrust23THRUST_200600_302600_NS5tupleIblNS6_9null_typeES8_S8_S8_S8_S8_S8_S8_EEEEZNS1_11reduce_implILb1ES3_PS9_SC_S9_NS6_11hip_rocprim9__find_if7functorIS9_EEEE10hipError_tPvRmT1_T2_T3_mT4_P12ihipStream_tbEUlT_E1_NS1_11comp_targetILNS1_3genE2ELNS1_11target_archE906ELNS1_3gpuE6ELNS1_3repE0EEENS1_30default_config_static_selectorELNS0_4arch9wavefront6targetE1EEEvSK_.uses_vcc, 1
	.set _ZN7rocprim17ROCPRIM_400000_NS6detail17trampoline_kernelINS0_14default_configENS1_22reduce_config_selectorIN6thrust23THRUST_200600_302600_NS5tupleIblNS6_9null_typeES8_S8_S8_S8_S8_S8_S8_EEEEZNS1_11reduce_implILb1ES3_PS9_SC_S9_NS6_11hip_rocprim9__find_if7functorIS9_EEEE10hipError_tPvRmT1_T2_T3_mT4_P12ihipStream_tbEUlT_E1_NS1_11comp_targetILNS1_3genE2ELNS1_11target_archE906ELNS1_3gpuE6ELNS1_3repE0EEENS1_30default_config_static_selectorELNS0_4arch9wavefront6targetE1EEEvSK_.uses_flat_scratch, 0
	.set _ZN7rocprim17ROCPRIM_400000_NS6detail17trampoline_kernelINS0_14default_configENS1_22reduce_config_selectorIN6thrust23THRUST_200600_302600_NS5tupleIblNS6_9null_typeES8_S8_S8_S8_S8_S8_S8_EEEEZNS1_11reduce_implILb1ES3_PS9_SC_S9_NS6_11hip_rocprim9__find_if7functorIS9_EEEE10hipError_tPvRmT1_T2_T3_mT4_P12ihipStream_tbEUlT_E1_NS1_11comp_targetILNS1_3genE2ELNS1_11target_archE906ELNS1_3gpuE6ELNS1_3repE0EEENS1_30default_config_static_selectorELNS0_4arch9wavefront6targetE1EEEvSK_.has_dyn_sized_stack, 0
	.set _ZN7rocprim17ROCPRIM_400000_NS6detail17trampoline_kernelINS0_14default_configENS1_22reduce_config_selectorIN6thrust23THRUST_200600_302600_NS5tupleIblNS6_9null_typeES8_S8_S8_S8_S8_S8_S8_EEEEZNS1_11reduce_implILb1ES3_PS9_SC_S9_NS6_11hip_rocprim9__find_if7functorIS9_EEEE10hipError_tPvRmT1_T2_T3_mT4_P12ihipStream_tbEUlT_E1_NS1_11comp_targetILNS1_3genE2ELNS1_11target_archE906ELNS1_3gpuE6ELNS1_3repE0EEENS1_30default_config_static_selectorELNS0_4arch9wavefront6targetE1EEEvSK_.has_recursion, 0
	.set _ZN7rocprim17ROCPRIM_400000_NS6detail17trampoline_kernelINS0_14default_configENS1_22reduce_config_selectorIN6thrust23THRUST_200600_302600_NS5tupleIblNS6_9null_typeES8_S8_S8_S8_S8_S8_S8_EEEEZNS1_11reduce_implILb1ES3_PS9_SC_S9_NS6_11hip_rocprim9__find_if7functorIS9_EEEE10hipError_tPvRmT1_T2_T3_mT4_P12ihipStream_tbEUlT_E1_NS1_11comp_targetILNS1_3genE2ELNS1_11target_archE906ELNS1_3gpuE6ELNS1_3repE0EEENS1_30default_config_static_selectorELNS0_4arch9wavefront6targetE1EEEvSK_.has_indirect_call, 0
	.section	.AMDGPU.csdata,"",@progbits
; Kernel info:
; codeLenInByte = 13204
; TotalNumSgprs: 40
; NumVgprs: 27
; ScratchSize: 0
; MemoryBound: 0
; FloatMode: 240
; IeeeMode: 1
; LDSByteSize: 160 bytes/workgroup (compile time only)
; SGPRBlocks: 4
; VGPRBlocks: 6
; NumSGPRsForWavesPerEU: 40
; NumVGPRsForWavesPerEU: 27
; Occupancy: 9
; WaveLimiterHint : 1
; COMPUTE_PGM_RSRC2:SCRATCH_EN: 0
; COMPUTE_PGM_RSRC2:USER_SGPR: 6
; COMPUTE_PGM_RSRC2:TRAP_HANDLER: 0
; COMPUTE_PGM_RSRC2:TGID_X_EN: 1
; COMPUTE_PGM_RSRC2:TGID_Y_EN: 0
; COMPUTE_PGM_RSRC2:TGID_Z_EN: 0
; COMPUTE_PGM_RSRC2:TIDIG_COMP_CNT: 0
	.section	.text._ZN7rocprim17ROCPRIM_400000_NS6detail17trampoline_kernelINS0_14default_configENS1_22reduce_config_selectorIN6thrust23THRUST_200600_302600_NS5tupleIblNS6_9null_typeES8_S8_S8_S8_S8_S8_S8_EEEEZNS1_11reduce_implILb1ES3_PS9_SC_S9_NS6_11hip_rocprim9__find_if7functorIS9_EEEE10hipError_tPvRmT1_T2_T3_mT4_P12ihipStream_tbEUlT_E1_NS1_11comp_targetILNS1_3genE10ELNS1_11target_archE1201ELNS1_3gpuE5ELNS1_3repE0EEENS1_30default_config_static_selectorELNS0_4arch9wavefront6targetE1EEEvSK_,"axG",@progbits,_ZN7rocprim17ROCPRIM_400000_NS6detail17trampoline_kernelINS0_14default_configENS1_22reduce_config_selectorIN6thrust23THRUST_200600_302600_NS5tupleIblNS6_9null_typeES8_S8_S8_S8_S8_S8_S8_EEEEZNS1_11reduce_implILb1ES3_PS9_SC_S9_NS6_11hip_rocprim9__find_if7functorIS9_EEEE10hipError_tPvRmT1_T2_T3_mT4_P12ihipStream_tbEUlT_E1_NS1_11comp_targetILNS1_3genE10ELNS1_11target_archE1201ELNS1_3gpuE5ELNS1_3repE0EEENS1_30default_config_static_selectorELNS0_4arch9wavefront6targetE1EEEvSK_,comdat
	.protected	_ZN7rocprim17ROCPRIM_400000_NS6detail17trampoline_kernelINS0_14default_configENS1_22reduce_config_selectorIN6thrust23THRUST_200600_302600_NS5tupleIblNS6_9null_typeES8_S8_S8_S8_S8_S8_S8_EEEEZNS1_11reduce_implILb1ES3_PS9_SC_S9_NS6_11hip_rocprim9__find_if7functorIS9_EEEE10hipError_tPvRmT1_T2_T3_mT4_P12ihipStream_tbEUlT_E1_NS1_11comp_targetILNS1_3genE10ELNS1_11target_archE1201ELNS1_3gpuE5ELNS1_3repE0EEENS1_30default_config_static_selectorELNS0_4arch9wavefront6targetE1EEEvSK_ ; -- Begin function _ZN7rocprim17ROCPRIM_400000_NS6detail17trampoline_kernelINS0_14default_configENS1_22reduce_config_selectorIN6thrust23THRUST_200600_302600_NS5tupleIblNS6_9null_typeES8_S8_S8_S8_S8_S8_S8_EEEEZNS1_11reduce_implILb1ES3_PS9_SC_S9_NS6_11hip_rocprim9__find_if7functorIS9_EEEE10hipError_tPvRmT1_T2_T3_mT4_P12ihipStream_tbEUlT_E1_NS1_11comp_targetILNS1_3genE10ELNS1_11target_archE1201ELNS1_3gpuE5ELNS1_3repE0EEENS1_30default_config_static_selectorELNS0_4arch9wavefront6targetE1EEEvSK_
	.globl	_ZN7rocprim17ROCPRIM_400000_NS6detail17trampoline_kernelINS0_14default_configENS1_22reduce_config_selectorIN6thrust23THRUST_200600_302600_NS5tupleIblNS6_9null_typeES8_S8_S8_S8_S8_S8_S8_EEEEZNS1_11reduce_implILb1ES3_PS9_SC_S9_NS6_11hip_rocprim9__find_if7functorIS9_EEEE10hipError_tPvRmT1_T2_T3_mT4_P12ihipStream_tbEUlT_E1_NS1_11comp_targetILNS1_3genE10ELNS1_11target_archE1201ELNS1_3gpuE5ELNS1_3repE0EEENS1_30default_config_static_selectorELNS0_4arch9wavefront6targetE1EEEvSK_
	.p2align	8
	.type	_ZN7rocprim17ROCPRIM_400000_NS6detail17trampoline_kernelINS0_14default_configENS1_22reduce_config_selectorIN6thrust23THRUST_200600_302600_NS5tupleIblNS6_9null_typeES8_S8_S8_S8_S8_S8_S8_EEEEZNS1_11reduce_implILb1ES3_PS9_SC_S9_NS6_11hip_rocprim9__find_if7functorIS9_EEEE10hipError_tPvRmT1_T2_T3_mT4_P12ihipStream_tbEUlT_E1_NS1_11comp_targetILNS1_3genE10ELNS1_11target_archE1201ELNS1_3gpuE5ELNS1_3repE0EEENS1_30default_config_static_selectorELNS0_4arch9wavefront6targetE1EEEvSK_,@function
_ZN7rocprim17ROCPRIM_400000_NS6detail17trampoline_kernelINS0_14default_configENS1_22reduce_config_selectorIN6thrust23THRUST_200600_302600_NS5tupleIblNS6_9null_typeES8_S8_S8_S8_S8_S8_S8_EEEEZNS1_11reduce_implILb1ES3_PS9_SC_S9_NS6_11hip_rocprim9__find_if7functorIS9_EEEE10hipError_tPvRmT1_T2_T3_mT4_P12ihipStream_tbEUlT_E1_NS1_11comp_targetILNS1_3genE10ELNS1_11target_archE1201ELNS1_3gpuE5ELNS1_3repE0EEENS1_30default_config_static_selectorELNS0_4arch9wavefront6targetE1EEEvSK_: ; @_ZN7rocprim17ROCPRIM_400000_NS6detail17trampoline_kernelINS0_14default_configENS1_22reduce_config_selectorIN6thrust23THRUST_200600_302600_NS5tupleIblNS6_9null_typeES8_S8_S8_S8_S8_S8_S8_EEEEZNS1_11reduce_implILb1ES3_PS9_SC_S9_NS6_11hip_rocprim9__find_if7functorIS9_EEEE10hipError_tPvRmT1_T2_T3_mT4_P12ihipStream_tbEUlT_E1_NS1_11comp_targetILNS1_3genE10ELNS1_11target_archE1201ELNS1_3gpuE5ELNS1_3repE0EEENS1_30default_config_static_selectorELNS0_4arch9wavefront6targetE1EEEvSK_
; %bb.0:
	.section	.rodata,"a",@progbits
	.p2align	6, 0x0
	.amdhsa_kernel _ZN7rocprim17ROCPRIM_400000_NS6detail17trampoline_kernelINS0_14default_configENS1_22reduce_config_selectorIN6thrust23THRUST_200600_302600_NS5tupleIblNS6_9null_typeES8_S8_S8_S8_S8_S8_S8_EEEEZNS1_11reduce_implILb1ES3_PS9_SC_S9_NS6_11hip_rocprim9__find_if7functorIS9_EEEE10hipError_tPvRmT1_T2_T3_mT4_P12ihipStream_tbEUlT_E1_NS1_11comp_targetILNS1_3genE10ELNS1_11target_archE1201ELNS1_3gpuE5ELNS1_3repE0EEENS1_30default_config_static_selectorELNS0_4arch9wavefront6targetE1EEEvSK_
		.amdhsa_group_segment_fixed_size 0
		.amdhsa_private_segment_fixed_size 0
		.amdhsa_kernarg_size 56
		.amdhsa_user_sgpr_count 6
		.amdhsa_user_sgpr_private_segment_buffer 1
		.amdhsa_user_sgpr_dispatch_ptr 0
		.amdhsa_user_sgpr_queue_ptr 0
		.amdhsa_user_sgpr_kernarg_segment_ptr 1
		.amdhsa_user_sgpr_dispatch_id 0
		.amdhsa_user_sgpr_flat_scratch_init 0
		.amdhsa_user_sgpr_private_segment_size 0
		.amdhsa_uses_dynamic_stack 0
		.amdhsa_system_sgpr_private_segment_wavefront_offset 0
		.amdhsa_system_sgpr_workgroup_id_x 1
		.amdhsa_system_sgpr_workgroup_id_y 0
		.amdhsa_system_sgpr_workgroup_id_z 0
		.amdhsa_system_sgpr_workgroup_info 0
		.amdhsa_system_vgpr_workitem_id 0
		.amdhsa_next_free_vgpr 1
		.amdhsa_next_free_sgpr 0
		.amdhsa_reserve_vcc 0
		.amdhsa_reserve_flat_scratch 0
		.amdhsa_float_round_mode_32 0
		.amdhsa_float_round_mode_16_64 0
		.amdhsa_float_denorm_mode_32 3
		.amdhsa_float_denorm_mode_16_64 3
		.amdhsa_dx10_clamp 1
		.amdhsa_ieee_mode 1
		.amdhsa_fp16_overflow 0
		.amdhsa_exception_fp_ieee_invalid_op 0
		.amdhsa_exception_fp_denorm_src 0
		.amdhsa_exception_fp_ieee_div_zero 0
		.amdhsa_exception_fp_ieee_overflow 0
		.amdhsa_exception_fp_ieee_underflow 0
		.amdhsa_exception_fp_ieee_inexact 0
		.amdhsa_exception_int_div_zero 0
	.end_amdhsa_kernel
	.section	.text._ZN7rocprim17ROCPRIM_400000_NS6detail17trampoline_kernelINS0_14default_configENS1_22reduce_config_selectorIN6thrust23THRUST_200600_302600_NS5tupleIblNS6_9null_typeES8_S8_S8_S8_S8_S8_S8_EEEEZNS1_11reduce_implILb1ES3_PS9_SC_S9_NS6_11hip_rocprim9__find_if7functorIS9_EEEE10hipError_tPvRmT1_T2_T3_mT4_P12ihipStream_tbEUlT_E1_NS1_11comp_targetILNS1_3genE10ELNS1_11target_archE1201ELNS1_3gpuE5ELNS1_3repE0EEENS1_30default_config_static_selectorELNS0_4arch9wavefront6targetE1EEEvSK_,"axG",@progbits,_ZN7rocprim17ROCPRIM_400000_NS6detail17trampoline_kernelINS0_14default_configENS1_22reduce_config_selectorIN6thrust23THRUST_200600_302600_NS5tupleIblNS6_9null_typeES8_S8_S8_S8_S8_S8_S8_EEEEZNS1_11reduce_implILb1ES3_PS9_SC_S9_NS6_11hip_rocprim9__find_if7functorIS9_EEEE10hipError_tPvRmT1_T2_T3_mT4_P12ihipStream_tbEUlT_E1_NS1_11comp_targetILNS1_3genE10ELNS1_11target_archE1201ELNS1_3gpuE5ELNS1_3repE0EEENS1_30default_config_static_selectorELNS0_4arch9wavefront6targetE1EEEvSK_,comdat
.Lfunc_end464:
	.size	_ZN7rocprim17ROCPRIM_400000_NS6detail17trampoline_kernelINS0_14default_configENS1_22reduce_config_selectorIN6thrust23THRUST_200600_302600_NS5tupleIblNS6_9null_typeES8_S8_S8_S8_S8_S8_S8_EEEEZNS1_11reduce_implILb1ES3_PS9_SC_S9_NS6_11hip_rocprim9__find_if7functorIS9_EEEE10hipError_tPvRmT1_T2_T3_mT4_P12ihipStream_tbEUlT_E1_NS1_11comp_targetILNS1_3genE10ELNS1_11target_archE1201ELNS1_3gpuE5ELNS1_3repE0EEENS1_30default_config_static_selectorELNS0_4arch9wavefront6targetE1EEEvSK_, .Lfunc_end464-_ZN7rocprim17ROCPRIM_400000_NS6detail17trampoline_kernelINS0_14default_configENS1_22reduce_config_selectorIN6thrust23THRUST_200600_302600_NS5tupleIblNS6_9null_typeES8_S8_S8_S8_S8_S8_S8_EEEEZNS1_11reduce_implILb1ES3_PS9_SC_S9_NS6_11hip_rocprim9__find_if7functorIS9_EEEE10hipError_tPvRmT1_T2_T3_mT4_P12ihipStream_tbEUlT_E1_NS1_11comp_targetILNS1_3genE10ELNS1_11target_archE1201ELNS1_3gpuE5ELNS1_3repE0EEENS1_30default_config_static_selectorELNS0_4arch9wavefront6targetE1EEEvSK_
                                        ; -- End function
	.set _ZN7rocprim17ROCPRIM_400000_NS6detail17trampoline_kernelINS0_14default_configENS1_22reduce_config_selectorIN6thrust23THRUST_200600_302600_NS5tupleIblNS6_9null_typeES8_S8_S8_S8_S8_S8_S8_EEEEZNS1_11reduce_implILb1ES3_PS9_SC_S9_NS6_11hip_rocprim9__find_if7functorIS9_EEEE10hipError_tPvRmT1_T2_T3_mT4_P12ihipStream_tbEUlT_E1_NS1_11comp_targetILNS1_3genE10ELNS1_11target_archE1201ELNS1_3gpuE5ELNS1_3repE0EEENS1_30default_config_static_selectorELNS0_4arch9wavefront6targetE1EEEvSK_.num_vgpr, 0
	.set _ZN7rocprim17ROCPRIM_400000_NS6detail17trampoline_kernelINS0_14default_configENS1_22reduce_config_selectorIN6thrust23THRUST_200600_302600_NS5tupleIblNS6_9null_typeES8_S8_S8_S8_S8_S8_S8_EEEEZNS1_11reduce_implILb1ES3_PS9_SC_S9_NS6_11hip_rocprim9__find_if7functorIS9_EEEE10hipError_tPvRmT1_T2_T3_mT4_P12ihipStream_tbEUlT_E1_NS1_11comp_targetILNS1_3genE10ELNS1_11target_archE1201ELNS1_3gpuE5ELNS1_3repE0EEENS1_30default_config_static_selectorELNS0_4arch9wavefront6targetE1EEEvSK_.num_agpr, 0
	.set _ZN7rocprim17ROCPRIM_400000_NS6detail17trampoline_kernelINS0_14default_configENS1_22reduce_config_selectorIN6thrust23THRUST_200600_302600_NS5tupleIblNS6_9null_typeES8_S8_S8_S8_S8_S8_S8_EEEEZNS1_11reduce_implILb1ES3_PS9_SC_S9_NS6_11hip_rocprim9__find_if7functorIS9_EEEE10hipError_tPvRmT1_T2_T3_mT4_P12ihipStream_tbEUlT_E1_NS1_11comp_targetILNS1_3genE10ELNS1_11target_archE1201ELNS1_3gpuE5ELNS1_3repE0EEENS1_30default_config_static_selectorELNS0_4arch9wavefront6targetE1EEEvSK_.numbered_sgpr, 0
	.set _ZN7rocprim17ROCPRIM_400000_NS6detail17trampoline_kernelINS0_14default_configENS1_22reduce_config_selectorIN6thrust23THRUST_200600_302600_NS5tupleIblNS6_9null_typeES8_S8_S8_S8_S8_S8_S8_EEEEZNS1_11reduce_implILb1ES3_PS9_SC_S9_NS6_11hip_rocprim9__find_if7functorIS9_EEEE10hipError_tPvRmT1_T2_T3_mT4_P12ihipStream_tbEUlT_E1_NS1_11comp_targetILNS1_3genE10ELNS1_11target_archE1201ELNS1_3gpuE5ELNS1_3repE0EEENS1_30default_config_static_selectorELNS0_4arch9wavefront6targetE1EEEvSK_.num_named_barrier, 0
	.set _ZN7rocprim17ROCPRIM_400000_NS6detail17trampoline_kernelINS0_14default_configENS1_22reduce_config_selectorIN6thrust23THRUST_200600_302600_NS5tupleIblNS6_9null_typeES8_S8_S8_S8_S8_S8_S8_EEEEZNS1_11reduce_implILb1ES3_PS9_SC_S9_NS6_11hip_rocprim9__find_if7functorIS9_EEEE10hipError_tPvRmT1_T2_T3_mT4_P12ihipStream_tbEUlT_E1_NS1_11comp_targetILNS1_3genE10ELNS1_11target_archE1201ELNS1_3gpuE5ELNS1_3repE0EEENS1_30default_config_static_selectorELNS0_4arch9wavefront6targetE1EEEvSK_.private_seg_size, 0
	.set _ZN7rocprim17ROCPRIM_400000_NS6detail17trampoline_kernelINS0_14default_configENS1_22reduce_config_selectorIN6thrust23THRUST_200600_302600_NS5tupleIblNS6_9null_typeES8_S8_S8_S8_S8_S8_S8_EEEEZNS1_11reduce_implILb1ES3_PS9_SC_S9_NS6_11hip_rocprim9__find_if7functorIS9_EEEE10hipError_tPvRmT1_T2_T3_mT4_P12ihipStream_tbEUlT_E1_NS1_11comp_targetILNS1_3genE10ELNS1_11target_archE1201ELNS1_3gpuE5ELNS1_3repE0EEENS1_30default_config_static_selectorELNS0_4arch9wavefront6targetE1EEEvSK_.uses_vcc, 0
	.set _ZN7rocprim17ROCPRIM_400000_NS6detail17trampoline_kernelINS0_14default_configENS1_22reduce_config_selectorIN6thrust23THRUST_200600_302600_NS5tupleIblNS6_9null_typeES8_S8_S8_S8_S8_S8_S8_EEEEZNS1_11reduce_implILb1ES3_PS9_SC_S9_NS6_11hip_rocprim9__find_if7functorIS9_EEEE10hipError_tPvRmT1_T2_T3_mT4_P12ihipStream_tbEUlT_E1_NS1_11comp_targetILNS1_3genE10ELNS1_11target_archE1201ELNS1_3gpuE5ELNS1_3repE0EEENS1_30default_config_static_selectorELNS0_4arch9wavefront6targetE1EEEvSK_.uses_flat_scratch, 0
	.set _ZN7rocprim17ROCPRIM_400000_NS6detail17trampoline_kernelINS0_14default_configENS1_22reduce_config_selectorIN6thrust23THRUST_200600_302600_NS5tupleIblNS6_9null_typeES8_S8_S8_S8_S8_S8_S8_EEEEZNS1_11reduce_implILb1ES3_PS9_SC_S9_NS6_11hip_rocprim9__find_if7functorIS9_EEEE10hipError_tPvRmT1_T2_T3_mT4_P12ihipStream_tbEUlT_E1_NS1_11comp_targetILNS1_3genE10ELNS1_11target_archE1201ELNS1_3gpuE5ELNS1_3repE0EEENS1_30default_config_static_selectorELNS0_4arch9wavefront6targetE1EEEvSK_.has_dyn_sized_stack, 0
	.set _ZN7rocprim17ROCPRIM_400000_NS6detail17trampoline_kernelINS0_14default_configENS1_22reduce_config_selectorIN6thrust23THRUST_200600_302600_NS5tupleIblNS6_9null_typeES8_S8_S8_S8_S8_S8_S8_EEEEZNS1_11reduce_implILb1ES3_PS9_SC_S9_NS6_11hip_rocprim9__find_if7functorIS9_EEEE10hipError_tPvRmT1_T2_T3_mT4_P12ihipStream_tbEUlT_E1_NS1_11comp_targetILNS1_3genE10ELNS1_11target_archE1201ELNS1_3gpuE5ELNS1_3repE0EEENS1_30default_config_static_selectorELNS0_4arch9wavefront6targetE1EEEvSK_.has_recursion, 0
	.set _ZN7rocprim17ROCPRIM_400000_NS6detail17trampoline_kernelINS0_14default_configENS1_22reduce_config_selectorIN6thrust23THRUST_200600_302600_NS5tupleIblNS6_9null_typeES8_S8_S8_S8_S8_S8_S8_EEEEZNS1_11reduce_implILb1ES3_PS9_SC_S9_NS6_11hip_rocprim9__find_if7functorIS9_EEEE10hipError_tPvRmT1_T2_T3_mT4_P12ihipStream_tbEUlT_E1_NS1_11comp_targetILNS1_3genE10ELNS1_11target_archE1201ELNS1_3gpuE5ELNS1_3repE0EEENS1_30default_config_static_selectorELNS0_4arch9wavefront6targetE1EEEvSK_.has_indirect_call, 0
	.section	.AMDGPU.csdata,"",@progbits
; Kernel info:
; codeLenInByte = 0
; TotalNumSgprs: 4
; NumVgprs: 0
; ScratchSize: 0
; MemoryBound: 0
; FloatMode: 240
; IeeeMode: 1
; LDSByteSize: 0 bytes/workgroup (compile time only)
; SGPRBlocks: 0
; VGPRBlocks: 0
; NumSGPRsForWavesPerEU: 4
; NumVGPRsForWavesPerEU: 1
; Occupancy: 10
; WaveLimiterHint : 0
; COMPUTE_PGM_RSRC2:SCRATCH_EN: 0
; COMPUTE_PGM_RSRC2:USER_SGPR: 6
; COMPUTE_PGM_RSRC2:TRAP_HANDLER: 0
; COMPUTE_PGM_RSRC2:TGID_X_EN: 1
; COMPUTE_PGM_RSRC2:TGID_Y_EN: 0
; COMPUTE_PGM_RSRC2:TGID_Z_EN: 0
; COMPUTE_PGM_RSRC2:TIDIG_COMP_CNT: 0
	.section	.text._ZN7rocprim17ROCPRIM_400000_NS6detail17trampoline_kernelINS0_14default_configENS1_22reduce_config_selectorIN6thrust23THRUST_200600_302600_NS5tupleIblNS6_9null_typeES8_S8_S8_S8_S8_S8_S8_EEEEZNS1_11reduce_implILb1ES3_PS9_SC_S9_NS6_11hip_rocprim9__find_if7functorIS9_EEEE10hipError_tPvRmT1_T2_T3_mT4_P12ihipStream_tbEUlT_E1_NS1_11comp_targetILNS1_3genE10ELNS1_11target_archE1200ELNS1_3gpuE4ELNS1_3repE0EEENS1_30default_config_static_selectorELNS0_4arch9wavefront6targetE1EEEvSK_,"axG",@progbits,_ZN7rocprim17ROCPRIM_400000_NS6detail17trampoline_kernelINS0_14default_configENS1_22reduce_config_selectorIN6thrust23THRUST_200600_302600_NS5tupleIblNS6_9null_typeES8_S8_S8_S8_S8_S8_S8_EEEEZNS1_11reduce_implILb1ES3_PS9_SC_S9_NS6_11hip_rocprim9__find_if7functorIS9_EEEE10hipError_tPvRmT1_T2_T3_mT4_P12ihipStream_tbEUlT_E1_NS1_11comp_targetILNS1_3genE10ELNS1_11target_archE1200ELNS1_3gpuE4ELNS1_3repE0EEENS1_30default_config_static_selectorELNS0_4arch9wavefront6targetE1EEEvSK_,comdat
	.protected	_ZN7rocprim17ROCPRIM_400000_NS6detail17trampoline_kernelINS0_14default_configENS1_22reduce_config_selectorIN6thrust23THRUST_200600_302600_NS5tupleIblNS6_9null_typeES8_S8_S8_S8_S8_S8_S8_EEEEZNS1_11reduce_implILb1ES3_PS9_SC_S9_NS6_11hip_rocprim9__find_if7functorIS9_EEEE10hipError_tPvRmT1_T2_T3_mT4_P12ihipStream_tbEUlT_E1_NS1_11comp_targetILNS1_3genE10ELNS1_11target_archE1200ELNS1_3gpuE4ELNS1_3repE0EEENS1_30default_config_static_selectorELNS0_4arch9wavefront6targetE1EEEvSK_ ; -- Begin function _ZN7rocprim17ROCPRIM_400000_NS6detail17trampoline_kernelINS0_14default_configENS1_22reduce_config_selectorIN6thrust23THRUST_200600_302600_NS5tupleIblNS6_9null_typeES8_S8_S8_S8_S8_S8_S8_EEEEZNS1_11reduce_implILb1ES3_PS9_SC_S9_NS6_11hip_rocprim9__find_if7functorIS9_EEEE10hipError_tPvRmT1_T2_T3_mT4_P12ihipStream_tbEUlT_E1_NS1_11comp_targetILNS1_3genE10ELNS1_11target_archE1200ELNS1_3gpuE4ELNS1_3repE0EEENS1_30default_config_static_selectorELNS0_4arch9wavefront6targetE1EEEvSK_
	.globl	_ZN7rocprim17ROCPRIM_400000_NS6detail17trampoline_kernelINS0_14default_configENS1_22reduce_config_selectorIN6thrust23THRUST_200600_302600_NS5tupleIblNS6_9null_typeES8_S8_S8_S8_S8_S8_S8_EEEEZNS1_11reduce_implILb1ES3_PS9_SC_S9_NS6_11hip_rocprim9__find_if7functorIS9_EEEE10hipError_tPvRmT1_T2_T3_mT4_P12ihipStream_tbEUlT_E1_NS1_11comp_targetILNS1_3genE10ELNS1_11target_archE1200ELNS1_3gpuE4ELNS1_3repE0EEENS1_30default_config_static_selectorELNS0_4arch9wavefront6targetE1EEEvSK_
	.p2align	8
	.type	_ZN7rocprim17ROCPRIM_400000_NS6detail17trampoline_kernelINS0_14default_configENS1_22reduce_config_selectorIN6thrust23THRUST_200600_302600_NS5tupleIblNS6_9null_typeES8_S8_S8_S8_S8_S8_S8_EEEEZNS1_11reduce_implILb1ES3_PS9_SC_S9_NS6_11hip_rocprim9__find_if7functorIS9_EEEE10hipError_tPvRmT1_T2_T3_mT4_P12ihipStream_tbEUlT_E1_NS1_11comp_targetILNS1_3genE10ELNS1_11target_archE1200ELNS1_3gpuE4ELNS1_3repE0EEENS1_30default_config_static_selectorELNS0_4arch9wavefront6targetE1EEEvSK_,@function
_ZN7rocprim17ROCPRIM_400000_NS6detail17trampoline_kernelINS0_14default_configENS1_22reduce_config_selectorIN6thrust23THRUST_200600_302600_NS5tupleIblNS6_9null_typeES8_S8_S8_S8_S8_S8_S8_EEEEZNS1_11reduce_implILb1ES3_PS9_SC_S9_NS6_11hip_rocprim9__find_if7functorIS9_EEEE10hipError_tPvRmT1_T2_T3_mT4_P12ihipStream_tbEUlT_E1_NS1_11comp_targetILNS1_3genE10ELNS1_11target_archE1200ELNS1_3gpuE4ELNS1_3repE0EEENS1_30default_config_static_selectorELNS0_4arch9wavefront6targetE1EEEvSK_: ; @_ZN7rocprim17ROCPRIM_400000_NS6detail17trampoline_kernelINS0_14default_configENS1_22reduce_config_selectorIN6thrust23THRUST_200600_302600_NS5tupleIblNS6_9null_typeES8_S8_S8_S8_S8_S8_S8_EEEEZNS1_11reduce_implILb1ES3_PS9_SC_S9_NS6_11hip_rocprim9__find_if7functorIS9_EEEE10hipError_tPvRmT1_T2_T3_mT4_P12ihipStream_tbEUlT_E1_NS1_11comp_targetILNS1_3genE10ELNS1_11target_archE1200ELNS1_3gpuE4ELNS1_3repE0EEENS1_30default_config_static_selectorELNS0_4arch9wavefront6targetE1EEEvSK_
; %bb.0:
	.section	.rodata,"a",@progbits
	.p2align	6, 0x0
	.amdhsa_kernel _ZN7rocprim17ROCPRIM_400000_NS6detail17trampoline_kernelINS0_14default_configENS1_22reduce_config_selectorIN6thrust23THRUST_200600_302600_NS5tupleIblNS6_9null_typeES8_S8_S8_S8_S8_S8_S8_EEEEZNS1_11reduce_implILb1ES3_PS9_SC_S9_NS6_11hip_rocprim9__find_if7functorIS9_EEEE10hipError_tPvRmT1_T2_T3_mT4_P12ihipStream_tbEUlT_E1_NS1_11comp_targetILNS1_3genE10ELNS1_11target_archE1200ELNS1_3gpuE4ELNS1_3repE0EEENS1_30default_config_static_selectorELNS0_4arch9wavefront6targetE1EEEvSK_
		.amdhsa_group_segment_fixed_size 0
		.amdhsa_private_segment_fixed_size 0
		.amdhsa_kernarg_size 56
		.amdhsa_user_sgpr_count 6
		.amdhsa_user_sgpr_private_segment_buffer 1
		.amdhsa_user_sgpr_dispatch_ptr 0
		.amdhsa_user_sgpr_queue_ptr 0
		.amdhsa_user_sgpr_kernarg_segment_ptr 1
		.amdhsa_user_sgpr_dispatch_id 0
		.amdhsa_user_sgpr_flat_scratch_init 0
		.amdhsa_user_sgpr_private_segment_size 0
		.amdhsa_uses_dynamic_stack 0
		.amdhsa_system_sgpr_private_segment_wavefront_offset 0
		.amdhsa_system_sgpr_workgroup_id_x 1
		.amdhsa_system_sgpr_workgroup_id_y 0
		.amdhsa_system_sgpr_workgroup_id_z 0
		.amdhsa_system_sgpr_workgroup_info 0
		.amdhsa_system_vgpr_workitem_id 0
		.amdhsa_next_free_vgpr 1
		.amdhsa_next_free_sgpr 0
		.amdhsa_reserve_vcc 0
		.amdhsa_reserve_flat_scratch 0
		.amdhsa_float_round_mode_32 0
		.amdhsa_float_round_mode_16_64 0
		.amdhsa_float_denorm_mode_32 3
		.amdhsa_float_denorm_mode_16_64 3
		.amdhsa_dx10_clamp 1
		.amdhsa_ieee_mode 1
		.amdhsa_fp16_overflow 0
		.amdhsa_exception_fp_ieee_invalid_op 0
		.amdhsa_exception_fp_denorm_src 0
		.amdhsa_exception_fp_ieee_div_zero 0
		.amdhsa_exception_fp_ieee_overflow 0
		.amdhsa_exception_fp_ieee_underflow 0
		.amdhsa_exception_fp_ieee_inexact 0
		.amdhsa_exception_int_div_zero 0
	.end_amdhsa_kernel
	.section	.text._ZN7rocprim17ROCPRIM_400000_NS6detail17trampoline_kernelINS0_14default_configENS1_22reduce_config_selectorIN6thrust23THRUST_200600_302600_NS5tupleIblNS6_9null_typeES8_S8_S8_S8_S8_S8_S8_EEEEZNS1_11reduce_implILb1ES3_PS9_SC_S9_NS6_11hip_rocprim9__find_if7functorIS9_EEEE10hipError_tPvRmT1_T2_T3_mT4_P12ihipStream_tbEUlT_E1_NS1_11comp_targetILNS1_3genE10ELNS1_11target_archE1200ELNS1_3gpuE4ELNS1_3repE0EEENS1_30default_config_static_selectorELNS0_4arch9wavefront6targetE1EEEvSK_,"axG",@progbits,_ZN7rocprim17ROCPRIM_400000_NS6detail17trampoline_kernelINS0_14default_configENS1_22reduce_config_selectorIN6thrust23THRUST_200600_302600_NS5tupleIblNS6_9null_typeES8_S8_S8_S8_S8_S8_S8_EEEEZNS1_11reduce_implILb1ES3_PS9_SC_S9_NS6_11hip_rocprim9__find_if7functorIS9_EEEE10hipError_tPvRmT1_T2_T3_mT4_P12ihipStream_tbEUlT_E1_NS1_11comp_targetILNS1_3genE10ELNS1_11target_archE1200ELNS1_3gpuE4ELNS1_3repE0EEENS1_30default_config_static_selectorELNS0_4arch9wavefront6targetE1EEEvSK_,comdat
.Lfunc_end465:
	.size	_ZN7rocprim17ROCPRIM_400000_NS6detail17trampoline_kernelINS0_14default_configENS1_22reduce_config_selectorIN6thrust23THRUST_200600_302600_NS5tupleIblNS6_9null_typeES8_S8_S8_S8_S8_S8_S8_EEEEZNS1_11reduce_implILb1ES3_PS9_SC_S9_NS6_11hip_rocprim9__find_if7functorIS9_EEEE10hipError_tPvRmT1_T2_T3_mT4_P12ihipStream_tbEUlT_E1_NS1_11comp_targetILNS1_3genE10ELNS1_11target_archE1200ELNS1_3gpuE4ELNS1_3repE0EEENS1_30default_config_static_selectorELNS0_4arch9wavefront6targetE1EEEvSK_, .Lfunc_end465-_ZN7rocprim17ROCPRIM_400000_NS6detail17trampoline_kernelINS0_14default_configENS1_22reduce_config_selectorIN6thrust23THRUST_200600_302600_NS5tupleIblNS6_9null_typeES8_S8_S8_S8_S8_S8_S8_EEEEZNS1_11reduce_implILb1ES3_PS9_SC_S9_NS6_11hip_rocprim9__find_if7functorIS9_EEEE10hipError_tPvRmT1_T2_T3_mT4_P12ihipStream_tbEUlT_E1_NS1_11comp_targetILNS1_3genE10ELNS1_11target_archE1200ELNS1_3gpuE4ELNS1_3repE0EEENS1_30default_config_static_selectorELNS0_4arch9wavefront6targetE1EEEvSK_
                                        ; -- End function
	.set _ZN7rocprim17ROCPRIM_400000_NS6detail17trampoline_kernelINS0_14default_configENS1_22reduce_config_selectorIN6thrust23THRUST_200600_302600_NS5tupleIblNS6_9null_typeES8_S8_S8_S8_S8_S8_S8_EEEEZNS1_11reduce_implILb1ES3_PS9_SC_S9_NS6_11hip_rocprim9__find_if7functorIS9_EEEE10hipError_tPvRmT1_T2_T3_mT4_P12ihipStream_tbEUlT_E1_NS1_11comp_targetILNS1_3genE10ELNS1_11target_archE1200ELNS1_3gpuE4ELNS1_3repE0EEENS1_30default_config_static_selectorELNS0_4arch9wavefront6targetE1EEEvSK_.num_vgpr, 0
	.set _ZN7rocprim17ROCPRIM_400000_NS6detail17trampoline_kernelINS0_14default_configENS1_22reduce_config_selectorIN6thrust23THRUST_200600_302600_NS5tupleIblNS6_9null_typeES8_S8_S8_S8_S8_S8_S8_EEEEZNS1_11reduce_implILb1ES3_PS9_SC_S9_NS6_11hip_rocprim9__find_if7functorIS9_EEEE10hipError_tPvRmT1_T2_T3_mT4_P12ihipStream_tbEUlT_E1_NS1_11comp_targetILNS1_3genE10ELNS1_11target_archE1200ELNS1_3gpuE4ELNS1_3repE0EEENS1_30default_config_static_selectorELNS0_4arch9wavefront6targetE1EEEvSK_.num_agpr, 0
	.set _ZN7rocprim17ROCPRIM_400000_NS6detail17trampoline_kernelINS0_14default_configENS1_22reduce_config_selectorIN6thrust23THRUST_200600_302600_NS5tupleIblNS6_9null_typeES8_S8_S8_S8_S8_S8_S8_EEEEZNS1_11reduce_implILb1ES3_PS9_SC_S9_NS6_11hip_rocprim9__find_if7functorIS9_EEEE10hipError_tPvRmT1_T2_T3_mT4_P12ihipStream_tbEUlT_E1_NS1_11comp_targetILNS1_3genE10ELNS1_11target_archE1200ELNS1_3gpuE4ELNS1_3repE0EEENS1_30default_config_static_selectorELNS0_4arch9wavefront6targetE1EEEvSK_.numbered_sgpr, 0
	.set _ZN7rocprim17ROCPRIM_400000_NS6detail17trampoline_kernelINS0_14default_configENS1_22reduce_config_selectorIN6thrust23THRUST_200600_302600_NS5tupleIblNS6_9null_typeES8_S8_S8_S8_S8_S8_S8_EEEEZNS1_11reduce_implILb1ES3_PS9_SC_S9_NS6_11hip_rocprim9__find_if7functorIS9_EEEE10hipError_tPvRmT1_T2_T3_mT4_P12ihipStream_tbEUlT_E1_NS1_11comp_targetILNS1_3genE10ELNS1_11target_archE1200ELNS1_3gpuE4ELNS1_3repE0EEENS1_30default_config_static_selectorELNS0_4arch9wavefront6targetE1EEEvSK_.num_named_barrier, 0
	.set _ZN7rocprim17ROCPRIM_400000_NS6detail17trampoline_kernelINS0_14default_configENS1_22reduce_config_selectorIN6thrust23THRUST_200600_302600_NS5tupleIblNS6_9null_typeES8_S8_S8_S8_S8_S8_S8_EEEEZNS1_11reduce_implILb1ES3_PS9_SC_S9_NS6_11hip_rocprim9__find_if7functorIS9_EEEE10hipError_tPvRmT1_T2_T3_mT4_P12ihipStream_tbEUlT_E1_NS1_11comp_targetILNS1_3genE10ELNS1_11target_archE1200ELNS1_3gpuE4ELNS1_3repE0EEENS1_30default_config_static_selectorELNS0_4arch9wavefront6targetE1EEEvSK_.private_seg_size, 0
	.set _ZN7rocprim17ROCPRIM_400000_NS6detail17trampoline_kernelINS0_14default_configENS1_22reduce_config_selectorIN6thrust23THRUST_200600_302600_NS5tupleIblNS6_9null_typeES8_S8_S8_S8_S8_S8_S8_EEEEZNS1_11reduce_implILb1ES3_PS9_SC_S9_NS6_11hip_rocprim9__find_if7functorIS9_EEEE10hipError_tPvRmT1_T2_T3_mT4_P12ihipStream_tbEUlT_E1_NS1_11comp_targetILNS1_3genE10ELNS1_11target_archE1200ELNS1_3gpuE4ELNS1_3repE0EEENS1_30default_config_static_selectorELNS0_4arch9wavefront6targetE1EEEvSK_.uses_vcc, 0
	.set _ZN7rocprim17ROCPRIM_400000_NS6detail17trampoline_kernelINS0_14default_configENS1_22reduce_config_selectorIN6thrust23THRUST_200600_302600_NS5tupleIblNS6_9null_typeES8_S8_S8_S8_S8_S8_S8_EEEEZNS1_11reduce_implILb1ES3_PS9_SC_S9_NS6_11hip_rocprim9__find_if7functorIS9_EEEE10hipError_tPvRmT1_T2_T3_mT4_P12ihipStream_tbEUlT_E1_NS1_11comp_targetILNS1_3genE10ELNS1_11target_archE1200ELNS1_3gpuE4ELNS1_3repE0EEENS1_30default_config_static_selectorELNS0_4arch9wavefront6targetE1EEEvSK_.uses_flat_scratch, 0
	.set _ZN7rocprim17ROCPRIM_400000_NS6detail17trampoline_kernelINS0_14default_configENS1_22reduce_config_selectorIN6thrust23THRUST_200600_302600_NS5tupleIblNS6_9null_typeES8_S8_S8_S8_S8_S8_S8_EEEEZNS1_11reduce_implILb1ES3_PS9_SC_S9_NS6_11hip_rocprim9__find_if7functorIS9_EEEE10hipError_tPvRmT1_T2_T3_mT4_P12ihipStream_tbEUlT_E1_NS1_11comp_targetILNS1_3genE10ELNS1_11target_archE1200ELNS1_3gpuE4ELNS1_3repE0EEENS1_30default_config_static_selectorELNS0_4arch9wavefront6targetE1EEEvSK_.has_dyn_sized_stack, 0
	.set _ZN7rocprim17ROCPRIM_400000_NS6detail17trampoline_kernelINS0_14default_configENS1_22reduce_config_selectorIN6thrust23THRUST_200600_302600_NS5tupleIblNS6_9null_typeES8_S8_S8_S8_S8_S8_S8_EEEEZNS1_11reduce_implILb1ES3_PS9_SC_S9_NS6_11hip_rocprim9__find_if7functorIS9_EEEE10hipError_tPvRmT1_T2_T3_mT4_P12ihipStream_tbEUlT_E1_NS1_11comp_targetILNS1_3genE10ELNS1_11target_archE1200ELNS1_3gpuE4ELNS1_3repE0EEENS1_30default_config_static_selectorELNS0_4arch9wavefront6targetE1EEEvSK_.has_recursion, 0
	.set _ZN7rocprim17ROCPRIM_400000_NS6detail17trampoline_kernelINS0_14default_configENS1_22reduce_config_selectorIN6thrust23THRUST_200600_302600_NS5tupleIblNS6_9null_typeES8_S8_S8_S8_S8_S8_S8_EEEEZNS1_11reduce_implILb1ES3_PS9_SC_S9_NS6_11hip_rocprim9__find_if7functorIS9_EEEE10hipError_tPvRmT1_T2_T3_mT4_P12ihipStream_tbEUlT_E1_NS1_11comp_targetILNS1_3genE10ELNS1_11target_archE1200ELNS1_3gpuE4ELNS1_3repE0EEENS1_30default_config_static_selectorELNS0_4arch9wavefront6targetE1EEEvSK_.has_indirect_call, 0
	.section	.AMDGPU.csdata,"",@progbits
; Kernel info:
; codeLenInByte = 0
; TotalNumSgprs: 4
; NumVgprs: 0
; ScratchSize: 0
; MemoryBound: 0
; FloatMode: 240
; IeeeMode: 1
; LDSByteSize: 0 bytes/workgroup (compile time only)
; SGPRBlocks: 0
; VGPRBlocks: 0
; NumSGPRsForWavesPerEU: 4
; NumVGPRsForWavesPerEU: 1
; Occupancy: 10
; WaveLimiterHint : 0
; COMPUTE_PGM_RSRC2:SCRATCH_EN: 0
; COMPUTE_PGM_RSRC2:USER_SGPR: 6
; COMPUTE_PGM_RSRC2:TRAP_HANDLER: 0
; COMPUTE_PGM_RSRC2:TGID_X_EN: 1
; COMPUTE_PGM_RSRC2:TGID_Y_EN: 0
; COMPUTE_PGM_RSRC2:TGID_Z_EN: 0
; COMPUTE_PGM_RSRC2:TIDIG_COMP_CNT: 0
	.section	.text._ZN7rocprim17ROCPRIM_400000_NS6detail17trampoline_kernelINS0_14default_configENS1_22reduce_config_selectorIN6thrust23THRUST_200600_302600_NS5tupleIblNS6_9null_typeES8_S8_S8_S8_S8_S8_S8_EEEEZNS1_11reduce_implILb1ES3_PS9_SC_S9_NS6_11hip_rocprim9__find_if7functorIS9_EEEE10hipError_tPvRmT1_T2_T3_mT4_P12ihipStream_tbEUlT_E1_NS1_11comp_targetILNS1_3genE9ELNS1_11target_archE1100ELNS1_3gpuE3ELNS1_3repE0EEENS1_30default_config_static_selectorELNS0_4arch9wavefront6targetE1EEEvSK_,"axG",@progbits,_ZN7rocprim17ROCPRIM_400000_NS6detail17trampoline_kernelINS0_14default_configENS1_22reduce_config_selectorIN6thrust23THRUST_200600_302600_NS5tupleIblNS6_9null_typeES8_S8_S8_S8_S8_S8_S8_EEEEZNS1_11reduce_implILb1ES3_PS9_SC_S9_NS6_11hip_rocprim9__find_if7functorIS9_EEEE10hipError_tPvRmT1_T2_T3_mT4_P12ihipStream_tbEUlT_E1_NS1_11comp_targetILNS1_3genE9ELNS1_11target_archE1100ELNS1_3gpuE3ELNS1_3repE0EEENS1_30default_config_static_selectorELNS0_4arch9wavefront6targetE1EEEvSK_,comdat
	.protected	_ZN7rocprim17ROCPRIM_400000_NS6detail17trampoline_kernelINS0_14default_configENS1_22reduce_config_selectorIN6thrust23THRUST_200600_302600_NS5tupleIblNS6_9null_typeES8_S8_S8_S8_S8_S8_S8_EEEEZNS1_11reduce_implILb1ES3_PS9_SC_S9_NS6_11hip_rocprim9__find_if7functorIS9_EEEE10hipError_tPvRmT1_T2_T3_mT4_P12ihipStream_tbEUlT_E1_NS1_11comp_targetILNS1_3genE9ELNS1_11target_archE1100ELNS1_3gpuE3ELNS1_3repE0EEENS1_30default_config_static_selectorELNS0_4arch9wavefront6targetE1EEEvSK_ ; -- Begin function _ZN7rocprim17ROCPRIM_400000_NS6detail17trampoline_kernelINS0_14default_configENS1_22reduce_config_selectorIN6thrust23THRUST_200600_302600_NS5tupleIblNS6_9null_typeES8_S8_S8_S8_S8_S8_S8_EEEEZNS1_11reduce_implILb1ES3_PS9_SC_S9_NS6_11hip_rocprim9__find_if7functorIS9_EEEE10hipError_tPvRmT1_T2_T3_mT4_P12ihipStream_tbEUlT_E1_NS1_11comp_targetILNS1_3genE9ELNS1_11target_archE1100ELNS1_3gpuE3ELNS1_3repE0EEENS1_30default_config_static_selectorELNS0_4arch9wavefront6targetE1EEEvSK_
	.globl	_ZN7rocprim17ROCPRIM_400000_NS6detail17trampoline_kernelINS0_14default_configENS1_22reduce_config_selectorIN6thrust23THRUST_200600_302600_NS5tupleIblNS6_9null_typeES8_S8_S8_S8_S8_S8_S8_EEEEZNS1_11reduce_implILb1ES3_PS9_SC_S9_NS6_11hip_rocprim9__find_if7functorIS9_EEEE10hipError_tPvRmT1_T2_T3_mT4_P12ihipStream_tbEUlT_E1_NS1_11comp_targetILNS1_3genE9ELNS1_11target_archE1100ELNS1_3gpuE3ELNS1_3repE0EEENS1_30default_config_static_selectorELNS0_4arch9wavefront6targetE1EEEvSK_
	.p2align	8
	.type	_ZN7rocprim17ROCPRIM_400000_NS6detail17trampoline_kernelINS0_14default_configENS1_22reduce_config_selectorIN6thrust23THRUST_200600_302600_NS5tupleIblNS6_9null_typeES8_S8_S8_S8_S8_S8_S8_EEEEZNS1_11reduce_implILb1ES3_PS9_SC_S9_NS6_11hip_rocprim9__find_if7functorIS9_EEEE10hipError_tPvRmT1_T2_T3_mT4_P12ihipStream_tbEUlT_E1_NS1_11comp_targetILNS1_3genE9ELNS1_11target_archE1100ELNS1_3gpuE3ELNS1_3repE0EEENS1_30default_config_static_selectorELNS0_4arch9wavefront6targetE1EEEvSK_,@function
_ZN7rocprim17ROCPRIM_400000_NS6detail17trampoline_kernelINS0_14default_configENS1_22reduce_config_selectorIN6thrust23THRUST_200600_302600_NS5tupleIblNS6_9null_typeES8_S8_S8_S8_S8_S8_S8_EEEEZNS1_11reduce_implILb1ES3_PS9_SC_S9_NS6_11hip_rocprim9__find_if7functorIS9_EEEE10hipError_tPvRmT1_T2_T3_mT4_P12ihipStream_tbEUlT_E1_NS1_11comp_targetILNS1_3genE9ELNS1_11target_archE1100ELNS1_3gpuE3ELNS1_3repE0EEENS1_30default_config_static_selectorELNS0_4arch9wavefront6targetE1EEEvSK_: ; @_ZN7rocprim17ROCPRIM_400000_NS6detail17trampoline_kernelINS0_14default_configENS1_22reduce_config_selectorIN6thrust23THRUST_200600_302600_NS5tupleIblNS6_9null_typeES8_S8_S8_S8_S8_S8_S8_EEEEZNS1_11reduce_implILb1ES3_PS9_SC_S9_NS6_11hip_rocprim9__find_if7functorIS9_EEEE10hipError_tPvRmT1_T2_T3_mT4_P12ihipStream_tbEUlT_E1_NS1_11comp_targetILNS1_3genE9ELNS1_11target_archE1100ELNS1_3gpuE3ELNS1_3repE0EEENS1_30default_config_static_selectorELNS0_4arch9wavefront6targetE1EEEvSK_
; %bb.0:
	.section	.rodata,"a",@progbits
	.p2align	6, 0x0
	.amdhsa_kernel _ZN7rocprim17ROCPRIM_400000_NS6detail17trampoline_kernelINS0_14default_configENS1_22reduce_config_selectorIN6thrust23THRUST_200600_302600_NS5tupleIblNS6_9null_typeES8_S8_S8_S8_S8_S8_S8_EEEEZNS1_11reduce_implILb1ES3_PS9_SC_S9_NS6_11hip_rocprim9__find_if7functorIS9_EEEE10hipError_tPvRmT1_T2_T3_mT4_P12ihipStream_tbEUlT_E1_NS1_11comp_targetILNS1_3genE9ELNS1_11target_archE1100ELNS1_3gpuE3ELNS1_3repE0EEENS1_30default_config_static_selectorELNS0_4arch9wavefront6targetE1EEEvSK_
		.amdhsa_group_segment_fixed_size 0
		.amdhsa_private_segment_fixed_size 0
		.amdhsa_kernarg_size 56
		.amdhsa_user_sgpr_count 6
		.amdhsa_user_sgpr_private_segment_buffer 1
		.amdhsa_user_sgpr_dispatch_ptr 0
		.amdhsa_user_sgpr_queue_ptr 0
		.amdhsa_user_sgpr_kernarg_segment_ptr 1
		.amdhsa_user_sgpr_dispatch_id 0
		.amdhsa_user_sgpr_flat_scratch_init 0
		.amdhsa_user_sgpr_private_segment_size 0
		.amdhsa_uses_dynamic_stack 0
		.amdhsa_system_sgpr_private_segment_wavefront_offset 0
		.amdhsa_system_sgpr_workgroup_id_x 1
		.amdhsa_system_sgpr_workgroup_id_y 0
		.amdhsa_system_sgpr_workgroup_id_z 0
		.amdhsa_system_sgpr_workgroup_info 0
		.amdhsa_system_vgpr_workitem_id 0
		.amdhsa_next_free_vgpr 1
		.amdhsa_next_free_sgpr 0
		.amdhsa_reserve_vcc 0
		.amdhsa_reserve_flat_scratch 0
		.amdhsa_float_round_mode_32 0
		.amdhsa_float_round_mode_16_64 0
		.amdhsa_float_denorm_mode_32 3
		.amdhsa_float_denorm_mode_16_64 3
		.amdhsa_dx10_clamp 1
		.amdhsa_ieee_mode 1
		.amdhsa_fp16_overflow 0
		.amdhsa_exception_fp_ieee_invalid_op 0
		.amdhsa_exception_fp_denorm_src 0
		.amdhsa_exception_fp_ieee_div_zero 0
		.amdhsa_exception_fp_ieee_overflow 0
		.amdhsa_exception_fp_ieee_underflow 0
		.amdhsa_exception_fp_ieee_inexact 0
		.amdhsa_exception_int_div_zero 0
	.end_amdhsa_kernel
	.section	.text._ZN7rocprim17ROCPRIM_400000_NS6detail17trampoline_kernelINS0_14default_configENS1_22reduce_config_selectorIN6thrust23THRUST_200600_302600_NS5tupleIblNS6_9null_typeES8_S8_S8_S8_S8_S8_S8_EEEEZNS1_11reduce_implILb1ES3_PS9_SC_S9_NS6_11hip_rocprim9__find_if7functorIS9_EEEE10hipError_tPvRmT1_T2_T3_mT4_P12ihipStream_tbEUlT_E1_NS1_11comp_targetILNS1_3genE9ELNS1_11target_archE1100ELNS1_3gpuE3ELNS1_3repE0EEENS1_30default_config_static_selectorELNS0_4arch9wavefront6targetE1EEEvSK_,"axG",@progbits,_ZN7rocprim17ROCPRIM_400000_NS6detail17trampoline_kernelINS0_14default_configENS1_22reduce_config_selectorIN6thrust23THRUST_200600_302600_NS5tupleIblNS6_9null_typeES8_S8_S8_S8_S8_S8_S8_EEEEZNS1_11reduce_implILb1ES3_PS9_SC_S9_NS6_11hip_rocprim9__find_if7functorIS9_EEEE10hipError_tPvRmT1_T2_T3_mT4_P12ihipStream_tbEUlT_E1_NS1_11comp_targetILNS1_3genE9ELNS1_11target_archE1100ELNS1_3gpuE3ELNS1_3repE0EEENS1_30default_config_static_selectorELNS0_4arch9wavefront6targetE1EEEvSK_,comdat
.Lfunc_end466:
	.size	_ZN7rocprim17ROCPRIM_400000_NS6detail17trampoline_kernelINS0_14default_configENS1_22reduce_config_selectorIN6thrust23THRUST_200600_302600_NS5tupleIblNS6_9null_typeES8_S8_S8_S8_S8_S8_S8_EEEEZNS1_11reduce_implILb1ES3_PS9_SC_S9_NS6_11hip_rocprim9__find_if7functorIS9_EEEE10hipError_tPvRmT1_T2_T3_mT4_P12ihipStream_tbEUlT_E1_NS1_11comp_targetILNS1_3genE9ELNS1_11target_archE1100ELNS1_3gpuE3ELNS1_3repE0EEENS1_30default_config_static_selectorELNS0_4arch9wavefront6targetE1EEEvSK_, .Lfunc_end466-_ZN7rocprim17ROCPRIM_400000_NS6detail17trampoline_kernelINS0_14default_configENS1_22reduce_config_selectorIN6thrust23THRUST_200600_302600_NS5tupleIblNS6_9null_typeES8_S8_S8_S8_S8_S8_S8_EEEEZNS1_11reduce_implILb1ES3_PS9_SC_S9_NS6_11hip_rocprim9__find_if7functorIS9_EEEE10hipError_tPvRmT1_T2_T3_mT4_P12ihipStream_tbEUlT_E1_NS1_11comp_targetILNS1_3genE9ELNS1_11target_archE1100ELNS1_3gpuE3ELNS1_3repE0EEENS1_30default_config_static_selectorELNS0_4arch9wavefront6targetE1EEEvSK_
                                        ; -- End function
	.set _ZN7rocprim17ROCPRIM_400000_NS6detail17trampoline_kernelINS0_14default_configENS1_22reduce_config_selectorIN6thrust23THRUST_200600_302600_NS5tupleIblNS6_9null_typeES8_S8_S8_S8_S8_S8_S8_EEEEZNS1_11reduce_implILb1ES3_PS9_SC_S9_NS6_11hip_rocprim9__find_if7functorIS9_EEEE10hipError_tPvRmT1_T2_T3_mT4_P12ihipStream_tbEUlT_E1_NS1_11comp_targetILNS1_3genE9ELNS1_11target_archE1100ELNS1_3gpuE3ELNS1_3repE0EEENS1_30default_config_static_selectorELNS0_4arch9wavefront6targetE1EEEvSK_.num_vgpr, 0
	.set _ZN7rocprim17ROCPRIM_400000_NS6detail17trampoline_kernelINS0_14default_configENS1_22reduce_config_selectorIN6thrust23THRUST_200600_302600_NS5tupleIblNS6_9null_typeES8_S8_S8_S8_S8_S8_S8_EEEEZNS1_11reduce_implILb1ES3_PS9_SC_S9_NS6_11hip_rocprim9__find_if7functorIS9_EEEE10hipError_tPvRmT1_T2_T3_mT4_P12ihipStream_tbEUlT_E1_NS1_11comp_targetILNS1_3genE9ELNS1_11target_archE1100ELNS1_3gpuE3ELNS1_3repE0EEENS1_30default_config_static_selectorELNS0_4arch9wavefront6targetE1EEEvSK_.num_agpr, 0
	.set _ZN7rocprim17ROCPRIM_400000_NS6detail17trampoline_kernelINS0_14default_configENS1_22reduce_config_selectorIN6thrust23THRUST_200600_302600_NS5tupleIblNS6_9null_typeES8_S8_S8_S8_S8_S8_S8_EEEEZNS1_11reduce_implILb1ES3_PS9_SC_S9_NS6_11hip_rocprim9__find_if7functorIS9_EEEE10hipError_tPvRmT1_T2_T3_mT4_P12ihipStream_tbEUlT_E1_NS1_11comp_targetILNS1_3genE9ELNS1_11target_archE1100ELNS1_3gpuE3ELNS1_3repE0EEENS1_30default_config_static_selectorELNS0_4arch9wavefront6targetE1EEEvSK_.numbered_sgpr, 0
	.set _ZN7rocprim17ROCPRIM_400000_NS6detail17trampoline_kernelINS0_14default_configENS1_22reduce_config_selectorIN6thrust23THRUST_200600_302600_NS5tupleIblNS6_9null_typeES8_S8_S8_S8_S8_S8_S8_EEEEZNS1_11reduce_implILb1ES3_PS9_SC_S9_NS6_11hip_rocprim9__find_if7functorIS9_EEEE10hipError_tPvRmT1_T2_T3_mT4_P12ihipStream_tbEUlT_E1_NS1_11comp_targetILNS1_3genE9ELNS1_11target_archE1100ELNS1_3gpuE3ELNS1_3repE0EEENS1_30default_config_static_selectorELNS0_4arch9wavefront6targetE1EEEvSK_.num_named_barrier, 0
	.set _ZN7rocprim17ROCPRIM_400000_NS6detail17trampoline_kernelINS0_14default_configENS1_22reduce_config_selectorIN6thrust23THRUST_200600_302600_NS5tupleIblNS6_9null_typeES8_S8_S8_S8_S8_S8_S8_EEEEZNS1_11reduce_implILb1ES3_PS9_SC_S9_NS6_11hip_rocprim9__find_if7functorIS9_EEEE10hipError_tPvRmT1_T2_T3_mT4_P12ihipStream_tbEUlT_E1_NS1_11comp_targetILNS1_3genE9ELNS1_11target_archE1100ELNS1_3gpuE3ELNS1_3repE0EEENS1_30default_config_static_selectorELNS0_4arch9wavefront6targetE1EEEvSK_.private_seg_size, 0
	.set _ZN7rocprim17ROCPRIM_400000_NS6detail17trampoline_kernelINS0_14default_configENS1_22reduce_config_selectorIN6thrust23THRUST_200600_302600_NS5tupleIblNS6_9null_typeES8_S8_S8_S8_S8_S8_S8_EEEEZNS1_11reduce_implILb1ES3_PS9_SC_S9_NS6_11hip_rocprim9__find_if7functorIS9_EEEE10hipError_tPvRmT1_T2_T3_mT4_P12ihipStream_tbEUlT_E1_NS1_11comp_targetILNS1_3genE9ELNS1_11target_archE1100ELNS1_3gpuE3ELNS1_3repE0EEENS1_30default_config_static_selectorELNS0_4arch9wavefront6targetE1EEEvSK_.uses_vcc, 0
	.set _ZN7rocprim17ROCPRIM_400000_NS6detail17trampoline_kernelINS0_14default_configENS1_22reduce_config_selectorIN6thrust23THRUST_200600_302600_NS5tupleIblNS6_9null_typeES8_S8_S8_S8_S8_S8_S8_EEEEZNS1_11reduce_implILb1ES3_PS9_SC_S9_NS6_11hip_rocprim9__find_if7functorIS9_EEEE10hipError_tPvRmT1_T2_T3_mT4_P12ihipStream_tbEUlT_E1_NS1_11comp_targetILNS1_3genE9ELNS1_11target_archE1100ELNS1_3gpuE3ELNS1_3repE0EEENS1_30default_config_static_selectorELNS0_4arch9wavefront6targetE1EEEvSK_.uses_flat_scratch, 0
	.set _ZN7rocprim17ROCPRIM_400000_NS6detail17trampoline_kernelINS0_14default_configENS1_22reduce_config_selectorIN6thrust23THRUST_200600_302600_NS5tupleIblNS6_9null_typeES8_S8_S8_S8_S8_S8_S8_EEEEZNS1_11reduce_implILb1ES3_PS9_SC_S9_NS6_11hip_rocprim9__find_if7functorIS9_EEEE10hipError_tPvRmT1_T2_T3_mT4_P12ihipStream_tbEUlT_E1_NS1_11comp_targetILNS1_3genE9ELNS1_11target_archE1100ELNS1_3gpuE3ELNS1_3repE0EEENS1_30default_config_static_selectorELNS0_4arch9wavefront6targetE1EEEvSK_.has_dyn_sized_stack, 0
	.set _ZN7rocprim17ROCPRIM_400000_NS6detail17trampoline_kernelINS0_14default_configENS1_22reduce_config_selectorIN6thrust23THRUST_200600_302600_NS5tupleIblNS6_9null_typeES8_S8_S8_S8_S8_S8_S8_EEEEZNS1_11reduce_implILb1ES3_PS9_SC_S9_NS6_11hip_rocprim9__find_if7functorIS9_EEEE10hipError_tPvRmT1_T2_T3_mT4_P12ihipStream_tbEUlT_E1_NS1_11comp_targetILNS1_3genE9ELNS1_11target_archE1100ELNS1_3gpuE3ELNS1_3repE0EEENS1_30default_config_static_selectorELNS0_4arch9wavefront6targetE1EEEvSK_.has_recursion, 0
	.set _ZN7rocprim17ROCPRIM_400000_NS6detail17trampoline_kernelINS0_14default_configENS1_22reduce_config_selectorIN6thrust23THRUST_200600_302600_NS5tupleIblNS6_9null_typeES8_S8_S8_S8_S8_S8_S8_EEEEZNS1_11reduce_implILb1ES3_PS9_SC_S9_NS6_11hip_rocprim9__find_if7functorIS9_EEEE10hipError_tPvRmT1_T2_T3_mT4_P12ihipStream_tbEUlT_E1_NS1_11comp_targetILNS1_3genE9ELNS1_11target_archE1100ELNS1_3gpuE3ELNS1_3repE0EEENS1_30default_config_static_selectorELNS0_4arch9wavefront6targetE1EEEvSK_.has_indirect_call, 0
	.section	.AMDGPU.csdata,"",@progbits
; Kernel info:
; codeLenInByte = 0
; TotalNumSgprs: 4
; NumVgprs: 0
; ScratchSize: 0
; MemoryBound: 0
; FloatMode: 240
; IeeeMode: 1
; LDSByteSize: 0 bytes/workgroup (compile time only)
; SGPRBlocks: 0
; VGPRBlocks: 0
; NumSGPRsForWavesPerEU: 4
; NumVGPRsForWavesPerEU: 1
; Occupancy: 10
; WaveLimiterHint : 0
; COMPUTE_PGM_RSRC2:SCRATCH_EN: 0
; COMPUTE_PGM_RSRC2:USER_SGPR: 6
; COMPUTE_PGM_RSRC2:TRAP_HANDLER: 0
; COMPUTE_PGM_RSRC2:TGID_X_EN: 1
; COMPUTE_PGM_RSRC2:TGID_Y_EN: 0
; COMPUTE_PGM_RSRC2:TGID_Z_EN: 0
; COMPUTE_PGM_RSRC2:TIDIG_COMP_CNT: 0
	.section	.text._ZN7rocprim17ROCPRIM_400000_NS6detail17trampoline_kernelINS0_14default_configENS1_22reduce_config_selectorIN6thrust23THRUST_200600_302600_NS5tupleIblNS6_9null_typeES8_S8_S8_S8_S8_S8_S8_EEEEZNS1_11reduce_implILb1ES3_PS9_SC_S9_NS6_11hip_rocprim9__find_if7functorIS9_EEEE10hipError_tPvRmT1_T2_T3_mT4_P12ihipStream_tbEUlT_E1_NS1_11comp_targetILNS1_3genE8ELNS1_11target_archE1030ELNS1_3gpuE2ELNS1_3repE0EEENS1_30default_config_static_selectorELNS0_4arch9wavefront6targetE1EEEvSK_,"axG",@progbits,_ZN7rocprim17ROCPRIM_400000_NS6detail17trampoline_kernelINS0_14default_configENS1_22reduce_config_selectorIN6thrust23THRUST_200600_302600_NS5tupleIblNS6_9null_typeES8_S8_S8_S8_S8_S8_S8_EEEEZNS1_11reduce_implILb1ES3_PS9_SC_S9_NS6_11hip_rocprim9__find_if7functorIS9_EEEE10hipError_tPvRmT1_T2_T3_mT4_P12ihipStream_tbEUlT_E1_NS1_11comp_targetILNS1_3genE8ELNS1_11target_archE1030ELNS1_3gpuE2ELNS1_3repE0EEENS1_30default_config_static_selectorELNS0_4arch9wavefront6targetE1EEEvSK_,comdat
	.protected	_ZN7rocprim17ROCPRIM_400000_NS6detail17trampoline_kernelINS0_14default_configENS1_22reduce_config_selectorIN6thrust23THRUST_200600_302600_NS5tupleIblNS6_9null_typeES8_S8_S8_S8_S8_S8_S8_EEEEZNS1_11reduce_implILb1ES3_PS9_SC_S9_NS6_11hip_rocprim9__find_if7functorIS9_EEEE10hipError_tPvRmT1_T2_T3_mT4_P12ihipStream_tbEUlT_E1_NS1_11comp_targetILNS1_3genE8ELNS1_11target_archE1030ELNS1_3gpuE2ELNS1_3repE0EEENS1_30default_config_static_selectorELNS0_4arch9wavefront6targetE1EEEvSK_ ; -- Begin function _ZN7rocprim17ROCPRIM_400000_NS6detail17trampoline_kernelINS0_14default_configENS1_22reduce_config_selectorIN6thrust23THRUST_200600_302600_NS5tupleIblNS6_9null_typeES8_S8_S8_S8_S8_S8_S8_EEEEZNS1_11reduce_implILb1ES3_PS9_SC_S9_NS6_11hip_rocprim9__find_if7functorIS9_EEEE10hipError_tPvRmT1_T2_T3_mT4_P12ihipStream_tbEUlT_E1_NS1_11comp_targetILNS1_3genE8ELNS1_11target_archE1030ELNS1_3gpuE2ELNS1_3repE0EEENS1_30default_config_static_selectorELNS0_4arch9wavefront6targetE1EEEvSK_
	.globl	_ZN7rocprim17ROCPRIM_400000_NS6detail17trampoline_kernelINS0_14default_configENS1_22reduce_config_selectorIN6thrust23THRUST_200600_302600_NS5tupleIblNS6_9null_typeES8_S8_S8_S8_S8_S8_S8_EEEEZNS1_11reduce_implILb1ES3_PS9_SC_S9_NS6_11hip_rocprim9__find_if7functorIS9_EEEE10hipError_tPvRmT1_T2_T3_mT4_P12ihipStream_tbEUlT_E1_NS1_11comp_targetILNS1_3genE8ELNS1_11target_archE1030ELNS1_3gpuE2ELNS1_3repE0EEENS1_30default_config_static_selectorELNS0_4arch9wavefront6targetE1EEEvSK_
	.p2align	8
	.type	_ZN7rocprim17ROCPRIM_400000_NS6detail17trampoline_kernelINS0_14default_configENS1_22reduce_config_selectorIN6thrust23THRUST_200600_302600_NS5tupleIblNS6_9null_typeES8_S8_S8_S8_S8_S8_S8_EEEEZNS1_11reduce_implILb1ES3_PS9_SC_S9_NS6_11hip_rocprim9__find_if7functorIS9_EEEE10hipError_tPvRmT1_T2_T3_mT4_P12ihipStream_tbEUlT_E1_NS1_11comp_targetILNS1_3genE8ELNS1_11target_archE1030ELNS1_3gpuE2ELNS1_3repE0EEENS1_30default_config_static_selectorELNS0_4arch9wavefront6targetE1EEEvSK_,@function
_ZN7rocprim17ROCPRIM_400000_NS6detail17trampoline_kernelINS0_14default_configENS1_22reduce_config_selectorIN6thrust23THRUST_200600_302600_NS5tupleIblNS6_9null_typeES8_S8_S8_S8_S8_S8_S8_EEEEZNS1_11reduce_implILb1ES3_PS9_SC_S9_NS6_11hip_rocprim9__find_if7functorIS9_EEEE10hipError_tPvRmT1_T2_T3_mT4_P12ihipStream_tbEUlT_E1_NS1_11comp_targetILNS1_3genE8ELNS1_11target_archE1030ELNS1_3gpuE2ELNS1_3repE0EEENS1_30default_config_static_selectorELNS0_4arch9wavefront6targetE1EEEvSK_: ; @_ZN7rocprim17ROCPRIM_400000_NS6detail17trampoline_kernelINS0_14default_configENS1_22reduce_config_selectorIN6thrust23THRUST_200600_302600_NS5tupleIblNS6_9null_typeES8_S8_S8_S8_S8_S8_S8_EEEEZNS1_11reduce_implILb1ES3_PS9_SC_S9_NS6_11hip_rocprim9__find_if7functorIS9_EEEE10hipError_tPvRmT1_T2_T3_mT4_P12ihipStream_tbEUlT_E1_NS1_11comp_targetILNS1_3genE8ELNS1_11target_archE1030ELNS1_3gpuE2ELNS1_3repE0EEENS1_30default_config_static_selectorELNS0_4arch9wavefront6targetE1EEEvSK_
; %bb.0:
	.section	.rodata,"a",@progbits
	.p2align	6, 0x0
	.amdhsa_kernel _ZN7rocprim17ROCPRIM_400000_NS6detail17trampoline_kernelINS0_14default_configENS1_22reduce_config_selectorIN6thrust23THRUST_200600_302600_NS5tupleIblNS6_9null_typeES8_S8_S8_S8_S8_S8_S8_EEEEZNS1_11reduce_implILb1ES3_PS9_SC_S9_NS6_11hip_rocprim9__find_if7functorIS9_EEEE10hipError_tPvRmT1_T2_T3_mT4_P12ihipStream_tbEUlT_E1_NS1_11comp_targetILNS1_3genE8ELNS1_11target_archE1030ELNS1_3gpuE2ELNS1_3repE0EEENS1_30default_config_static_selectorELNS0_4arch9wavefront6targetE1EEEvSK_
		.amdhsa_group_segment_fixed_size 0
		.amdhsa_private_segment_fixed_size 0
		.amdhsa_kernarg_size 56
		.amdhsa_user_sgpr_count 6
		.amdhsa_user_sgpr_private_segment_buffer 1
		.amdhsa_user_sgpr_dispatch_ptr 0
		.amdhsa_user_sgpr_queue_ptr 0
		.amdhsa_user_sgpr_kernarg_segment_ptr 1
		.amdhsa_user_sgpr_dispatch_id 0
		.amdhsa_user_sgpr_flat_scratch_init 0
		.amdhsa_user_sgpr_private_segment_size 0
		.amdhsa_uses_dynamic_stack 0
		.amdhsa_system_sgpr_private_segment_wavefront_offset 0
		.amdhsa_system_sgpr_workgroup_id_x 1
		.amdhsa_system_sgpr_workgroup_id_y 0
		.amdhsa_system_sgpr_workgroup_id_z 0
		.amdhsa_system_sgpr_workgroup_info 0
		.amdhsa_system_vgpr_workitem_id 0
		.amdhsa_next_free_vgpr 1
		.amdhsa_next_free_sgpr 0
		.amdhsa_reserve_vcc 0
		.amdhsa_reserve_flat_scratch 0
		.amdhsa_float_round_mode_32 0
		.amdhsa_float_round_mode_16_64 0
		.amdhsa_float_denorm_mode_32 3
		.amdhsa_float_denorm_mode_16_64 3
		.amdhsa_dx10_clamp 1
		.amdhsa_ieee_mode 1
		.amdhsa_fp16_overflow 0
		.amdhsa_exception_fp_ieee_invalid_op 0
		.amdhsa_exception_fp_denorm_src 0
		.amdhsa_exception_fp_ieee_div_zero 0
		.amdhsa_exception_fp_ieee_overflow 0
		.amdhsa_exception_fp_ieee_underflow 0
		.amdhsa_exception_fp_ieee_inexact 0
		.amdhsa_exception_int_div_zero 0
	.end_amdhsa_kernel
	.section	.text._ZN7rocprim17ROCPRIM_400000_NS6detail17trampoline_kernelINS0_14default_configENS1_22reduce_config_selectorIN6thrust23THRUST_200600_302600_NS5tupleIblNS6_9null_typeES8_S8_S8_S8_S8_S8_S8_EEEEZNS1_11reduce_implILb1ES3_PS9_SC_S9_NS6_11hip_rocprim9__find_if7functorIS9_EEEE10hipError_tPvRmT1_T2_T3_mT4_P12ihipStream_tbEUlT_E1_NS1_11comp_targetILNS1_3genE8ELNS1_11target_archE1030ELNS1_3gpuE2ELNS1_3repE0EEENS1_30default_config_static_selectorELNS0_4arch9wavefront6targetE1EEEvSK_,"axG",@progbits,_ZN7rocprim17ROCPRIM_400000_NS6detail17trampoline_kernelINS0_14default_configENS1_22reduce_config_selectorIN6thrust23THRUST_200600_302600_NS5tupleIblNS6_9null_typeES8_S8_S8_S8_S8_S8_S8_EEEEZNS1_11reduce_implILb1ES3_PS9_SC_S9_NS6_11hip_rocprim9__find_if7functorIS9_EEEE10hipError_tPvRmT1_T2_T3_mT4_P12ihipStream_tbEUlT_E1_NS1_11comp_targetILNS1_3genE8ELNS1_11target_archE1030ELNS1_3gpuE2ELNS1_3repE0EEENS1_30default_config_static_selectorELNS0_4arch9wavefront6targetE1EEEvSK_,comdat
.Lfunc_end467:
	.size	_ZN7rocprim17ROCPRIM_400000_NS6detail17trampoline_kernelINS0_14default_configENS1_22reduce_config_selectorIN6thrust23THRUST_200600_302600_NS5tupleIblNS6_9null_typeES8_S8_S8_S8_S8_S8_S8_EEEEZNS1_11reduce_implILb1ES3_PS9_SC_S9_NS6_11hip_rocprim9__find_if7functorIS9_EEEE10hipError_tPvRmT1_T2_T3_mT4_P12ihipStream_tbEUlT_E1_NS1_11comp_targetILNS1_3genE8ELNS1_11target_archE1030ELNS1_3gpuE2ELNS1_3repE0EEENS1_30default_config_static_selectorELNS0_4arch9wavefront6targetE1EEEvSK_, .Lfunc_end467-_ZN7rocprim17ROCPRIM_400000_NS6detail17trampoline_kernelINS0_14default_configENS1_22reduce_config_selectorIN6thrust23THRUST_200600_302600_NS5tupleIblNS6_9null_typeES8_S8_S8_S8_S8_S8_S8_EEEEZNS1_11reduce_implILb1ES3_PS9_SC_S9_NS6_11hip_rocprim9__find_if7functorIS9_EEEE10hipError_tPvRmT1_T2_T3_mT4_P12ihipStream_tbEUlT_E1_NS1_11comp_targetILNS1_3genE8ELNS1_11target_archE1030ELNS1_3gpuE2ELNS1_3repE0EEENS1_30default_config_static_selectorELNS0_4arch9wavefront6targetE1EEEvSK_
                                        ; -- End function
	.set _ZN7rocprim17ROCPRIM_400000_NS6detail17trampoline_kernelINS0_14default_configENS1_22reduce_config_selectorIN6thrust23THRUST_200600_302600_NS5tupleIblNS6_9null_typeES8_S8_S8_S8_S8_S8_S8_EEEEZNS1_11reduce_implILb1ES3_PS9_SC_S9_NS6_11hip_rocprim9__find_if7functorIS9_EEEE10hipError_tPvRmT1_T2_T3_mT4_P12ihipStream_tbEUlT_E1_NS1_11comp_targetILNS1_3genE8ELNS1_11target_archE1030ELNS1_3gpuE2ELNS1_3repE0EEENS1_30default_config_static_selectorELNS0_4arch9wavefront6targetE1EEEvSK_.num_vgpr, 0
	.set _ZN7rocprim17ROCPRIM_400000_NS6detail17trampoline_kernelINS0_14default_configENS1_22reduce_config_selectorIN6thrust23THRUST_200600_302600_NS5tupleIblNS6_9null_typeES8_S8_S8_S8_S8_S8_S8_EEEEZNS1_11reduce_implILb1ES3_PS9_SC_S9_NS6_11hip_rocprim9__find_if7functorIS9_EEEE10hipError_tPvRmT1_T2_T3_mT4_P12ihipStream_tbEUlT_E1_NS1_11comp_targetILNS1_3genE8ELNS1_11target_archE1030ELNS1_3gpuE2ELNS1_3repE0EEENS1_30default_config_static_selectorELNS0_4arch9wavefront6targetE1EEEvSK_.num_agpr, 0
	.set _ZN7rocprim17ROCPRIM_400000_NS6detail17trampoline_kernelINS0_14default_configENS1_22reduce_config_selectorIN6thrust23THRUST_200600_302600_NS5tupleIblNS6_9null_typeES8_S8_S8_S8_S8_S8_S8_EEEEZNS1_11reduce_implILb1ES3_PS9_SC_S9_NS6_11hip_rocprim9__find_if7functorIS9_EEEE10hipError_tPvRmT1_T2_T3_mT4_P12ihipStream_tbEUlT_E1_NS1_11comp_targetILNS1_3genE8ELNS1_11target_archE1030ELNS1_3gpuE2ELNS1_3repE0EEENS1_30default_config_static_selectorELNS0_4arch9wavefront6targetE1EEEvSK_.numbered_sgpr, 0
	.set _ZN7rocprim17ROCPRIM_400000_NS6detail17trampoline_kernelINS0_14default_configENS1_22reduce_config_selectorIN6thrust23THRUST_200600_302600_NS5tupleIblNS6_9null_typeES8_S8_S8_S8_S8_S8_S8_EEEEZNS1_11reduce_implILb1ES3_PS9_SC_S9_NS6_11hip_rocprim9__find_if7functorIS9_EEEE10hipError_tPvRmT1_T2_T3_mT4_P12ihipStream_tbEUlT_E1_NS1_11comp_targetILNS1_3genE8ELNS1_11target_archE1030ELNS1_3gpuE2ELNS1_3repE0EEENS1_30default_config_static_selectorELNS0_4arch9wavefront6targetE1EEEvSK_.num_named_barrier, 0
	.set _ZN7rocprim17ROCPRIM_400000_NS6detail17trampoline_kernelINS0_14default_configENS1_22reduce_config_selectorIN6thrust23THRUST_200600_302600_NS5tupleIblNS6_9null_typeES8_S8_S8_S8_S8_S8_S8_EEEEZNS1_11reduce_implILb1ES3_PS9_SC_S9_NS6_11hip_rocprim9__find_if7functorIS9_EEEE10hipError_tPvRmT1_T2_T3_mT4_P12ihipStream_tbEUlT_E1_NS1_11comp_targetILNS1_3genE8ELNS1_11target_archE1030ELNS1_3gpuE2ELNS1_3repE0EEENS1_30default_config_static_selectorELNS0_4arch9wavefront6targetE1EEEvSK_.private_seg_size, 0
	.set _ZN7rocprim17ROCPRIM_400000_NS6detail17trampoline_kernelINS0_14default_configENS1_22reduce_config_selectorIN6thrust23THRUST_200600_302600_NS5tupleIblNS6_9null_typeES8_S8_S8_S8_S8_S8_S8_EEEEZNS1_11reduce_implILb1ES3_PS9_SC_S9_NS6_11hip_rocprim9__find_if7functorIS9_EEEE10hipError_tPvRmT1_T2_T3_mT4_P12ihipStream_tbEUlT_E1_NS1_11comp_targetILNS1_3genE8ELNS1_11target_archE1030ELNS1_3gpuE2ELNS1_3repE0EEENS1_30default_config_static_selectorELNS0_4arch9wavefront6targetE1EEEvSK_.uses_vcc, 0
	.set _ZN7rocprim17ROCPRIM_400000_NS6detail17trampoline_kernelINS0_14default_configENS1_22reduce_config_selectorIN6thrust23THRUST_200600_302600_NS5tupleIblNS6_9null_typeES8_S8_S8_S8_S8_S8_S8_EEEEZNS1_11reduce_implILb1ES3_PS9_SC_S9_NS6_11hip_rocprim9__find_if7functorIS9_EEEE10hipError_tPvRmT1_T2_T3_mT4_P12ihipStream_tbEUlT_E1_NS1_11comp_targetILNS1_3genE8ELNS1_11target_archE1030ELNS1_3gpuE2ELNS1_3repE0EEENS1_30default_config_static_selectorELNS0_4arch9wavefront6targetE1EEEvSK_.uses_flat_scratch, 0
	.set _ZN7rocprim17ROCPRIM_400000_NS6detail17trampoline_kernelINS0_14default_configENS1_22reduce_config_selectorIN6thrust23THRUST_200600_302600_NS5tupleIblNS6_9null_typeES8_S8_S8_S8_S8_S8_S8_EEEEZNS1_11reduce_implILb1ES3_PS9_SC_S9_NS6_11hip_rocprim9__find_if7functorIS9_EEEE10hipError_tPvRmT1_T2_T3_mT4_P12ihipStream_tbEUlT_E1_NS1_11comp_targetILNS1_3genE8ELNS1_11target_archE1030ELNS1_3gpuE2ELNS1_3repE0EEENS1_30default_config_static_selectorELNS0_4arch9wavefront6targetE1EEEvSK_.has_dyn_sized_stack, 0
	.set _ZN7rocprim17ROCPRIM_400000_NS6detail17trampoline_kernelINS0_14default_configENS1_22reduce_config_selectorIN6thrust23THRUST_200600_302600_NS5tupleIblNS6_9null_typeES8_S8_S8_S8_S8_S8_S8_EEEEZNS1_11reduce_implILb1ES3_PS9_SC_S9_NS6_11hip_rocprim9__find_if7functorIS9_EEEE10hipError_tPvRmT1_T2_T3_mT4_P12ihipStream_tbEUlT_E1_NS1_11comp_targetILNS1_3genE8ELNS1_11target_archE1030ELNS1_3gpuE2ELNS1_3repE0EEENS1_30default_config_static_selectorELNS0_4arch9wavefront6targetE1EEEvSK_.has_recursion, 0
	.set _ZN7rocprim17ROCPRIM_400000_NS6detail17trampoline_kernelINS0_14default_configENS1_22reduce_config_selectorIN6thrust23THRUST_200600_302600_NS5tupleIblNS6_9null_typeES8_S8_S8_S8_S8_S8_S8_EEEEZNS1_11reduce_implILb1ES3_PS9_SC_S9_NS6_11hip_rocprim9__find_if7functorIS9_EEEE10hipError_tPvRmT1_T2_T3_mT4_P12ihipStream_tbEUlT_E1_NS1_11comp_targetILNS1_3genE8ELNS1_11target_archE1030ELNS1_3gpuE2ELNS1_3repE0EEENS1_30default_config_static_selectorELNS0_4arch9wavefront6targetE1EEEvSK_.has_indirect_call, 0
	.section	.AMDGPU.csdata,"",@progbits
; Kernel info:
; codeLenInByte = 0
; TotalNumSgprs: 4
; NumVgprs: 0
; ScratchSize: 0
; MemoryBound: 0
; FloatMode: 240
; IeeeMode: 1
; LDSByteSize: 0 bytes/workgroup (compile time only)
; SGPRBlocks: 0
; VGPRBlocks: 0
; NumSGPRsForWavesPerEU: 4
; NumVGPRsForWavesPerEU: 1
; Occupancy: 10
; WaveLimiterHint : 0
; COMPUTE_PGM_RSRC2:SCRATCH_EN: 0
; COMPUTE_PGM_RSRC2:USER_SGPR: 6
; COMPUTE_PGM_RSRC2:TRAP_HANDLER: 0
; COMPUTE_PGM_RSRC2:TGID_X_EN: 1
; COMPUTE_PGM_RSRC2:TGID_Y_EN: 0
; COMPUTE_PGM_RSRC2:TGID_Z_EN: 0
; COMPUTE_PGM_RSRC2:TIDIG_COMP_CNT: 0
	.section	.text._ZN7rocprim17ROCPRIM_400000_NS6detail17trampoline_kernelINS0_14default_configENS1_22reduce_config_selectorIN6thrust23THRUST_200600_302600_NS5tupleIblNS6_9null_typeES8_S8_S8_S8_S8_S8_S8_EEEEZNS1_11reduce_implILb1ES3_NS6_12zip_iteratorINS7_INS6_11hip_rocprim26transform_input_iterator_tIbNSD_35transform_pair_of_input_iterators_tIbNS6_6detail15normal_iteratorINS6_10device_ptrIKiEEEESL_NS6_8equal_toIiEEEENSG_9not_fun_tINSD_8identityEEEEENSD_19counting_iterator_tIlEES8_S8_S8_S8_S8_S8_S8_S8_EEEEPS9_S9_NSD_9__find_if7functorIS9_EEEE10hipError_tPvRmT1_T2_T3_mT4_P12ihipStream_tbEUlT_E0_NS1_11comp_targetILNS1_3genE0ELNS1_11target_archE4294967295ELNS1_3gpuE0ELNS1_3repE0EEENS1_30default_config_static_selectorELNS0_4arch9wavefront6targetE1EEEvS14_,"axG",@progbits,_ZN7rocprim17ROCPRIM_400000_NS6detail17trampoline_kernelINS0_14default_configENS1_22reduce_config_selectorIN6thrust23THRUST_200600_302600_NS5tupleIblNS6_9null_typeES8_S8_S8_S8_S8_S8_S8_EEEEZNS1_11reduce_implILb1ES3_NS6_12zip_iteratorINS7_INS6_11hip_rocprim26transform_input_iterator_tIbNSD_35transform_pair_of_input_iterators_tIbNS6_6detail15normal_iteratorINS6_10device_ptrIKiEEEESL_NS6_8equal_toIiEEEENSG_9not_fun_tINSD_8identityEEEEENSD_19counting_iterator_tIlEES8_S8_S8_S8_S8_S8_S8_S8_EEEEPS9_S9_NSD_9__find_if7functorIS9_EEEE10hipError_tPvRmT1_T2_T3_mT4_P12ihipStream_tbEUlT_E0_NS1_11comp_targetILNS1_3genE0ELNS1_11target_archE4294967295ELNS1_3gpuE0ELNS1_3repE0EEENS1_30default_config_static_selectorELNS0_4arch9wavefront6targetE1EEEvS14_,comdat
	.protected	_ZN7rocprim17ROCPRIM_400000_NS6detail17trampoline_kernelINS0_14default_configENS1_22reduce_config_selectorIN6thrust23THRUST_200600_302600_NS5tupleIblNS6_9null_typeES8_S8_S8_S8_S8_S8_S8_EEEEZNS1_11reduce_implILb1ES3_NS6_12zip_iteratorINS7_INS6_11hip_rocprim26transform_input_iterator_tIbNSD_35transform_pair_of_input_iterators_tIbNS6_6detail15normal_iteratorINS6_10device_ptrIKiEEEESL_NS6_8equal_toIiEEEENSG_9not_fun_tINSD_8identityEEEEENSD_19counting_iterator_tIlEES8_S8_S8_S8_S8_S8_S8_S8_EEEEPS9_S9_NSD_9__find_if7functorIS9_EEEE10hipError_tPvRmT1_T2_T3_mT4_P12ihipStream_tbEUlT_E0_NS1_11comp_targetILNS1_3genE0ELNS1_11target_archE4294967295ELNS1_3gpuE0ELNS1_3repE0EEENS1_30default_config_static_selectorELNS0_4arch9wavefront6targetE1EEEvS14_ ; -- Begin function _ZN7rocprim17ROCPRIM_400000_NS6detail17trampoline_kernelINS0_14default_configENS1_22reduce_config_selectorIN6thrust23THRUST_200600_302600_NS5tupleIblNS6_9null_typeES8_S8_S8_S8_S8_S8_S8_EEEEZNS1_11reduce_implILb1ES3_NS6_12zip_iteratorINS7_INS6_11hip_rocprim26transform_input_iterator_tIbNSD_35transform_pair_of_input_iterators_tIbNS6_6detail15normal_iteratorINS6_10device_ptrIKiEEEESL_NS6_8equal_toIiEEEENSG_9not_fun_tINSD_8identityEEEEENSD_19counting_iterator_tIlEES8_S8_S8_S8_S8_S8_S8_S8_EEEEPS9_S9_NSD_9__find_if7functorIS9_EEEE10hipError_tPvRmT1_T2_T3_mT4_P12ihipStream_tbEUlT_E0_NS1_11comp_targetILNS1_3genE0ELNS1_11target_archE4294967295ELNS1_3gpuE0ELNS1_3repE0EEENS1_30default_config_static_selectorELNS0_4arch9wavefront6targetE1EEEvS14_
	.globl	_ZN7rocprim17ROCPRIM_400000_NS6detail17trampoline_kernelINS0_14default_configENS1_22reduce_config_selectorIN6thrust23THRUST_200600_302600_NS5tupleIblNS6_9null_typeES8_S8_S8_S8_S8_S8_S8_EEEEZNS1_11reduce_implILb1ES3_NS6_12zip_iteratorINS7_INS6_11hip_rocprim26transform_input_iterator_tIbNSD_35transform_pair_of_input_iterators_tIbNS6_6detail15normal_iteratorINS6_10device_ptrIKiEEEESL_NS6_8equal_toIiEEEENSG_9not_fun_tINSD_8identityEEEEENSD_19counting_iterator_tIlEES8_S8_S8_S8_S8_S8_S8_S8_EEEEPS9_S9_NSD_9__find_if7functorIS9_EEEE10hipError_tPvRmT1_T2_T3_mT4_P12ihipStream_tbEUlT_E0_NS1_11comp_targetILNS1_3genE0ELNS1_11target_archE4294967295ELNS1_3gpuE0ELNS1_3repE0EEENS1_30default_config_static_selectorELNS0_4arch9wavefront6targetE1EEEvS14_
	.p2align	8
	.type	_ZN7rocprim17ROCPRIM_400000_NS6detail17trampoline_kernelINS0_14default_configENS1_22reduce_config_selectorIN6thrust23THRUST_200600_302600_NS5tupleIblNS6_9null_typeES8_S8_S8_S8_S8_S8_S8_EEEEZNS1_11reduce_implILb1ES3_NS6_12zip_iteratorINS7_INS6_11hip_rocprim26transform_input_iterator_tIbNSD_35transform_pair_of_input_iterators_tIbNS6_6detail15normal_iteratorINS6_10device_ptrIKiEEEESL_NS6_8equal_toIiEEEENSG_9not_fun_tINSD_8identityEEEEENSD_19counting_iterator_tIlEES8_S8_S8_S8_S8_S8_S8_S8_EEEEPS9_S9_NSD_9__find_if7functorIS9_EEEE10hipError_tPvRmT1_T2_T3_mT4_P12ihipStream_tbEUlT_E0_NS1_11comp_targetILNS1_3genE0ELNS1_11target_archE4294967295ELNS1_3gpuE0ELNS1_3repE0EEENS1_30default_config_static_selectorELNS0_4arch9wavefront6targetE1EEEvS14_,@function
_ZN7rocprim17ROCPRIM_400000_NS6detail17trampoline_kernelINS0_14default_configENS1_22reduce_config_selectorIN6thrust23THRUST_200600_302600_NS5tupleIblNS6_9null_typeES8_S8_S8_S8_S8_S8_S8_EEEEZNS1_11reduce_implILb1ES3_NS6_12zip_iteratorINS7_INS6_11hip_rocprim26transform_input_iterator_tIbNSD_35transform_pair_of_input_iterators_tIbNS6_6detail15normal_iteratorINS6_10device_ptrIKiEEEESL_NS6_8equal_toIiEEEENSG_9not_fun_tINSD_8identityEEEEENSD_19counting_iterator_tIlEES8_S8_S8_S8_S8_S8_S8_S8_EEEEPS9_S9_NSD_9__find_if7functorIS9_EEEE10hipError_tPvRmT1_T2_T3_mT4_P12ihipStream_tbEUlT_E0_NS1_11comp_targetILNS1_3genE0ELNS1_11target_archE4294967295ELNS1_3gpuE0ELNS1_3repE0EEENS1_30default_config_static_selectorELNS0_4arch9wavefront6targetE1EEEvS14_: ; @_ZN7rocprim17ROCPRIM_400000_NS6detail17trampoline_kernelINS0_14default_configENS1_22reduce_config_selectorIN6thrust23THRUST_200600_302600_NS5tupleIblNS6_9null_typeES8_S8_S8_S8_S8_S8_S8_EEEEZNS1_11reduce_implILb1ES3_NS6_12zip_iteratorINS7_INS6_11hip_rocprim26transform_input_iterator_tIbNSD_35transform_pair_of_input_iterators_tIbNS6_6detail15normal_iteratorINS6_10device_ptrIKiEEEESL_NS6_8equal_toIiEEEENSG_9not_fun_tINSD_8identityEEEEENSD_19counting_iterator_tIlEES8_S8_S8_S8_S8_S8_S8_S8_EEEEPS9_S9_NSD_9__find_if7functorIS9_EEEE10hipError_tPvRmT1_T2_T3_mT4_P12ihipStream_tbEUlT_E0_NS1_11comp_targetILNS1_3genE0ELNS1_11target_archE4294967295ELNS1_3gpuE0ELNS1_3repE0EEENS1_30default_config_static_selectorELNS0_4arch9wavefront6targetE1EEEvS14_
; %bb.0:
	.section	.rodata,"a",@progbits
	.p2align	6, 0x0
	.amdhsa_kernel _ZN7rocprim17ROCPRIM_400000_NS6detail17trampoline_kernelINS0_14default_configENS1_22reduce_config_selectorIN6thrust23THRUST_200600_302600_NS5tupleIblNS6_9null_typeES8_S8_S8_S8_S8_S8_S8_EEEEZNS1_11reduce_implILb1ES3_NS6_12zip_iteratorINS7_INS6_11hip_rocprim26transform_input_iterator_tIbNSD_35transform_pair_of_input_iterators_tIbNS6_6detail15normal_iteratorINS6_10device_ptrIKiEEEESL_NS6_8equal_toIiEEEENSG_9not_fun_tINSD_8identityEEEEENSD_19counting_iterator_tIlEES8_S8_S8_S8_S8_S8_S8_S8_EEEEPS9_S9_NSD_9__find_if7functorIS9_EEEE10hipError_tPvRmT1_T2_T3_mT4_P12ihipStream_tbEUlT_E0_NS1_11comp_targetILNS1_3genE0ELNS1_11target_archE4294967295ELNS1_3gpuE0ELNS1_3repE0EEENS1_30default_config_static_selectorELNS0_4arch9wavefront6targetE1EEEvS14_
		.amdhsa_group_segment_fixed_size 0
		.amdhsa_private_segment_fixed_size 0
		.amdhsa_kernarg_size 104
		.amdhsa_user_sgpr_count 6
		.amdhsa_user_sgpr_private_segment_buffer 1
		.amdhsa_user_sgpr_dispatch_ptr 0
		.amdhsa_user_sgpr_queue_ptr 0
		.amdhsa_user_sgpr_kernarg_segment_ptr 1
		.amdhsa_user_sgpr_dispatch_id 0
		.amdhsa_user_sgpr_flat_scratch_init 0
		.amdhsa_user_sgpr_private_segment_size 0
		.amdhsa_uses_dynamic_stack 0
		.amdhsa_system_sgpr_private_segment_wavefront_offset 0
		.amdhsa_system_sgpr_workgroup_id_x 1
		.amdhsa_system_sgpr_workgroup_id_y 0
		.amdhsa_system_sgpr_workgroup_id_z 0
		.amdhsa_system_sgpr_workgroup_info 0
		.amdhsa_system_vgpr_workitem_id 0
		.amdhsa_next_free_vgpr 1
		.amdhsa_next_free_sgpr 0
		.amdhsa_reserve_vcc 0
		.amdhsa_reserve_flat_scratch 0
		.amdhsa_float_round_mode_32 0
		.amdhsa_float_round_mode_16_64 0
		.amdhsa_float_denorm_mode_32 3
		.amdhsa_float_denorm_mode_16_64 3
		.amdhsa_dx10_clamp 1
		.amdhsa_ieee_mode 1
		.amdhsa_fp16_overflow 0
		.amdhsa_exception_fp_ieee_invalid_op 0
		.amdhsa_exception_fp_denorm_src 0
		.amdhsa_exception_fp_ieee_div_zero 0
		.amdhsa_exception_fp_ieee_overflow 0
		.amdhsa_exception_fp_ieee_underflow 0
		.amdhsa_exception_fp_ieee_inexact 0
		.amdhsa_exception_int_div_zero 0
	.end_amdhsa_kernel
	.section	.text._ZN7rocprim17ROCPRIM_400000_NS6detail17trampoline_kernelINS0_14default_configENS1_22reduce_config_selectorIN6thrust23THRUST_200600_302600_NS5tupleIblNS6_9null_typeES8_S8_S8_S8_S8_S8_S8_EEEEZNS1_11reduce_implILb1ES3_NS6_12zip_iteratorINS7_INS6_11hip_rocprim26transform_input_iterator_tIbNSD_35transform_pair_of_input_iterators_tIbNS6_6detail15normal_iteratorINS6_10device_ptrIKiEEEESL_NS6_8equal_toIiEEEENSG_9not_fun_tINSD_8identityEEEEENSD_19counting_iterator_tIlEES8_S8_S8_S8_S8_S8_S8_S8_EEEEPS9_S9_NSD_9__find_if7functorIS9_EEEE10hipError_tPvRmT1_T2_T3_mT4_P12ihipStream_tbEUlT_E0_NS1_11comp_targetILNS1_3genE0ELNS1_11target_archE4294967295ELNS1_3gpuE0ELNS1_3repE0EEENS1_30default_config_static_selectorELNS0_4arch9wavefront6targetE1EEEvS14_,"axG",@progbits,_ZN7rocprim17ROCPRIM_400000_NS6detail17trampoline_kernelINS0_14default_configENS1_22reduce_config_selectorIN6thrust23THRUST_200600_302600_NS5tupleIblNS6_9null_typeES8_S8_S8_S8_S8_S8_S8_EEEEZNS1_11reduce_implILb1ES3_NS6_12zip_iteratorINS7_INS6_11hip_rocprim26transform_input_iterator_tIbNSD_35transform_pair_of_input_iterators_tIbNS6_6detail15normal_iteratorINS6_10device_ptrIKiEEEESL_NS6_8equal_toIiEEEENSG_9not_fun_tINSD_8identityEEEEENSD_19counting_iterator_tIlEES8_S8_S8_S8_S8_S8_S8_S8_EEEEPS9_S9_NSD_9__find_if7functorIS9_EEEE10hipError_tPvRmT1_T2_T3_mT4_P12ihipStream_tbEUlT_E0_NS1_11comp_targetILNS1_3genE0ELNS1_11target_archE4294967295ELNS1_3gpuE0ELNS1_3repE0EEENS1_30default_config_static_selectorELNS0_4arch9wavefront6targetE1EEEvS14_,comdat
.Lfunc_end468:
	.size	_ZN7rocprim17ROCPRIM_400000_NS6detail17trampoline_kernelINS0_14default_configENS1_22reduce_config_selectorIN6thrust23THRUST_200600_302600_NS5tupleIblNS6_9null_typeES8_S8_S8_S8_S8_S8_S8_EEEEZNS1_11reduce_implILb1ES3_NS6_12zip_iteratorINS7_INS6_11hip_rocprim26transform_input_iterator_tIbNSD_35transform_pair_of_input_iterators_tIbNS6_6detail15normal_iteratorINS6_10device_ptrIKiEEEESL_NS6_8equal_toIiEEEENSG_9not_fun_tINSD_8identityEEEEENSD_19counting_iterator_tIlEES8_S8_S8_S8_S8_S8_S8_S8_EEEEPS9_S9_NSD_9__find_if7functorIS9_EEEE10hipError_tPvRmT1_T2_T3_mT4_P12ihipStream_tbEUlT_E0_NS1_11comp_targetILNS1_3genE0ELNS1_11target_archE4294967295ELNS1_3gpuE0ELNS1_3repE0EEENS1_30default_config_static_selectorELNS0_4arch9wavefront6targetE1EEEvS14_, .Lfunc_end468-_ZN7rocprim17ROCPRIM_400000_NS6detail17trampoline_kernelINS0_14default_configENS1_22reduce_config_selectorIN6thrust23THRUST_200600_302600_NS5tupleIblNS6_9null_typeES8_S8_S8_S8_S8_S8_S8_EEEEZNS1_11reduce_implILb1ES3_NS6_12zip_iteratorINS7_INS6_11hip_rocprim26transform_input_iterator_tIbNSD_35transform_pair_of_input_iterators_tIbNS6_6detail15normal_iteratorINS6_10device_ptrIKiEEEESL_NS6_8equal_toIiEEEENSG_9not_fun_tINSD_8identityEEEEENSD_19counting_iterator_tIlEES8_S8_S8_S8_S8_S8_S8_S8_EEEEPS9_S9_NSD_9__find_if7functorIS9_EEEE10hipError_tPvRmT1_T2_T3_mT4_P12ihipStream_tbEUlT_E0_NS1_11comp_targetILNS1_3genE0ELNS1_11target_archE4294967295ELNS1_3gpuE0ELNS1_3repE0EEENS1_30default_config_static_selectorELNS0_4arch9wavefront6targetE1EEEvS14_
                                        ; -- End function
	.set _ZN7rocprim17ROCPRIM_400000_NS6detail17trampoline_kernelINS0_14default_configENS1_22reduce_config_selectorIN6thrust23THRUST_200600_302600_NS5tupleIblNS6_9null_typeES8_S8_S8_S8_S8_S8_S8_EEEEZNS1_11reduce_implILb1ES3_NS6_12zip_iteratorINS7_INS6_11hip_rocprim26transform_input_iterator_tIbNSD_35transform_pair_of_input_iterators_tIbNS6_6detail15normal_iteratorINS6_10device_ptrIKiEEEESL_NS6_8equal_toIiEEEENSG_9not_fun_tINSD_8identityEEEEENSD_19counting_iterator_tIlEES8_S8_S8_S8_S8_S8_S8_S8_EEEEPS9_S9_NSD_9__find_if7functorIS9_EEEE10hipError_tPvRmT1_T2_T3_mT4_P12ihipStream_tbEUlT_E0_NS1_11comp_targetILNS1_3genE0ELNS1_11target_archE4294967295ELNS1_3gpuE0ELNS1_3repE0EEENS1_30default_config_static_selectorELNS0_4arch9wavefront6targetE1EEEvS14_.num_vgpr, 0
	.set _ZN7rocprim17ROCPRIM_400000_NS6detail17trampoline_kernelINS0_14default_configENS1_22reduce_config_selectorIN6thrust23THRUST_200600_302600_NS5tupleIblNS6_9null_typeES8_S8_S8_S8_S8_S8_S8_EEEEZNS1_11reduce_implILb1ES3_NS6_12zip_iteratorINS7_INS6_11hip_rocprim26transform_input_iterator_tIbNSD_35transform_pair_of_input_iterators_tIbNS6_6detail15normal_iteratorINS6_10device_ptrIKiEEEESL_NS6_8equal_toIiEEEENSG_9not_fun_tINSD_8identityEEEEENSD_19counting_iterator_tIlEES8_S8_S8_S8_S8_S8_S8_S8_EEEEPS9_S9_NSD_9__find_if7functorIS9_EEEE10hipError_tPvRmT1_T2_T3_mT4_P12ihipStream_tbEUlT_E0_NS1_11comp_targetILNS1_3genE0ELNS1_11target_archE4294967295ELNS1_3gpuE0ELNS1_3repE0EEENS1_30default_config_static_selectorELNS0_4arch9wavefront6targetE1EEEvS14_.num_agpr, 0
	.set _ZN7rocprim17ROCPRIM_400000_NS6detail17trampoline_kernelINS0_14default_configENS1_22reduce_config_selectorIN6thrust23THRUST_200600_302600_NS5tupleIblNS6_9null_typeES8_S8_S8_S8_S8_S8_S8_EEEEZNS1_11reduce_implILb1ES3_NS6_12zip_iteratorINS7_INS6_11hip_rocprim26transform_input_iterator_tIbNSD_35transform_pair_of_input_iterators_tIbNS6_6detail15normal_iteratorINS6_10device_ptrIKiEEEESL_NS6_8equal_toIiEEEENSG_9not_fun_tINSD_8identityEEEEENSD_19counting_iterator_tIlEES8_S8_S8_S8_S8_S8_S8_S8_EEEEPS9_S9_NSD_9__find_if7functorIS9_EEEE10hipError_tPvRmT1_T2_T3_mT4_P12ihipStream_tbEUlT_E0_NS1_11comp_targetILNS1_3genE0ELNS1_11target_archE4294967295ELNS1_3gpuE0ELNS1_3repE0EEENS1_30default_config_static_selectorELNS0_4arch9wavefront6targetE1EEEvS14_.numbered_sgpr, 0
	.set _ZN7rocprim17ROCPRIM_400000_NS6detail17trampoline_kernelINS0_14default_configENS1_22reduce_config_selectorIN6thrust23THRUST_200600_302600_NS5tupleIblNS6_9null_typeES8_S8_S8_S8_S8_S8_S8_EEEEZNS1_11reduce_implILb1ES3_NS6_12zip_iteratorINS7_INS6_11hip_rocprim26transform_input_iterator_tIbNSD_35transform_pair_of_input_iterators_tIbNS6_6detail15normal_iteratorINS6_10device_ptrIKiEEEESL_NS6_8equal_toIiEEEENSG_9not_fun_tINSD_8identityEEEEENSD_19counting_iterator_tIlEES8_S8_S8_S8_S8_S8_S8_S8_EEEEPS9_S9_NSD_9__find_if7functorIS9_EEEE10hipError_tPvRmT1_T2_T3_mT4_P12ihipStream_tbEUlT_E0_NS1_11comp_targetILNS1_3genE0ELNS1_11target_archE4294967295ELNS1_3gpuE0ELNS1_3repE0EEENS1_30default_config_static_selectorELNS0_4arch9wavefront6targetE1EEEvS14_.num_named_barrier, 0
	.set _ZN7rocprim17ROCPRIM_400000_NS6detail17trampoline_kernelINS0_14default_configENS1_22reduce_config_selectorIN6thrust23THRUST_200600_302600_NS5tupleIblNS6_9null_typeES8_S8_S8_S8_S8_S8_S8_EEEEZNS1_11reduce_implILb1ES3_NS6_12zip_iteratorINS7_INS6_11hip_rocprim26transform_input_iterator_tIbNSD_35transform_pair_of_input_iterators_tIbNS6_6detail15normal_iteratorINS6_10device_ptrIKiEEEESL_NS6_8equal_toIiEEEENSG_9not_fun_tINSD_8identityEEEEENSD_19counting_iterator_tIlEES8_S8_S8_S8_S8_S8_S8_S8_EEEEPS9_S9_NSD_9__find_if7functorIS9_EEEE10hipError_tPvRmT1_T2_T3_mT4_P12ihipStream_tbEUlT_E0_NS1_11comp_targetILNS1_3genE0ELNS1_11target_archE4294967295ELNS1_3gpuE0ELNS1_3repE0EEENS1_30default_config_static_selectorELNS0_4arch9wavefront6targetE1EEEvS14_.private_seg_size, 0
	.set _ZN7rocprim17ROCPRIM_400000_NS6detail17trampoline_kernelINS0_14default_configENS1_22reduce_config_selectorIN6thrust23THRUST_200600_302600_NS5tupleIblNS6_9null_typeES8_S8_S8_S8_S8_S8_S8_EEEEZNS1_11reduce_implILb1ES3_NS6_12zip_iteratorINS7_INS6_11hip_rocprim26transform_input_iterator_tIbNSD_35transform_pair_of_input_iterators_tIbNS6_6detail15normal_iteratorINS6_10device_ptrIKiEEEESL_NS6_8equal_toIiEEEENSG_9not_fun_tINSD_8identityEEEEENSD_19counting_iterator_tIlEES8_S8_S8_S8_S8_S8_S8_S8_EEEEPS9_S9_NSD_9__find_if7functorIS9_EEEE10hipError_tPvRmT1_T2_T3_mT4_P12ihipStream_tbEUlT_E0_NS1_11comp_targetILNS1_3genE0ELNS1_11target_archE4294967295ELNS1_3gpuE0ELNS1_3repE0EEENS1_30default_config_static_selectorELNS0_4arch9wavefront6targetE1EEEvS14_.uses_vcc, 0
	.set _ZN7rocprim17ROCPRIM_400000_NS6detail17trampoline_kernelINS0_14default_configENS1_22reduce_config_selectorIN6thrust23THRUST_200600_302600_NS5tupleIblNS6_9null_typeES8_S8_S8_S8_S8_S8_S8_EEEEZNS1_11reduce_implILb1ES3_NS6_12zip_iteratorINS7_INS6_11hip_rocprim26transform_input_iterator_tIbNSD_35transform_pair_of_input_iterators_tIbNS6_6detail15normal_iteratorINS6_10device_ptrIKiEEEESL_NS6_8equal_toIiEEEENSG_9not_fun_tINSD_8identityEEEEENSD_19counting_iterator_tIlEES8_S8_S8_S8_S8_S8_S8_S8_EEEEPS9_S9_NSD_9__find_if7functorIS9_EEEE10hipError_tPvRmT1_T2_T3_mT4_P12ihipStream_tbEUlT_E0_NS1_11comp_targetILNS1_3genE0ELNS1_11target_archE4294967295ELNS1_3gpuE0ELNS1_3repE0EEENS1_30default_config_static_selectorELNS0_4arch9wavefront6targetE1EEEvS14_.uses_flat_scratch, 0
	.set _ZN7rocprim17ROCPRIM_400000_NS6detail17trampoline_kernelINS0_14default_configENS1_22reduce_config_selectorIN6thrust23THRUST_200600_302600_NS5tupleIblNS6_9null_typeES8_S8_S8_S8_S8_S8_S8_EEEEZNS1_11reduce_implILb1ES3_NS6_12zip_iteratorINS7_INS6_11hip_rocprim26transform_input_iterator_tIbNSD_35transform_pair_of_input_iterators_tIbNS6_6detail15normal_iteratorINS6_10device_ptrIKiEEEESL_NS6_8equal_toIiEEEENSG_9not_fun_tINSD_8identityEEEEENSD_19counting_iterator_tIlEES8_S8_S8_S8_S8_S8_S8_S8_EEEEPS9_S9_NSD_9__find_if7functorIS9_EEEE10hipError_tPvRmT1_T2_T3_mT4_P12ihipStream_tbEUlT_E0_NS1_11comp_targetILNS1_3genE0ELNS1_11target_archE4294967295ELNS1_3gpuE0ELNS1_3repE0EEENS1_30default_config_static_selectorELNS0_4arch9wavefront6targetE1EEEvS14_.has_dyn_sized_stack, 0
	.set _ZN7rocprim17ROCPRIM_400000_NS6detail17trampoline_kernelINS0_14default_configENS1_22reduce_config_selectorIN6thrust23THRUST_200600_302600_NS5tupleIblNS6_9null_typeES8_S8_S8_S8_S8_S8_S8_EEEEZNS1_11reduce_implILb1ES3_NS6_12zip_iteratorINS7_INS6_11hip_rocprim26transform_input_iterator_tIbNSD_35transform_pair_of_input_iterators_tIbNS6_6detail15normal_iteratorINS6_10device_ptrIKiEEEESL_NS6_8equal_toIiEEEENSG_9not_fun_tINSD_8identityEEEEENSD_19counting_iterator_tIlEES8_S8_S8_S8_S8_S8_S8_S8_EEEEPS9_S9_NSD_9__find_if7functorIS9_EEEE10hipError_tPvRmT1_T2_T3_mT4_P12ihipStream_tbEUlT_E0_NS1_11comp_targetILNS1_3genE0ELNS1_11target_archE4294967295ELNS1_3gpuE0ELNS1_3repE0EEENS1_30default_config_static_selectorELNS0_4arch9wavefront6targetE1EEEvS14_.has_recursion, 0
	.set _ZN7rocprim17ROCPRIM_400000_NS6detail17trampoline_kernelINS0_14default_configENS1_22reduce_config_selectorIN6thrust23THRUST_200600_302600_NS5tupleIblNS6_9null_typeES8_S8_S8_S8_S8_S8_S8_EEEEZNS1_11reduce_implILb1ES3_NS6_12zip_iteratorINS7_INS6_11hip_rocprim26transform_input_iterator_tIbNSD_35transform_pair_of_input_iterators_tIbNS6_6detail15normal_iteratorINS6_10device_ptrIKiEEEESL_NS6_8equal_toIiEEEENSG_9not_fun_tINSD_8identityEEEEENSD_19counting_iterator_tIlEES8_S8_S8_S8_S8_S8_S8_S8_EEEEPS9_S9_NSD_9__find_if7functorIS9_EEEE10hipError_tPvRmT1_T2_T3_mT4_P12ihipStream_tbEUlT_E0_NS1_11comp_targetILNS1_3genE0ELNS1_11target_archE4294967295ELNS1_3gpuE0ELNS1_3repE0EEENS1_30default_config_static_selectorELNS0_4arch9wavefront6targetE1EEEvS14_.has_indirect_call, 0
	.section	.AMDGPU.csdata,"",@progbits
; Kernel info:
; codeLenInByte = 0
; TotalNumSgprs: 4
; NumVgprs: 0
; ScratchSize: 0
; MemoryBound: 0
; FloatMode: 240
; IeeeMode: 1
; LDSByteSize: 0 bytes/workgroup (compile time only)
; SGPRBlocks: 0
; VGPRBlocks: 0
; NumSGPRsForWavesPerEU: 4
; NumVGPRsForWavesPerEU: 1
; Occupancy: 10
; WaveLimiterHint : 0
; COMPUTE_PGM_RSRC2:SCRATCH_EN: 0
; COMPUTE_PGM_RSRC2:USER_SGPR: 6
; COMPUTE_PGM_RSRC2:TRAP_HANDLER: 0
; COMPUTE_PGM_RSRC2:TGID_X_EN: 1
; COMPUTE_PGM_RSRC2:TGID_Y_EN: 0
; COMPUTE_PGM_RSRC2:TGID_Z_EN: 0
; COMPUTE_PGM_RSRC2:TIDIG_COMP_CNT: 0
	.section	.text._ZN7rocprim17ROCPRIM_400000_NS6detail17trampoline_kernelINS0_14default_configENS1_22reduce_config_selectorIN6thrust23THRUST_200600_302600_NS5tupleIblNS6_9null_typeES8_S8_S8_S8_S8_S8_S8_EEEEZNS1_11reduce_implILb1ES3_NS6_12zip_iteratorINS7_INS6_11hip_rocprim26transform_input_iterator_tIbNSD_35transform_pair_of_input_iterators_tIbNS6_6detail15normal_iteratorINS6_10device_ptrIKiEEEESL_NS6_8equal_toIiEEEENSG_9not_fun_tINSD_8identityEEEEENSD_19counting_iterator_tIlEES8_S8_S8_S8_S8_S8_S8_S8_EEEEPS9_S9_NSD_9__find_if7functorIS9_EEEE10hipError_tPvRmT1_T2_T3_mT4_P12ihipStream_tbEUlT_E0_NS1_11comp_targetILNS1_3genE5ELNS1_11target_archE942ELNS1_3gpuE9ELNS1_3repE0EEENS1_30default_config_static_selectorELNS0_4arch9wavefront6targetE1EEEvS14_,"axG",@progbits,_ZN7rocprim17ROCPRIM_400000_NS6detail17trampoline_kernelINS0_14default_configENS1_22reduce_config_selectorIN6thrust23THRUST_200600_302600_NS5tupleIblNS6_9null_typeES8_S8_S8_S8_S8_S8_S8_EEEEZNS1_11reduce_implILb1ES3_NS6_12zip_iteratorINS7_INS6_11hip_rocprim26transform_input_iterator_tIbNSD_35transform_pair_of_input_iterators_tIbNS6_6detail15normal_iteratorINS6_10device_ptrIKiEEEESL_NS6_8equal_toIiEEEENSG_9not_fun_tINSD_8identityEEEEENSD_19counting_iterator_tIlEES8_S8_S8_S8_S8_S8_S8_S8_EEEEPS9_S9_NSD_9__find_if7functorIS9_EEEE10hipError_tPvRmT1_T2_T3_mT4_P12ihipStream_tbEUlT_E0_NS1_11comp_targetILNS1_3genE5ELNS1_11target_archE942ELNS1_3gpuE9ELNS1_3repE0EEENS1_30default_config_static_selectorELNS0_4arch9wavefront6targetE1EEEvS14_,comdat
	.protected	_ZN7rocprim17ROCPRIM_400000_NS6detail17trampoline_kernelINS0_14default_configENS1_22reduce_config_selectorIN6thrust23THRUST_200600_302600_NS5tupleIblNS6_9null_typeES8_S8_S8_S8_S8_S8_S8_EEEEZNS1_11reduce_implILb1ES3_NS6_12zip_iteratorINS7_INS6_11hip_rocprim26transform_input_iterator_tIbNSD_35transform_pair_of_input_iterators_tIbNS6_6detail15normal_iteratorINS6_10device_ptrIKiEEEESL_NS6_8equal_toIiEEEENSG_9not_fun_tINSD_8identityEEEEENSD_19counting_iterator_tIlEES8_S8_S8_S8_S8_S8_S8_S8_EEEEPS9_S9_NSD_9__find_if7functorIS9_EEEE10hipError_tPvRmT1_T2_T3_mT4_P12ihipStream_tbEUlT_E0_NS1_11comp_targetILNS1_3genE5ELNS1_11target_archE942ELNS1_3gpuE9ELNS1_3repE0EEENS1_30default_config_static_selectorELNS0_4arch9wavefront6targetE1EEEvS14_ ; -- Begin function _ZN7rocprim17ROCPRIM_400000_NS6detail17trampoline_kernelINS0_14default_configENS1_22reduce_config_selectorIN6thrust23THRUST_200600_302600_NS5tupleIblNS6_9null_typeES8_S8_S8_S8_S8_S8_S8_EEEEZNS1_11reduce_implILb1ES3_NS6_12zip_iteratorINS7_INS6_11hip_rocprim26transform_input_iterator_tIbNSD_35transform_pair_of_input_iterators_tIbNS6_6detail15normal_iteratorINS6_10device_ptrIKiEEEESL_NS6_8equal_toIiEEEENSG_9not_fun_tINSD_8identityEEEEENSD_19counting_iterator_tIlEES8_S8_S8_S8_S8_S8_S8_S8_EEEEPS9_S9_NSD_9__find_if7functorIS9_EEEE10hipError_tPvRmT1_T2_T3_mT4_P12ihipStream_tbEUlT_E0_NS1_11comp_targetILNS1_3genE5ELNS1_11target_archE942ELNS1_3gpuE9ELNS1_3repE0EEENS1_30default_config_static_selectorELNS0_4arch9wavefront6targetE1EEEvS14_
	.globl	_ZN7rocprim17ROCPRIM_400000_NS6detail17trampoline_kernelINS0_14default_configENS1_22reduce_config_selectorIN6thrust23THRUST_200600_302600_NS5tupleIblNS6_9null_typeES8_S8_S8_S8_S8_S8_S8_EEEEZNS1_11reduce_implILb1ES3_NS6_12zip_iteratorINS7_INS6_11hip_rocprim26transform_input_iterator_tIbNSD_35transform_pair_of_input_iterators_tIbNS6_6detail15normal_iteratorINS6_10device_ptrIKiEEEESL_NS6_8equal_toIiEEEENSG_9not_fun_tINSD_8identityEEEEENSD_19counting_iterator_tIlEES8_S8_S8_S8_S8_S8_S8_S8_EEEEPS9_S9_NSD_9__find_if7functorIS9_EEEE10hipError_tPvRmT1_T2_T3_mT4_P12ihipStream_tbEUlT_E0_NS1_11comp_targetILNS1_3genE5ELNS1_11target_archE942ELNS1_3gpuE9ELNS1_3repE0EEENS1_30default_config_static_selectorELNS0_4arch9wavefront6targetE1EEEvS14_
	.p2align	8
	.type	_ZN7rocprim17ROCPRIM_400000_NS6detail17trampoline_kernelINS0_14default_configENS1_22reduce_config_selectorIN6thrust23THRUST_200600_302600_NS5tupleIblNS6_9null_typeES8_S8_S8_S8_S8_S8_S8_EEEEZNS1_11reduce_implILb1ES3_NS6_12zip_iteratorINS7_INS6_11hip_rocprim26transform_input_iterator_tIbNSD_35transform_pair_of_input_iterators_tIbNS6_6detail15normal_iteratorINS6_10device_ptrIKiEEEESL_NS6_8equal_toIiEEEENSG_9not_fun_tINSD_8identityEEEEENSD_19counting_iterator_tIlEES8_S8_S8_S8_S8_S8_S8_S8_EEEEPS9_S9_NSD_9__find_if7functorIS9_EEEE10hipError_tPvRmT1_T2_T3_mT4_P12ihipStream_tbEUlT_E0_NS1_11comp_targetILNS1_3genE5ELNS1_11target_archE942ELNS1_3gpuE9ELNS1_3repE0EEENS1_30default_config_static_selectorELNS0_4arch9wavefront6targetE1EEEvS14_,@function
_ZN7rocprim17ROCPRIM_400000_NS6detail17trampoline_kernelINS0_14default_configENS1_22reduce_config_selectorIN6thrust23THRUST_200600_302600_NS5tupleIblNS6_9null_typeES8_S8_S8_S8_S8_S8_S8_EEEEZNS1_11reduce_implILb1ES3_NS6_12zip_iteratorINS7_INS6_11hip_rocprim26transform_input_iterator_tIbNSD_35transform_pair_of_input_iterators_tIbNS6_6detail15normal_iteratorINS6_10device_ptrIKiEEEESL_NS6_8equal_toIiEEEENSG_9not_fun_tINSD_8identityEEEEENSD_19counting_iterator_tIlEES8_S8_S8_S8_S8_S8_S8_S8_EEEEPS9_S9_NSD_9__find_if7functorIS9_EEEE10hipError_tPvRmT1_T2_T3_mT4_P12ihipStream_tbEUlT_E0_NS1_11comp_targetILNS1_3genE5ELNS1_11target_archE942ELNS1_3gpuE9ELNS1_3repE0EEENS1_30default_config_static_selectorELNS0_4arch9wavefront6targetE1EEEvS14_: ; @_ZN7rocprim17ROCPRIM_400000_NS6detail17trampoline_kernelINS0_14default_configENS1_22reduce_config_selectorIN6thrust23THRUST_200600_302600_NS5tupleIblNS6_9null_typeES8_S8_S8_S8_S8_S8_S8_EEEEZNS1_11reduce_implILb1ES3_NS6_12zip_iteratorINS7_INS6_11hip_rocprim26transform_input_iterator_tIbNSD_35transform_pair_of_input_iterators_tIbNS6_6detail15normal_iteratorINS6_10device_ptrIKiEEEESL_NS6_8equal_toIiEEEENSG_9not_fun_tINSD_8identityEEEEENSD_19counting_iterator_tIlEES8_S8_S8_S8_S8_S8_S8_S8_EEEEPS9_S9_NSD_9__find_if7functorIS9_EEEE10hipError_tPvRmT1_T2_T3_mT4_P12ihipStream_tbEUlT_E0_NS1_11comp_targetILNS1_3genE5ELNS1_11target_archE942ELNS1_3gpuE9ELNS1_3repE0EEENS1_30default_config_static_selectorELNS0_4arch9wavefront6targetE1EEEvS14_
; %bb.0:
	.section	.rodata,"a",@progbits
	.p2align	6, 0x0
	.amdhsa_kernel _ZN7rocprim17ROCPRIM_400000_NS6detail17trampoline_kernelINS0_14default_configENS1_22reduce_config_selectorIN6thrust23THRUST_200600_302600_NS5tupleIblNS6_9null_typeES8_S8_S8_S8_S8_S8_S8_EEEEZNS1_11reduce_implILb1ES3_NS6_12zip_iteratorINS7_INS6_11hip_rocprim26transform_input_iterator_tIbNSD_35transform_pair_of_input_iterators_tIbNS6_6detail15normal_iteratorINS6_10device_ptrIKiEEEESL_NS6_8equal_toIiEEEENSG_9not_fun_tINSD_8identityEEEEENSD_19counting_iterator_tIlEES8_S8_S8_S8_S8_S8_S8_S8_EEEEPS9_S9_NSD_9__find_if7functorIS9_EEEE10hipError_tPvRmT1_T2_T3_mT4_P12ihipStream_tbEUlT_E0_NS1_11comp_targetILNS1_3genE5ELNS1_11target_archE942ELNS1_3gpuE9ELNS1_3repE0EEENS1_30default_config_static_selectorELNS0_4arch9wavefront6targetE1EEEvS14_
		.amdhsa_group_segment_fixed_size 0
		.amdhsa_private_segment_fixed_size 0
		.amdhsa_kernarg_size 104
		.amdhsa_user_sgpr_count 6
		.amdhsa_user_sgpr_private_segment_buffer 1
		.amdhsa_user_sgpr_dispatch_ptr 0
		.amdhsa_user_sgpr_queue_ptr 0
		.amdhsa_user_sgpr_kernarg_segment_ptr 1
		.amdhsa_user_sgpr_dispatch_id 0
		.amdhsa_user_sgpr_flat_scratch_init 0
		.amdhsa_user_sgpr_private_segment_size 0
		.amdhsa_uses_dynamic_stack 0
		.amdhsa_system_sgpr_private_segment_wavefront_offset 0
		.amdhsa_system_sgpr_workgroup_id_x 1
		.amdhsa_system_sgpr_workgroup_id_y 0
		.amdhsa_system_sgpr_workgroup_id_z 0
		.amdhsa_system_sgpr_workgroup_info 0
		.amdhsa_system_vgpr_workitem_id 0
		.amdhsa_next_free_vgpr 1
		.amdhsa_next_free_sgpr 0
		.amdhsa_reserve_vcc 0
		.amdhsa_reserve_flat_scratch 0
		.amdhsa_float_round_mode_32 0
		.amdhsa_float_round_mode_16_64 0
		.amdhsa_float_denorm_mode_32 3
		.amdhsa_float_denorm_mode_16_64 3
		.amdhsa_dx10_clamp 1
		.amdhsa_ieee_mode 1
		.amdhsa_fp16_overflow 0
		.amdhsa_exception_fp_ieee_invalid_op 0
		.amdhsa_exception_fp_denorm_src 0
		.amdhsa_exception_fp_ieee_div_zero 0
		.amdhsa_exception_fp_ieee_overflow 0
		.amdhsa_exception_fp_ieee_underflow 0
		.amdhsa_exception_fp_ieee_inexact 0
		.amdhsa_exception_int_div_zero 0
	.end_amdhsa_kernel
	.section	.text._ZN7rocprim17ROCPRIM_400000_NS6detail17trampoline_kernelINS0_14default_configENS1_22reduce_config_selectorIN6thrust23THRUST_200600_302600_NS5tupleIblNS6_9null_typeES8_S8_S8_S8_S8_S8_S8_EEEEZNS1_11reduce_implILb1ES3_NS6_12zip_iteratorINS7_INS6_11hip_rocprim26transform_input_iterator_tIbNSD_35transform_pair_of_input_iterators_tIbNS6_6detail15normal_iteratorINS6_10device_ptrIKiEEEESL_NS6_8equal_toIiEEEENSG_9not_fun_tINSD_8identityEEEEENSD_19counting_iterator_tIlEES8_S8_S8_S8_S8_S8_S8_S8_EEEEPS9_S9_NSD_9__find_if7functorIS9_EEEE10hipError_tPvRmT1_T2_T3_mT4_P12ihipStream_tbEUlT_E0_NS1_11comp_targetILNS1_3genE5ELNS1_11target_archE942ELNS1_3gpuE9ELNS1_3repE0EEENS1_30default_config_static_selectorELNS0_4arch9wavefront6targetE1EEEvS14_,"axG",@progbits,_ZN7rocprim17ROCPRIM_400000_NS6detail17trampoline_kernelINS0_14default_configENS1_22reduce_config_selectorIN6thrust23THRUST_200600_302600_NS5tupleIblNS6_9null_typeES8_S8_S8_S8_S8_S8_S8_EEEEZNS1_11reduce_implILb1ES3_NS6_12zip_iteratorINS7_INS6_11hip_rocprim26transform_input_iterator_tIbNSD_35transform_pair_of_input_iterators_tIbNS6_6detail15normal_iteratorINS6_10device_ptrIKiEEEESL_NS6_8equal_toIiEEEENSG_9not_fun_tINSD_8identityEEEEENSD_19counting_iterator_tIlEES8_S8_S8_S8_S8_S8_S8_S8_EEEEPS9_S9_NSD_9__find_if7functorIS9_EEEE10hipError_tPvRmT1_T2_T3_mT4_P12ihipStream_tbEUlT_E0_NS1_11comp_targetILNS1_3genE5ELNS1_11target_archE942ELNS1_3gpuE9ELNS1_3repE0EEENS1_30default_config_static_selectorELNS0_4arch9wavefront6targetE1EEEvS14_,comdat
.Lfunc_end469:
	.size	_ZN7rocprim17ROCPRIM_400000_NS6detail17trampoline_kernelINS0_14default_configENS1_22reduce_config_selectorIN6thrust23THRUST_200600_302600_NS5tupleIblNS6_9null_typeES8_S8_S8_S8_S8_S8_S8_EEEEZNS1_11reduce_implILb1ES3_NS6_12zip_iteratorINS7_INS6_11hip_rocprim26transform_input_iterator_tIbNSD_35transform_pair_of_input_iterators_tIbNS6_6detail15normal_iteratorINS6_10device_ptrIKiEEEESL_NS6_8equal_toIiEEEENSG_9not_fun_tINSD_8identityEEEEENSD_19counting_iterator_tIlEES8_S8_S8_S8_S8_S8_S8_S8_EEEEPS9_S9_NSD_9__find_if7functorIS9_EEEE10hipError_tPvRmT1_T2_T3_mT4_P12ihipStream_tbEUlT_E0_NS1_11comp_targetILNS1_3genE5ELNS1_11target_archE942ELNS1_3gpuE9ELNS1_3repE0EEENS1_30default_config_static_selectorELNS0_4arch9wavefront6targetE1EEEvS14_, .Lfunc_end469-_ZN7rocprim17ROCPRIM_400000_NS6detail17trampoline_kernelINS0_14default_configENS1_22reduce_config_selectorIN6thrust23THRUST_200600_302600_NS5tupleIblNS6_9null_typeES8_S8_S8_S8_S8_S8_S8_EEEEZNS1_11reduce_implILb1ES3_NS6_12zip_iteratorINS7_INS6_11hip_rocprim26transform_input_iterator_tIbNSD_35transform_pair_of_input_iterators_tIbNS6_6detail15normal_iteratorINS6_10device_ptrIKiEEEESL_NS6_8equal_toIiEEEENSG_9not_fun_tINSD_8identityEEEEENSD_19counting_iterator_tIlEES8_S8_S8_S8_S8_S8_S8_S8_EEEEPS9_S9_NSD_9__find_if7functorIS9_EEEE10hipError_tPvRmT1_T2_T3_mT4_P12ihipStream_tbEUlT_E0_NS1_11comp_targetILNS1_3genE5ELNS1_11target_archE942ELNS1_3gpuE9ELNS1_3repE0EEENS1_30default_config_static_selectorELNS0_4arch9wavefront6targetE1EEEvS14_
                                        ; -- End function
	.set _ZN7rocprim17ROCPRIM_400000_NS6detail17trampoline_kernelINS0_14default_configENS1_22reduce_config_selectorIN6thrust23THRUST_200600_302600_NS5tupleIblNS6_9null_typeES8_S8_S8_S8_S8_S8_S8_EEEEZNS1_11reduce_implILb1ES3_NS6_12zip_iteratorINS7_INS6_11hip_rocprim26transform_input_iterator_tIbNSD_35transform_pair_of_input_iterators_tIbNS6_6detail15normal_iteratorINS6_10device_ptrIKiEEEESL_NS6_8equal_toIiEEEENSG_9not_fun_tINSD_8identityEEEEENSD_19counting_iterator_tIlEES8_S8_S8_S8_S8_S8_S8_S8_EEEEPS9_S9_NSD_9__find_if7functorIS9_EEEE10hipError_tPvRmT1_T2_T3_mT4_P12ihipStream_tbEUlT_E0_NS1_11comp_targetILNS1_3genE5ELNS1_11target_archE942ELNS1_3gpuE9ELNS1_3repE0EEENS1_30default_config_static_selectorELNS0_4arch9wavefront6targetE1EEEvS14_.num_vgpr, 0
	.set _ZN7rocprim17ROCPRIM_400000_NS6detail17trampoline_kernelINS0_14default_configENS1_22reduce_config_selectorIN6thrust23THRUST_200600_302600_NS5tupleIblNS6_9null_typeES8_S8_S8_S8_S8_S8_S8_EEEEZNS1_11reduce_implILb1ES3_NS6_12zip_iteratorINS7_INS6_11hip_rocprim26transform_input_iterator_tIbNSD_35transform_pair_of_input_iterators_tIbNS6_6detail15normal_iteratorINS6_10device_ptrIKiEEEESL_NS6_8equal_toIiEEEENSG_9not_fun_tINSD_8identityEEEEENSD_19counting_iterator_tIlEES8_S8_S8_S8_S8_S8_S8_S8_EEEEPS9_S9_NSD_9__find_if7functorIS9_EEEE10hipError_tPvRmT1_T2_T3_mT4_P12ihipStream_tbEUlT_E0_NS1_11comp_targetILNS1_3genE5ELNS1_11target_archE942ELNS1_3gpuE9ELNS1_3repE0EEENS1_30default_config_static_selectorELNS0_4arch9wavefront6targetE1EEEvS14_.num_agpr, 0
	.set _ZN7rocprim17ROCPRIM_400000_NS6detail17trampoline_kernelINS0_14default_configENS1_22reduce_config_selectorIN6thrust23THRUST_200600_302600_NS5tupleIblNS6_9null_typeES8_S8_S8_S8_S8_S8_S8_EEEEZNS1_11reduce_implILb1ES3_NS6_12zip_iteratorINS7_INS6_11hip_rocprim26transform_input_iterator_tIbNSD_35transform_pair_of_input_iterators_tIbNS6_6detail15normal_iteratorINS6_10device_ptrIKiEEEESL_NS6_8equal_toIiEEEENSG_9not_fun_tINSD_8identityEEEEENSD_19counting_iterator_tIlEES8_S8_S8_S8_S8_S8_S8_S8_EEEEPS9_S9_NSD_9__find_if7functorIS9_EEEE10hipError_tPvRmT1_T2_T3_mT4_P12ihipStream_tbEUlT_E0_NS1_11comp_targetILNS1_3genE5ELNS1_11target_archE942ELNS1_3gpuE9ELNS1_3repE0EEENS1_30default_config_static_selectorELNS0_4arch9wavefront6targetE1EEEvS14_.numbered_sgpr, 0
	.set _ZN7rocprim17ROCPRIM_400000_NS6detail17trampoline_kernelINS0_14default_configENS1_22reduce_config_selectorIN6thrust23THRUST_200600_302600_NS5tupleIblNS6_9null_typeES8_S8_S8_S8_S8_S8_S8_EEEEZNS1_11reduce_implILb1ES3_NS6_12zip_iteratorINS7_INS6_11hip_rocprim26transform_input_iterator_tIbNSD_35transform_pair_of_input_iterators_tIbNS6_6detail15normal_iteratorINS6_10device_ptrIKiEEEESL_NS6_8equal_toIiEEEENSG_9not_fun_tINSD_8identityEEEEENSD_19counting_iterator_tIlEES8_S8_S8_S8_S8_S8_S8_S8_EEEEPS9_S9_NSD_9__find_if7functorIS9_EEEE10hipError_tPvRmT1_T2_T3_mT4_P12ihipStream_tbEUlT_E0_NS1_11comp_targetILNS1_3genE5ELNS1_11target_archE942ELNS1_3gpuE9ELNS1_3repE0EEENS1_30default_config_static_selectorELNS0_4arch9wavefront6targetE1EEEvS14_.num_named_barrier, 0
	.set _ZN7rocprim17ROCPRIM_400000_NS6detail17trampoline_kernelINS0_14default_configENS1_22reduce_config_selectorIN6thrust23THRUST_200600_302600_NS5tupleIblNS6_9null_typeES8_S8_S8_S8_S8_S8_S8_EEEEZNS1_11reduce_implILb1ES3_NS6_12zip_iteratorINS7_INS6_11hip_rocprim26transform_input_iterator_tIbNSD_35transform_pair_of_input_iterators_tIbNS6_6detail15normal_iteratorINS6_10device_ptrIKiEEEESL_NS6_8equal_toIiEEEENSG_9not_fun_tINSD_8identityEEEEENSD_19counting_iterator_tIlEES8_S8_S8_S8_S8_S8_S8_S8_EEEEPS9_S9_NSD_9__find_if7functorIS9_EEEE10hipError_tPvRmT1_T2_T3_mT4_P12ihipStream_tbEUlT_E0_NS1_11comp_targetILNS1_3genE5ELNS1_11target_archE942ELNS1_3gpuE9ELNS1_3repE0EEENS1_30default_config_static_selectorELNS0_4arch9wavefront6targetE1EEEvS14_.private_seg_size, 0
	.set _ZN7rocprim17ROCPRIM_400000_NS6detail17trampoline_kernelINS0_14default_configENS1_22reduce_config_selectorIN6thrust23THRUST_200600_302600_NS5tupleIblNS6_9null_typeES8_S8_S8_S8_S8_S8_S8_EEEEZNS1_11reduce_implILb1ES3_NS6_12zip_iteratorINS7_INS6_11hip_rocprim26transform_input_iterator_tIbNSD_35transform_pair_of_input_iterators_tIbNS6_6detail15normal_iteratorINS6_10device_ptrIKiEEEESL_NS6_8equal_toIiEEEENSG_9not_fun_tINSD_8identityEEEEENSD_19counting_iterator_tIlEES8_S8_S8_S8_S8_S8_S8_S8_EEEEPS9_S9_NSD_9__find_if7functorIS9_EEEE10hipError_tPvRmT1_T2_T3_mT4_P12ihipStream_tbEUlT_E0_NS1_11comp_targetILNS1_3genE5ELNS1_11target_archE942ELNS1_3gpuE9ELNS1_3repE0EEENS1_30default_config_static_selectorELNS0_4arch9wavefront6targetE1EEEvS14_.uses_vcc, 0
	.set _ZN7rocprim17ROCPRIM_400000_NS6detail17trampoline_kernelINS0_14default_configENS1_22reduce_config_selectorIN6thrust23THRUST_200600_302600_NS5tupleIblNS6_9null_typeES8_S8_S8_S8_S8_S8_S8_EEEEZNS1_11reduce_implILb1ES3_NS6_12zip_iteratorINS7_INS6_11hip_rocprim26transform_input_iterator_tIbNSD_35transform_pair_of_input_iterators_tIbNS6_6detail15normal_iteratorINS6_10device_ptrIKiEEEESL_NS6_8equal_toIiEEEENSG_9not_fun_tINSD_8identityEEEEENSD_19counting_iterator_tIlEES8_S8_S8_S8_S8_S8_S8_S8_EEEEPS9_S9_NSD_9__find_if7functorIS9_EEEE10hipError_tPvRmT1_T2_T3_mT4_P12ihipStream_tbEUlT_E0_NS1_11comp_targetILNS1_3genE5ELNS1_11target_archE942ELNS1_3gpuE9ELNS1_3repE0EEENS1_30default_config_static_selectorELNS0_4arch9wavefront6targetE1EEEvS14_.uses_flat_scratch, 0
	.set _ZN7rocprim17ROCPRIM_400000_NS6detail17trampoline_kernelINS0_14default_configENS1_22reduce_config_selectorIN6thrust23THRUST_200600_302600_NS5tupleIblNS6_9null_typeES8_S8_S8_S8_S8_S8_S8_EEEEZNS1_11reduce_implILb1ES3_NS6_12zip_iteratorINS7_INS6_11hip_rocprim26transform_input_iterator_tIbNSD_35transform_pair_of_input_iterators_tIbNS6_6detail15normal_iteratorINS6_10device_ptrIKiEEEESL_NS6_8equal_toIiEEEENSG_9not_fun_tINSD_8identityEEEEENSD_19counting_iterator_tIlEES8_S8_S8_S8_S8_S8_S8_S8_EEEEPS9_S9_NSD_9__find_if7functorIS9_EEEE10hipError_tPvRmT1_T2_T3_mT4_P12ihipStream_tbEUlT_E0_NS1_11comp_targetILNS1_3genE5ELNS1_11target_archE942ELNS1_3gpuE9ELNS1_3repE0EEENS1_30default_config_static_selectorELNS0_4arch9wavefront6targetE1EEEvS14_.has_dyn_sized_stack, 0
	.set _ZN7rocprim17ROCPRIM_400000_NS6detail17trampoline_kernelINS0_14default_configENS1_22reduce_config_selectorIN6thrust23THRUST_200600_302600_NS5tupleIblNS6_9null_typeES8_S8_S8_S8_S8_S8_S8_EEEEZNS1_11reduce_implILb1ES3_NS6_12zip_iteratorINS7_INS6_11hip_rocprim26transform_input_iterator_tIbNSD_35transform_pair_of_input_iterators_tIbNS6_6detail15normal_iteratorINS6_10device_ptrIKiEEEESL_NS6_8equal_toIiEEEENSG_9not_fun_tINSD_8identityEEEEENSD_19counting_iterator_tIlEES8_S8_S8_S8_S8_S8_S8_S8_EEEEPS9_S9_NSD_9__find_if7functorIS9_EEEE10hipError_tPvRmT1_T2_T3_mT4_P12ihipStream_tbEUlT_E0_NS1_11comp_targetILNS1_3genE5ELNS1_11target_archE942ELNS1_3gpuE9ELNS1_3repE0EEENS1_30default_config_static_selectorELNS0_4arch9wavefront6targetE1EEEvS14_.has_recursion, 0
	.set _ZN7rocprim17ROCPRIM_400000_NS6detail17trampoline_kernelINS0_14default_configENS1_22reduce_config_selectorIN6thrust23THRUST_200600_302600_NS5tupleIblNS6_9null_typeES8_S8_S8_S8_S8_S8_S8_EEEEZNS1_11reduce_implILb1ES3_NS6_12zip_iteratorINS7_INS6_11hip_rocprim26transform_input_iterator_tIbNSD_35transform_pair_of_input_iterators_tIbNS6_6detail15normal_iteratorINS6_10device_ptrIKiEEEESL_NS6_8equal_toIiEEEENSG_9not_fun_tINSD_8identityEEEEENSD_19counting_iterator_tIlEES8_S8_S8_S8_S8_S8_S8_S8_EEEEPS9_S9_NSD_9__find_if7functorIS9_EEEE10hipError_tPvRmT1_T2_T3_mT4_P12ihipStream_tbEUlT_E0_NS1_11comp_targetILNS1_3genE5ELNS1_11target_archE942ELNS1_3gpuE9ELNS1_3repE0EEENS1_30default_config_static_selectorELNS0_4arch9wavefront6targetE1EEEvS14_.has_indirect_call, 0
	.section	.AMDGPU.csdata,"",@progbits
; Kernel info:
; codeLenInByte = 0
; TotalNumSgprs: 4
; NumVgprs: 0
; ScratchSize: 0
; MemoryBound: 0
; FloatMode: 240
; IeeeMode: 1
; LDSByteSize: 0 bytes/workgroup (compile time only)
; SGPRBlocks: 0
; VGPRBlocks: 0
; NumSGPRsForWavesPerEU: 4
; NumVGPRsForWavesPerEU: 1
; Occupancy: 10
; WaveLimiterHint : 0
; COMPUTE_PGM_RSRC2:SCRATCH_EN: 0
; COMPUTE_PGM_RSRC2:USER_SGPR: 6
; COMPUTE_PGM_RSRC2:TRAP_HANDLER: 0
; COMPUTE_PGM_RSRC2:TGID_X_EN: 1
; COMPUTE_PGM_RSRC2:TGID_Y_EN: 0
; COMPUTE_PGM_RSRC2:TGID_Z_EN: 0
; COMPUTE_PGM_RSRC2:TIDIG_COMP_CNT: 0
	.section	.text._ZN7rocprim17ROCPRIM_400000_NS6detail17trampoline_kernelINS0_14default_configENS1_22reduce_config_selectorIN6thrust23THRUST_200600_302600_NS5tupleIblNS6_9null_typeES8_S8_S8_S8_S8_S8_S8_EEEEZNS1_11reduce_implILb1ES3_NS6_12zip_iteratorINS7_INS6_11hip_rocprim26transform_input_iterator_tIbNSD_35transform_pair_of_input_iterators_tIbNS6_6detail15normal_iteratorINS6_10device_ptrIKiEEEESL_NS6_8equal_toIiEEEENSG_9not_fun_tINSD_8identityEEEEENSD_19counting_iterator_tIlEES8_S8_S8_S8_S8_S8_S8_S8_EEEEPS9_S9_NSD_9__find_if7functorIS9_EEEE10hipError_tPvRmT1_T2_T3_mT4_P12ihipStream_tbEUlT_E0_NS1_11comp_targetILNS1_3genE4ELNS1_11target_archE910ELNS1_3gpuE8ELNS1_3repE0EEENS1_30default_config_static_selectorELNS0_4arch9wavefront6targetE1EEEvS14_,"axG",@progbits,_ZN7rocprim17ROCPRIM_400000_NS6detail17trampoline_kernelINS0_14default_configENS1_22reduce_config_selectorIN6thrust23THRUST_200600_302600_NS5tupleIblNS6_9null_typeES8_S8_S8_S8_S8_S8_S8_EEEEZNS1_11reduce_implILb1ES3_NS6_12zip_iteratorINS7_INS6_11hip_rocprim26transform_input_iterator_tIbNSD_35transform_pair_of_input_iterators_tIbNS6_6detail15normal_iteratorINS6_10device_ptrIKiEEEESL_NS6_8equal_toIiEEEENSG_9not_fun_tINSD_8identityEEEEENSD_19counting_iterator_tIlEES8_S8_S8_S8_S8_S8_S8_S8_EEEEPS9_S9_NSD_9__find_if7functorIS9_EEEE10hipError_tPvRmT1_T2_T3_mT4_P12ihipStream_tbEUlT_E0_NS1_11comp_targetILNS1_3genE4ELNS1_11target_archE910ELNS1_3gpuE8ELNS1_3repE0EEENS1_30default_config_static_selectorELNS0_4arch9wavefront6targetE1EEEvS14_,comdat
	.protected	_ZN7rocprim17ROCPRIM_400000_NS6detail17trampoline_kernelINS0_14default_configENS1_22reduce_config_selectorIN6thrust23THRUST_200600_302600_NS5tupleIblNS6_9null_typeES8_S8_S8_S8_S8_S8_S8_EEEEZNS1_11reduce_implILb1ES3_NS6_12zip_iteratorINS7_INS6_11hip_rocprim26transform_input_iterator_tIbNSD_35transform_pair_of_input_iterators_tIbNS6_6detail15normal_iteratorINS6_10device_ptrIKiEEEESL_NS6_8equal_toIiEEEENSG_9not_fun_tINSD_8identityEEEEENSD_19counting_iterator_tIlEES8_S8_S8_S8_S8_S8_S8_S8_EEEEPS9_S9_NSD_9__find_if7functorIS9_EEEE10hipError_tPvRmT1_T2_T3_mT4_P12ihipStream_tbEUlT_E0_NS1_11comp_targetILNS1_3genE4ELNS1_11target_archE910ELNS1_3gpuE8ELNS1_3repE0EEENS1_30default_config_static_selectorELNS0_4arch9wavefront6targetE1EEEvS14_ ; -- Begin function _ZN7rocprim17ROCPRIM_400000_NS6detail17trampoline_kernelINS0_14default_configENS1_22reduce_config_selectorIN6thrust23THRUST_200600_302600_NS5tupleIblNS6_9null_typeES8_S8_S8_S8_S8_S8_S8_EEEEZNS1_11reduce_implILb1ES3_NS6_12zip_iteratorINS7_INS6_11hip_rocprim26transform_input_iterator_tIbNSD_35transform_pair_of_input_iterators_tIbNS6_6detail15normal_iteratorINS6_10device_ptrIKiEEEESL_NS6_8equal_toIiEEEENSG_9not_fun_tINSD_8identityEEEEENSD_19counting_iterator_tIlEES8_S8_S8_S8_S8_S8_S8_S8_EEEEPS9_S9_NSD_9__find_if7functorIS9_EEEE10hipError_tPvRmT1_T2_T3_mT4_P12ihipStream_tbEUlT_E0_NS1_11comp_targetILNS1_3genE4ELNS1_11target_archE910ELNS1_3gpuE8ELNS1_3repE0EEENS1_30default_config_static_selectorELNS0_4arch9wavefront6targetE1EEEvS14_
	.globl	_ZN7rocprim17ROCPRIM_400000_NS6detail17trampoline_kernelINS0_14default_configENS1_22reduce_config_selectorIN6thrust23THRUST_200600_302600_NS5tupleIblNS6_9null_typeES8_S8_S8_S8_S8_S8_S8_EEEEZNS1_11reduce_implILb1ES3_NS6_12zip_iteratorINS7_INS6_11hip_rocprim26transform_input_iterator_tIbNSD_35transform_pair_of_input_iterators_tIbNS6_6detail15normal_iteratorINS6_10device_ptrIKiEEEESL_NS6_8equal_toIiEEEENSG_9not_fun_tINSD_8identityEEEEENSD_19counting_iterator_tIlEES8_S8_S8_S8_S8_S8_S8_S8_EEEEPS9_S9_NSD_9__find_if7functorIS9_EEEE10hipError_tPvRmT1_T2_T3_mT4_P12ihipStream_tbEUlT_E0_NS1_11comp_targetILNS1_3genE4ELNS1_11target_archE910ELNS1_3gpuE8ELNS1_3repE0EEENS1_30default_config_static_selectorELNS0_4arch9wavefront6targetE1EEEvS14_
	.p2align	8
	.type	_ZN7rocprim17ROCPRIM_400000_NS6detail17trampoline_kernelINS0_14default_configENS1_22reduce_config_selectorIN6thrust23THRUST_200600_302600_NS5tupleIblNS6_9null_typeES8_S8_S8_S8_S8_S8_S8_EEEEZNS1_11reduce_implILb1ES3_NS6_12zip_iteratorINS7_INS6_11hip_rocprim26transform_input_iterator_tIbNSD_35transform_pair_of_input_iterators_tIbNS6_6detail15normal_iteratorINS6_10device_ptrIKiEEEESL_NS6_8equal_toIiEEEENSG_9not_fun_tINSD_8identityEEEEENSD_19counting_iterator_tIlEES8_S8_S8_S8_S8_S8_S8_S8_EEEEPS9_S9_NSD_9__find_if7functorIS9_EEEE10hipError_tPvRmT1_T2_T3_mT4_P12ihipStream_tbEUlT_E0_NS1_11comp_targetILNS1_3genE4ELNS1_11target_archE910ELNS1_3gpuE8ELNS1_3repE0EEENS1_30default_config_static_selectorELNS0_4arch9wavefront6targetE1EEEvS14_,@function
_ZN7rocprim17ROCPRIM_400000_NS6detail17trampoline_kernelINS0_14default_configENS1_22reduce_config_selectorIN6thrust23THRUST_200600_302600_NS5tupleIblNS6_9null_typeES8_S8_S8_S8_S8_S8_S8_EEEEZNS1_11reduce_implILb1ES3_NS6_12zip_iteratorINS7_INS6_11hip_rocprim26transform_input_iterator_tIbNSD_35transform_pair_of_input_iterators_tIbNS6_6detail15normal_iteratorINS6_10device_ptrIKiEEEESL_NS6_8equal_toIiEEEENSG_9not_fun_tINSD_8identityEEEEENSD_19counting_iterator_tIlEES8_S8_S8_S8_S8_S8_S8_S8_EEEEPS9_S9_NSD_9__find_if7functorIS9_EEEE10hipError_tPvRmT1_T2_T3_mT4_P12ihipStream_tbEUlT_E0_NS1_11comp_targetILNS1_3genE4ELNS1_11target_archE910ELNS1_3gpuE8ELNS1_3repE0EEENS1_30default_config_static_selectorELNS0_4arch9wavefront6targetE1EEEvS14_: ; @_ZN7rocprim17ROCPRIM_400000_NS6detail17trampoline_kernelINS0_14default_configENS1_22reduce_config_selectorIN6thrust23THRUST_200600_302600_NS5tupleIblNS6_9null_typeES8_S8_S8_S8_S8_S8_S8_EEEEZNS1_11reduce_implILb1ES3_NS6_12zip_iteratorINS7_INS6_11hip_rocprim26transform_input_iterator_tIbNSD_35transform_pair_of_input_iterators_tIbNS6_6detail15normal_iteratorINS6_10device_ptrIKiEEEESL_NS6_8equal_toIiEEEENSG_9not_fun_tINSD_8identityEEEEENSD_19counting_iterator_tIlEES8_S8_S8_S8_S8_S8_S8_S8_EEEEPS9_S9_NSD_9__find_if7functorIS9_EEEE10hipError_tPvRmT1_T2_T3_mT4_P12ihipStream_tbEUlT_E0_NS1_11comp_targetILNS1_3genE4ELNS1_11target_archE910ELNS1_3gpuE8ELNS1_3repE0EEENS1_30default_config_static_selectorELNS0_4arch9wavefront6targetE1EEEvS14_
; %bb.0:
	.section	.rodata,"a",@progbits
	.p2align	6, 0x0
	.amdhsa_kernel _ZN7rocprim17ROCPRIM_400000_NS6detail17trampoline_kernelINS0_14default_configENS1_22reduce_config_selectorIN6thrust23THRUST_200600_302600_NS5tupleIblNS6_9null_typeES8_S8_S8_S8_S8_S8_S8_EEEEZNS1_11reduce_implILb1ES3_NS6_12zip_iteratorINS7_INS6_11hip_rocprim26transform_input_iterator_tIbNSD_35transform_pair_of_input_iterators_tIbNS6_6detail15normal_iteratorINS6_10device_ptrIKiEEEESL_NS6_8equal_toIiEEEENSG_9not_fun_tINSD_8identityEEEEENSD_19counting_iterator_tIlEES8_S8_S8_S8_S8_S8_S8_S8_EEEEPS9_S9_NSD_9__find_if7functorIS9_EEEE10hipError_tPvRmT1_T2_T3_mT4_P12ihipStream_tbEUlT_E0_NS1_11comp_targetILNS1_3genE4ELNS1_11target_archE910ELNS1_3gpuE8ELNS1_3repE0EEENS1_30default_config_static_selectorELNS0_4arch9wavefront6targetE1EEEvS14_
		.amdhsa_group_segment_fixed_size 0
		.amdhsa_private_segment_fixed_size 0
		.amdhsa_kernarg_size 104
		.amdhsa_user_sgpr_count 6
		.amdhsa_user_sgpr_private_segment_buffer 1
		.amdhsa_user_sgpr_dispatch_ptr 0
		.amdhsa_user_sgpr_queue_ptr 0
		.amdhsa_user_sgpr_kernarg_segment_ptr 1
		.amdhsa_user_sgpr_dispatch_id 0
		.amdhsa_user_sgpr_flat_scratch_init 0
		.amdhsa_user_sgpr_private_segment_size 0
		.amdhsa_uses_dynamic_stack 0
		.amdhsa_system_sgpr_private_segment_wavefront_offset 0
		.amdhsa_system_sgpr_workgroup_id_x 1
		.amdhsa_system_sgpr_workgroup_id_y 0
		.amdhsa_system_sgpr_workgroup_id_z 0
		.amdhsa_system_sgpr_workgroup_info 0
		.amdhsa_system_vgpr_workitem_id 0
		.amdhsa_next_free_vgpr 1
		.amdhsa_next_free_sgpr 0
		.amdhsa_reserve_vcc 0
		.amdhsa_reserve_flat_scratch 0
		.amdhsa_float_round_mode_32 0
		.amdhsa_float_round_mode_16_64 0
		.amdhsa_float_denorm_mode_32 3
		.amdhsa_float_denorm_mode_16_64 3
		.amdhsa_dx10_clamp 1
		.amdhsa_ieee_mode 1
		.amdhsa_fp16_overflow 0
		.amdhsa_exception_fp_ieee_invalid_op 0
		.amdhsa_exception_fp_denorm_src 0
		.amdhsa_exception_fp_ieee_div_zero 0
		.amdhsa_exception_fp_ieee_overflow 0
		.amdhsa_exception_fp_ieee_underflow 0
		.amdhsa_exception_fp_ieee_inexact 0
		.amdhsa_exception_int_div_zero 0
	.end_amdhsa_kernel
	.section	.text._ZN7rocprim17ROCPRIM_400000_NS6detail17trampoline_kernelINS0_14default_configENS1_22reduce_config_selectorIN6thrust23THRUST_200600_302600_NS5tupleIblNS6_9null_typeES8_S8_S8_S8_S8_S8_S8_EEEEZNS1_11reduce_implILb1ES3_NS6_12zip_iteratorINS7_INS6_11hip_rocprim26transform_input_iterator_tIbNSD_35transform_pair_of_input_iterators_tIbNS6_6detail15normal_iteratorINS6_10device_ptrIKiEEEESL_NS6_8equal_toIiEEEENSG_9not_fun_tINSD_8identityEEEEENSD_19counting_iterator_tIlEES8_S8_S8_S8_S8_S8_S8_S8_EEEEPS9_S9_NSD_9__find_if7functorIS9_EEEE10hipError_tPvRmT1_T2_T3_mT4_P12ihipStream_tbEUlT_E0_NS1_11comp_targetILNS1_3genE4ELNS1_11target_archE910ELNS1_3gpuE8ELNS1_3repE0EEENS1_30default_config_static_selectorELNS0_4arch9wavefront6targetE1EEEvS14_,"axG",@progbits,_ZN7rocprim17ROCPRIM_400000_NS6detail17trampoline_kernelINS0_14default_configENS1_22reduce_config_selectorIN6thrust23THRUST_200600_302600_NS5tupleIblNS6_9null_typeES8_S8_S8_S8_S8_S8_S8_EEEEZNS1_11reduce_implILb1ES3_NS6_12zip_iteratorINS7_INS6_11hip_rocprim26transform_input_iterator_tIbNSD_35transform_pair_of_input_iterators_tIbNS6_6detail15normal_iteratorINS6_10device_ptrIKiEEEESL_NS6_8equal_toIiEEEENSG_9not_fun_tINSD_8identityEEEEENSD_19counting_iterator_tIlEES8_S8_S8_S8_S8_S8_S8_S8_EEEEPS9_S9_NSD_9__find_if7functorIS9_EEEE10hipError_tPvRmT1_T2_T3_mT4_P12ihipStream_tbEUlT_E0_NS1_11comp_targetILNS1_3genE4ELNS1_11target_archE910ELNS1_3gpuE8ELNS1_3repE0EEENS1_30default_config_static_selectorELNS0_4arch9wavefront6targetE1EEEvS14_,comdat
.Lfunc_end470:
	.size	_ZN7rocprim17ROCPRIM_400000_NS6detail17trampoline_kernelINS0_14default_configENS1_22reduce_config_selectorIN6thrust23THRUST_200600_302600_NS5tupleIblNS6_9null_typeES8_S8_S8_S8_S8_S8_S8_EEEEZNS1_11reduce_implILb1ES3_NS6_12zip_iteratorINS7_INS6_11hip_rocprim26transform_input_iterator_tIbNSD_35transform_pair_of_input_iterators_tIbNS6_6detail15normal_iteratorINS6_10device_ptrIKiEEEESL_NS6_8equal_toIiEEEENSG_9not_fun_tINSD_8identityEEEEENSD_19counting_iterator_tIlEES8_S8_S8_S8_S8_S8_S8_S8_EEEEPS9_S9_NSD_9__find_if7functorIS9_EEEE10hipError_tPvRmT1_T2_T3_mT4_P12ihipStream_tbEUlT_E0_NS1_11comp_targetILNS1_3genE4ELNS1_11target_archE910ELNS1_3gpuE8ELNS1_3repE0EEENS1_30default_config_static_selectorELNS0_4arch9wavefront6targetE1EEEvS14_, .Lfunc_end470-_ZN7rocprim17ROCPRIM_400000_NS6detail17trampoline_kernelINS0_14default_configENS1_22reduce_config_selectorIN6thrust23THRUST_200600_302600_NS5tupleIblNS6_9null_typeES8_S8_S8_S8_S8_S8_S8_EEEEZNS1_11reduce_implILb1ES3_NS6_12zip_iteratorINS7_INS6_11hip_rocprim26transform_input_iterator_tIbNSD_35transform_pair_of_input_iterators_tIbNS6_6detail15normal_iteratorINS6_10device_ptrIKiEEEESL_NS6_8equal_toIiEEEENSG_9not_fun_tINSD_8identityEEEEENSD_19counting_iterator_tIlEES8_S8_S8_S8_S8_S8_S8_S8_EEEEPS9_S9_NSD_9__find_if7functorIS9_EEEE10hipError_tPvRmT1_T2_T3_mT4_P12ihipStream_tbEUlT_E0_NS1_11comp_targetILNS1_3genE4ELNS1_11target_archE910ELNS1_3gpuE8ELNS1_3repE0EEENS1_30default_config_static_selectorELNS0_4arch9wavefront6targetE1EEEvS14_
                                        ; -- End function
	.set _ZN7rocprim17ROCPRIM_400000_NS6detail17trampoline_kernelINS0_14default_configENS1_22reduce_config_selectorIN6thrust23THRUST_200600_302600_NS5tupleIblNS6_9null_typeES8_S8_S8_S8_S8_S8_S8_EEEEZNS1_11reduce_implILb1ES3_NS6_12zip_iteratorINS7_INS6_11hip_rocprim26transform_input_iterator_tIbNSD_35transform_pair_of_input_iterators_tIbNS6_6detail15normal_iteratorINS6_10device_ptrIKiEEEESL_NS6_8equal_toIiEEEENSG_9not_fun_tINSD_8identityEEEEENSD_19counting_iterator_tIlEES8_S8_S8_S8_S8_S8_S8_S8_EEEEPS9_S9_NSD_9__find_if7functorIS9_EEEE10hipError_tPvRmT1_T2_T3_mT4_P12ihipStream_tbEUlT_E0_NS1_11comp_targetILNS1_3genE4ELNS1_11target_archE910ELNS1_3gpuE8ELNS1_3repE0EEENS1_30default_config_static_selectorELNS0_4arch9wavefront6targetE1EEEvS14_.num_vgpr, 0
	.set _ZN7rocprim17ROCPRIM_400000_NS6detail17trampoline_kernelINS0_14default_configENS1_22reduce_config_selectorIN6thrust23THRUST_200600_302600_NS5tupleIblNS6_9null_typeES8_S8_S8_S8_S8_S8_S8_EEEEZNS1_11reduce_implILb1ES3_NS6_12zip_iteratorINS7_INS6_11hip_rocprim26transform_input_iterator_tIbNSD_35transform_pair_of_input_iterators_tIbNS6_6detail15normal_iteratorINS6_10device_ptrIKiEEEESL_NS6_8equal_toIiEEEENSG_9not_fun_tINSD_8identityEEEEENSD_19counting_iterator_tIlEES8_S8_S8_S8_S8_S8_S8_S8_EEEEPS9_S9_NSD_9__find_if7functorIS9_EEEE10hipError_tPvRmT1_T2_T3_mT4_P12ihipStream_tbEUlT_E0_NS1_11comp_targetILNS1_3genE4ELNS1_11target_archE910ELNS1_3gpuE8ELNS1_3repE0EEENS1_30default_config_static_selectorELNS0_4arch9wavefront6targetE1EEEvS14_.num_agpr, 0
	.set _ZN7rocprim17ROCPRIM_400000_NS6detail17trampoline_kernelINS0_14default_configENS1_22reduce_config_selectorIN6thrust23THRUST_200600_302600_NS5tupleIblNS6_9null_typeES8_S8_S8_S8_S8_S8_S8_EEEEZNS1_11reduce_implILb1ES3_NS6_12zip_iteratorINS7_INS6_11hip_rocprim26transform_input_iterator_tIbNSD_35transform_pair_of_input_iterators_tIbNS6_6detail15normal_iteratorINS6_10device_ptrIKiEEEESL_NS6_8equal_toIiEEEENSG_9not_fun_tINSD_8identityEEEEENSD_19counting_iterator_tIlEES8_S8_S8_S8_S8_S8_S8_S8_EEEEPS9_S9_NSD_9__find_if7functorIS9_EEEE10hipError_tPvRmT1_T2_T3_mT4_P12ihipStream_tbEUlT_E0_NS1_11comp_targetILNS1_3genE4ELNS1_11target_archE910ELNS1_3gpuE8ELNS1_3repE0EEENS1_30default_config_static_selectorELNS0_4arch9wavefront6targetE1EEEvS14_.numbered_sgpr, 0
	.set _ZN7rocprim17ROCPRIM_400000_NS6detail17trampoline_kernelINS0_14default_configENS1_22reduce_config_selectorIN6thrust23THRUST_200600_302600_NS5tupleIblNS6_9null_typeES8_S8_S8_S8_S8_S8_S8_EEEEZNS1_11reduce_implILb1ES3_NS6_12zip_iteratorINS7_INS6_11hip_rocprim26transform_input_iterator_tIbNSD_35transform_pair_of_input_iterators_tIbNS6_6detail15normal_iteratorINS6_10device_ptrIKiEEEESL_NS6_8equal_toIiEEEENSG_9not_fun_tINSD_8identityEEEEENSD_19counting_iterator_tIlEES8_S8_S8_S8_S8_S8_S8_S8_EEEEPS9_S9_NSD_9__find_if7functorIS9_EEEE10hipError_tPvRmT1_T2_T3_mT4_P12ihipStream_tbEUlT_E0_NS1_11comp_targetILNS1_3genE4ELNS1_11target_archE910ELNS1_3gpuE8ELNS1_3repE0EEENS1_30default_config_static_selectorELNS0_4arch9wavefront6targetE1EEEvS14_.num_named_barrier, 0
	.set _ZN7rocprim17ROCPRIM_400000_NS6detail17trampoline_kernelINS0_14default_configENS1_22reduce_config_selectorIN6thrust23THRUST_200600_302600_NS5tupleIblNS6_9null_typeES8_S8_S8_S8_S8_S8_S8_EEEEZNS1_11reduce_implILb1ES3_NS6_12zip_iteratorINS7_INS6_11hip_rocprim26transform_input_iterator_tIbNSD_35transform_pair_of_input_iterators_tIbNS6_6detail15normal_iteratorINS6_10device_ptrIKiEEEESL_NS6_8equal_toIiEEEENSG_9not_fun_tINSD_8identityEEEEENSD_19counting_iterator_tIlEES8_S8_S8_S8_S8_S8_S8_S8_EEEEPS9_S9_NSD_9__find_if7functorIS9_EEEE10hipError_tPvRmT1_T2_T3_mT4_P12ihipStream_tbEUlT_E0_NS1_11comp_targetILNS1_3genE4ELNS1_11target_archE910ELNS1_3gpuE8ELNS1_3repE0EEENS1_30default_config_static_selectorELNS0_4arch9wavefront6targetE1EEEvS14_.private_seg_size, 0
	.set _ZN7rocprim17ROCPRIM_400000_NS6detail17trampoline_kernelINS0_14default_configENS1_22reduce_config_selectorIN6thrust23THRUST_200600_302600_NS5tupleIblNS6_9null_typeES8_S8_S8_S8_S8_S8_S8_EEEEZNS1_11reduce_implILb1ES3_NS6_12zip_iteratorINS7_INS6_11hip_rocprim26transform_input_iterator_tIbNSD_35transform_pair_of_input_iterators_tIbNS6_6detail15normal_iteratorINS6_10device_ptrIKiEEEESL_NS6_8equal_toIiEEEENSG_9not_fun_tINSD_8identityEEEEENSD_19counting_iterator_tIlEES8_S8_S8_S8_S8_S8_S8_S8_EEEEPS9_S9_NSD_9__find_if7functorIS9_EEEE10hipError_tPvRmT1_T2_T3_mT4_P12ihipStream_tbEUlT_E0_NS1_11comp_targetILNS1_3genE4ELNS1_11target_archE910ELNS1_3gpuE8ELNS1_3repE0EEENS1_30default_config_static_selectorELNS0_4arch9wavefront6targetE1EEEvS14_.uses_vcc, 0
	.set _ZN7rocprim17ROCPRIM_400000_NS6detail17trampoline_kernelINS0_14default_configENS1_22reduce_config_selectorIN6thrust23THRUST_200600_302600_NS5tupleIblNS6_9null_typeES8_S8_S8_S8_S8_S8_S8_EEEEZNS1_11reduce_implILb1ES3_NS6_12zip_iteratorINS7_INS6_11hip_rocprim26transform_input_iterator_tIbNSD_35transform_pair_of_input_iterators_tIbNS6_6detail15normal_iteratorINS6_10device_ptrIKiEEEESL_NS6_8equal_toIiEEEENSG_9not_fun_tINSD_8identityEEEEENSD_19counting_iterator_tIlEES8_S8_S8_S8_S8_S8_S8_S8_EEEEPS9_S9_NSD_9__find_if7functorIS9_EEEE10hipError_tPvRmT1_T2_T3_mT4_P12ihipStream_tbEUlT_E0_NS1_11comp_targetILNS1_3genE4ELNS1_11target_archE910ELNS1_3gpuE8ELNS1_3repE0EEENS1_30default_config_static_selectorELNS0_4arch9wavefront6targetE1EEEvS14_.uses_flat_scratch, 0
	.set _ZN7rocprim17ROCPRIM_400000_NS6detail17trampoline_kernelINS0_14default_configENS1_22reduce_config_selectorIN6thrust23THRUST_200600_302600_NS5tupleIblNS6_9null_typeES8_S8_S8_S8_S8_S8_S8_EEEEZNS1_11reduce_implILb1ES3_NS6_12zip_iteratorINS7_INS6_11hip_rocprim26transform_input_iterator_tIbNSD_35transform_pair_of_input_iterators_tIbNS6_6detail15normal_iteratorINS6_10device_ptrIKiEEEESL_NS6_8equal_toIiEEEENSG_9not_fun_tINSD_8identityEEEEENSD_19counting_iterator_tIlEES8_S8_S8_S8_S8_S8_S8_S8_EEEEPS9_S9_NSD_9__find_if7functorIS9_EEEE10hipError_tPvRmT1_T2_T3_mT4_P12ihipStream_tbEUlT_E0_NS1_11comp_targetILNS1_3genE4ELNS1_11target_archE910ELNS1_3gpuE8ELNS1_3repE0EEENS1_30default_config_static_selectorELNS0_4arch9wavefront6targetE1EEEvS14_.has_dyn_sized_stack, 0
	.set _ZN7rocprim17ROCPRIM_400000_NS6detail17trampoline_kernelINS0_14default_configENS1_22reduce_config_selectorIN6thrust23THRUST_200600_302600_NS5tupleIblNS6_9null_typeES8_S8_S8_S8_S8_S8_S8_EEEEZNS1_11reduce_implILb1ES3_NS6_12zip_iteratorINS7_INS6_11hip_rocprim26transform_input_iterator_tIbNSD_35transform_pair_of_input_iterators_tIbNS6_6detail15normal_iteratorINS6_10device_ptrIKiEEEESL_NS6_8equal_toIiEEEENSG_9not_fun_tINSD_8identityEEEEENSD_19counting_iterator_tIlEES8_S8_S8_S8_S8_S8_S8_S8_EEEEPS9_S9_NSD_9__find_if7functorIS9_EEEE10hipError_tPvRmT1_T2_T3_mT4_P12ihipStream_tbEUlT_E0_NS1_11comp_targetILNS1_3genE4ELNS1_11target_archE910ELNS1_3gpuE8ELNS1_3repE0EEENS1_30default_config_static_selectorELNS0_4arch9wavefront6targetE1EEEvS14_.has_recursion, 0
	.set _ZN7rocprim17ROCPRIM_400000_NS6detail17trampoline_kernelINS0_14default_configENS1_22reduce_config_selectorIN6thrust23THRUST_200600_302600_NS5tupleIblNS6_9null_typeES8_S8_S8_S8_S8_S8_S8_EEEEZNS1_11reduce_implILb1ES3_NS6_12zip_iteratorINS7_INS6_11hip_rocprim26transform_input_iterator_tIbNSD_35transform_pair_of_input_iterators_tIbNS6_6detail15normal_iteratorINS6_10device_ptrIKiEEEESL_NS6_8equal_toIiEEEENSG_9not_fun_tINSD_8identityEEEEENSD_19counting_iterator_tIlEES8_S8_S8_S8_S8_S8_S8_S8_EEEEPS9_S9_NSD_9__find_if7functorIS9_EEEE10hipError_tPvRmT1_T2_T3_mT4_P12ihipStream_tbEUlT_E0_NS1_11comp_targetILNS1_3genE4ELNS1_11target_archE910ELNS1_3gpuE8ELNS1_3repE0EEENS1_30default_config_static_selectorELNS0_4arch9wavefront6targetE1EEEvS14_.has_indirect_call, 0
	.section	.AMDGPU.csdata,"",@progbits
; Kernel info:
; codeLenInByte = 0
; TotalNumSgprs: 4
; NumVgprs: 0
; ScratchSize: 0
; MemoryBound: 0
; FloatMode: 240
; IeeeMode: 1
; LDSByteSize: 0 bytes/workgroup (compile time only)
; SGPRBlocks: 0
; VGPRBlocks: 0
; NumSGPRsForWavesPerEU: 4
; NumVGPRsForWavesPerEU: 1
; Occupancy: 10
; WaveLimiterHint : 0
; COMPUTE_PGM_RSRC2:SCRATCH_EN: 0
; COMPUTE_PGM_RSRC2:USER_SGPR: 6
; COMPUTE_PGM_RSRC2:TRAP_HANDLER: 0
; COMPUTE_PGM_RSRC2:TGID_X_EN: 1
; COMPUTE_PGM_RSRC2:TGID_Y_EN: 0
; COMPUTE_PGM_RSRC2:TGID_Z_EN: 0
; COMPUTE_PGM_RSRC2:TIDIG_COMP_CNT: 0
	.section	.text._ZN7rocprim17ROCPRIM_400000_NS6detail17trampoline_kernelINS0_14default_configENS1_22reduce_config_selectorIN6thrust23THRUST_200600_302600_NS5tupleIblNS6_9null_typeES8_S8_S8_S8_S8_S8_S8_EEEEZNS1_11reduce_implILb1ES3_NS6_12zip_iteratorINS7_INS6_11hip_rocprim26transform_input_iterator_tIbNSD_35transform_pair_of_input_iterators_tIbNS6_6detail15normal_iteratorINS6_10device_ptrIKiEEEESL_NS6_8equal_toIiEEEENSG_9not_fun_tINSD_8identityEEEEENSD_19counting_iterator_tIlEES8_S8_S8_S8_S8_S8_S8_S8_EEEEPS9_S9_NSD_9__find_if7functorIS9_EEEE10hipError_tPvRmT1_T2_T3_mT4_P12ihipStream_tbEUlT_E0_NS1_11comp_targetILNS1_3genE3ELNS1_11target_archE908ELNS1_3gpuE7ELNS1_3repE0EEENS1_30default_config_static_selectorELNS0_4arch9wavefront6targetE1EEEvS14_,"axG",@progbits,_ZN7rocprim17ROCPRIM_400000_NS6detail17trampoline_kernelINS0_14default_configENS1_22reduce_config_selectorIN6thrust23THRUST_200600_302600_NS5tupleIblNS6_9null_typeES8_S8_S8_S8_S8_S8_S8_EEEEZNS1_11reduce_implILb1ES3_NS6_12zip_iteratorINS7_INS6_11hip_rocprim26transform_input_iterator_tIbNSD_35transform_pair_of_input_iterators_tIbNS6_6detail15normal_iteratorINS6_10device_ptrIKiEEEESL_NS6_8equal_toIiEEEENSG_9not_fun_tINSD_8identityEEEEENSD_19counting_iterator_tIlEES8_S8_S8_S8_S8_S8_S8_S8_EEEEPS9_S9_NSD_9__find_if7functorIS9_EEEE10hipError_tPvRmT1_T2_T3_mT4_P12ihipStream_tbEUlT_E0_NS1_11comp_targetILNS1_3genE3ELNS1_11target_archE908ELNS1_3gpuE7ELNS1_3repE0EEENS1_30default_config_static_selectorELNS0_4arch9wavefront6targetE1EEEvS14_,comdat
	.protected	_ZN7rocprim17ROCPRIM_400000_NS6detail17trampoline_kernelINS0_14default_configENS1_22reduce_config_selectorIN6thrust23THRUST_200600_302600_NS5tupleIblNS6_9null_typeES8_S8_S8_S8_S8_S8_S8_EEEEZNS1_11reduce_implILb1ES3_NS6_12zip_iteratorINS7_INS6_11hip_rocprim26transform_input_iterator_tIbNSD_35transform_pair_of_input_iterators_tIbNS6_6detail15normal_iteratorINS6_10device_ptrIKiEEEESL_NS6_8equal_toIiEEEENSG_9not_fun_tINSD_8identityEEEEENSD_19counting_iterator_tIlEES8_S8_S8_S8_S8_S8_S8_S8_EEEEPS9_S9_NSD_9__find_if7functorIS9_EEEE10hipError_tPvRmT1_T2_T3_mT4_P12ihipStream_tbEUlT_E0_NS1_11comp_targetILNS1_3genE3ELNS1_11target_archE908ELNS1_3gpuE7ELNS1_3repE0EEENS1_30default_config_static_selectorELNS0_4arch9wavefront6targetE1EEEvS14_ ; -- Begin function _ZN7rocprim17ROCPRIM_400000_NS6detail17trampoline_kernelINS0_14default_configENS1_22reduce_config_selectorIN6thrust23THRUST_200600_302600_NS5tupleIblNS6_9null_typeES8_S8_S8_S8_S8_S8_S8_EEEEZNS1_11reduce_implILb1ES3_NS6_12zip_iteratorINS7_INS6_11hip_rocprim26transform_input_iterator_tIbNSD_35transform_pair_of_input_iterators_tIbNS6_6detail15normal_iteratorINS6_10device_ptrIKiEEEESL_NS6_8equal_toIiEEEENSG_9not_fun_tINSD_8identityEEEEENSD_19counting_iterator_tIlEES8_S8_S8_S8_S8_S8_S8_S8_EEEEPS9_S9_NSD_9__find_if7functorIS9_EEEE10hipError_tPvRmT1_T2_T3_mT4_P12ihipStream_tbEUlT_E0_NS1_11comp_targetILNS1_3genE3ELNS1_11target_archE908ELNS1_3gpuE7ELNS1_3repE0EEENS1_30default_config_static_selectorELNS0_4arch9wavefront6targetE1EEEvS14_
	.globl	_ZN7rocprim17ROCPRIM_400000_NS6detail17trampoline_kernelINS0_14default_configENS1_22reduce_config_selectorIN6thrust23THRUST_200600_302600_NS5tupleIblNS6_9null_typeES8_S8_S8_S8_S8_S8_S8_EEEEZNS1_11reduce_implILb1ES3_NS6_12zip_iteratorINS7_INS6_11hip_rocprim26transform_input_iterator_tIbNSD_35transform_pair_of_input_iterators_tIbNS6_6detail15normal_iteratorINS6_10device_ptrIKiEEEESL_NS6_8equal_toIiEEEENSG_9not_fun_tINSD_8identityEEEEENSD_19counting_iterator_tIlEES8_S8_S8_S8_S8_S8_S8_S8_EEEEPS9_S9_NSD_9__find_if7functorIS9_EEEE10hipError_tPvRmT1_T2_T3_mT4_P12ihipStream_tbEUlT_E0_NS1_11comp_targetILNS1_3genE3ELNS1_11target_archE908ELNS1_3gpuE7ELNS1_3repE0EEENS1_30default_config_static_selectorELNS0_4arch9wavefront6targetE1EEEvS14_
	.p2align	8
	.type	_ZN7rocprim17ROCPRIM_400000_NS6detail17trampoline_kernelINS0_14default_configENS1_22reduce_config_selectorIN6thrust23THRUST_200600_302600_NS5tupleIblNS6_9null_typeES8_S8_S8_S8_S8_S8_S8_EEEEZNS1_11reduce_implILb1ES3_NS6_12zip_iteratorINS7_INS6_11hip_rocprim26transform_input_iterator_tIbNSD_35transform_pair_of_input_iterators_tIbNS6_6detail15normal_iteratorINS6_10device_ptrIKiEEEESL_NS6_8equal_toIiEEEENSG_9not_fun_tINSD_8identityEEEEENSD_19counting_iterator_tIlEES8_S8_S8_S8_S8_S8_S8_S8_EEEEPS9_S9_NSD_9__find_if7functorIS9_EEEE10hipError_tPvRmT1_T2_T3_mT4_P12ihipStream_tbEUlT_E0_NS1_11comp_targetILNS1_3genE3ELNS1_11target_archE908ELNS1_3gpuE7ELNS1_3repE0EEENS1_30default_config_static_selectorELNS0_4arch9wavefront6targetE1EEEvS14_,@function
_ZN7rocprim17ROCPRIM_400000_NS6detail17trampoline_kernelINS0_14default_configENS1_22reduce_config_selectorIN6thrust23THRUST_200600_302600_NS5tupleIblNS6_9null_typeES8_S8_S8_S8_S8_S8_S8_EEEEZNS1_11reduce_implILb1ES3_NS6_12zip_iteratorINS7_INS6_11hip_rocprim26transform_input_iterator_tIbNSD_35transform_pair_of_input_iterators_tIbNS6_6detail15normal_iteratorINS6_10device_ptrIKiEEEESL_NS6_8equal_toIiEEEENSG_9not_fun_tINSD_8identityEEEEENSD_19counting_iterator_tIlEES8_S8_S8_S8_S8_S8_S8_S8_EEEEPS9_S9_NSD_9__find_if7functorIS9_EEEE10hipError_tPvRmT1_T2_T3_mT4_P12ihipStream_tbEUlT_E0_NS1_11comp_targetILNS1_3genE3ELNS1_11target_archE908ELNS1_3gpuE7ELNS1_3repE0EEENS1_30default_config_static_selectorELNS0_4arch9wavefront6targetE1EEEvS14_: ; @_ZN7rocprim17ROCPRIM_400000_NS6detail17trampoline_kernelINS0_14default_configENS1_22reduce_config_selectorIN6thrust23THRUST_200600_302600_NS5tupleIblNS6_9null_typeES8_S8_S8_S8_S8_S8_S8_EEEEZNS1_11reduce_implILb1ES3_NS6_12zip_iteratorINS7_INS6_11hip_rocprim26transform_input_iterator_tIbNSD_35transform_pair_of_input_iterators_tIbNS6_6detail15normal_iteratorINS6_10device_ptrIKiEEEESL_NS6_8equal_toIiEEEENSG_9not_fun_tINSD_8identityEEEEENSD_19counting_iterator_tIlEES8_S8_S8_S8_S8_S8_S8_S8_EEEEPS9_S9_NSD_9__find_if7functorIS9_EEEE10hipError_tPvRmT1_T2_T3_mT4_P12ihipStream_tbEUlT_E0_NS1_11comp_targetILNS1_3genE3ELNS1_11target_archE908ELNS1_3gpuE7ELNS1_3repE0EEENS1_30default_config_static_selectorELNS0_4arch9wavefront6targetE1EEEvS14_
; %bb.0:
	.section	.rodata,"a",@progbits
	.p2align	6, 0x0
	.amdhsa_kernel _ZN7rocprim17ROCPRIM_400000_NS6detail17trampoline_kernelINS0_14default_configENS1_22reduce_config_selectorIN6thrust23THRUST_200600_302600_NS5tupleIblNS6_9null_typeES8_S8_S8_S8_S8_S8_S8_EEEEZNS1_11reduce_implILb1ES3_NS6_12zip_iteratorINS7_INS6_11hip_rocprim26transform_input_iterator_tIbNSD_35transform_pair_of_input_iterators_tIbNS6_6detail15normal_iteratorINS6_10device_ptrIKiEEEESL_NS6_8equal_toIiEEEENSG_9not_fun_tINSD_8identityEEEEENSD_19counting_iterator_tIlEES8_S8_S8_S8_S8_S8_S8_S8_EEEEPS9_S9_NSD_9__find_if7functorIS9_EEEE10hipError_tPvRmT1_T2_T3_mT4_P12ihipStream_tbEUlT_E0_NS1_11comp_targetILNS1_3genE3ELNS1_11target_archE908ELNS1_3gpuE7ELNS1_3repE0EEENS1_30default_config_static_selectorELNS0_4arch9wavefront6targetE1EEEvS14_
		.amdhsa_group_segment_fixed_size 0
		.amdhsa_private_segment_fixed_size 0
		.amdhsa_kernarg_size 104
		.amdhsa_user_sgpr_count 6
		.amdhsa_user_sgpr_private_segment_buffer 1
		.amdhsa_user_sgpr_dispatch_ptr 0
		.amdhsa_user_sgpr_queue_ptr 0
		.amdhsa_user_sgpr_kernarg_segment_ptr 1
		.amdhsa_user_sgpr_dispatch_id 0
		.amdhsa_user_sgpr_flat_scratch_init 0
		.amdhsa_user_sgpr_private_segment_size 0
		.amdhsa_uses_dynamic_stack 0
		.amdhsa_system_sgpr_private_segment_wavefront_offset 0
		.amdhsa_system_sgpr_workgroup_id_x 1
		.amdhsa_system_sgpr_workgroup_id_y 0
		.amdhsa_system_sgpr_workgroup_id_z 0
		.amdhsa_system_sgpr_workgroup_info 0
		.amdhsa_system_vgpr_workitem_id 0
		.amdhsa_next_free_vgpr 1
		.amdhsa_next_free_sgpr 0
		.amdhsa_reserve_vcc 0
		.amdhsa_reserve_flat_scratch 0
		.amdhsa_float_round_mode_32 0
		.amdhsa_float_round_mode_16_64 0
		.amdhsa_float_denorm_mode_32 3
		.amdhsa_float_denorm_mode_16_64 3
		.amdhsa_dx10_clamp 1
		.amdhsa_ieee_mode 1
		.amdhsa_fp16_overflow 0
		.amdhsa_exception_fp_ieee_invalid_op 0
		.amdhsa_exception_fp_denorm_src 0
		.amdhsa_exception_fp_ieee_div_zero 0
		.amdhsa_exception_fp_ieee_overflow 0
		.amdhsa_exception_fp_ieee_underflow 0
		.amdhsa_exception_fp_ieee_inexact 0
		.amdhsa_exception_int_div_zero 0
	.end_amdhsa_kernel
	.section	.text._ZN7rocprim17ROCPRIM_400000_NS6detail17trampoline_kernelINS0_14default_configENS1_22reduce_config_selectorIN6thrust23THRUST_200600_302600_NS5tupleIblNS6_9null_typeES8_S8_S8_S8_S8_S8_S8_EEEEZNS1_11reduce_implILb1ES3_NS6_12zip_iteratorINS7_INS6_11hip_rocprim26transform_input_iterator_tIbNSD_35transform_pair_of_input_iterators_tIbNS6_6detail15normal_iteratorINS6_10device_ptrIKiEEEESL_NS6_8equal_toIiEEEENSG_9not_fun_tINSD_8identityEEEEENSD_19counting_iterator_tIlEES8_S8_S8_S8_S8_S8_S8_S8_EEEEPS9_S9_NSD_9__find_if7functorIS9_EEEE10hipError_tPvRmT1_T2_T3_mT4_P12ihipStream_tbEUlT_E0_NS1_11comp_targetILNS1_3genE3ELNS1_11target_archE908ELNS1_3gpuE7ELNS1_3repE0EEENS1_30default_config_static_selectorELNS0_4arch9wavefront6targetE1EEEvS14_,"axG",@progbits,_ZN7rocprim17ROCPRIM_400000_NS6detail17trampoline_kernelINS0_14default_configENS1_22reduce_config_selectorIN6thrust23THRUST_200600_302600_NS5tupleIblNS6_9null_typeES8_S8_S8_S8_S8_S8_S8_EEEEZNS1_11reduce_implILb1ES3_NS6_12zip_iteratorINS7_INS6_11hip_rocprim26transform_input_iterator_tIbNSD_35transform_pair_of_input_iterators_tIbNS6_6detail15normal_iteratorINS6_10device_ptrIKiEEEESL_NS6_8equal_toIiEEEENSG_9not_fun_tINSD_8identityEEEEENSD_19counting_iterator_tIlEES8_S8_S8_S8_S8_S8_S8_S8_EEEEPS9_S9_NSD_9__find_if7functorIS9_EEEE10hipError_tPvRmT1_T2_T3_mT4_P12ihipStream_tbEUlT_E0_NS1_11comp_targetILNS1_3genE3ELNS1_11target_archE908ELNS1_3gpuE7ELNS1_3repE0EEENS1_30default_config_static_selectorELNS0_4arch9wavefront6targetE1EEEvS14_,comdat
.Lfunc_end471:
	.size	_ZN7rocprim17ROCPRIM_400000_NS6detail17trampoline_kernelINS0_14default_configENS1_22reduce_config_selectorIN6thrust23THRUST_200600_302600_NS5tupleIblNS6_9null_typeES8_S8_S8_S8_S8_S8_S8_EEEEZNS1_11reduce_implILb1ES3_NS6_12zip_iteratorINS7_INS6_11hip_rocprim26transform_input_iterator_tIbNSD_35transform_pair_of_input_iterators_tIbNS6_6detail15normal_iteratorINS6_10device_ptrIKiEEEESL_NS6_8equal_toIiEEEENSG_9not_fun_tINSD_8identityEEEEENSD_19counting_iterator_tIlEES8_S8_S8_S8_S8_S8_S8_S8_EEEEPS9_S9_NSD_9__find_if7functorIS9_EEEE10hipError_tPvRmT1_T2_T3_mT4_P12ihipStream_tbEUlT_E0_NS1_11comp_targetILNS1_3genE3ELNS1_11target_archE908ELNS1_3gpuE7ELNS1_3repE0EEENS1_30default_config_static_selectorELNS0_4arch9wavefront6targetE1EEEvS14_, .Lfunc_end471-_ZN7rocprim17ROCPRIM_400000_NS6detail17trampoline_kernelINS0_14default_configENS1_22reduce_config_selectorIN6thrust23THRUST_200600_302600_NS5tupleIblNS6_9null_typeES8_S8_S8_S8_S8_S8_S8_EEEEZNS1_11reduce_implILb1ES3_NS6_12zip_iteratorINS7_INS6_11hip_rocprim26transform_input_iterator_tIbNSD_35transform_pair_of_input_iterators_tIbNS6_6detail15normal_iteratorINS6_10device_ptrIKiEEEESL_NS6_8equal_toIiEEEENSG_9not_fun_tINSD_8identityEEEEENSD_19counting_iterator_tIlEES8_S8_S8_S8_S8_S8_S8_S8_EEEEPS9_S9_NSD_9__find_if7functorIS9_EEEE10hipError_tPvRmT1_T2_T3_mT4_P12ihipStream_tbEUlT_E0_NS1_11comp_targetILNS1_3genE3ELNS1_11target_archE908ELNS1_3gpuE7ELNS1_3repE0EEENS1_30default_config_static_selectorELNS0_4arch9wavefront6targetE1EEEvS14_
                                        ; -- End function
	.set _ZN7rocprim17ROCPRIM_400000_NS6detail17trampoline_kernelINS0_14default_configENS1_22reduce_config_selectorIN6thrust23THRUST_200600_302600_NS5tupleIblNS6_9null_typeES8_S8_S8_S8_S8_S8_S8_EEEEZNS1_11reduce_implILb1ES3_NS6_12zip_iteratorINS7_INS6_11hip_rocprim26transform_input_iterator_tIbNSD_35transform_pair_of_input_iterators_tIbNS6_6detail15normal_iteratorINS6_10device_ptrIKiEEEESL_NS6_8equal_toIiEEEENSG_9not_fun_tINSD_8identityEEEEENSD_19counting_iterator_tIlEES8_S8_S8_S8_S8_S8_S8_S8_EEEEPS9_S9_NSD_9__find_if7functorIS9_EEEE10hipError_tPvRmT1_T2_T3_mT4_P12ihipStream_tbEUlT_E0_NS1_11comp_targetILNS1_3genE3ELNS1_11target_archE908ELNS1_3gpuE7ELNS1_3repE0EEENS1_30default_config_static_selectorELNS0_4arch9wavefront6targetE1EEEvS14_.num_vgpr, 0
	.set _ZN7rocprim17ROCPRIM_400000_NS6detail17trampoline_kernelINS0_14default_configENS1_22reduce_config_selectorIN6thrust23THRUST_200600_302600_NS5tupleIblNS6_9null_typeES8_S8_S8_S8_S8_S8_S8_EEEEZNS1_11reduce_implILb1ES3_NS6_12zip_iteratorINS7_INS6_11hip_rocprim26transform_input_iterator_tIbNSD_35transform_pair_of_input_iterators_tIbNS6_6detail15normal_iteratorINS6_10device_ptrIKiEEEESL_NS6_8equal_toIiEEEENSG_9not_fun_tINSD_8identityEEEEENSD_19counting_iterator_tIlEES8_S8_S8_S8_S8_S8_S8_S8_EEEEPS9_S9_NSD_9__find_if7functorIS9_EEEE10hipError_tPvRmT1_T2_T3_mT4_P12ihipStream_tbEUlT_E0_NS1_11comp_targetILNS1_3genE3ELNS1_11target_archE908ELNS1_3gpuE7ELNS1_3repE0EEENS1_30default_config_static_selectorELNS0_4arch9wavefront6targetE1EEEvS14_.num_agpr, 0
	.set _ZN7rocprim17ROCPRIM_400000_NS6detail17trampoline_kernelINS0_14default_configENS1_22reduce_config_selectorIN6thrust23THRUST_200600_302600_NS5tupleIblNS6_9null_typeES8_S8_S8_S8_S8_S8_S8_EEEEZNS1_11reduce_implILb1ES3_NS6_12zip_iteratorINS7_INS6_11hip_rocprim26transform_input_iterator_tIbNSD_35transform_pair_of_input_iterators_tIbNS6_6detail15normal_iteratorINS6_10device_ptrIKiEEEESL_NS6_8equal_toIiEEEENSG_9not_fun_tINSD_8identityEEEEENSD_19counting_iterator_tIlEES8_S8_S8_S8_S8_S8_S8_S8_EEEEPS9_S9_NSD_9__find_if7functorIS9_EEEE10hipError_tPvRmT1_T2_T3_mT4_P12ihipStream_tbEUlT_E0_NS1_11comp_targetILNS1_3genE3ELNS1_11target_archE908ELNS1_3gpuE7ELNS1_3repE0EEENS1_30default_config_static_selectorELNS0_4arch9wavefront6targetE1EEEvS14_.numbered_sgpr, 0
	.set _ZN7rocprim17ROCPRIM_400000_NS6detail17trampoline_kernelINS0_14default_configENS1_22reduce_config_selectorIN6thrust23THRUST_200600_302600_NS5tupleIblNS6_9null_typeES8_S8_S8_S8_S8_S8_S8_EEEEZNS1_11reduce_implILb1ES3_NS6_12zip_iteratorINS7_INS6_11hip_rocprim26transform_input_iterator_tIbNSD_35transform_pair_of_input_iterators_tIbNS6_6detail15normal_iteratorINS6_10device_ptrIKiEEEESL_NS6_8equal_toIiEEEENSG_9not_fun_tINSD_8identityEEEEENSD_19counting_iterator_tIlEES8_S8_S8_S8_S8_S8_S8_S8_EEEEPS9_S9_NSD_9__find_if7functorIS9_EEEE10hipError_tPvRmT1_T2_T3_mT4_P12ihipStream_tbEUlT_E0_NS1_11comp_targetILNS1_3genE3ELNS1_11target_archE908ELNS1_3gpuE7ELNS1_3repE0EEENS1_30default_config_static_selectorELNS0_4arch9wavefront6targetE1EEEvS14_.num_named_barrier, 0
	.set _ZN7rocprim17ROCPRIM_400000_NS6detail17trampoline_kernelINS0_14default_configENS1_22reduce_config_selectorIN6thrust23THRUST_200600_302600_NS5tupleIblNS6_9null_typeES8_S8_S8_S8_S8_S8_S8_EEEEZNS1_11reduce_implILb1ES3_NS6_12zip_iteratorINS7_INS6_11hip_rocprim26transform_input_iterator_tIbNSD_35transform_pair_of_input_iterators_tIbNS6_6detail15normal_iteratorINS6_10device_ptrIKiEEEESL_NS6_8equal_toIiEEEENSG_9not_fun_tINSD_8identityEEEEENSD_19counting_iterator_tIlEES8_S8_S8_S8_S8_S8_S8_S8_EEEEPS9_S9_NSD_9__find_if7functorIS9_EEEE10hipError_tPvRmT1_T2_T3_mT4_P12ihipStream_tbEUlT_E0_NS1_11comp_targetILNS1_3genE3ELNS1_11target_archE908ELNS1_3gpuE7ELNS1_3repE0EEENS1_30default_config_static_selectorELNS0_4arch9wavefront6targetE1EEEvS14_.private_seg_size, 0
	.set _ZN7rocprim17ROCPRIM_400000_NS6detail17trampoline_kernelINS0_14default_configENS1_22reduce_config_selectorIN6thrust23THRUST_200600_302600_NS5tupleIblNS6_9null_typeES8_S8_S8_S8_S8_S8_S8_EEEEZNS1_11reduce_implILb1ES3_NS6_12zip_iteratorINS7_INS6_11hip_rocprim26transform_input_iterator_tIbNSD_35transform_pair_of_input_iterators_tIbNS6_6detail15normal_iteratorINS6_10device_ptrIKiEEEESL_NS6_8equal_toIiEEEENSG_9not_fun_tINSD_8identityEEEEENSD_19counting_iterator_tIlEES8_S8_S8_S8_S8_S8_S8_S8_EEEEPS9_S9_NSD_9__find_if7functorIS9_EEEE10hipError_tPvRmT1_T2_T3_mT4_P12ihipStream_tbEUlT_E0_NS1_11comp_targetILNS1_3genE3ELNS1_11target_archE908ELNS1_3gpuE7ELNS1_3repE0EEENS1_30default_config_static_selectorELNS0_4arch9wavefront6targetE1EEEvS14_.uses_vcc, 0
	.set _ZN7rocprim17ROCPRIM_400000_NS6detail17trampoline_kernelINS0_14default_configENS1_22reduce_config_selectorIN6thrust23THRUST_200600_302600_NS5tupleIblNS6_9null_typeES8_S8_S8_S8_S8_S8_S8_EEEEZNS1_11reduce_implILb1ES3_NS6_12zip_iteratorINS7_INS6_11hip_rocprim26transform_input_iterator_tIbNSD_35transform_pair_of_input_iterators_tIbNS6_6detail15normal_iteratorINS6_10device_ptrIKiEEEESL_NS6_8equal_toIiEEEENSG_9not_fun_tINSD_8identityEEEEENSD_19counting_iterator_tIlEES8_S8_S8_S8_S8_S8_S8_S8_EEEEPS9_S9_NSD_9__find_if7functorIS9_EEEE10hipError_tPvRmT1_T2_T3_mT4_P12ihipStream_tbEUlT_E0_NS1_11comp_targetILNS1_3genE3ELNS1_11target_archE908ELNS1_3gpuE7ELNS1_3repE0EEENS1_30default_config_static_selectorELNS0_4arch9wavefront6targetE1EEEvS14_.uses_flat_scratch, 0
	.set _ZN7rocprim17ROCPRIM_400000_NS6detail17trampoline_kernelINS0_14default_configENS1_22reduce_config_selectorIN6thrust23THRUST_200600_302600_NS5tupleIblNS6_9null_typeES8_S8_S8_S8_S8_S8_S8_EEEEZNS1_11reduce_implILb1ES3_NS6_12zip_iteratorINS7_INS6_11hip_rocprim26transform_input_iterator_tIbNSD_35transform_pair_of_input_iterators_tIbNS6_6detail15normal_iteratorINS6_10device_ptrIKiEEEESL_NS6_8equal_toIiEEEENSG_9not_fun_tINSD_8identityEEEEENSD_19counting_iterator_tIlEES8_S8_S8_S8_S8_S8_S8_S8_EEEEPS9_S9_NSD_9__find_if7functorIS9_EEEE10hipError_tPvRmT1_T2_T3_mT4_P12ihipStream_tbEUlT_E0_NS1_11comp_targetILNS1_3genE3ELNS1_11target_archE908ELNS1_3gpuE7ELNS1_3repE0EEENS1_30default_config_static_selectorELNS0_4arch9wavefront6targetE1EEEvS14_.has_dyn_sized_stack, 0
	.set _ZN7rocprim17ROCPRIM_400000_NS6detail17trampoline_kernelINS0_14default_configENS1_22reduce_config_selectorIN6thrust23THRUST_200600_302600_NS5tupleIblNS6_9null_typeES8_S8_S8_S8_S8_S8_S8_EEEEZNS1_11reduce_implILb1ES3_NS6_12zip_iteratorINS7_INS6_11hip_rocprim26transform_input_iterator_tIbNSD_35transform_pair_of_input_iterators_tIbNS6_6detail15normal_iteratorINS6_10device_ptrIKiEEEESL_NS6_8equal_toIiEEEENSG_9not_fun_tINSD_8identityEEEEENSD_19counting_iterator_tIlEES8_S8_S8_S8_S8_S8_S8_S8_EEEEPS9_S9_NSD_9__find_if7functorIS9_EEEE10hipError_tPvRmT1_T2_T3_mT4_P12ihipStream_tbEUlT_E0_NS1_11comp_targetILNS1_3genE3ELNS1_11target_archE908ELNS1_3gpuE7ELNS1_3repE0EEENS1_30default_config_static_selectorELNS0_4arch9wavefront6targetE1EEEvS14_.has_recursion, 0
	.set _ZN7rocprim17ROCPRIM_400000_NS6detail17trampoline_kernelINS0_14default_configENS1_22reduce_config_selectorIN6thrust23THRUST_200600_302600_NS5tupleIblNS6_9null_typeES8_S8_S8_S8_S8_S8_S8_EEEEZNS1_11reduce_implILb1ES3_NS6_12zip_iteratorINS7_INS6_11hip_rocprim26transform_input_iterator_tIbNSD_35transform_pair_of_input_iterators_tIbNS6_6detail15normal_iteratorINS6_10device_ptrIKiEEEESL_NS6_8equal_toIiEEEENSG_9not_fun_tINSD_8identityEEEEENSD_19counting_iterator_tIlEES8_S8_S8_S8_S8_S8_S8_S8_EEEEPS9_S9_NSD_9__find_if7functorIS9_EEEE10hipError_tPvRmT1_T2_T3_mT4_P12ihipStream_tbEUlT_E0_NS1_11comp_targetILNS1_3genE3ELNS1_11target_archE908ELNS1_3gpuE7ELNS1_3repE0EEENS1_30default_config_static_selectorELNS0_4arch9wavefront6targetE1EEEvS14_.has_indirect_call, 0
	.section	.AMDGPU.csdata,"",@progbits
; Kernel info:
; codeLenInByte = 0
; TotalNumSgprs: 4
; NumVgprs: 0
; ScratchSize: 0
; MemoryBound: 0
; FloatMode: 240
; IeeeMode: 1
; LDSByteSize: 0 bytes/workgroup (compile time only)
; SGPRBlocks: 0
; VGPRBlocks: 0
; NumSGPRsForWavesPerEU: 4
; NumVGPRsForWavesPerEU: 1
; Occupancy: 10
; WaveLimiterHint : 0
; COMPUTE_PGM_RSRC2:SCRATCH_EN: 0
; COMPUTE_PGM_RSRC2:USER_SGPR: 6
; COMPUTE_PGM_RSRC2:TRAP_HANDLER: 0
; COMPUTE_PGM_RSRC2:TGID_X_EN: 1
; COMPUTE_PGM_RSRC2:TGID_Y_EN: 0
; COMPUTE_PGM_RSRC2:TGID_Z_EN: 0
; COMPUTE_PGM_RSRC2:TIDIG_COMP_CNT: 0
	.section	.text._ZN7rocprim17ROCPRIM_400000_NS6detail17trampoline_kernelINS0_14default_configENS1_22reduce_config_selectorIN6thrust23THRUST_200600_302600_NS5tupleIblNS6_9null_typeES8_S8_S8_S8_S8_S8_S8_EEEEZNS1_11reduce_implILb1ES3_NS6_12zip_iteratorINS7_INS6_11hip_rocprim26transform_input_iterator_tIbNSD_35transform_pair_of_input_iterators_tIbNS6_6detail15normal_iteratorINS6_10device_ptrIKiEEEESL_NS6_8equal_toIiEEEENSG_9not_fun_tINSD_8identityEEEEENSD_19counting_iterator_tIlEES8_S8_S8_S8_S8_S8_S8_S8_EEEEPS9_S9_NSD_9__find_if7functorIS9_EEEE10hipError_tPvRmT1_T2_T3_mT4_P12ihipStream_tbEUlT_E0_NS1_11comp_targetILNS1_3genE2ELNS1_11target_archE906ELNS1_3gpuE6ELNS1_3repE0EEENS1_30default_config_static_selectorELNS0_4arch9wavefront6targetE1EEEvS14_,"axG",@progbits,_ZN7rocprim17ROCPRIM_400000_NS6detail17trampoline_kernelINS0_14default_configENS1_22reduce_config_selectorIN6thrust23THRUST_200600_302600_NS5tupleIblNS6_9null_typeES8_S8_S8_S8_S8_S8_S8_EEEEZNS1_11reduce_implILb1ES3_NS6_12zip_iteratorINS7_INS6_11hip_rocprim26transform_input_iterator_tIbNSD_35transform_pair_of_input_iterators_tIbNS6_6detail15normal_iteratorINS6_10device_ptrIKiEEEESL_NS6_8equal_toIiEEEENSG_9not_fun_tINSD_8identityEEEEENSD_19counting_iterator_tIlEES8_S8_S8_S8_S8_S8_S8_S8_EEEEPS9_S9_NSD_9__find_if7functorIS9_EEEE10hipError_tPvRmT1_T2_T3_mT4_P12ihipStream_tbEUlT_E0_NS1_11comp_targetILNS1_3genE2ELNS1_11target_archE906ELNS1_3gpuE6ELNS1_3repE0EEENS1_30default_config_static_selectorELNS0_4arch9wavefront6targetE1EEEvS14_,comdat
	.protected	_ZN7rocprim17ROCPRIM_400000_NS6detail17trampoline_kernelINS0_14default_configENS1_22reduce_config_selectorIN6thrust23THRUST_200600_302600_NS5tupleIblNS6_9null_typeES8_S8_S8_S8_S8_S8_S8_EEEEZNS1_11reduce_implILb1ES3_NS6_12zip_iteratorINS7_INS6_11hip_rocprim26transform_input_iterator_tIbNSD_35transform_pair_of_input_iterators_tIbNS6_6detail15normal_iteratorINS6_10device_ptrIKiEEEESL_NS6_8equal_toIiEEEENSG_9not_fun_tINSD_8identityEEEEENSD_19counting_iterator_tIlEES8_S8_S8_S8_S8_S8_S8_S8_EEEEPS9_S9_NSD_9__find_if7functorIS9_EEEE10hipError_tPvRmT1_T2_T3_mT4_P12ihipStream_tbEUlT_E0_NS1_11comp_targetILNS1_3genE2ELNS1_11target_archE906ELNS1_3gpuE6ELNS1_3repE0EEENS1_30default_config_static_selectorELNS0_4arch9wavefront6targetE1EEEvS14_ ; -- Begin function _ZN7rocprim17ROCPRIM_400000_NS6detail17trampoline_kernelINS0_14default_configENS1_22reduce_config_selectorIN6thrust23THRUST_200600_302600_NS5tupleIblNS6_9null_typeES8_S8_S8_S8_S8_S8_S8_EEEEZNS1_11reduce_implILb1ES3_NS6_12zip_iteratorINS7_INS6_11hip_rocprim26transform_input_iterator_tIbNSD_35transform_pair_of_input_iterators_tIbNS6_6detail15normal_iteratorINS6_10device_ptrIKiEEEESL_NS6_8equal_toIiEEEENSG_9not_fun_tINSD_8identityEEEEENSD_19counting_iterator_tIlEES8_S8_S8_S8_S8_S8_S8_S8_EEEEPS9_S9_NSD_9__find_if7functorIS9_EEEE10hipError_tPvRmT1_T2_T3_mT4_P12ihipStream_tbEUlT_E0_NS1_11comp_targetILNS1_3genE2ELNS1_11target_archE906ELNS1_3gpuE6ELNS1_3repE0EEENS1_30default_config_static_selectorELNS0_4arch9wavefront6targetE1EEEvS14_
	.globl	_ZN7rocprim17ROCPRIM_400000_NS6detail17trampoline_kernelINS0_14default_configENS1_22reduce_config_selectorIN6thrust23THRUST_200600_302600_NS5tupleIblNS6_9null_typeES8_S8_S8_S8_S8_S8_S8_EEEEZNS1_11reduce_implILb1ES3_NS6_12zip_iteratorINS7_INS6_11hip_rocprim26transform_input_iterator_tIbNSD_35transform_pair_of_input_iterators_tIbNS6_6detail15normal_iteratorINS6_10device_ptrIKiEEEESL_NS6_8equal_toIiEEEENSG_9not_fun_tINSD_8identityEEEEENSD_19counting_iterator_tIlEES8_S8_S8_S8_S8_S8_S8_S8_EEEEPS9_S9_NSD_9__find_if7functorIS9_EEEE10hipError_tPvRmT1_T2_T3_mT4_P12ihipStream_tbEUlT_E0_NS1_11comp_targetILNS1_3genE2ELNS1_11target_archE906ELNS1_3gpuE6ELNS1_3repE0EEENS1_30default_config_static_selectorELNS0_4arch9wavefront6targetE1EEEvS14_
	.p2align	8
	.type	_ZN7rocprim17ROCPRIM_400000_NS6detail17trampoline_kernelINS0_14default_configENS1_22reduce_config_selectorIN6thrust23THRUST_200600_302600_NS5tupleIblNS6_9null_typeES8_S8_S8_S8_S8_S8_S8_EEEEZNS1_11reduce_implILb1ES3_NS6_12zip_iteratorINS7_INS6_11hip_rocprim26transform_input_iterator_tIbNSD_35transform_pair_of_input_iterators_tIbNS6_6detail15normal_iteratorINS6_10device_ptrIKiEEEESL_NS6_8equal_toIiEEEENSG_9not_fun_tINSD_8identityEEEEENSD_19counting_iterator_tIlEES8_S8_S8_S8_S8_S8_S8_S8_EEEEPS9_S9_NSD_9__find_if7functorIS9_EEEE10hipError_tPvRmT1_T2_T3_mT4_P12ihipStream_tbEUlT_E0_NS1_11comp_targetILNS1_3genE2ELNS1_11target_archE906ELNS1_3gpuE6ELNS1_3repE0EEENS1_30default_config_static_selectorELNS0_4arch9wavefront6targetE1EEEvS14_,@function
_ZN7rocprim17ROCPRIM_400000_NS6detail17trampoline_kernelINS0_14default_configENS1_22reduce_config_selectorIN6thrust23THRUST_200600_302600_NS5tupleIblNS6_9null_typeES8_S8_S8_S8_S8_S8_S8_EEEEZNS1_11reduce_implILb1ES3_NS6_12zip_iteratorINS7_INS6_11hip_rocprim26transform_input_iterator_tIbNSD_35transform_pair_of_input_iterators_tIbNS6_6detail15normal_iteratorINS6_10device_ptrIKiEEEESL_NS6_8equal_toIiEEEENSG_9not_fun_tINSD_8identityEEEEENSD_19counting_iterator_tIlEES8_S8_S8_S8_S8_S8_S8_S8_EEEEPS9_S9_NSD_9__find_if7functorIS9_EEEE10hipError_tPvRmT1_T2_T3_mT4_P12ihipStream_tbEUlT_E0_NS1_11comp_targetILNS1_3genE2ELNS1_11target_archE906ELNS1_3gpuE6ELNS1_3repE0EEENS1_30default_config_static_selectorELNS0_4arch9wavefront6targetE1EEEvS14_: ; @_ZN7rocprim17ROCPRIM_400000_NS6detail17trampoline_kernelINS0_14default_configENS1_22reduce_config_selectorIN6thrust23THRUST_200600_302600_NS5tupleIblNS6_9null_typeES8_S8_S8_S8_S8_S8_S8_EEEEZNS1_11reduce_implILb1ES3_NS6_12zip_iteratorINS7_INS6_11hip_rocprim26transform_input_iterator_tIbNSD_35transform_pair_of_input_iterators_tIbNS6_6detail15normal_iteratorINS6_10device_ptrIKiEEEESL_NS6_8equal_toIiEEEENSG_9not_fun_tINSD_8identityEEEEENSD_19counting_iterator_tIlEES8_S8_S8_S8_S8_S8_S8_S8_EEEEPS9_S9_NSD_9__find_if7functorIS9_EEEE10hipError_tPvRmT1_T2_T3_mT4_P12ihipStream_tbEUlT_E0_NS1_11comp_targetILNS1_3genE2ELNS1_11target_archE906ELNS1_3gpuE6ELNS1_3repE0EEENS1_30default_config_static_selectorELNS0_4arch9wavefront6targetE1EEEvS14_
; %bb.0:
	s_load_dwordx8 s[12:19], s[4:5], 0x20
	s_load_dwordx4 s[0:3], s[4:5], 0x0
	s_load_dwordx4 s[20:23], s[4:5], 0x40
	s_mov_b32 s29, 0
	s_mov_b32 s7, s29
	s_waitcnt lgkmcnt(0)
	s_lshl_b64 s[8:9], s[14:15], 2
	s_add_u32 s10, s0, s8
	s_addc_u32 s11, s1, s9
	s_add_u32 s8, s2, s8
	s_addc_u32 s9, s3, s9
	s_lshl_b32 s28, s6, 8
	s_lshr_b64 s[0:1], s[16:17], 8
	s_lshl_b64 s[2:3], s[28:29], 2
	s_add_u32 s24, s10, s2
	s_addc_u32 s25, s11, s3
	s_add_u32 s26, s8, s2
	s_addc_u32 s27, s9, s3
	;; [unrolled: 2-line block ×4, first 2 shown]
	s_cmp_lg_u64 s[0:1], s[6:7]
	v_lshlrev_b32_e32 v9, 2, v0
	v_mbcnt_lo_u32_b32 v8, -1, 0
	s_cbranch_scc0 .LBB472_10
; %bb.1:
	global_load_dword v1, v9, s[26:27]
	global_load_dword v2, v9, s[26:27] offset:512
	global_load_dword v4, v9, s[24:25] offset:512
	global_load_dword v6, v9, s[24:25]
	v_mov_b32_e32 v5, s15
	v_add_co_u32_e32 v7, vcc, s14, v0
	v_addc_co_u32_e32 v10, vcc, 0, v5, vcc
	v_add_co_u32_e32 v11, vcc, 0x80, v7
	v_addc_co_u32_e32 v12, vcc, 0, v10, vcc
	v_mbcnt_hi_u32_b32 v3, -1, v8
	v_lshlrev_b32_e32 v5, 2, v3
	v_or_b32_e32 v13, 0xfc, v5
	s_waitcnt vmcnt(1)
	v_cmp_ne_u32_e32 vcc, v4, v2
	s_waitcnt vmcnt(0)
	v_cmp_ne_u32_e64 s[0:1], v6, v1
	v_cndmask_b32_e64 v2, v12, v10, s[0:1]
	v_cndmask_b32_e64 v1, v11, v7, s[0:1]
	s_or_b64 s[0:1], s[0:1], vcc
	v_mov_b32_dpp v7, v2 quad_perm:[1,0,3,2] row_mask:0xf bank_mask:0xf bound_ctrl:1
	v_mov_b32_dpp v6, v1 quad_perm:[1,0,3,2] row_mask:0xf bank_mask:0xf bound_ctrl:1
	v_cndmask_b32_e64 v4, 0, 1, s[0:1]
	v_cmp_lt_i64_e32 vcc, v[1:2], v[6:7]
	s_and_b64 vcc, s[0:1], vcc
	v_mov_b32_dpp v10, v4 quad_perm:[1,0,3,2] row_mask:0xf bank_mask:0xf bound_ctrl:1
	v_and_b32_e32 v10, 1, v10
	v_cndmask_b32_e32 v6, v6, v1, vcc
	v_cndmask_b32_e32 v7, v7, v2, vcc
	v_cmp_eq_u32_e32 vcc, 1, v10
	v_cndmask_b32_e32 v2, v2, v7, vcc
	v_cndmask_b32_e32 v1, v1, v6, vcc
	v_cndmask_b32_e64 v4, v4, 1, vcc
	v_mov_b32_dpp v7, v2 quad_perm:[2,3,0,1] row_mask:0xf bank_mask:0xf bound_ctrl:1
	v_mov_b32_dpp v6, v1 quad_perm:[2,3,0,1] row_mask:0xf bank_mask:0xf bound_ctrl:1
	v_and_b32_e32 v11, 1, v4
	v_cmp_lt_i64_e64 s[0:1], v[1:2], v[6:7]
	v_mov_b32_dpp v10, v4 quad_perm:[2,3,0,1] row_mask:0xf bank_mask:0xf bound_ctrl:1
	v_cmp_eq_u32_e32 vcc, 1, v11
	v_and_b32_e32 v10, 1, v10
	s_and_b64 vcc, vcc, s[0:1]
	v_cmp_eq_u32_e64 s[2:3], 1, v10
	v_cndmask_b32_e32 v6, v6, v1, vcc
	v_cndmask_b32_e32 v7, v7, v2, vcc
	v_cndmask_b32_e64 v1, v1, v6, s[2:3]
	v_cndmask_b32_e64 v2, v2, v7, s[2:3]
	v_cndmask_b32_e64 v4, v4, 1, s[2:3]
	v_mov_b32_dpp v6, v1 row_ror:4 row_mask:0xf bank_mask:0xf bound_ctrl:1
	v_mov_b32_dpp v7, v2 row_ror:4 row_mask:0xf bank_mask:0xf bound_ctrl:1
	v_and_b32_e32 v11, 1, v4
	v_cmp_lt_i64_e64 s[2:3], v[1:2], v[6:7]
	v_mov_b32_dpp v10, v4 row_ror:4 row_mask:0xf bank_mask:0xf bound_ctrl:1
	v_cmp_eq_u32_e32 vcc, 1, v11
	v_and_b32_e32 v10, 1, v10
	s_and_b64 vcc, vcc, s[2:3]
	v_cmp_eq_u32_e64 s[0:1], 1, v10
	v_cndmask_b32_e32 v6, v6, v1, vcc
	v_cndmask_b32_e32 v7, v7, v2, vcc
	v_cndmask_b32_e64 v1, v1, v6, s[0:1]
	v_cndmask_b32_e64 v2, v2, v7, s[0:1]
	;; [unrolled: 1-line block ×3, first 2 shown]
	v_mov_b32_dpp v6, v1 row_ror:8 row_mask:0xf bank_mask:0xf bound_ctrl:1
	v_mov_b32_dpp v7, v2 row_ror:8 row_mask:0xf bank_mask:0xf bound_ctrl:1
	v_and_b32_e32 v11, 1, v4
	v_cmp_lt_i64_e64 s[2:3], v[1:2], v[6:7]
	v_mov_b32_dpp v10, v4 row_ror:8 row_mask:0xf bank_mask:0xf bound_ctrl:1
	v_cmp_eq_u32_e64 s[8:9], 1, v11
	v_and_b32_e32 v10, 1, v10
	s_and_b64 s[2:3], s[8:9], s[2:3]
	v_cmp_eq_u32_e64 s[10:11], 1, v10
	v_cndmask_b32_e64 v6, v6, v1, s[2:3]
	v_cndmask_b32_e64 v7, v7, v2, s[2:3]
	;; [unrolled: 1-line block ×5, first 2 shown]
	v_mov_b32_dpp v10, v4 row_bcast:15 row_mask:0xf bank_mask:0xf bound_ctrl:1
	v_mov_b32_dpp v6, v1 row_bcast:15 row_mask:0xf bank_mask:0xf bound_ctrl:1
	;; [unrolled: 1-line block ×3, first 2 shown]
	v_and_b32_e32 v11, 1, v4
	v_and_b32_e32 v10, 1, v10
	v_cmp_lt_i64_e64 s[2:3], v[1:2], v[6:7]
	v_cmp_eq_u32_e32 vcc, 1, v11
	v_cmp_eq_u32_e64 s[0:1], 1, v10
	v_cndmask_b32_e64 v4, v4, 1, s[0:1]
	s_and_b64 vcc, vcc, s[2:3]
	v_cndmask_b32_e32 v6, v6, v1, vcc
	v_mov_b32_dpp v10, v4 row_bcast:31 row_mask:0xf bank_mask:0xf bound_ctrl:1
	v_cndmask_b32_e32 v7, v7, v2, vcc
	v_and_b32_e32 v11, 1, v4
	v_and_b32_e32 v10, 1, v10
	v_cndmask_b32_e64 v1, v1, v6, s[0:1]
	v_cndmask_b32_e64 v2, v2, v7, s[0:1]
	v_cmp_eq_u32_e64 s[12:13], 1, v11
	v_cmp_eq_u32_e64 s[8:9], 1, v10
	v_mov_b32_dpp v10, v1 row_bcast:31 row_mask:0xf bank_mask:0xf bound_ctrl:1
	v_mov_b32_dpp v11, v2 row_bcast:31 row_mask:0xf bank_mask:0xf bound_ctrl:1
	v_cmp_lt_i64_e32 vcc, v[1:2], v[10:11]
	v_cndmask_b32_e64 v4, v4, 1, s[8:9]
	s_and_b64 vcc, s[12:13], vcc
	ds_bpermute_b32 v7, v13, v4
	v_cndmask_b32_e32 v4, v10, v1, vcc
	v_cndmask_b32_e32 v6, v11, v2, vcc
	v_cndmask_b32_e64 v1, v1, v4, s[8:9]
	v_cndmask_b32_e64 v2, v2, v6, s[8:9]
	ds_bpermute_b32 v1, v13, v1
	ds_bpermute_b32 v2, v13, v2
	v_cmp_eq_u32_e32 vcc, 0, v3
	s_and_saveexec_b64 s[0:1], vcc
	s_cbranch_execz .LBB472_3
; %bb.2:
	v_lshrrev_b32_e32 v4, 2, v0
	v_and_b32_e32 v4, 16, v4
	s_waitcnt lgkmcnt(2)
	ds_write_b8 v4, v7
	s_waitcnt lgkmcnt(1)
	ds_write_b64 v4, v[1:2] offset:8
.LBB472_3:
	s_or_b64 exec, exec, s[0:1]
	v_cmp_gt_u32_e32 vcc, 64, v0
	s_waitcnt lgkmcnt(0)
	s_barrier
	s_and_saveexec_b64 s[0:1], vcc
	s_cbranch_execz .LBB472_9
; %bb.4:
	v_and_b32_e32 v1, 1, v3
	v_lshlrev_b32_e32 v1, 4, v1
	ds_read_u8 v10, v1
	ds_read_b64 v[3:4], v1 offset:8
	v_or_b32_e32 v2, 4, v5
	s_waitcnt lgkmcnt(1)
	v_and_b32_e32 v1, 0xff, v10
	ds_bpermute_b32 v11, v2, v1
	s_waitcnt lgkmcnt(1)
	ds_bpermute_b32 v5, v2, v3
	ds_bpermute_b32 v6, v2, v4
	s_waitcnt lgkmcnt(2)
	v_and_b32_e32 v1, v10, v11
	v_and_b32_e32 v1, 1, v1
	v_cmp_eq_u32_e32 vcc, 1, v1
                                        ; implicit-def: $vgpr1_vgpr2
	s_and_saveexec_b64 s[2:3], vcc
	s_xor_b64 s[2:3], exec, s[2:3]
	s_cbranch_execz .LBB472_6
; %bb.5:
	s_waitcnt lgkmcnt(0)
	v_cmp_lt_i64_e32 vcc, v[5:6], v[3:4]
                                        ; implicit-def: $vgpr10
                                        ; implicit-def: $vgpr11
	v_cndmask_b32_e32 v2, v4, v6, vcc
	v_cndmask_b32_e32 v1, v3, v5, vcc
                                        ; implicit-def: $vgpr5_vgpr6
                                        ; implicit-def: $vgpr3_vgpr4
.LBB472_6:
	s_or_saveexec_b64 s[2:3], s[2:3]
	v_mov_b32_e32 v7, 1
	s_xor_b64 exec, exec, s[2:3]
	s_cbranch_execz .LBB472_8
; %bb.7:
	v_and_b32_e32 v1, 1, v10
	v_cmp_eq_u32_e32 vcc, 1, v1
	s_waitcnt lgkmcnt(0)
	v_cndmask_b32_e32 v2, v6, v4, vcc
	v_cndmask_b32_e32 v1, v5, v3, vcc
	v_cndmask_b32_e64 v7, v11, 1, vcc
.LBB472_8:
	s_or_b64 exec, exec, s[2:3]
.LBB472_9:
	s_or_b64 exec, exec, s[0:1]
	s_load_dword s10, s[4:5], 0x50
	s_load_dwordx2 s[8:9], s[4:5], 0x58
	s_branch .LBB472_62
.LBB472_10:
                                        ; implicit-def: $vgpr1_vgpr2
                                        ; implicit-def: $vgpr7
	s_load_dword s10, s[4:5], 0x50
	s_load_dwordx2 s[8:9], s[4:5], 0x58
	s_cbranch_execz .LBB472_62
; %bb.11:
	s_sub_i32 s11, s16, s28
	v_mov_b32_e32 v3, 0
	v_mov_b32_e32 v1, 0
	v_cmp_gt_u32_e32 vcc, s11, v0
	s_waitcnt lgkmcnt(0)
	v_mov_b32_e32 v6, 0
	v_mov_b32_e32 v4, 0
	;; [unrolled: 1-line block ×4, first 2 shown]
	s_and_saveexec_b64 s[0:1], vcc
	s_cbranch_execz .LBB472_13
; %bb.12:
	global_load_dword v5, v9, s[24:25]
	global_load_dword v7, v9, s[26:27]
	v_mov_b32_e32 v2, s15
	v_add_co_u32_e32 v1, vcc, s14, v0
	v_addc_co_u32_e32 v2, vcc, 0, v2, vcc
	s_waitcnt vmcnt(0)
	v_cmp_ne_u32_e32 vcc, v5, v7
	v_cndmask_b32_e64 v5, 0, 1, vcc
.LBB472_13:
	s_or_b64 exec, exec, s[0:1]
	v_or_b32_e32 v7, 0x80, v0
	v_cmp_gt_u32_e32 vcc, s11, v7
	s_and_saveexec_b64 s[2:3], vcc
	s_cbranch_execz .LBB472_15
; %bb.14:
	global_load_dword v6, v9, s[24:25] offset:512
	global_load_dword v10, v9, s[26:27] offset:512
	v_mov_b32_e32 v4, s15
	v_add_co_u32_e64 v3, s[0:1], s14, v7
	v_addc_co_u32_e64 v4, s[0:1], 0, v4, s[0:1]
	s_waitcnt vmcnt(0)
	v_cmp_ne_u32_e64 s[0:1], v6, v10
	v_cndmask_b32_e64 v6, 0, 1, s[0:1]
.LBB472_15:
	s_or_b64 exec, exec, s[2:3]
	v_and_b32_e32 v7, 0xffff, v5
	v_and_b32_e32 v9, 0xffff, v6
	;; [unrolled: 1-line block ×4, first 2 shown]
	v_cmp_lt_i64_e64 s[2:3], v[3:4], v[1:2]
	v_cmp_eq_u32_e64 s[0:1], 1, v6
	v_cmp_eq_u32_e64 s[4:5], 1, v5
	v_cndmask_b32_e64 v5, v9, 1, s[4:5]
	s_and_b64 s[0:1], s[0:1], s[2:3]
	v_cndmask_b32_e64 v6, v2, v4, s[0:1]
	v_cndmask_b32_e64 v9, v1, v3, s[0:1]
	v_cndmask_b32_e32 v7, v7, v5, vcc
	v_mbcnt_hi_u32_b32 v5, -1, v8
	v_cndmask_b32_e64 v3, v3, v9, s[4:5]
	v_cndmask_b32_e64 v4, v4, v6, s[4:5]
	v_and_b32_e32 v6, 63, v5
	v_cndmask_b32_e32 v2, v2, v4, vcc
	v_cndmask_b32_e32 v1, v1, v3, vcc
	v_cmp_ne_u32_e32 vcc, 63, v6
	v_addc_co_u32_e32 v3, vcc, 0, v5, vcc
	v_lshlrev_b32_e32 v4, 2, v3
	ds_bpermute_b32 v9, v4, v7
	ds_bpermute_b32 v3, v4, v1
	;; [unrolled: 1-line block ×3, first 2 shown]
	s_min_u32 s4, s11, 0x80
	v_and_b32_e32 v8, 64, v0
	v_sub_u32_e64 v8, s4, v8 clamp
	v_add_u32_e32 v10, 1, v6
	v_cmp_lt_u32_e32 vcc, v10, v8
	s_and_saveexec_b64 s[0:1], vcc
	s_cbranch_execz .LBB472_21
; %bb.16:
	s_waitcnt lgkmcnt(2)
	v_and_b32_e32 v10, v9, v7
	v_cmp_ne_u32_e32 vcc, 0, v10
	s_and_saveexec_b64 s[2:3], vcc
	s_xor_b64 s[2:3], exec, s[2:3]
	s_cbranch_execz .LBB472_18
; %bb.17:
	s_waitcnt lgkmcnt(0)
	v_cmp_lt_i64_e32 vcc, v[3:4], v[1:2]
                                        ; implicit-def: $vgpr7
                                        ; implicit-def: $vgpr9
	v_cndmask_b32_e32 v2, v2, v4, vcc
	v_cndmask_b32_e32 v1, v1, v3, vcc
                                        ; implicit-def: $vgpr3_vgpr4
.LBB472_18:
	s_or_saveexec_b64 s[2:3], s[2:3]
	v_mov_b32_e32 v10, 1
	s_xor_b64 exec, exec, s[2:3]
	s_cbranch_execz .LBB472_20
; %bb.19:
	v_and_b32_e32 v7, 1, v7
	v_cmp_eq_u32_e32 vcc, 1, v7
	s_waitcnt lgkmcnt(1)
	v_cndmask_b32_e32 v1, v3, v1, vcc
	v_and_b32_e32 v3, 0xff, v9
	s_waitcnt lgkmcnt(0)
	v_cndmask_b32_e32 v2, v4, v2, vcc
	v_cndmask_b32_e64 v10, v3, 1, vcc
.LBB472_20:
	s_or_b64 exec, exec, s[2:3]
	v_mov_b32_e32 v7, v10
.LBB472_21:
	s_or_b64 exec, exec, s[0:1]
	v_cmp_gt_u32_e32 vcc, 62, v6
	s_waitcnt lgkmcnt(1)
	v_cndmask_b32_e64 v3, 0, 2, vcc
	s_waitcnt lgkmcnt(0)
	v_add_lshl_u32 v4, v3, v5, 2
	ds_bpermute_b32 v9, v4, v7
	ds_bpermute_b32 v3, v4, v1
	ds_bpermute_b32 v4, v4, v2
	v_add_u32_e32 v10, 2, v6
	v_cmp_lt_u32_e32 vcc, v10, v8
	s_and_saveexec_b64 s[0:1], vcc
	s_cbranch_execz .LBB472_27
; %bb.22:
	s_waitcnt lgkmcnt(2)
	v_and_b32_e32 v10, v7, v9
	v_and_b32_e32 v10, 1, v10
	v_cmp_eq_u32_e32 vcc, 1, v10
	s_and_saveexec_b64 s[2:3], vcc
	s_xor_b64 s[2:3], exec, s[2:3]
	s_cbranch_execz .LBB472_24
; %bb.23:
	s_waitcnt lgkmcnt(0)
	v_cmp_lt_i64_e32 vcc, v[3:4], v[1:2]
                                        ; implicit-def: $vgpr7
                                        ; implicit-def: $vgpr9
	v_cndmask_b32_e32 v2, v2, v4, vcc
	v_cndmask_b32_e32 v1, v1, v3, vcc
                                        ; implicit-def: $vgpr3_vgpr4
.LBB472_24:
	s_or_saveexec_b64 s[2:3], s[2:3]
	v_mov_b32_e32 v10, 1
	s_xor_b64 exec, exec, s[2:3]
	s_cbranch_execz .LBB472_26
; %bb.25:
	v_and_b32_e32 v7, 1, v7
	v_cmp_eq_u32_e32 vcc, 1, v7
	s_waitcnt lgkmcnt(1)
	v_cndmask_b32_e32 v1, v3, v1, vcc
	v_and_b32_e32 v3, 0xff, v9
	s_waitcnt lgkmcnt(0)
	v_cndmask_b32_e32 v2, v4, v2, vcc
	v_cndmask_b32_e64 v10, v3, 1, vcc
.LBB472_26:
	s_or_b64 exec, exec, s[2:3]
	v_mov_b32_e32 v7, v10
.LBB472_27:
	s_or_b64 exec, exec, s[0:1]
	v_cmp_gt_u32_e32 vcc, 60, v6
	s_waitcnt lgkmcnt(1)
	v_cndmask_b32_e64 v3, 0, 4, vcc
	s_waitcnt lgkmcnt(0)
	v_add_lshl_u32 v4, v3, v5, 2
	ds_bpermute_b32 v9, v4, v7
	ds_bpermute_b32 v3, v4, v1
	ds_bpermute_b32 v4, v4, v2
	v_add_u32_e32 v10, 4, v6
	v_cmp_lt_u32_e32 vcc, v10, v8
	s_and_saveexec_b64 s[0:1], vcc
	s_cbranch_execz .LBB472_33
; %bb.28:
	s_waitcnt lgkmcnt(2)
	v_and_b32_e32 v10, v7, v9
	v_and_b32_e32 v10, 1, v10
	v_cmp_eq_u32_e32 vcc, 1, v10
	s_and_saveexec_b64 s[2:3], vcc
	s_xor_b64 s[2:3], exec, s[2:3]
	s_cbranch_execz .LBB472_30
; %bb.29:
	s_waitcnt lgkmcnt(0)
	v_cmp_lt_i64_e32 vcc, v[3:4], v[1:2]
                                        ; implicit-def: $vgpr7
                                        ; implicit-def: $vgpr9
	v_cndmask_b32_e32 v2, v2, v4, vcc
	v_cndmask_b32_e32 v1, v1, v3, vcc
                                        ; implicit-def: $vgpr3_vgpr4
.LBB472_30:
	s_or_saveexec_b64 s[2:3], s[2:3]
	v_mov_b32_e32 v10, 1
	s_xor_b64 exec, exec, s[2:3]
	s_cbranch_execz .LBB472_32
; %bb.31:
	v_and_b32_e32 v7, 1, v7
	v_cmp_eq_u32_e32 vcc, 1, v7
	s_waitcnt lgkmcnt(1)
	v_cndmask_b32_e32 v1, v3, v1, vcc
	v_and_b32_e32 v3, 0xff, v9
	s_waitcnt lgkmcnt(0)
	v_cndmask_b32_e32 v2, v4, v2, vcc
	v_cndmask_b32_e64 v10, v3, 1, vcc
.LBB472_32:
	s_or_b64 exec, exec, s[2:3]
	v_mov_b32_e32 v7, v10
.LBB472_33:
	;; [unrolled: 47-line block ×4, first 2 shown]
	s_or_b64 exec, exec, s[0:1]
	s_waitcnt lgkmcnt(2)
	v_lshlrev_b32_e32 v9, 2, v5
	s_waitcnt lgkmcnt(0)
	v_or_b32_e32 v4, 0x80, v9
	ds_bpermute_b32 v10, v4, v7
	ds_bpermute_b32 v3, v4, v1
	ds_bpermute_b32 v4, v4, v2
	v_add_u32_e32 v6, 32, v6
	v_cmp_lt_u32_e32 vcc, v6, v8
	v_mov_b32_e32 v6, v7
	s_and_saveexec_b64 s[0:1], vcc
	s_cbranch_execz .LBB472_51
; %bb.46:
	s_waitcnt lgkmcnt(2)
	v_and_b32_e32 v6, v7, v10
	v_and_b32_e32 v6, 1, v6
	v_cmp_eq_u32_e32 vcc, 1, v6
	s_and_saveexec_b64 s[2:3], vcc
	s_xor_b64 s[2:3], exec, s[2:3]
	s_cbranch_execz .LBB472_48
; %bb.47:
	s_waitcnt lgkmcnt(0)
	v_cmp_lt_i64_e32 vcc, v[3:4], v[1:2]
                                        ; implicit-def: $vgpr7
                                        ; implicit-def: $vgpr10
	v_cndmask_b32_e32 v2, v2, v4, vcc
	v_cndmask_b32_e32 v1, v1, v3, vcc
                                        ; implicit-def: $vgpr3_vgpr4
.LBB472_48:
	s_or_saveexec_b64 s[2:3], s[2:3]
	v_mov_b32_e32 v6, 1
	s_xor_b64 exec, exec, s[2:3]
	s_cbranch_execz .LBB472_50
; %bb.49:
	v_and_b32_e32 v6, 1, v7
	v_cmp_eq_u32_e32 vcc, 1, v6
	v_cndmask_b32_e64 v6, v10, 1, vcc
	s_waitcnt lgkmcnt(0)
	v_cndmask_b32_e32 v2, v4, v2, vcc
	v_cndmask_b32_e32 v1, v3, v1, vcc
.LBB472_50:
	s_or_b64 exec, exec, s[2:3]
	v_and_b32_e32 v7, 0xff, v6
.LBB472_51:
	s_or_b64 exec, exec, s[0:1]
	v_cmp_eq_u32_e32 vcc, 0, v5
	s_and_saveexec_b64 s[0:1], vcc
	s_cbranch_execz .LBB472_53
; %bb.52:
	s_waitcnt lgkmcnt(1)
	v_lshrrev_b32_e32 v3, 2, v0
	v_and_b32_e32 v3, 16, v3
	ds_write_b8 v3, v6 offset:32
	ds_write_b64 v3, v[1:2] offset:40
.LBB472_53:
	s_or_b64 exec, exec, s[0:1]
	v_cmp_gt_u32_e32 vcc, 2, v0
	s_waitcnt lgkmcnt(0)
	s_barrier
	s_and_saveexec_b64 s[0:1], vcc
	s_cbranch_execz .LBB472_61
; %bb.54:
	v_lshlrev_b32_e32 v1, 4, v5
	ds_read_u8 v6, v1 offset:32
	ds_read_b64 v[1:2], v1 offset:40
	v_or_b32_e32 v4, 4, v9
	s_add_i32 s4, s4, 63
	v_and_b32_e32 v5, 1, v5
	s_waitcnt lgkmcnt(1)
	v_and_b32_e32 v7, 0xff, v6
	s_waitcnt lgkmcnt(0)
	ds_bpermute_b32 v3, v4, v1
	ds_bpermute_b32 v8, v4, v7
	;; [unrolled: 1-line block ×3, first 2 shown]
	s_lshr_b32 s2, s4, 6
	v_add_u32_e32 v5, 1, v5
	v_cmp_gt_u32_e32 vcc, s2, v5
	s_and_saveexec_b64 s[2:3], vcc
	s_cbranch_execz .LBB472_60
; %bb.55:
	s_waitcnt lgkmcnt(1)
	v_and_b32_e32 v5, v7, v8
	v_and_b32_e32 v5, 1, v5
	v_cmp_eq_u32_e32 vcc, 1, v5
	s_and_saveexec_b64 s[4:5], vcc
	s_xor_b64 s[4:5], exec, s[4:5]
	s_cbranch_execz .LBB472_57
; %bb.56:
	s_waitcnt lgkmcnt(0)
	v_cmp_lt_i64_e32 vcc, v[3:4], v[1:2]
                                        ; implicit-def: $vgpr6
                                        ; implicit-def: $vgpr8
	v_cndmask_b32_e32 v2, v2, v4, vcc
	v_cndmask_b32_e32 v1, v1, v3, vcc
                                        ; implicit-def: $vgpr3_vgpr4
.LBB472_57:
	s_or_saveexec_b64 s[4:5], s[4:5]
	v_mov_b32_e32 v7, 1
	s_xor_b64 exec, exec, s[4:5]
	s_cbranch_execz .LBB472_59
; %bb.58:
	v_and_b32_e32 v5, 1, v6
	v_cmp_eq_u32_e32 vcc, 1, v5
	s_waitcnt lgkmcnt(0)
	v_cndmask_b32_e32 v2, v4, v2, vcc
	v_cndmask_b32_e32 v1, v3, v1, vcc
	v_cndmask_b32_e64 v7, v8, 1, vcc
.LBB472_59:
	s_or_b64 exec, exec, s[4:5]
.LBB472_60:
	s_or_b64 exec, exec, s[2:3]
.LBB472_61:
	s_or_b64 exec, exec, s[0:1]
.LBB472_62:
	v_cmp_eq_u32_e32 vcc, 0, v0
	s_and_saveexec_b64 s[0:1], vcc
	s_cbranch_execnz .LBB472_64
; %bb.63:
	s_endpgm
.LBB472_64:
	s_mul_i32 s0, s22, s21
	s_mul_hi_u32 s1, s22, s20
	s_add_i32 s0, s1, s0
	s_mul_i32 s1, s23, s20
	s_add_i32 s1, s0, s1
	s_mul_i32 s0, s22, s20
	s_lshl_b64 s[0:1], s[0:1], 4
	s_add_u32 s2, s18, s0
	s_addc_u32 s3, s19, s1
	s_cmp_eq_u64 s[16:17], 0
	s_waitcnt lgkmcnt(0)
	v_mov_b32_e32 v0, s9
	s_cselect_b64 vcc, -1, 0
	v_cndmask_b32_e32 v2, v2, v0, vcc
	v_mov_b32_e32 v0, s8
	s_lshl_b64 s[0:1], s[6:7], 4
	v_cndmask_b32_e32 v1, v1, v0, vcc
	v_mov_b32_e32 v0, s10
	s_add_u32 s0, s2, s0
	v_cndmask_b32_e32 v0, v7, v0, vcc
	s_addc_u32 s1, s3, s1
	v_mov_b32_e32 v3, 0
	global_store_byte v3, v0, s[0:1]
	global_store_dwordx2 v3, v[1:2], s[0:1] offset:8
	s_endpgm
	.section	.rodata,"a",@progbits
	.p2align	6, 0x0
	.amdhsa_kernel _ZN7rocprim17ROCPRIM_400000_NS6detail17trampoline_kernelINS0_14default_configENS1_22reduce_config_selectorIN6thrust23THRUST_200600_302600_NS5tupleIblNS6_9null_typeES8_S8_S8_S8_S8_S8_S8_EEEEZNS1_11reduce_implILb1ES3_NS6_12zip_iteratorINS7_INS6_11hip_rocprim26transform_input_iterator_tIbNSD_35transform_pair_of_input_iterators_tIbNS6_6detail15normal_iteratorINS6_10device_ptrIKiEEEESL_NS6_8equal_toIiEEEENSG_9not_fun_tINSD_8identityEEEEENSD_19counting_iterator_tIlEES8_S8_S8_S8_S8_S8_S8_S8_EEEEPS9_S9_NSD_9__find_if7functorIS9_EEEE10hipError_tPvRmT1_T2_T3_mT4_P12ihipStream_tbEUlT_E0_NS1_11comp_targetILNS1_3genE2ELNS1_11target_archE906ELNS1_3gpuE6ELNS1_3repE0EEENS1_30default_config_static_selectorELNS0_4arch9wavefront6targetE1EEEvS14_
		.amdhsa_group_segment_fixed_size 64
		.amdhsa_private_segment_fixed_size 0
		.amdhsa_kernarg_size 104
		.amdhsa_user_sgpr_count 6
		.amdhsa_user_sgpr_private_segment_buffer 1
		.amdhsa_user_sgpr_dispatch_ptr 0
		.amdhsa_user_sgpr_queue_ptr 0
		.amdhsa_user_sgpr_kernarg_segment_ptr 1
		.amdhsa_user_sgpr_dispatch_id 0
		.amdhsa_user_sgpr_flat_scratch_init 0
		.amdhsa_user_sgpr_private_segment_size 0
		.amdhsa_uses_dynamic_stack 0
		.amdhsa_system_sgpr_private_segment_wavefront_offset 0
		.amdhsa_system_sgpr_workgroup_id_x 1
		.amdhsa_system_sgpr_workgroup_id_y 0
		.amdhsa_system_sgpr_workgroup_id_z 0
		.amdhsa_system_sgpr_workgroup_info 0
		.amdhsa_system_vgpr_workitem_id 0
		.amdhsa_next_free_vgpr 14
		.amdhsa_next_free_sgpr 30
		.amdhsa_reserve_vcc 1
		.amdhsa_reserve_flat_scratch 0
		.amdhsa_float_round_mode_32 0
		.amdhsa_float_round_mode_16_64 0
		.amdhsa_float_denorm_mode_32 3
		.amdhsa_float_denorm_mode_16_64 3
		.amdhsa_dx10_clamp 1
		.amdhsa_ieee_mode 1
		.amdhsa_fp16_overflow 0
		.amdhsa_exception_fp_ieee_invalid_op 0
		.amdhsa_exception_fp_denorm_src 0
		.amdhsa_exception_fp_ieee_div_zero 0
		.amdhsa_exception_fp_ieee_overflow 0
		.amdhsa_exception_fp_ieee_underflow 0
		.amdhsa_exception_fp_ieee_inexact 0
		.amdhsa_exception_int_div_zero 0
	.end_amdhsa_kernel
	.section	.text._ZN7rocprim17ROCPRIM_400000_NS6detail17trampoline_kernelINS0_14default_configENS1_22reduce_config_selectorIN6thrust23THRUST_200600_302600_NS5tupleIblNS6_9null_typeES8_S8_S8_S8_S8_S8_S8_EEEEZNS1_11reduce_implILb1ES3_NS6_12zip_iteratorINS7_INS6_11hip_rocprim26transform_input_iterator_tIbNSD_35transform_pair_of_input_iterators_tIbNS6_6detail15normal_iteratorINS6_10device_ptrIKiEEEESL_NS6_8equal_toIiEEEENSG_9not_fun_tINSD_8identityEEEEENSD_19counting_iterator_tIlEES8_S8_S8_S8_S8_S8_S8_S8_EEEEPS9_S9_NSD_9__find_if7functorIS9_EEEE10hipError_tPvRmT1_T2_T3_mT4_P12ihipStream_tbEUlT_E0_NS1_11comp_targetILNS1_3genE2ELNS1_11target_archE906ELNS1_3gpuE6ELNS1_3repE0EEENS1_30default_config_static_selectorELNS0_4arch9wavefront6targetE1EEEvS14_,"axG",@progbits,_ZN7rocprim17ROCPRIM_400000_NS6detail17trampoline_kernelINS0_14default_configENS1_22reduce_config_selectorIN6thrust23THRUST_200600_302600_NS5tupleIblNS6_9null_typeES8_S8_S8_S8_S8_S8_S8_EEEEZNS1_11reduce_implILb1ES3_NS6_12zip_iteratorINS7_INS6_11hip_rocprim26transform_input_iterator_tIbNSD_35transform_pair_of_input_iterators_tIbNS6_6detail15normal_iteratorINS6_10device_ptrIKiEEEESL_NS6_8equal_toIiEEEENSG_9not_fun_tINSD_8identityEEEEENSD_19counting_iterator_tIlEES8_S8_S8_S8_S8_S8_S8_S8_EEEEPS9_S9_NSD_9__find_if7functorIS9_EEEE10hipError_tPvRmT1_T2_T3_mT4_P12ihipStream_tbEUlT_E0_NS1_11comp_targetILNS1_3genE2ELNS1_11target_archE906ELNS1_3gpuE6ELNS1_3repE0EEENS1_30default_config_static_selectorELNS0_4arch9wavefront6targetE1EEEvS14_,comdat
.Lfunc_end472:
	.size	_ZN7rocprim17ROCPRIM_400000_NS6detail17trampoline_kernelINS0_14default_configENS1_22reduce_config_selectorIN6thrust23THRUST_200600_302600_NS5tupleIblNS6_9null_typeES8_S8_S8_S8_S8_S8_S8_EEEEZNS1_11reduce_implILb1ES3_NS6_12zip_iteratorINS7_INS6_11hip_rocprim26transform_input_iterator_tIbNSD_35transform_pair_of_input_iterators_tIbNS6_6detail15normal_iteratorINS6_10device_ptrIKiEEEESL_NS6_8equal_toIiEEEENSG_9not_fun_tINSD_8identityEEEEENSD_19counting_iterator_tIlEES8_S8_S8_S8_S8_S8_S8_S8_EEEEPS9_S9_NSD_9__find_if7functorIS9_EEEE10hipError_tPvRmT1_T2_T3_mT4_P12ihipStream_tbEUlT_E0_NS1_11comp_targetILNS1_3genE2ELNS1_11target_archE906ELNS1_3gpuE6ELNS1_3repE0EEENS1_30default_config_static_selectorELNS0_4arch9wavefront6targetE1EEEvS14_, .Lfunc_end472-_ZN7rocprim17ROCPRIM_400000_NS6detail17trampoline_kernelINS0_14default_configENS1_22reduce_config_selectorIN6thrust23THRUST_200600_302600_NS5tupleIblNS6_9null_typeES8_S8_S8_S8_S8_S8_S8_EEEEZNS1_11reduce_implILb1ES3_NS6_12zip_iteratorINS7_INS6_11hip_rocprim26transform_input_iterator_tIbNSD_35transform_pair_of_input_iterators_tIbNS6_6detail15normal_iteratorINS6_10device_ptrIKiEEEESL_NS6_8equal_toIiEEEENSG_9not_fun_tINSD_8identityEEEEENSD_19counting_iterator_tIlEES8_S8_S8_S8_S8_S8_S8_S8_EEEEPS9_S9_NSD_9__find_if7functorIS9_EEEE10hipError_tPvRmT1_T2_T3_mT4_P12ihipStream_tbEUlT_E0_NS1_11comp_targetILNS1_3genE2ELNS1_11target_archE906ELNS1_3gpuE6ELNS1_3repE0EEENS1_30default_config_static_selectorELNS0_4arch9wavefront6targetE1EEEvS14_
                                        ; -- End function
	.set _ZN7rocprim17ROCPRIM_400000_NS6detail17trampoline_kernelINS0_14default_configENS1_22reduce_config_selectorIN6thrust23THRUST_200600_302600_NS5tupleIblNS6_9null_typeES8_S8_S8_S8_S8_S8_S8_EEEEZNS1_11reduce_implILb1ES3_NS6_12zip_iteratorINS7_INS6_11hip_rocprim26transform_input_iterator_tIbNSD_35transform_pair_of_input_iterators_tIbNS6_6detail15normal_iteratorINS6_10device_ptrIKiEEEESL_NS6_8equal_toIiEEEENSG_9not_fun_tINSD_8identityEEEEENSD_19counting_iterator_tIlEES8_S8_S8_S8_S8_S8_S8_S8_EEEEPS9_S9_NSD_9__find_if7functorIS9_EEEE10hipError_tPvRmT1_T2_T3_mT4_P12ihipStream_tbEUlT_E0_NS1_11comp_targetILNS1_3genE2ELNS1_11target_archE906ELNS1_3gpuE6ELNS1_3repE0EEENS1_30default_config_static_selectorELNS0_4arch9wavefront6targetE1EEEvS14_.num_vgpr, 14
	.set _ZN7rocprim17ROCPRIM_400000_NS6detail17trampoline_kernelINS0_14default_configENS1_22reduce_config_selectorIN6thrust23THRUST_200600_302600_NS5tupleIblNS6_9null_typeES8_S8_S8_S8_S8_S8_S8_EEEEZNS1_11reduce_implILb1ES3_NS6_12zip_iteratorINS7_INS6_11hip_rocprim26transform_input_iterator_tIbNSD_35transform_pair_of_input_iterators_tIbNS6_6detail15normal_iteratorINS6_10device_ptrIKiEEEESL_NS6_8equal_toIiEEEENSG_9not_fun_tINSD_8identityEEEEENSD_19counting_iterator_tIlEES8_S8_S8_S8_S8_S8_S8_S8_EEEEPS9_S9_NSD_9__find_if7functorIS9_EEEE10hipError_tPvRmT1_T2_T3_mT4_P12ihipStream_tbEUlT_E0_NS1_11comp_targetILNS1_3genE2ELNS1_11target_archE906ELNS1_3gpuE6ELNS1_3repE0EEENS1_30default_config_static_selectorELNS0_4arch9wavefront6targetE1EEEvS14_.num_agpr, 0
	.set _ZN7rocprim17ROCPRIM_400000_NS6detail17trampoline_kernelINS0_14default_configENS1_22reduce_config_selectorIN6thrust23THRUST_200600_302600_NS5tupleIblNS6_9null_typeES8_S8_S8_S8_S8_S8_S8_EEEEZNS1_11reduce_implILb1ES3_NS6_12zip_iteratorINS7_INS6_11hip_rocprim26transform_input_iterator_tIbNSD_35transform_pair_of_input_iterators_tIbNS6_6detail15normal_iteratorINS6_10device_ptrIKiEEEESL_NS6_8equal_toIiEEEENSG_9not_fun_tINSD_8identityEEEEENSD_19counting_iterator_tIlEES8_S8_S8_S8_S8_S8_S8_S8_EEEEPS9_S9_NSD_9__find_if7functorIS9_EEEE10hipError_tPvRmT1_T2_T3_mT4_P12ihipStream_tbEUlT_E0_NS1_11comp_targetILNS1_3genE2ELNS1_11target_archE906ELNS1_3gpuE6ELNS1_3repE0EEENS1_30default_config_static_selectorELNS0_4arch9wavefront6targetE1EEEvS14_.numbered_sgpr, 30
	.set _ZN7rocprim17ROCPRIM_400000_NS6detail17trampoline_kernelINS0_14default_configENS1_22reduce_config_selectorIN6thrust23THRUST_200600_302600_NS5tupleIblNS6_9null_typeES8_S8_S8_S8_S8_S8_S8_EEEEZNS1_11reduce_implILb1ES3_NS6_12zip_iteratorINS7_INS6_11hip_rocprim26transform_input_iterator_tIbNSD_35transform_pair_of_input_iterators_tIbNS6_6detail15normal_iteratorINS6_10device_ptrIKiEEEESL_NS6_8equal_toIiEEEENSG_9not_fun_tINSD_8identityEEEEENSD_19counting_iterator_tIlEES8_S8_S8_S8_S8_S8_S8_S8_EEEEPS9_S9_NSD_9__find_if7functorIS9_EEEE10hipError_tPvRmT1_T2_T3_mT4_P12ihipStream_tbEUlT_E0_NS1_11comp_targetILNS1_3genE2ELNS1_11target_archE906ELNS1_3gpuE6ELNS1_3repE0EEENS1_30default_config_static_selectorELNS0_4arch9wavefront6targetE1EEEvS14_.num_named_barrier, 0
	.set _ZN7rocprim17ROCPRIM_400000_NS6detail17trampoline_kernelINS0_14default_configENS1_22reduce_config_selectorIN6thrust23THRUST_200600_302600_NS5tupleIblNS6_9null_typeES8_S8_S8_S8_S8_S8_S8_EEEEZNS1_11reduce_implILb1ES3_NS6_12zip_iteratorINS7_INS6_11hip_rocprim26transform_input_iterator_tIbNSD_35transform_pair_of_input_iterators_tIbNS6_6detail15normal_iteratorINS6_10device_ptrIKiEEEESL_NS6_8equal_toIiEEEENSG_9not_fun_tINSD_8identityEEEEENSD_19counting_iterator_tIlEES8_S8_S8_S8_S8_S8_S8_S8_EEEEPS9_S9_NSD_9__find_if7functorIS9_EEEE10hipError_tPvRmT1_T2_T3_mT4_P12ihipStream_tbEUlT_E0_NS1_11comp_targetILNS1_3genE2ELNS1_11target_archE906ELNS1_3gpuE6ELNS1_3repE0EEENS1_30default_config_static_selectorELNS0_4arch9wavefront6targetE1EEEvS14_.private_seg_size, 0
	.set _ZN7rocprim17ROCPRIM_400000_NS6detail17trampoline_kernelINS0_14default_configENS1_22reduce_config_selectorIN6thrust23THRUST_200600_302600_NS5tupleIblNS6_9null_typeES8_S8_S8_S8_S8_S8_S8_EEEEZNS1_11reduce_implILb1ES3_NS6_12zip_iteratorINS7_INS6_11hip_rocprim26transform_input_iterator_tIbNSD_35transform_pair_of_input_iterators_tIbNS6_6detail15normal_iteratorINS6_10device_ptrIKiEEEESL_NS6_8equal_toIiEEEENSG_9not_fun_tINSD_8identityEEEEENSD_19counting_iterator_tIlEES8_S8_S8_S8_S8_S8_S8_S8_EEEEPS9_S9_NSD_9__find_if7functorIS9_EEEE10hipError_tPvRmT1_T2_T3_mT4_P12ihipStream_tbEUlT_E0_NS1_11comp_targetILNS1_3genE2ELNS1_11target_archE906ELNS1_3gpuE6ELNS1_3repE0EEENS1_30default_config_static_selectorELNS0_4arch9wavefront6targetE1EEEvS14_.uses_vcc, 1
	.set _ZN7rocprim17ROCPRIM_400000_NS6detail17trampoline_kernelINS0_14default_configENS1_22reduce_config_selectorIN6thrust23THRUST_200600_302600_NS5tupleIblNS6_9null_typeES8_S8_S8_S8_S8_S8_S8_EEEEZNS1_11reduce_implILb1ES3_NS6_12zip_iteratorINS7_INS6_11hip_rocprim26transform_input_iterator_tIbNSD_35transform_pair_of_input_iterators_tIbNS6_6detail15normal_iteratorINS6_10device_ptrIKiEEEESL_NS6_8equal_toIiEEEENSG_9not_fun_tINSD_8identityEEEEENSD_19counting_iterator_tIlEES8_S8_S8_S8_S8_S8_S8_S8_EEEEPS9_S9_NSD_9__find_if7functorIS9_EEEE10hipError_tPvRmT1_T2_T3_mT4_P12ihipStream_tbEUlT_E0_NS1_11comp_targetILNS1_3genE2ELNS1_11target_archE906ELNS1_3gpuE6ELNS1_3repE0EEENS1_30default_config_static_selectorELNS0_4arch9wavefront6targetE1EEEvS14_.uses_flat_scratch, 0
	.set _ZN7rocprim17ROCPRIM_400000_NS6detail17trampoline_kernelINS0_14default_configENS1_22reduce_config_selectorIN6thrust23THRUST_200600_302600_NS5tupleIblNS6_9null_typeES8_S8_S8_S8_S8_S8_S8_EEEEZNS1_11reduce_implILb1ES3_NS6_12zip_iteratorINS7_INS6_11hip_rocprim26transform_input_iterator_tIbNSD_35transform_pair_of_input_iterators_tIbNS6_6detail15normal_iteratorINS6_10device_ptrIKiEEEESL_NS6_8equal_toIiEEEENSG_9not_fun_tINSD_8identityEEEEENSD_19counting_iterator_tIlEES8_S8_S8_S8_S8_S8_S8_S8_EEEEPS9_S9_NSD_9__find_if7functorIS9_EEEE10hipError_tPvRmT1_T2_T3_mT4_P12ihipStream_tbEUlT_E0_NS1_11comp_targetILNS1_3genE2ELNS1_11target_archE906ELNS1_3gpuE6ELNS1_3repE0EEENS1_30default_config_static_selectorELNS0_4arch9wavefront6targetE1EEEvS14_.has_dyn_sized_stack, 0
	.set _ZN7rocprim17ROCPRIM_400000_NS6detail17trampoline_kernelINS0_14default_configENS1_22reduce_config_selectorIN6thrust23THRUST_200600_302600_NS5tupleIblNS6_9null_typeES8_S8_S8_S8_S8_S8_S8_EEEEZNS1_11reduce_implILb1ES3_NS6_12zip_iteratorINS7_INS6_11hip_rocprim26transform_input_iterator_tIbNSD_35transform_pair_of_input_iterators_tIbNS6_6detail15normal_iteratorINS6_10device_ptrIKiEEEESL_NS6_8equal_toIiEEEENSG_9not_fun_tINSD_8identityEEEEENSD_19counting_iterator_tIlEES8_S8_S8_S8_S8_S8_S8_S8_EEEEPS9_S9_NSD_9__find_if7functorIS9_EEEE10hipError_tPvRmT1_T2_T3_mT4_P12ihipStream_tbEUlT_E0_NS1_11comp_targetILNS1_3genE2ELNS1_11target_archE906ELNS1_3gpuE6ELNS1_3repE0EEENS1_30default_config_static_selectorELNS0_4arch9wavefront6targetE1EEEvS14_.has_recursion, 0
	.set _ZN7rocprim17ROCPRIM_400000_NS6detail17trampoline_kernelINS0_14default_configENS1_22reduce_config_selectorIN6thrust23THRUST_200600_302600_NS5tupleIblNS6_9null_typeES8_S8_S8_S8_S8_S8_S8_EEEEZNS1_11reduce_implILb1ES3_NS6_12zip_iteratorINS7_INS6_11hip_rocprim26transform_input_iterator_tIbNSD_35transform_pair_of_input_iterators_tIbNS6_6detail15normal_iteratorINS6_10device_ptrIKiEEEESL_NS6_8equal_toIiEEEENSG_9not_fun_tINSD_8identityEEEEENSD_19counting_iterator_tIlEES8_S8_S8_S8_S8_S8_S8_S8_EEEEPS9_S9_NSD_9__find_if7functorIS9_EEEE10hipError_tPvRmT1_T2_T3_mT4_P12ihipStream_tbEUlT_E0_NS1_11comp_targetILNS1_3genE2ELNS1_11target_archE906ELNS1_3gpuE6ELNS1_3repE0EEENS1_30default_config_static_selectorELNS0_4arch9wavefront6targetE1EEEvS14_.has_indirect_call, 0
	.section	.AMDGPU.csdata,"",@progbits
; Kernel info:
; codeLenInByte = 2792
; TotalNumSgprs: 34
; NumVgprs: 14
; ScratchSize: 0
; MemoryBound: 0
; FloatMode: 240
; IeeeMode: 1
; LDSByteSize: 64 bytes/workgroup (compile time only)
; SGPRBlocks: 4
; VGPRBlocks: 3
; NumSGPRsForWavesPerEU: 34
; NumVGPRsForWavesPerEU: 14
; Occupancy: 10
; WaveLimiterHint : 0
; COMPUTE_PGM_RSRC2:SCRATCH_EN: 0
; COMPUTE_PGM_RSRC2:USER_SGPR: 6
; COMPUTE_PGM_RSRC2:TRAP_HANDLER: 0
; COMPUTE_PGM_RSRC2:TGID_X_EN: 1
; COMPUTE_PGM_RSRC2:TGID_Y_EN: 0
; COMPUTE_PGM_RSRC2:TGID_Z_EN: 0
; COMPUTE_PGM_RSRC2:TIDIG_COMP_CNT: 0
	.section	.text._ZN7rocprim17ROCPRIM_400000_NS6detail17trampoline_kernelINS0_14default_configENS1_22reduce_config_selectorIN6thrust23THRUST_200600_302600_NS5tupleIblNS6_9null_typeES8_S8_S8_S8_S8_S8_S8_EEEEZNS1_11reduce_implILb1ES3_NS6_12zip_iteratorINS7_INS6_11hip_rocprim26transform_input_iterator_tIbNSD_35transform_pair_of_input_iterators_tIbNS6_6detail15normal_iteratorINS6_10device_ptrIKiEEEESL_NS6_8equal_toIiEEEENSG_9not_fun_tINSD_8identityEEEEENSD_19counting_iterator_tIlEES8_S8_S8_S8_S8_S8_S8_S8_EEEEPS9_S9_NSD_9__find_if7functorIS9_EEEE10hipError_tPvRmT1_T2_T3_mT4_P12ihipStream_tbEUlT_E0_NS1_11comp_targetILNS1_3genE10ELNS1_11target_archE1201ELNS1_3gpuE5ELNS1_3repE0EEENS1_30default_config_static_selectorELNS0_4arch9wavefront6targetE1EEEvS14_,"axG",@progbits,_ZN7rocprim17ROCPRIM_400000_NS6detail17trampoline_kernelINS0_14default_configENS1_22reduce_config_selectorIN6thrust23THRUST_200600_302600_NS5tupleIblNS6_9null_typeES8_S8_S8_S8_S8_S8_S8_EEEEZNS1_11reduce_implILb1ES3_NS6_12zip_iteratorINS7_INS6_11hip_rocprim26transform_input_iterator_tIbNSD_35transform_pair_of_input_iterators_tIbNS6_6detail15normal_iteratorINS6_10device_ptrIKiEEEESL_NS6_8equal_toIiEEEENSG_9not_fun_tINSD_8identityEEEEENSD_19counting_iterator_tIlEES8_S8_S8_S8_S8_S8_S8_S8_EEEEPS9_S9_NSD_9__find_if7functorIS9_EEEE10hipError_tPvRmT1_T2_T3_mT4_P12ihipStream_tbEUlT_E0_NS1_11comp_targetILNS1_3genE10ELNS1_11target_archE1201ELNS1_3gpuE5ELNS1_3repE0EEENS1_30default_config_static_selectorELNS0_4arch9wavefront6targetE1EEEvS14_,comdat
	.protected	_ZN7rocprim17ROCPRIM_400000_NS6detail17trampoline_kernelINS0_14default_configENS1_22reduce_config_selectorIN6thrust23THRUST_200600_302600_NS5tupleIblNS6_9null_typeES8_S8_S8_S8_S8_S8_S8_EEEEZNS1_11reduce_implILb1ES3_NS6_12zip_iteratorINS7_INS6_11hip_rocprim26transform_input_iterator_tIbNSD_35transform_pair_of_input_iterators_tIbNS6_6detail15normal_iteratorINS6_10device_ptrIKiEEEESL_NS6_8equal_toIiEEEENSG_9not_fun_tINSD_8identityEEEEENSD_19counting_iterator_tIlEES8_S8_S8_S8_S8_S8_S8_S8_EEEEPS9_S9_NSD_9__find_if7functorIS9_EEEE10hipError_tPvRmT1_T2_T3_mT4_P12ihipStream_tbEUlT_E0_NS1_11comp_targetILNS1_3genE10ELNS1_11target_archE1201ELNS1_3gpuE5ELNS1_3repE0EEENS1_30default_config_static_selectorELNS0_4arch9wavefront6targetE1EEEvS14_ ; -- Begin function _ZN7rocprim17ROCPRIM_400000_NS6detail17trampoline_kernelINS0_14default_configENS1_22reduce_config_selectorIN6thrust23THRUST_200600_302600_NS5tupleIblNS6_9null_typeES8_S8_S8_S8_S8_S8_S8_EEEEZNS1_11reduce_implILb1ES3_NS6_12zip_iteratorINS7_INS6_11hip_rocprim26transform_input_iterator_tIbNSD_35transform_pair_of_input_iterators_tIbNS6_6detail15normal_iteratorINS6_10device_ptrIKiEEEESL_NS6_8equal_toIiEEEENSG_9not_fun_tINSD_8identityEEEEENSD_19counting_iterator_tIlEES8_S8_S8_S8_S8_S8_S8_S8_EEEEPS9_S9_NSD_9__find_if7functorIS9_EEEE10hipError_tPvRmT1_T2_T3_mT4_P12ihipStream_tbEUlT_E0_NS1_11comp_targetILNS1_3genE10ELNS1_11target_archE1201ELNS1_3gpuE5ELNS1_3repE0EEENS1_30default_config_static_selectorELNS0_4arch9wavefront6targetE1EEEvS14_
	.globl	_ZN7rocprim17ROCPRIM_400000_NS6detail17trampoline_kernelINS0_14default_configENS1_22reduce_config_selectorIN6thrust23THRUST_200600_302600_NS5tupleIblNS6_9null_typeES8_S8_S8_S8_S8_S8_S8_EEEEZNS1_11reduce_implILb1ES3_NS6_12zip_iteratorINS7_INS6_11hip_rocprim26transform_input_iterator_tIbNSD_35transform_pair_of_input_iterators_tIbNS6_6detail15normal_iteratorINS6_10device_ptrIKiEEEESL_NS6_8equal_toIiEEEENSG_9not_fun_tINSD_8identityEEEEENSD_19counting_iterator_tIlEES8_S8_S8_S8_S8_S8_S8_S8_EEEEPS9_S9_NSD_9__find_if7functorIS9_EEEE10hipError_tPvRmT1_T2_T3_mT4_P12ihipStream_tbEUlT_E0_NS1_11comp_targetILNS1_3genE10ELNS1_11target_archE1201ELNS1_3gpuE5ELNS1_3repE0EEENS1_30default_config_static_selectorELNS0_4arch9wavefront6targetE1EEEvS14_
	.p2align	8
	.type	_ZN7rocprim17ROCPRIM_400000_NS6detail17trampoline_kernelINS0_14default_configENS1_22reduce_config_selectorIN6thrust23THRUST_200600_302600_NS5tupleIblNS6_9null_typeES8_S8_S8_S8_S8_S8_S8_EEEEZNS1_11reduce_implILb1ES3_NS6_12zip_iteratorINS7_INS6_11hip_rocprim26transform_input_iterator_tIbNSD_35transform_pair_of_input_iterators_tIbNS6_6detail15normal_iteratorINS6_10device_ptrIKiEEEESL_NS6_8equal_toIiEEEENSG_9not_fun_tINSD_8identityEEEEENSD_19counting_iterator_tIlEES8_S8_S8_S8_S8_S8_S8_S8_EEEEPS9_S9_NSD_9__find_if7functorIS9_EEEE10hipError_tPvRmT1_T2_T3_mT4_P12ihipStream_tbEUlT_E0_NS1_11comp_targetILNS1_3genE10ELNS1_11target_archE1201ELNS1_3gpuE5ELNS1_3repE0EEENS1_30default_config_static_selectorELNS0_4arch9wavefront6targetE1EEEvS14_,@function
_ZN7rocprim17ROCPRIM_400000_NS6detail17trampoline_kernelINS0_14default_configENS1_22reduce_config_selectorIN6thrust23THRUST_200600_302600_NS5tupleIblNS6_9null_typeES8_S8_S8_S8_S8_S8_S8_EEEEZNS1_11reduce_implILb1ES3_NS6_12zip_iteratorINS7_INS6_11hip_rocprim26transform_input_iterator_tIbNSD_35transform_pair_of_input_iterators_tIbNS6_6detail15normal_iteratorINS6_10device_ptrIKiEEEESL_NS6_8equal_toIiEEEENSG_9not_fun_tINSD_8identityEEEEENSD_19counting_iterator_tIlEES8_S8_S8_S8_S8_S8_S8_S8_EEEEPS9_S9_NSD_9__find_if7functorIS9_EEEE10hipError_tPvRmT1_T2_T3_mT4_P12ihipStream_tbEUlT_E0_NS1_11comp_targetILNS1_3genE10ELNS1_11target_archE1201ELNS1_3gpuE5ELNS1_3repE0EEENS1_30default_config_static_selectorELNS0_4arch9wavefront6targetE1EEEvS14_: ; @_ZN7rocprim17ROCPRIM_400000_NS6detail17trampoline_kernelINS0_14default_configENS1_22reduce_config_selectorIN6thrust23THRUST_200600_302600_NS5tupleIblNS6_9null_typeES8_S8_S8_S8_S8_S8_S8_EEEEZNS1_11reduce_implILb1ES3_NS6_12zip_iteratorINS7_INS6_11hip_rocprim26transform_input_iterator_tIbNSD_35transform_pair_of_input_iterators_tIbNS6_6detail15normal_iteratorINS6_10device_ptrIKiEEEESL_NS6_8equal_toIiEEEENSG_9not_fun_tINSD_8identityEEEEENSD_19counting_iterator_tIlEES8_S8_S8_S8_S8_S8_S8_S8_EEEEPS9_S9_NSD_9__find_if7functorIS9_EEEE10hipError_tPvRmT1_T2_T3_mT4_P12ihipStream_tbEUlT_E0_NS1_11comp_targetILNS1_3genE10ELNS1_11target_archE1201ELNS1_3gpuE5ELNS1_3repE0EEENS1_30default_config_static_selectorELNS0_4arch9wavefront6targetE1EEEvS14_
; %bb.0:
	.section	.rodata,"a",@progbits
	.p2align	6, 0x0
	.amdhsa_kernel _ZN7rocprim17ROCPRIM_400000_NS6detail17trampoline_kernelINS0_14default_configENS1_22reduce_config_selectorIN6thrust23THRUST_200600_302600_NS5tupleIblNS6_9null_typeES8_S8_S8_S8_S8_S8_S8_EEEEZNS1_11reduce_implILb1ES3_NS6_12zip_iteratorINS7_INS6_11hip_rocprim26transform_input_iterator_tIbNSD_35transform_pair_of_input_iterators_tIbNS6_6detail15normal_iteratorINS6_10device_ptrIKiEEEESL_NS6_8equal_toIiEEEENSG_9not_fun_tINSD_8identityEEEEENSD_19counting_iterator_tIlEES8_S8_S8_S8_S8_S8_S8_S8_EEEEPS9_S9_NSD_9__find_if7functorIS9_EEEE10hipError_tPvRmT1_T2_T3_mT4_P12ihipStream_tbEUlT_E0_NS1_11comp_targetILNS1_3genE10ELNS1_11target_archE1201ELNS1_3gpuE5ELNS1_3repE0EEENS1_30default_config_static_selectorELNS0_4arch9wavefront6targetE1EEEvS14_
		.amdhsa_group_segment_fixed_size 0
		.amdhsa_private_segment_fixed_size 0
		.amdhsa_kernarg_size 104
		.amdhsa_user_sgpr_count 6
		.amdhsa_user_sgpr_private_segment_buffer 1
		.amdhsa_user_sgpr_dispatch_ptr 0
		.amdhsa_user_sgpr_queue_ptr 0
		.amdhsa_user_sgpr_kernarg_segment_ptr 1
		.amdhsa_user_sgpr_dispatch_id 0
		.amdhsa_user_sgpr_flat_scratch_init 0
		.amdhsa_user_sgpr_private_segment_size 0
		.amdhsa_uses_dynamic_stack 0
		.amdhsa_system_sgpr_private_segment_wavefront_offset 0
		.amdhsa_system_sgpr_workgroup_id_x 1
		.amdhsa_system_sgpr_workgroup_id_y 0
		.amdhsa_system_sgpr_workgroup_id_z 0
		.amdhsa_system_sgpr_workgroup_info 0
		.amdhsa_system_vgpr_workitem_id 0
		.amdhsa_next_free_vgpr 1
		.amdhsa_next_free_sgpr 0
		.amdhsa_reserve_vcc 0
		.amdhsa_reserve_flat_scratch 0
		.amdhsa_float_round_mode_32 0
		.amdhsa_float_round_mode_16_64 0
		.amdhsa_float_denorm_mode_32 3
		.amdhsa_float_denorm_mode_16_64 3
		.amdhsa_dx10_clamp 1
		.amdhsa_ieee_mode 1
		.amdhsa_fp16_overflow 0
		.amdhsa_exception_fp_ieee_invalid_op 0
		.amdhsa_exception_fp_denorm_src 0
		.amdhsa_exception_fp_ieee_div_zero 0
		.amdhsa_exception_fp_ieee_overflow 0
		.amdhsa_exception_fp_ieee_underflow 0
		.amdhsa_exception_fp_ieee_inexact 0
		.amdhsa_exception_int_div_zero 0
	.end_amdhsa_kernel
	.section	.text._ZN7rocprim17ROCPRIM_400000_NS6detail17trampoline_kernelINS0_14default_configENS1_22reduce_config_selectorIN6thrust23THRUST_200600_302600_NS5tupleIblNS6_9null_typeES8_S8_S8_S8_S8_S8_S8_EEEEZNS1_11reduce_implILb1ES3_NS6_12zip_iteratorINS7_INS6_11hip_rocprim26transform_input_iterator_tIbNSD_35transform_pair_of_input_iterators_tIbNS6_6detail15normal_iteratorINS6_10device_ptrIKiEEEESL_NS6_8equal_toIiEEEENSG_9not_fun_tINSD_8identityEEEEENSD_19counting_iterator_tIlEES8_S8_S8_S8_S8_S8_S8_S8_EEEEPS9_S9_NSD_9__find_if7functorIS9_EEEE10hipError_tPvRmT1_T2_T3_mT4_P12ihipStream_tbEUlT_E0_NS1_11comp_targetILNS1_3genE10ELNS1_11target_archE1201ELNS1_3gpuE5ELNS1_3repE0EEENS1_30default_config_static_selectorELNS0_4arch9wavefront6targetE1EEEvS14_,"axG",@progbits,_ZN7rocprim17ROCPRIM_400000_NS6detail17trampoline_kernelINS0_14default_configENS1_22reduce_config_selectorIN6thrust23THRUST_200600_302600_NS5tupleIblNS6_9null_typeES8_S8_S8_S8_S8_S8_S8_EEEEZNS1_11reduce_implILb1ES3_NS6_12zip_iteratorINS7_INS6_11hip_rocprim26transform_input_iterator_tIbNSD_35transform_pair_of_input_iterators_tIbNS6_6detail15normal_iteratorINS6_10device_ptrIKiEEEESL_NS6_8equal_toIiEEEENSG_9not_fun_tINSD_8identityEEEEENSD_19counting_iterator_tIlEES8_S8_S8_S8_S8_S8_S8_S8_EEEEPS9_S9_NSD_9__find_if7functorIS9_EEEE10hipError_tPvRmT1_T2_T3_mT4_P12ihipStream_tbEUlT_E0_NS1_11comp_targetILNS1_3genE10ELNS1_11target_archE1201ELNS1_3gpuE5ELNS1_3repE0EEENS1_30default_config_static_selectorELNS0_4arch9wavefront6targetE1EEEvS14_,comdat
.Lfunc_end473:
	.size	_ZN7rocprim17ROCPRIM_400000_NS6detail17trampoline_kernelINS0_14default_configENS1_22reduce_config_selectorIN6thrust23THRUST_200600_302600_NS5tupleIblNS6_9null_typeES8_S8_S8_S8_S8_S8_S8_EEEEZNS1_11reduce_implILb1ES3_NS6_12zip_iteratorINS7_INS6_11hip_rocprim26transform_input_iterator_tIbNSD_35transform_pair_of_input_iterators_tIbNS6_6detail15normal_iteratorINS6_10device_ptrIKiEEEESL_NS6_8equal_toIiEEEENSG_9not_fun_tINSD_8identityEEEEENSD_19counting_iterator_tIlEES8_S8_S8_S8_S8_S8_S8_S8_EEEEPS9_S9_NSD_9__find_if7functorIS9_EEEE10hipError_tPvRmT1_T2_T3_mT4_P12ihipStream_tbEUlT_E0_NS1_11comp_targetILNS1_3genE10ELNS1_11target_archE1201ELNS1_3gpuE5ELNS1_3repE0EEENS1_30default_config_static_selectorELNS0_4arch9wavefront6targetE1EEEvS14_, .Lfunc_end473-_ZN7rocprim17ROCPRIM_400000_NS6detail17trampoline_kernelINS0_14default_configENS1_22reduce_config_selectorIN6thrust23THRUST_200600_302600_NS5tupleIblNS6_9null_typeES8_S8_S8_S8_S8_S8_S8_EEEEZNS1_11reduce_implILb1ES3_NS6_12zip_iteratorINS7_INS6_11hip_rocprim26transform_input_iterator_tIbNSD_35transform_pair_of_input_iterators_tIbNS6_6detail15normal_iteratorINS6_10device_ptrIKiEEEESL_NS6_8equal_toIiEEEENSG_9not_fun_tINSD_8identityEEEEENSD_19counting_iterator_tIlEES8_S8_S8_S8_S8_S8_S8_S8_EEEEPS9_S9_NSD_9__find_if7functorIS9_EEEE10hipError_tPvRmT1_T2_T3_mT4_P12ihipStream_tbEUlT_E0_NS1_11comp_targetILNS1_3genE10ELNS1_11target_archE1201ELNS1_3gpuE5ELNS1_3repE0EEENS1_30default_config_static_selectorELNS0_4arch9wavefront6targetE1EEEvS14_
                                        ; -- End function
	.set _ZN7rocprim17ROCPRIM_400000_NS6detail17trampoline_kernelINS0_14default_configENS1_22reduce_config_selectorIN6thrust23THRUST_200600_302600_NS5tupleIblNS6_9null_typeES8_S8_S8_S8_S8_S8_S8_EEEEZNS1_11reduce_implILb1ES3_NS6_12zip_iteratorINS7_INS6_11hip_rocprim26transform_input_iterator_tIbNSD_35transform_pair_of_input_iterators_tIbNS6_6detail15normal_iteratorINS6_10device_ptrIKiEEEESL_NS6_8equal_toIiEEEENSG_9not_fun_tINSD_8identityEEEEENSD_19counting_iterator_tIlEES8_S8_S8_S8_S8_S8_S8_S8_EEEEPS9_S9_NSD_9__find_if7functorIS9_EEEE10hipError_tPvRmT1_T2_T3_mT4_P12ihipStream_tbEUlT_E0_NS1_11comp_targetILNS1_3genE10ELNS1_11target_archE1201ELNS1_3gpuE5ELNS1_3repE0EEENS1_30default_config_static_selectorELNS0_4arch9wavefront6targetE1EEEvS14_.num_vgpr, 0
	.set _ZN7rocprim17ROCPRIM_400000_NS6detail17trampoline_kernelINS0_14default_configENS1_22reduce_config_selectorIN6thrust23THRUST_200600_302600_NS5tupleIblNS6_9null_typeES8_S8_S8_S8_S8_S8_S8_EEEEZNS1_11reduce_implILb1ES3_NS6_12zip_iteratorINS7_INS6_11hip_rocprim26transform_input_iterator_tIbNSD_35transform_pair_of_input_iterators_tIbNS6_6detail15normal_iteratorINS6_10device_ptrIKiEEEESL_NS6_8equal_toIiEEEENSG_9not_fun_tINSD_8identityEEEEENSD_19counting_iterator_tIlEES8_S8_S8_S8_S8_S8_S8_S8_EEEEPS9_S9_NSD_9__find_if7functorIS9_EEEE10hipError_tPvRmT1_T2_T3_mT4_P12ihipStream_tbEUlT_E0_NS1_11comp_targetILNS1_3genE10ELNS1_11target_archE1201ELNS1_3gpuE5ELNS1_3repE0EEENS1_30default_config_static_selectorELNS0_4arch9wavefront6targetE1EEEvS14_.num_agpr, 0
	.set _ZN7rocprim17ROCPRIM_400000_NS6detail17trampoline_kernelINS0_14default_configENS1_22reduce_config_selectorIN6thrust23THRUST_200600_302600_NS5tupleIblNS6_9null_typeES8_S8_S8_S8_S8_S8_S8_EEEEZNS1_11reduce_implILb1ES3_NS6_12zip_iteratorINS7_INS6_11hip_rocprim26transform_input_iterator_tIbNSD_35transform_pair_of_input_iterators_tIbNS6_6detail15normal_iteratorINS6_10device_ptrIKiEEEESL_NS6_8equal_toIiEEEENSG_9not_fun_tINSD_8identityEEEEENSD_19counting_iterator_tIlEES8_S8_S8_S8_S8_S8_S8_S8_EEEEPS9_S9_NSD_9__find_if7functorIS9_EEEE10hipError_tPvRmT1_T2_T3_mT4_P12ihipStream_tbEUlT_E0_NS1_11comp_targetILNS1_3genE10ELNS1_11target_archE1201ELNS1_3gpuE5ELNS1_3repE0EEENS1_30default_config_static_selectorELNS0_4arch9wavefront6targetE1EEEvS14_.numbered_sgpr, 0
	.set _ZN7rocprim17ROCPRIM_400000_NS6detail17trampoline_kernelINS0_14default_configENS1_22reduce_config_selectorIN6thrust23THRUST_200600_302600_NS5tupleIblNS6_9null_typeES8_S8_S8_S8_S8_S8_S8_EEEEZNS1_11reduce_implILb1ES3_NS6_12zip_iteratorINS7_INS6_11hip_rocprim26transform_input_iterator_tIbNSD_35transform_pair_of_input_iterators_tIbNS6_6detail15normal_iteratorINS6_10device_ptrIKiEEEESL_NS6_8equal_toIiEEEENSG_9not_fun_tINSD_8identityEEEEENSD_19counting_iterator_tIlEES8_S8_S8_S8_S8_S8_S8_S8_EEEEPS9_S9_NSD_9__find_if7functorIS9_EEEE10hipError_tPvRmT1_T2_T3_mT4_P12ihipStream_tbEUlT_E0_NS1_11comp_targetILNS1_3genE10ELNS1_11target_archE1201ELNS1_3gpuE5ELNS1_3repE0EEENS1_30default_config_static_selectorELNS0_4arch9wavefront6targetE1EEEvS14_.num_named_barrier, 0
	.set _ZN7rocprim17ROCPRIM_400000_NS6detail17trampoline_kernelINS0_14default_configENS1_22reduce_config_selectorIN6thrust23THRUST_200600_302600_NS5tupleIblNS6_9null_typeES8_S8_S8_S8_S8_S8_S8_EEEEZNS1_11reduce_implILb1ES3_NS6_12zip_iteratorINS7_INS6_11hip_rocprim26transform_input_iterator_tIbNSD_35transform_pair_of_input_iterators_tIbNS6_6detail15normal_iteratorINS6_10device_ptrIKiEEEESL_NS6_8equal_toIiEEEENSG_9not_fun_tINSD_8identityEEEEENSD_19counting_iterator_tIlEES8_S8_S8_S8_S8_S8_S8_S8_EEEEPS9_S9_NSD_9__find_if7functorIS9_EEEE10hipError_tPvRmT1_T2_T3_mT4_P12ihipStream_tbEUlT_E0_NS1_11comp_targetILNS1_3genE10ELNS1_11target_archE1201ELNS1_3gpuE5ELNS1_3repE0EEENS1_30default_config_static_selectorELNS0_4arch9wavefront6targetE1EEEvS14_.private_seg_size, 0
	.set _ZN7rocprim17ROCPRIM_400000_NS6detail17trampoline_kernelINS0_14default_configENS1_22reduce_config_selectorIN6thrust23THRUST_200600_302600_NS5tupleIblNS6_9null_typeES8_S8_S8_S8_S8_S8_S8_EEEEZNS1_11reduce_implILb1ES3_NS6_12zip_iteratorINS7_INS6_11hip_rocprim26transform_input_iterator_tIbNSD_35transform_pair_of_input_iterators_tIbNS6_6detail15normal_iteratorINS6_10device_ptrIKiEEEESL_NS6_8equal_toIiEEEENSG_9not_fun_tINSD_8identityEEEEENSD_19counting_iterator_tIlEES8_S8_S8_S8_S8_S8_S8_S8_EEEEPS9_S9_NSD_9__find_if7functorIS9_EEEE10hipError_tPvRmT1_T2_T3_mT4_P12ihipStream_tbEUlT_E0_NS1_11comp_targetILNS1_3genE10ELNS1_11target_archE1201ELNS1_3gpuE5ELNS1_3repE0EEENS1_30default_config_static_selectorELNS0_4arch9wavefront6targetE1EEEvS14_.uses_vcc, 0
	.set _ZN7rocprim17ROCPRIM_400000_NS6detail17trampoline_kernelINS0_14default_configENS1_22reduce_config_selectorIN6thrust23THRUST_200600_302600_NS5tupleIblNS6_9null_typeES8_S8_S8_S8_S8_S8_S8_EEEEZNS1_11reduce_implILb1ES3_NS6_12zip_iteratorINS7_INS6_11hip_rocprim26transform_input_iterator_tIbNSD_35transform_pair_of_input_iterators_tIbNS6_6detail15normal_iteratorINS6_10device_ptrIKiEEEESL_NS6_8equal_toIiEEEENSG_9not_fun_tINSD_8identityEEEEENSD_19counting_iterator_tIlEES8_S8_S8_S8_S8_S8_S8_S8_EEEEPS9_S9_NSD_9__find_if7functorIS9_EEEE10hipError_tPvRmT1_T2_T3_mT4_P12ihipStream_tbEUlT_E0_NS1_11comp_targetILNS1_3genE10ELNS1_11target_archE1201ELNS1_3gpuE5ELNS1_3repE0EEENS1_30default_config_static_selectorELNS0_4arch9wavefront6targetE1EEEvS14_.uses_flat_scratch, 0
	.set _ZN7rocprim17ROCPRIM_400000_NS6detail17trampoline_kernelINS0_14default_configENS1_22reduce_config_selectorIN6thrust23THRUST_200600_302600_NS5tupleIblNS6_9null_typeES8_S8_S8_S8_S8_S8_S8_EEEEZNS1_11reduce_implILb1ES3_NS6_12zip_iteratorINS7_INS6_11hip_rocprim26transform_input_iterator_tIbNSD_35transform_pair_of_input_iterators_tIbNS6_6detail15normal_iteratorINS6_10device_ptrIKiEEEESL_NS6_8equal_toIiEEEENSG_9not_fun_tINSD_8identityEEEEENSD_19counting_iterator_tIlEES8_S8_S8_S8_S8_S8_S8_S8_EEEEPS9_S9_NSD_9__find_if7functorIS9_EEEE10hipError_tPvRmT1_T2_T3_mT4_P12ihipStream_tbEUlT_E0_NS1_11comp_targetILNS1_3genE10ELNS1_11target_archE1201ELNS1_3gpuE5ELNS1_3repE0EEENS1_30default_config_static_selectorELNS0_4arch9wavefront6targetE1EEEvS14_.has_dyn_sized_stack, 0
	.set _ZN7rocprim17ROCPRIM_400000_NS6detail17trampoline_kernelINS0_14default_configENS1_22reduce_config_selectorIN6thrust23THRUST_200600_302600_NS5tupleIblNS6_9null_typeES8_S8_S8_S8_S8_S8_S8_EEEEZNS1_11reduce_implILb1ES3_NS6_12zip_iteratorINS7_INS6_11hip_rocprim26transform_input_iterator_tIbNSD_35transform_pair_of_input_iterators_tIbNS6_6detail15normal_iteratorINS6_10device_ptrIKiEEEESL_NS6_8equal_toIiEEEENSG_9not_fun_tINSD_8identityEEEEENSD_19counting_iterator_tIlEES8_S8_S8_S8_S8_S8_S8_S8_EEEEPS9_S9_NSD_9__find_if7functorIS9_EEEE10hipError_tPvRmT1_T2_T3_mT4_P12ihipStream_tbEUlT_E0_NS1_11comp_targetILNS1_3genE10ELNS1_11target_archE1201ELNS1_3gpuE5ELNS1_3repE0EEENS1_30default_config_static_selectorELNS0_4arch9wavefront6targetE1EEEvS14_.has_recursion, 0
	.set _ZN7rocprim17ROCPRIM_400000_NS6detail17trampoline_kernelINS0_14default_configENS1_22reduce_config_selectorIN6thrust23THRUST_200600_302600_NS5tupleIblNS6_9null_typeES8_S8_S8_S8_S8_S8_S8_EEEEZNS1_11reduce_implILb1ES3_NS6_12zip_iteratorINS7_INS6_11hip_rocprim26transform_input_iterator_tIbNSD_35transform_pair_of_input_iterators_tIbNS6_6detail15normal_iteratorINS6_10device_ptrIKiEEEESL_NS6_8equal_toIiEEEENSG_9not_fun_tINSD_8identityEEEEENSD_19counting_iterator_tIlEES8_S8_S8_S8_S8_S8_S8_S8_EEEEPS9_S9_NSD_9__find_if7functorIS9_EEEE10hipError_tPvRmT1_T2_T3_mT4_P12ihipStream_tbEUlT_E0_NS1_11comp_targetILNS1_3genE10ELNS1_11target_archE1201ELNS1_3gpuE5ELNS1_3repE0EEENS1_30default_config_static_selectorELNS0_4arch9wavefront6targetE1EEEvS14_.has_indirect_call, 0
	.section	.AMDGPU.csdata,"",@progbits
; Kernel info:
; codeLenInByte = 0
; TotalNumSgprs: 4
; NumVgprs: 0
; ScratchSize: 0
; MemoryBound: 0
; FloatMode: 240
; IeeeMode: 1
; LDSByteSize: 0 bytes/workgroup (compile time only)
; SGPRBlocks: 0
; VGPRBlocks: 0
; NumSGPRsForWavesPerEU: 4
; NumVGPRsForWavesPerEU: 1
; Occupancy: 10
; WaveLimiterHint : 0
; COMPUTE_PGM_RSRC2:SCRATCH_EN: 0
; COMPUTE_PGM_RSRC2:USER_SGPR: 6
; COMPUTE_PGM_RSRC2:TRAP_HANDLER: 0
; COMPUTE_PGM_RSRC2:TGID_X_EN: 1
; COMPUTE_PGM_RSRC2:TGID_Y_EN: 0
; COMPUTE_PGM_RSRC2:TGID_Z_EN: 0
; COMPUTE_PGM_RSRC2:TIDIG_COMP_CNT: 0
	.section	.text._ZN7rocprim17ROCPRIM_400000_NS6detail17trampoline_kernelINS0_14default_configENS1_22reduce_config_selectorIN6thrust23THRUST_200600_302600_NS5tupleIblNS6_9null_typeES8_S8_S8_S8_S8_S8_S8_EEEEZNS1_11reduce_implILb1ES3_NS6_12zip_iteratorINS7_INS6_11hip_rocprim26transform_input_iterator_tIbNSD_35transform_pair_of_input_iterators_tIbNS6_6detail15normal_iteratorINS6_10device_ptrIKiEEEESL_NS6_8equal_toIiEEEENSG_9not_fun_tINSD_8identityEEEEENSD_19counting_iterator_tIlEES8_S8_S8_S8_S8_S8_S8_S8_EEEEPS9_S9_NSD_9__find_if7functorIS9_EEEE10hipError_tPvRmT1_T2_T3_mT4_P12ihipStream_tbEUlT_E0_NS1_11comp_targetILNS1_3genE10ELNS1_11target_archE1200ELNS1_3gpuE4ELNS1_3repE0EEENS1_30default_config_static_selectorELNS0_4arch9wavefront6targetE1EEEvS14_,"axG",@progbits,_ZN7rocprim17ROCPRIM_400000_NS6detail17trampoline_kernelINS0_14default_configENS1_22reduce_config_selectorIN6thrust23THRUST_200600_302600_NS5tupleIblNS6_9null_typeES8_S8_S8_S8_S8_S8_S8_EEEEZNS1_11reduce_implILb1ES3_NS6_12zip_iteratorINS7_INS6_11hip_rocprim26transform_input_iterator_tIbNSD_35transform_pair_of_input_iterators_tIbNS6_6detail15normal_iteratorINS6_10device_ptrIKiEEEESL_NS6_8equal_toIiEEEENSG_9not_fun_tINSD_8identityEEEEENSD_19counting_iterator_tIlEES8_S8_S8_S8_S8_S8_S8_S8_EEEEPS9_S9_NSD_9__find_if7functorIS9_EEEE10hipError_tPvRmT1_T2_T3_mT4_P12ihipStream_tbEUlT_E0_NS1_11comp_targetILNS1_3genE10ELNS1_11target_archE1200ELNS1_3gpuE4ELNS1_3repE0EEENS1_30default_config_static_selectorELNS0_4arch9wavefront6targetE1EEEvS14_,comdat
	.protected	_ZN7rocprim17ROCPRIM_400000_NS6detail17trampoline_kernelINS0_14default_configENS1_22reduce_config_selectorIN6thrust23THRUST_200600_302600_NS5tupleIblNS6_9null_typeES8_S8_S8_S8_S8_S8_S8_EEEEZNS1_11reduce_implILb1ES3_NS6_12zip_iteratorINS7_INS6_11hip_rocprim26transform_input_iterator_tIbNSD_35transform_pair_of_input_iterators_tIbNS6_6detail15normal_iteratorINS6_10device_ptrIKiEEEESL_NS6_8equal_toIiEEEENSG_9not_fun_tINSD_8identityEEEEENSD_19counting_iterator_tIlEES8_S8_S8_S8_S8_S8_S8_S8_EEEEPS9_S9_NSD_9__find_if7functorIS9_EEEE10hipError_tPvRmT1_T2_T3_mT4_P12ihipStream_tbEUlT_E0_NS1_11comp_targetILNS1_3genE10ELNS1_11target_archE1200ELNS1_3gpuE4ELNS1_3repE0EEENS1_30default_config_static_selectorELNS0_4arch9wavefront6targetE1EEEvS14_ ; -- Begin function _ZN7rocprim17ROCPRIM_400000_NS6detail17trampoline_kernelINS0_14default_configENS1_22reduce_config_selectorIN6thrust23THRUST_200600_302600_NS5tupleIblNS6_9null_typeES8_S8_S8_S8_S8_S8_S8_EEEEZNS1_11reduce_implILb1ES3_NS6_12zip_iteratorINS7_INS6_11hip_rocprim26transform_input_iterator_tIbNSD_35transform_pair_of_input_iterators_tIbNS6_6detail15normal_iteratorINS6_10device_ptrIKiEEEESL_NS6_8equal_toIiEEEENSG_9not_fun_tINSD_8identityEEEEENSD_19counting_iterator_tIlEES8_S8_S8_S8_S8_S8_S8_S8_EEEEPS9_S9_NSD_9__find_if7functorIS9_EEEE10hipError_tPvRmT1_T2_T3_mT4_P12ihipStream_tbEUlT_E0_NS1_11comp_targetILNS1_3genE10ELNS1_11target_archE1200ELNS1_3gpuE4ELNS1_3repE0EEENS1_30default_config_static_selectorELNS0_4arch9wavefront6targetE1EEEvS14_
	.globl	_ZN7rocprim17ROCPRIM_400000_NS6detail17trampoline_kernelINS0_14default_configENS1_22reduce_config_selectorIN6thrust23THRUST_200600_302600_NS5tupleIblNS6_9null_typeES8_S8_S8_S8_S8_S8_S8_EEEEZNS1_11reduce_implILb1ES3_NS6_12zip_iteratorINS7_INS6_11hip_rocprim26transform_input_iterator_tIbNSD_35transform_pair_of_input_iterators_tIbNS6_6detail15normal_iteratorINS6_10device_ptrIKiEEEESL_NS6_8equal_toIiEEEENSG_9not_fun_tINSD_8identityEEEEENSD_19counting_iterator_tIlEES8_S8_S8_S8_S8_S8_S8_S8_EEEEPS9_S9_NSD_9__find_if7functorIS9_EEEE10hipError_tPvRmT1_T2_T3_mT4_P12ihipStream_tbEUlT_E0_NS1_11comp_targetILNS1_3genE10ELNS1_11target_archE1200ELNS1_3gpuE4ELNS1_3repE0EEENS1_30default_config_static_selectorELNS0_4arch9wavefront6targetE1EEEvS14_
	.p2align	8
	.type	_ZN7rocprim17ROCPRIM_400000_NS6detail17trampoline_kernelINS0_14default_configENS1_22reduce_config_selectorIN6thrust23THRUST_200600_302600_NS5tupleIblNS6_9null_typeES8_S8_S8_S8_S8_S8_S8_EEEEZNS1_11reduce_implILb1ES3_NS6_12zip_iteratorINS7_INS6_11hip_rocprim26transform_input_iterator_tIbNSD_35transform_pair_of_input_iterators_tIbNS6_6detail15normal_iteratorINS6_10device_ptrIKiEEEESL_NS6_8equal_toIiEEEENSG_9not_fun_tINSD_8identityEEEEENSD_19counting_iterator_tIlEES8_S8_S8_S8_S8_S8_S8_S8_EEEEPS9_S9_NSD_9__find_if7functorIS9_EEEE10hipError_tPvRmT1_T2_T3_mT4_P12ihipStream_tbEUlT_E0_NS1_11comp_targetILNS1_3genE10ELNS1_11target_archE1200ELNS1_3gpuE4ELNS1_3repE0EEENS1_30default_config_static_selectorELNS0_4arch9wavefront6targetE1EEEvS14_,@function
_ZN7rocprim17ROCPRIM_400000_NS6detail17trampoline_kernelINS0_14default_configENS1_22reduce_config_selectorIN6thrust23THRUST_200600_302600_NS5tupleIblNS6_9null_typeES8_S8_S8_S8_S8_S8_S8_EEEEZNS1_11reduce_implILb1ES3_NS6_12zip_iteratorINS7_INS6_11hip_rocprim26transform_input_iterator_tIbNSD_35transform_pair_of_input_iterators_tIbNS6_6detail15normal_iteratorINS6_10device_ptrIKiEEEESL_NS6_8equal_toIiEEEENSG_9not_fun_tINSD_8identityEEEEENSD_19counting_iterator_tIlEES8_S8_S8_S8_S8_S8_S8_S8_EEEEPS9_S9_NSD_9__find_if7functorIS9_EEEE10hipError_tPvRmT1_T2_T3_mT4_P12ihipStream_tbEUlT_E0_NS1_11comp_targetILNS1_3genE10ELNS1_11target_archE1200ELNS1_3gpuE4ELNS1_3repE0EEENS1_30default_config_static_selectorELNS0_4arch9wavefront6targetE1EEEvS14_: ; @_ZN7rocprim17ROCPRIM_400000_NS6detail17trampoline_kernelINS0_14default_configENS1_22reduce_config_selectorIN6thrust23THRUST_200600_302600_NS5tupleIblNS6_9null_typeES8_S8_S8_S8_S8_S8_S8_EEEEZNS1_11reduce_implILb1ES3_NS6_12zip_iteratorINS7_INS6_11hip_rocprim26transform_input_iterator_tIbNSD_35transform_pair_of_input_iterators_tIbNS6_6detail15normal_iteratorINS6_10device_ptrIKiEEEESL_NS6_8equal_toIiEEEENSG_9not_fun_tINSD_8identityEEEEENSD_19counting_iterator_tIlEES8_S8_S8_S8_S8_S8_S8_S8_EEEEPS9_S9_NSD_9__find_if7functorIS9_EEEE10hipError_tPvRmT1_T2_T3_mT4_P12ihipStream_tbEUlT_E0_NS1_11comp_targetILNS1_3genE10ELNS1_11target_archE1200ELNS1_3gpuE4ELNS1_3repE0EEENS1_30default_config_static_selectorELNS0_4arch9wavefront6targetE1EEEvS14_
; %bb.0:
	.section	.rodata,"a",@progbits
	.p2align	6, 0x0
	.amdhsa_kernel _ZN7rocprim17ROCPRIM_400000_NS6detail17trampoline_kernelINS0_14default_configENS1_22reduce_config_selectorIN6thrust23THRUST_200600_302600_NS5tupleIblNS6_9null_typeES8_S8_S8_S8_S8_S8_S8_EEEEZNS1_11reduce_implILb1ES3_NS6_12zip_iteratorINS7_INS6_11hip_rocprim26transform_input_iterator_tIbNSD_35transform_pair_of_input_iterators_tIbNS6_6detail15normal_iteratorINS6_10device_ptrIKiEEEESL_NS6_8equal_toIiEEEENSG_9not_fun_tINSD_8identityEEEEENSD_19counting_iterator_tIlEES8_S8_S8_S8_S8_S8_S8_S8_EEEEPS9_S9_NSD_9__find_if7functorIS9_EEEE10hipError_tPvRmT1_T2_T3_mT4_P12ihipStream_tbEUlT_E0_NS1_11comp_targetILNS1_3genE10ELNS1_11target_archE1200ELNS1_3gpuE4ELNS1_3repE0EEENS1_30default_config_static_selectorELNS0_4arch9wavefront6targetE1EEEvS14_
		.amdhsa_group_segment_fixed_size 0
		.amdhsa_private_segment_fixed_size 0
		.amdhsa_kernarg_size 104
		.amdhsa_user_sgpr_count 6
		.amdhsa_user_sgpr_private_segment_buffer 1
		.amdhsa_user_sgpr_dispatch_ptr 0
		.amdhsa_user_sgpr_queue_ptr 0
		.amdhsa_user_sgpr_kernarg_segment_ptr 1
		.amdhsa_user_sgpr_dispatch_id 0
		.amdhsa_user_sgpr_flat_scratch_init 0
		.amdhsa_user_sgpr_private_segment_size 0
		.amdhsa_uses_dynamic_stack 0
		.amdhsa_system_sgpr_private_segment_wavefront_offset 0
		.amdhsa_system_sgpr_workgroup_id_x 1
		.amdhsa_system_sgpr_workgroup_id_y 0
		.amdhsa_system_sgpr_workgroup_id_z 0
		.amdhsa_system_sgpr_workgroup_info 0
		.amdhsa_system_vgpr_workitem_id 0
		.amdhsa_next_free_vgpr 1
		.amdhsa_next_free_sgpr 0
		.amdhsa_reserve_vcc 0
		.amdhsa_reserve_flat_scratch 0
		.amdhsa_float_round_mode_32 0
		.amdhsa_float_round_mode_16_64 0
		.amdhsa_float_denorm_mode_32 3
		.amdhsa_float_denorm_mode_16_64 3
		.amdhsa_dx10_clamp 1
		.amdhsa_ieee_mode 1
		.amdhsa_fp16_overflow 0
		.amdhsa_exception_fp_ieee_invalid_op 0
		.amdhsa_exception_fp_denorm_src 0
		.amdhsa_exception_fp_ieee_div_zero 0
		.amdhsa_exception_fp_ieee_overflow 0
		.amdhsa_exception_fp_ieee_underflow 0
		.amdhsa_exception_fp_ieee_inexact 0
		.amdhsa_exception_int_div_zero 0
	.end_amdhsa_kernel
	.section	.text._ZN7rocprim17ROCPRIM_400000_NS6detail17trampoline_kernelINS0_14default_configENS1_22reduce_config_selectorIN6thrust23THRUST_200600_302600_NS5tupleIblNS6_9null_typeES8_S8_S8_S8_S8_S8_S8_EEEEZNS1_11reduce_implILb1ES3_NS6_12zip_iteratorINS7_INS6_11hip_rocprim26transform_input_iterator_tIbNSD_35transform_pair_of_input_iterators_tIbNS6_6detail15normal_iteratorINS6_10device_ptrIKiEEEESL_NS6_8equal_toIiEEEENSG_9not_fun_tINSD_8identityEEEEENSD_19counting_iterator_tIlEES8_S8_S8_S8_S8_S8_S8_S8_EEEEPS9_S9_NSD_9__find_if7functorIS9_EEEE10hipError_tPvRmT1_T2_T3_mT4_P12ihipStream_tbEUlT_E0_NS1_11comp_targetILNS1_3genE10ELNS1_11target_archE1200ELNS1_3gpuE4ELNS1_3repE0EEENS1_30default_config_static_selectorELNS0_4arch9wavefront6targetE1EEEvS14_,"axG",@progbits,_ZN7rocprim17ROCPRIM_400000_NS6detail17trampoline_kernelINS0_14default_configENS1_22reduce_config_selectorIN6thrust23THRUST_200600_302600_NS5tupleIblNS6_9null_typeES8_S8_S8_S8_S8_S8_S8_EEEEZNS1_11reduce_implILb1ES3_NS6_12zip_iteratorINS7_INS6_11hip_rocprim26transform_input_iterator_tIbNSD_35transform_pair_of_input_iterators_tIbNS6_6detail15normal_iteratorINS6_10device_ptrIKiEEEESL_NS6_8equal_toIiEEEENSG_9not_fun_tINSD_8identityEEEEENSD_19counting_iterator_tIlEES8_S8_S8_S8_S8_S8_S8_S8_EEEEPS9_S9_NSD_9__find_if7functorIS9_EEEE10hipError_tPvRmT1_T2_T3_mT4_P12ihipStream_tbEUlT_E0_NS1_11comp_targetILNS1_3genE10ELNS1_11target_archE1200ELNS1_3gpuE4ELNS1_3repE0EEENS1_30default_config_static_selectorELNS0_4arch9wavefront6targetE1EEEvS14_,comdat
.Lfunc_end474:
	.size	_ZN7rocprim17ROCPRIM_400000_NS6detail17trampoline_kernelINS0_14default_configENS1_22reduce_config_selectorIN6thrust23THRUST_200600_302600_NS5tupleIblNS6_9null_typeES8_S8_S8_S8_S8_S8_S8_EEEEZNS1_11reduce_implILb1ES3_NS6_12zip_iteratorINS7_INS6_11hip_rocprim26transform_input_iterator_tIbNSD_35transform_pair_of_input_iterators_tIbNS6_6detail15normal_iteratorINS6_10device_ptrIKiEEEESL_NS6_8equal_toIiEEEENSG_9not_fun_tINSD_8identityEEEEENSD_19counting_iterator_tIlEES8_S8_S8_S8_S8_S8_S8_S8_EEEEPS9_S9_NSD_9__find_if7functorIS9_EEEE10hipError_tPvRmT1_T2_T3_mT4_P12ihipStream_tbEUlT_E0_NS1_11comp_targetILNS1_3genE10ELNS1_11target_archE1200ELNS1_3gpuE4ELNS1_3repE0EEENS1_30default_config_static_selectorELNS0_4arch9wavefront6targetE1EEEvS14_, .Lfunc_end474-_ZN7rocprim17ROCPRIM_400000_NS6detail17trampoline_kernelINS0_14default_configENS1_22reduce_config_selectorIN6thrust23THRUST_200600_302600_NS5tupleIblNS6_9null_typeES8_S8_S8_S8_S8_S8_S8_EEEEZNS1_11reduce_implILb1ES3_NS6_12zip_iteratorINS7_INS6_11hip_rocprim26transform_input_iterator_tIbNSD_35transform_pair_of_input_iterators_tIbNS6_6detail15normal_iteratorINS6_10device_ptrIKiEEEESL_NS6_8equal_toIiEEEENSG_9not_fun_tINSD_8identityEEEEENSD_19counting_iterator_tIlEES8_S8_S8_S8_S8_S8_S8_S8_EEEEPS9_S9_NSD_9__find_if7functorIS9_EEEE10hipError_tPvRmT1_T2_T3_mT4_P12ihipStream_tbEUlT_E0_NS1_11comp_targetILNS1_3genE10ELNS1_11target_archE1200ELNS1_3gpuE4ELNS1_3repE0EEENS1_30default_config_static_selectorELNS0_4arch9wavefront6targetE1EEEvS14_
                                        ; -- End function
	.set _ZN7rocprim17ROCPRIM_400000_NS6detail17trampoline_kernelINS0_14default_configENS1_22reduce_config_selectorIN6thrust23THRUST_200600_302600_NS5tupleIblNS6_9null_typeES8_S8_S8_S8_S8_S8_S8_EEEEZNS1_11reduce_implILb1ES3_NS6_12zip_iteratorINS7_INS6_11hip_rocprim26transform_input_iterator_tIbNSD_35transform_pair_of_input_iterators_tIbNS6_6detail15normal_iteratorINS6_10device_ptrIKiEEEESL_NS6_8equal_toIiEEEENSG_9not_fun_tINSD_8identityEEEEENSD_19counting_iterator_tIlEES8_S8_S8_S8_S8_S8_S8_S8_EEEEPS9_S9_NSD_9__find_if7functorIS9_EEEE10hipError_tPvRmT1_T2_T3_mT4_P12ihipStream_tbEUlT_E0_NS1_11comp_targetILNS1_3genE10ELNS1_11target_archE1200ELNS1_3gpuE4ELNS1_3repE0EEENS1_30default_config_static_selectorELNS0_4arch9wavefront6targetE1EEEvS14_.num_vgpr, 0
	.set _ZN7rocprim17ROCPRIM_400000_NS6detail17trampoline_kernelINS0_14default_configENS1_22reduce_config_selectorIN6thrust23THRUST_200600_302600_NS5tupleIblNS6_9null_typeES8_S8_S8_S8_S8_S8_S8_EEEEZNS1_11reduce_implILb1ES3_NS6_12zip_iteratorINS7_INS6_11hip_rocprim26transform_input_iterator_tIbNSD_35transform_pair_of_input_iterators_tIbNS6_6detail15normal_iteratorINS6_10device_ptrIKiEEEESL_NS6_8equal_toIiEEEENSG_9not_fun_tINSD_8identityEEEEENSD_19counting_iterator_tIlEES8_S8_S8_S8_S8_S8_S8_S8_EEEEPS9_S9_NSD_9__find_if7functorIS9_EEEE10hipError_tPvRmT1_T2_T3_mT4_P12ihipStream_tbEUlT_E0_NS1_11comp_targetILNS1_3genE10ELNS1_11target_archE1200ELNS1_3gpuE4ELNS1_3repE0EEENS1_30default_config_static_selectorELNS0_4arch9wavefront6targetE1EEEvS14_.num_agpr, 0
	.set _ZN7rocprim17ROCPRIM_400000_NS6detail17trampoline_kernelINS0_14default_configENS1_22reduce_config_selectorIN6thrust23THRUST_200600_302600_NS5tupleIblNS6_9null_typeES8_S8_S8_S8_S8_S8_S8_EEEEZNS1_11reduce_implILb1ES3_NS6_12zip_iteratorINS7_INS6_11hip_rocprim26transform_input_iterator_tIbNSD_35transform_pair_of_input_iterators_tIbNS6_6detail15normal_iteratorINS6_10device_ptrIKiEEEESL_NS6_8equal_toIiEEEENSG_9not_fun_tINSD_8identityEEEEENSD_19counting_iterator_tIlEES8_S8_S8_S8_S8_S8_S8_S8_EEEEPS9_S9_NSD_9__find_if7functorIS9_EEEE10hipError_tPvRmT1_T2_T3_mT4_P12ihipStream_tbEUlT_E0_NS1_11comp_targetILNS1_3genE10ELNS1_11target_archE1200ELNS1_3gpuE4ELNS1_3repE0EEENS1_30default_config_static_selectorELNS0_4arch9wavefront6targetE1EEEvS14_.numbered_sgpr, 0
	.set _ZN7rocprim17ROCPRIM_400000_NS6detail17trampoline_kernelINS0_14default_configENS1_22reduce_config_selectorIN6thrust23THRUST_200600_302600_NS5tupleIblNS6_9null_typeES8_S8_S8_S8_S8_S8_S8_EEEEZNS1_11reduce_implILb1ES3_NS6_12zip_iteratorINS7_INS6_11hip_rocprim26transform_input_iterator_tIbNSD_35transform_pair_of_input_iterators_tIbNS6_6detail15normal_iteratorINS6_10device_ptrIKiEEEESL_NS6_8equal_toIiEEEENSG_9not_fun_tINSD_8identityEEEEENSD_19counting_iterator_tIlEES8_S8_S8_S8_S8_S8_S8_S8_EEEEPS9_S9_NSD_9__find_if7functorIS9_EEEE10hipError_tPvRmT1_T2_T3_mT4_P12ihipStream_tbEUlT_E0_NS1_11comp_targetILNS1_3genE10ELNS1_11target_archE1200ELNS1_3gpuE4ELNS1_3repE0EEENS1_30default_config_static_selectorELNS0_4arch9wavefront6targetE1EEEvS14_.num_named_barrier, 0
	.set _ZN7rocprim17ROCPRIM_400000_NS6detail17trampoline_kernelINS0_14default_configENS1_22reduce_config_selectorIN6thrust23THRUST_200600_302600_NS5tupleIblNS6_9null_typeES8_S8_S8_S8_S8_S8_S8_EEEEZNS1_11reduce_implILb1ES3_NS6_12zip_iteratorINS7_INS6_11hip_rocprim26transform_input_iterator_tIbNSD_35transform_pair_of_input_iterators_tIbNS6_6detail15normal_iteratorINS6_10device_ptrIKiEEEESL_NS6_8equal_toIiEEEENSG_9not_fun_tINSD_8identityEEEEENSD_19counting_iterator_tIlEES8_S8_S8_S8_S8_S8_S8_S8_EEEEPS9_S9_NSD_9__find_if7functorIS9_EEEE10hipError_tPvRmT1_T2_T3_mT4_P12ihipStream_tbEUlT_E0_NS1_11comp_targetILNS1_3genE10ELNS1_11target_archE1200ELNS1_3gpuE4ELNS1_3repE0EEENS1_30default_config_static_selectorELNS0_4arch9wavefront6targetE1EEEvS14_.private_seg_size, 0
	.set _ZN7rocprim17ROCPRIM_400000_NS6detail17trampoline_kernelINS0_14default_configENS1_22reduce_config_selectorIN6thrust23THRUST_200600_302600_NS5tupleIblNS6_9null_typeES8_S8_S8_S8_S8_S8_S8_EEEEZNS1_11reduce_implILb1ES3_NS6_12zip_iteratorINS7_INS6_11hip_rocprim26transform_input_iterator_tIbNSD_35transform_pair_of_input_iterators_tIbNS6_6detail15normal_iteratorINS6_10device_ptrIKiEEEESL_NS6_8equal_toIiEEEENSG_9not_fun_tINSD_8identityEEEEENSD_19counting_iterator_tIlEES8_S8_S8_S8_S8_S8_S8_S8_EEEEPS9_S9_NSD_9__find_if7functorIS9_EEEE10hipError_tPvRmT1_T2_T3_mT4_P12ihipStream_tbEUlT_E0_NS1_11comp_targetILNS1_3genE10ELNS1_11target_archE1200ELNS1_3gpuE4ELNS1_3repE0EEENS1_30default_config_static_selectorELNS0_4arch9wavefront6targetE1EEEvS14_.uses_vcc, 0
	.set _ZN7rocprim17ROCPRIM_400000_NS6detail17trampoline_kernelINS0_14default_configENS1_22reduce_config_selectorIN6thrust23THRUST_200600_302600_NS5tupleIblNS6_9null_typeES8_S8_S8_S8_S8_S8_S8_EEEEZNS1_11reduce_implILb1ES3_NS6_12zip_iteratorINS7_INS6_11hip_rocprim26transform_input_iterator_tIbNSD_35transform_pair_of_input_iterators_tIbNS6_6detail15normal_iteratorINS6_10device_ptrIKiEEEESL_NS6_8equal_toIiEEEENSG_9not_fun_tINSD_8identityEEEEENSD_19counting_iterator_tIlEES8_S8_S8_S8_S8_S8_S8_S8_EEEEPS9_S9_NSD_9__find_if7functorIS9_EEEE10hipError_tPvRmT1_T2_T3_mT4_P12ihipStream_tbEUlT_E0_NS1_11comp_targetILNS1_3genE10ELNS1_11target_archE1200ELNS1_3gpuE4ELNS1_3repE0EEENS1_30default_config_static_selectorELNS0_4arch9wavefront6targetE1EEEvS14_.uses_flat_scratch, 0
	.set _ZN7rocprim17ROCPRIM_400000_NS6detail17trampoline_kernelINS0_14default_configENS1_22reduce_config_selectorIN6thrust23THRUST_200600_302600_NS5tupleIblNS6_9null_typeES8_S8_S8_S8_S8_S8_S8_EEEEZNS1_11reduce_implILb1ES3_NS6_12zip_iteratorINS7_INS6_11hip_rocprim26transform_input_iterator_tIbNSD_35transform_pair_of_input_iterators_tIbNS6_6detail15normal_iteratorINS6_10device_ptrIKiEEEESL_NS6_8equal_toIiEEEENSG_9not_fun_tINSD_8identityEEEEENSD_19counting_iterator_tIlEES8_S8_S8_S8_S8_S8_S8_S8_EEEEPS9_S9_NSD_9__find_if7functorIS9_EEEE10hipError_tPvRmT1_T2_T3_mT4_P12ihipStream_tbEUlT_E0_NS1_11comp_targetILNS1_3genE10ELNS1_11target_archE1200ELNS1_3gpuE4ELNS1_3repE0EEENS1_30default_config_static_selectorELNS0_4arch9wavefront6targetE1EEEvS14_.has_dyn_sized_stack, 0
	.set _ZN7rocprim17ROCPRIM_400000_NS6detail17trampoline_kernelINS0_14default_configENS1_22reduce_config_selectorIN6thrust23THRUST_200600_302600_NS5tupleIblNS6_9null_typeES8_S8_S8_S8_S8_S8_S8_EEEEZNS1_11reduce_implILb1ES3_NS6_12zip_iteratorINS7_INS6_11hip_rocprim26transform_input_iterator_tIbNSD_35transform_pair_of_input_iterators_tIbNS6_6detail15normal_iteratorINS6_10device_ptrIKiEEEESL_NS6_8equal_toIiEEEENSG_9not_fun_tINSD_8identityEEEEENSD_19counting_iterator_tIlEES8_S8_S8_S8_S8_S8_S8_S8_EEEEPS9_S9_NSD_9__find_if7functorIS9_EEEE10hipError_tPvRmT1_T2_T3_mT4_P12ihipStream_tbEUlT_E0_NS1_11comp_targetILNS1_3genE10ELNS1_11target_archE1200ELNS1_3gpuE4ELNS1_3repE0EEENS1_30default_config_static_selectorELNS0_4arch9wavefront6targetE1EEEvS14_.has_recursion, 0
	.set _ZN7rocprim17ROCPRIM_400000_NS6detail17trampoline_kernelINS0_14default_configENS1_22reduce_config_selectorIN6thrust23THRUST_200600_302600_NS5tupleIblNS6_9null_typeES8_S8_S8_S8_S8_S8_S8_EEEEZNS1_11reduce_implILb1ES3_NS6_12zip_iteratorINS7_INS6_11hip_rocprim26transform_input_iterator_tIbNSD_35transform_pair_of_input_iterators_tIbNS6_6detail15normal_iteratorINS6_10device_ptrIKiEEEESL_NS6_8equal_toIiEEEENSG_9not_fun_tINSD_8identityEEEEENSD_19counting_iterator_tIlEES8_S8_S8_S8_S8_S8_S8_S8_EEEEPS9_S9_NSD_9__find_if7functorIS9_EEEE10hipError_tPvRmT1_T2_T3_mT4_P12ihipStream_tbEUlT_E0_NS1_11comp_targetILNS1_3genE10ELNS1_11target_archE1200ELNS1_3gpuE4ELNS1_3repE0EEENS1_30default_config_static_selectorELNS0_4arch9wavefront6targetE1EEEvS14_.has_indirect_call, 0
	.section	.AMDGPU.csdata,"",@progbits
; Kernel info:
; codeLenInByte = 0
; TotalNumSgprs: 4
; NumVgprs: 0
; ScratchSize: 0
; MemoryBound: 0
; FloatMode: 240
; IeeeMode: 1
; LDSByteSize: 0 bytes/workgroup (compile time only)
; SGPRBlocks: 0
; VGPRBlocks: 0
; NumSGPRsForWavesPerEU: 4
; NumVGPRsForWavesPerEU: 1
; Occupancy: 10
; WaveLimiterHint : 0
; COMPUTE_PGM_RSRC2:SCRATCH_EN: 0
; COMPUTE_PGM_RSRC2:USER_SGPR: 6
; COMPUTE_PGM_RSRC2:TRAP_HANDLER: 0
; COMPUTE_PGM_RSRC2:TGID_X_EN: 1
; COMPUTE_PGM_RSRC2:TGID_Y_EN: 0
; COMPUTE_PGM_RSRC2:TGID_Z_EN: 0
; COMPUTE_PGM_RSRC2:TIDIG_COMP_CNT: 0
	.section	.text._ZN7rocprim17ROCPRIM_400000_NS6detail17trampoline_kernelINS0_14default_configENS1_22reduce_config_selectorIN6thrust23THRUST_200600_302600_NS5tupleIblNS6_9null_typeES8_S8_S8_S8_S8_S8_S8_EEEEZNS1_11reduce_implILb1ES3_NS6_12zip_iteratorINS7_INS6_11hip_rocprim26transform_input_iterator_tIbNSD_35transform_pair_of_input_iterators_tIbNS6_6detail15normal_iteratorINS6_10device_ptrIKiEEEESL_NS6_8equal_toIiEEEENSG_9not_fun_tINSD_8identityEEEEENSD_19counting_iterator_tIlEES8_S8_S8_S8_S8_S8_S8_S8_EEEEPS9_S9_NSD_9__find_if7functorIS9_EEEE10hipError_tPvRmT1_T2_T3_mT4_P12ihipStream_tbEUlT_E0_NS1_11comp_targetILNS1_3genE9ELNS1_11target_archE1100ELNS1_3gpuE3ELNS1_3repE0EEENS1_30default_config_static_selectorELNS0_4arch9wavefront6targetE1EEEvS14_,"axG",@progbits,_ZN7rocprim17ROCPRIM_400000_NS6detail17trampoline_kernelINS0_14default_configENS1_22reduce_config_selectorIN6thrust23THRUST_200600_302600_NS5tupleIblNS6_9null_typeES8_S8_S8_S8_S8_S8_S8_EEEEZNS1_11reduce_implILb1ES3_NS6_12zip_iteratorINS7_INS6_11hip_rocprim26transform_input_iterator_tIbNSD_35transform_pair_of_input_iterators_tIbNS6_6detail15normal_iteratorINS6_10device_ptrIKiEEEESL_NS6_8equal_toIiEEEENSG_9not_fun_tINSD_8identityEEEEENSD_19counting_iterator_tIlEES8_S8_S8_S8_S8_S8_S8_S8_EEEEPS9_S9_NSD_9__find_if7functorIS9_EEEE10hipError_tPvRmT1_T2_T3_mT4_P12ihipStream_tbEUlT_E0_NS1_11comp_targetILNS1_3genE9ELNS1_11target_archE1100ELNS1_3gpuE3ELNS1_3repE0EEENS1_30default_config_static_selectorELNS0_4arch9wavefront6targetE1EEEvS14_,comdat
	.protected	_ZN7rocprim17ROCPRIM_400000_NS6detail17trampoline_kernelINS0_14default_configENS1_22reduce_config_selectorIN6thrust23THRUST_200600_302600_NS5tupleIblNS6_9null_typeES8_S8_S8_S8_S8_S8_S8_EEEEZNS1_11reduce_implILb1ES3_NS6_12zip_iteratorINS7_INS6_11hip_rocprim26transform_input_iterator_tIbNSD_35transform_pair_of_input_iterators_tIbNS6_6detail15normal_iteratorINS6_10device_ptrIKiEEEESL_NS6_8equal_toIiEEEENSG_9not_fun_tINSD_8identityEEEEENSD_19counting_iterator_tIlEES8_S8_S8_S8_S8_S8_S8_S8_EEEEPS9_S9_NSD_9__find_if7functorIS9_EEEE10hipError_tPvRmT1_T2_T3_mT4_P12ihipStream_tbEUlT_E0_NS1_11comp_targetILNS1_3genE9ELNS1_11target_archE1100ELNS1_3gpuE3ELNS1_3repE0EEENS1_30default_config_static_selectorELNS0_4arch9wavefront6targetE1EEEvS14_ ; -- Begin function _ZN7rocprim17ROCPRIM_400000_NS6detail17trampoline_kernelINS0_14default_configENS1_22reduce_config_selectorIN6thrust23THRUST_200600_302600_NS5tupleIblNS6_9null_typeES8_S8_S8_S8_S8_S8_S8_EEEEZNS1_11reduce_implILb1ES3_NS6_12zip_iteratorINS7_INS6_11hip_rocprim26transform_input_iterator_tIbNSD_35transform_pair_of_input_iterators_tIbNS6_6detail15normal_iteratorINS6_10device_ptrIKiEEEESL_NS6_8equal_toIiEEEENSG_9not_fun_tINSD_8identityEEEEENSD_19counting_iterator_tIlEES8_S8_S8_S8_S8_S8_S8_S8_EEEEPS9_S9_NSD_9__find_if7functorIS9_EEEE10hipError_tPvRmT1_T2_T3_mT4_P12ihipStream_tbEUlT_E0_NS1_11comp_targetILNS1_3genE9ELNS1_11target_archE1100ELNS1_3gpuE3ELNS1_3repE0EEENS1_30default_config_static_selectorELNS0_4arch9wavefront6targetE1EEEvS14_
	.globl	_ZN7rocprim17ROCPRIM_400000_NS6detail17trampoline_kernelINS0_14default_configENS1_22reduce_config_selectorIN6thrust23THRUST_200600_302600_NS5tupleIblNS6_9null_typeES8_S8_S8_S8_S8_S8_S8_EEEEZNS1_11reduce_implILb1ES3_NS6_12zip_iteratorINS7_INS6_11hip_rocprim26transform_input_iterator_tIbNSD_35transform_pair_of_input_iterators_tIbNS6_6detail15normal_iteratorINS6_10device_ptrIKiEEEESL_NS6_8equal_toIiEEEENSG_9not_fun_tINSD_8identityEEEEENSD_19counting_iterator_tIlEES8_S8_S8_S8_S8_S8_S8_S8_EEEEPS9_S9_NSD_9__find_if7functorIS9_EEEE10hipError_tPvRmT1_T2_T3_mT4_P12ihipStream_tbEUlT_E0_NS1_11comp_targetILNS1_3genE9ELNS1_11target_archE1100ELNS1_3gpuE3ELNS1_3repE0EEENS1_30default_config_static_selectorELNS0_4arch9wavefront6targetE1EEEvS14_
	.p2align	8
	.type	_ZN7rocprim17ROCPRIM_400000_NS6detail17trampoline_kernelINS0_14default_configENS1_22reduce_config_selectorIN6thrust23THRUST_200600_302600_NS5tupleIblNS6_9null_typeES8_S8_S8_S8_S8_S8_S8_EEEEZNS1_11reduce_implILb1ES3_NS6_12zip_iteratorINS7_INS6_11hip_rocprim26transform_input_iterator_tIbNSD_35transform_pair_of_input_iterators_tIbNS6_6detail15normal_iteratorINS6_10device_ptrIKiEEEESL_NS6_8equal_toIiEEEENSG_9not_fun_tINSD_8identityEEEEENSD_19counting_iterator_tIlEES8_S8_S8_S8_S8_S8_S8_S8_EEEEPS9_S9_NSD_9__find_if7functorIS9_EEEE10hipError_tPvRmT1_T2_T3_mT4_P12ihipStream_tbEUlT_E0_NS1_11comp_targetILNS1_3genE9ELNS1_11target_archE1100ELNS1_3gpuE3ELNS1_3repE0EEENS1_30default_config_static_selectorELNS0_4arch9wavefront6targetE1EEEvS14_,@function
_ZN7rocprim17ROCPRIM_400000_NS6detail17trampoline_kernelINS0_14default_configENS1_22reduce_config_selectorIN6thrust23THRUST_200600_302600_NS5tupleIblNS6_9null_typeES8_S8_S8_S8_S8_S8_S8_EEEEZNS1_11reduce_implILb1ES3_NS6_12zip_iteratorINS7_INS6_11hip_rocprim26transform_input_iterator_tIbNSD_35transform_pair_of_input_iterators_tIbNS6_6detail15normal_iteratorINS6_10device_ptrIKiEEEESL_NS6_8equal_toIiEEEENSG_9not_fun_tINSD_8identityEEEEENSD_19counting_iterator_tIlEES8_S8_S8_S8_S8_S8_S8_S8_EEEEPS9_S9_NSD_9__find_if7functorIS9_EEEE10hipError_tPvRmT1_T2_T3_mT4_P12ihipStream_tbEUlT_E0_NS1_11comp_targetILNS1_3genE9ELNS1_11target_archE1100ELNS1_3gpuE3ELNS1_3repE0EEENS1_30default_config_static_selectorELNS0_4arch9wavefront6targetE1EEEvS14_: ; @_ZN7rocprim17ROCPRIM_400000_NS6detail17trampoline_kernelINS0_14default_configENS1_22reduce_config_selectorIN6thrust23THRUST_200600_302600_NS5tupleIblNS6_9null_typeES8_S8_S8_S8_S8_S8_S8_EEEEZNS1_11reduce_implILb1ES3_NS6_12zip_iteratorINS7_INS6_11hip_rocprim26transform_input_iterator_tIbNSD_35transform_pair_of_input_iterators_tIbNS6_6detail15normal_iteratorINS6_10device_ptrIKiEEEESL_NS6_8equal_toIiEEEENSG_9not_fun_tINSD_8identityEEEEENSD_19counting_iterator_tIlEES8_S8_S8_S8_S8_S8_S8_S8_EEEEPS9_S9_NSD_9__find_if7functorIS9_EEEE10hipError_tPvRmT1_T2_T3_mT4_P12ihipStream_tbEUlT_E0_NS1_11comp_targetILNS1_3genE9ELNS1_11target_archE1100ELNS1_3gpuE3ELNS1_3repE0EEENS1_30default_config_static_selectorELNS0_4arch9wavefront6targetE1EEEvS14_
; %bb.0:
	.section	.rodata,"a",@progbits
	.p2align	6, 0x0
	.amdhsa_kernel _ZN7rocprim17ROCPRIM_400000_NS6detail17trampoline_kernelINS0_14default_configENS1_22reduce_config_selectorIN6thrust23THRUST_200600_302600_NS5tupleIblNS6_9null_typeES8_S8_S8_S8_S8_S8_S8_EEEEZNS1_11reduce_implILb1ES3_NS6_12zip_iteratorINS7_INS6_11hip_rocprim26transform_input_iterator_tIbNSD_35transform_pair_of_input_iterators_tIbNS6_6detail15normal_iteratorINS6_10device_ptrIKiEEEESL_NS6_8equal_toIiEEEENSG_9not_fun_tINSD_8identityEEEEENSD_19counting_iterator_tIlEES8_S8_S8_S8_S8_S8_S8_S8_EEEEPS9_S9_NSD_9__find_if7functorIS9_EEEE10hipError_tPvRmT1_T2_T3_mT4_P12ihipStream_tbEUlT_E0_NS1_11comp_targetILNS1_3genE9ELNS1_11target_archE1100ELNS1_3gpuE3ELNS1_3repE0EEENS1_30default_config_static_selectorELNS0_4arch9wavefront6targetE1EEEvS14_
		.amdhsa_group_segment_fixed_size 0
		.amdhsa_private_segment_fixed_size 0
		.amdhsa_kernarg_size 104
		.amdhsa_user_sgpr_count 6
		.amdhsa_user_sgpr_private_segment_buffer 1
		.amdhsa_user_sgpr_dispatch_ptr 0
		.amdhsa_user_sgpr_queue_ptr 0
		.amdhsa_user_sgpr_kernarg_segment_ptr 1
		.amdhsa_user_sgpr_dispatch_id 0
		.amdhsa_user_sgpr_flat_scratch_init 0
		.amdhsa_user_sgpr_private_segment_size 0
		.amdhsa_uses_dynamic_stack 0
		.amdhsa_system_sgpr_private_segment_wavefront_offset 0
		.amdhsa_system_sgpr_workgroup_id_x 1
		.amdhsa_system_sgpr_workgroup_id_y 0
		.amdhsa_system_sgpr_workgroup_id_z 0
		.amdhsa_system_sgpr_workgroup_info 0
		.amdhsa_system_vgpr_workitem_id 0
		.amdhsa_next_free_vgpr 1
		.amdhsa_next_free_sgpr 0
		.amdhsa_reserve_vcc 0
		.amdhsa_reserve_flat_scratch 0
		.amdhsa_float_round_mode_32 0
		.amdhsa_float_round_mode_16_64 0
		.amdhsa_float_denorm_mode_32 3
		.amdhsa_float_denorm_mode_16_64 3
		.amdhsa_dx10_clamp 1
		.amdhsa_ieee_mode 1
		.amdhsa_fp16_overflow 0
		.amdhsa_exception_fp_ieee_invalid_op 0
		.amdhsa_exception_fp_denorm_src 0
		.amdhsa_exception_fp_ieee_div_zero 0
		.amdhsa_exception_fp_ieee_overflow 0
		.amdhsa_exception_fp_ieee_underflow 0
		.amdhsa_exception_fp_ieee_inexact 0
		.amdhsa_exception_int_div_zero 0
	.end_amdhsa_kernel
	.section	.text._ZN7rocprim17ROCPRIM_400000_NS6detail17trampoline_kernelINS0_14default_configENS1_22reduce_config_selectorIN6thrust23THRUST_200600_302600_NS5tupleIblNS6_9null_typeES8_S8_S8_S8_S8_S8_S8_EEEEZNS1_11reduce_implILb1ES3_NS6_12zip_iteratorINS7_INS6_11hip_rocprim26transform_input_iterator_tIbNSD_35transform_pair_of_input_iterators_tIbNS6_6detail15normal_iteratorINS6_10device_ptrIKiEEEESL_NS6_8equal_toIiEEEENSG_9not_fun_tINSD_8identityEEEEENSD_19counting_iterator_tIlEES8_S8_S8_S8_S8_S8_S8_S8_EEEEPS9_S9_NSD_9__find_if7functorIS9_EEEE10hipError_tPvRmT1_T2_T3_mT4_P12ihipStream_tbEUlT_E0_NS1_11comp_targetILNS1_3genE9ELNS1_11target_archE1100ELNS1_3gpuE3ELNS1_3repE0EEENS1_30default_config_static_selectorELNS0_4arch9wavefront6targetE1EEEvS14_,"axG",@progbits,_ZN7rocprim17ROCPRIM_400000_NS6detail17trampoline_kernelINS0_14default_configENS1_22reduce_config_selectorIN6thrust23THRUST_200600_302600_NS5tupleIblNS6_9null_typeES8_S8_S8_S8_S8_S8_S8_EEEEZNS1_11reduce_implILb1ES3_NS6_12zip_iteratorINS7_INS6_11hip_rocprim26transform_input_iterator_tIbNSD_35transform_pair_of_input_iterators_tIbNS6_6detail15normal_iteratorINS6_10device_ptrIKiEEEESL_NS6_8equal_toIiEEEENSG_9not_fun_tINSD_8identityEEEEENSD_19counting_iterator_tIlEES8_S8_S8_S8_S8_S8_S8_S8_EEEEPS9_S9_NSD_9__find_if7functorIS9_EEEE10hipError_tPvRmT1_T2_T3_mT4_P12ihipStream_tbEUlT_E0_NS1_11comp_targetILNS1_3genE9ELNS1_11target_archE1100ELNS1_3gpuE3ELNS1_3repE0EEENS1_30default_config_static_selectorELNS0_4arch9wavefront6targetE1EEEvS14_,comdat
.Lfunc_end475:
	.size	_ZN7rocprim17ROCPRIM_400000_NS6detail17trampoline_kernelINS0_14default_configENS1_22reduce_config_selectorIN6thrust23THRUST_200600_302600_NS5tupleIblNS6_9null_typeES8_S8_S8_S8_S8_S8_S8_EEEEZNS1_11reduce_implILb1ES3_NS6_12zip_iteratorINS7_INS6_11hip_rocprim26transform_input_iterator_tIbNSD_35transform_pair_of_input_iterators_tIbNS6_6detail15normal_iteratorINS6_10device_ptrIKiEEEESL_NS6_8equal_toIiEEEENSG_9not_fun_tINSD_8identityEEEEENSD_19counting_iterator_tIlEES8_S8_S8_S8_S8_S8_S8_S8_EEEEPS9_S9_NSD_9__find_if7functorIS9_EEEE10hipError_tPvRmT1_T2_T3_mT4_P12ihipStream_tbEUlT_E0_NS1_11comp_targetILNS1_3genE9ELNS1_11target_archE1100ELNS1_3gpuE3ELNS1_3repE0EEENS1_30default_config_static_selectorELNS0_4arch9wavefront6targetE1EEEvS14_, .Lfunc_end475-_ZN7rocprim17ROCPRIM_400000_NS6detail17trampoline_kernelINS0_14default_configENS1_22reduce_config_selectorIN6thrust23THRUST_200600_302600_NS5tupleIblNS6_9null_typeES8_S8_S8_S8_S8_S8_S8_EEEEZNS1_11reduce_implILb1ES3_NS6_12zip_iteratorINS7_INS6_11hip_rocprim26transform_input_iterator_tIbNSD_35transform_pair_of_input_iterators_tIbNS6_6detail15normal_iteratorINS6_10device_ptrIKiEEEESL_NS6_8equal_toIiEEEENSG_9not_fun_tINSD_8identityEEEEENSD_19counting_iterator_tIlEES8_S8_S8_S8_S8_S8_S8_S8_EEEEPS9_S9_NSD_9__find_if7functorIS9_EEEE10hipError_tPvRmT1_T2_T3_mT4_P12ihipStream_tbEUlT_E0_NS1_11comp_targetILNS1_3genE9ELNS1_11target_archE1100ELNS1_3gpuE3ELNS1_3repE0EEENS1_30default_config_static_selectorELNS0_4arch9wavefront6targetE1EEEvS14_
                                        ; -- End function
	.set _ZN7rocprim17ROCPRIM_400000_NS6detail17trampoline_kernelINS0_14default_configENS1_22reduce_config_selectorIN6thrust23THRUST_200600_302600_NS5tupleIblNS6_9null_typeES8_S8_S8_S8_S8_S8_S8_EEEEZNS1_11reduce_implILb1ES3_NS6_12zip_iteratorINS7_INS6_11hip_rocprim26transform_input_iterator_tIbNSD_35transform_pair_of_input_iterators_tIbNS6_6detail15normal_iteratorINS6_10device_ptrIKiEEEESL_NS6_8equal_toIiEEEENSG_9not_fun_tINSD_8identityEEEEENSD_19counting_iterator_tIlEES8_S8_S8_S8_S8_S8_S8_S8_EEEEPS9_S9_NSD_9__find_if7functorIS9_EEEE10hipError_tPvRmT1_T2_T3_mT4_P12ihipStream_tbEUlT_E0_NS1_11comp_targetILNS1_3genE9ELNS1_11target_archE1100ELNS1_3gpuE3ELNS1_3repE0EEENS1_30default_config_static_selectorELNS0_4arch9wavefront6targetE1EEEvS14_.num_vgpr, 0
	.set _ZN7rocprim17ROCPRIM_400000_NS6detail17trampoline_kernelINS0_14default_configENS1_22reduce_config_selectorIN6thrust23THRUST_200600_302600_NS5tupleIblNS6_9null_typeES8_S8_S8_S8_S8_S8_S8_EEEEZNS1_11reduce_implILb1ES3_NS6_12zip_iteratorINS7_INS6_11hip_rocprim26transform_input_iterator_tIbNSD_35transform_pair_of_input_iterators_tIbNS6_6detail15normal_iteratorINS6_10device_ptrIKiEEEESL_NS6_8equal_toIiEEEENSG_9not_fun_tINSD_8identityEEEEENSD_19counting_iterator_tIlEES8_S8_S8_S8_S8_S8_S8_S8_EEEEPS9_S9_NSD_9__find_if7functorIS9_EEEE10hipError_tPvRmT1_T2_T3_mT4_P12ihipStream_tbEUlT_E0_NS1_11comp_targetILNS1_3genE9ELNS1_11target_archE1100ELNS1_3gpuE3ELNS1_3repE0EEENS1_30default_config_static_selectorELNS0_4arch9wavefront6targetE1EEEvS14_.num_agpr, 0
	.set _ZN7rocprim17ROCPRIM_400000_NS6detail17trampoline_kernelINS0_14default_configENS1_22reduce_config_selectorIN6thrust23THRUST_200600_302600_NS5tupleIblNS6_9null_typeES8_S8_S8_S8_S8_S8_S8_EEEEZNS1_11reduce_implILb1ES3_NS6_12zip_iteratorINS7_INS6_11hip_rocprim26transform_input_iterator_tIbNSD_35transform_pair_of_input_iterators_tIbNS6_6detail15normal_iteratorINS6_10device_ptrIKiEEEESL_NS6_8equal_toIiEEEENSG_9not_fun_tINSD_8identityEEEEENSD_19counting_iterator_tIlEES8_S8_S8_S8_S8_S8_S8_S8_EEEEPS9_S9_NSD_9__find_if7functorIS9_EEEE10hipError_tPvRmT1_T2_T3_mT4_P12ihipStream_tbEUlT_E0_NS1_11comp_targetILNS1_3genE9ELNS1_11target_archE1100ELNS1_3gpuE3ELNS1_3repE0EEENS1_30default_config_static_selectorELNS0_4arch9wavefront6targetE1EEEvS14_.numbered_sgpr, 0
	.set _ZN7rocprim17ROCPRIM_400000_NS6detail17trampoline_kernelINS0_14default_configENS1_22reduce_config_selectorIN6thrust23THRUST_200600_302600_NS5tupleIblNS6_9null_typeES8_S8_S8_S8_S8_S8_S8_EEEEZNS1_11reduce_implILb1ES3_NS6_12zip_iteratorINS7_INS6_11hip_rocprim26transform_input_iterator_tIbNSD_35transform_pair_of_input_iterators_tIbNS6_6detail15normal_iteratorINS6_10device_ptrIKiEEEESL_NS6_8equal_toIiEEEENSG_9not_fun_tINSD_8identityEEEEENSD_19counting_iterator_tIlEES8_S8_S8_S8_S8_S8_S8_S8_EEEEPS9_S9_NSD_9__find_if7functorIS9_EEEE10hipError_tPvRmT1_T2_T3_mT4_P12ihipStream_tbEUlT_E0_NS1_11comp_targetILNS1_3genE9ELNS1_11target_archE1100ELNS1_3gpuE3ELNS1_3repE0EEENS1_30default_config_static_selectorELNS0_4arch9wavefront6targetE1EEEvS14_.num_named_barrier, 0
	.set _ZN7rocprim17ROCPRIM_400000_NS6detail17trampoline_kernelINS0_14default_configENS1_22reduce_config_selectorIN6thrust23THRUST_200600_302600_NS5tupleIblNS6_9null_typeES8_S8_S8_S8_S8_S8_S8_EEEEZNS1_11reduce_implILb1ES3_NS6_12zip_iteratorINS7_INS6_11hip_rocprim26transform_input_iterator_tIbNSD_35transform_pair_of_input_iterators_tIbNS6_6detail15normal_iteratorINS6_10device_ptrIKiEEEESL_NS6_8equal_toIiEEEENSG_9not_fun_tINSD_8identityEEEEENSD_19counting_iterator_tIlEES8_S8_S8_S8_S8_S8_S8_S8_EEEEPS9_S9_NSD_9__find_if7functorIS9_EEEE10hipError_tPvRmT1_T2_T3_mT4_P12ihipStream_tbEUlT_E0_NS1_11comp_targetILNS1_3genE9ELNS1_11target_archE1100ELNS1_3gpuE3ELNS1_3repE0EEENS1_30default_config_static_selectorELNS0_4arch9wavefront6targetE1EEEvS14_.private_seg_size, 0
	.set _ZN7rocprim17ROCPRIM_400000_NS6detail17trampoline_kernelINS0_14default_configENS1_22reduce_config_selectorIN6thrust23THRUST_200600_302600_NS5tupleIblNS6_9null_typeES8_S8_S8_S8_S8_S8_S8_EEEEZNS1_11reduce_implILb1ES3_NS6_12zip_iteratorINS7_INS6_11hip_rocprim26transform_input_iterator_tIbNSD_35transform_pair_of_input_iterators_tIbNS6_6detail15normal_iteratorINS6_10device_ptrIKiEEEESL_NS6_8equal_toIiEEEENSG_9not_fun_tINSD_8identityEEEEENSD_19counting_iterator_tIlEES8_S8_S8_S8_S8_S8_S8_S8_EEEEPS9_S9_NSD_9__find_if7functorIS9_EEEE10hipError_tPvRmT1_T2_T3_mT4_P12ihipStream_tbEUlT_E0_NS1_11comp_targetILNS1_3genE9ELNS1_11target_archE1100ELNS1_3gpuE3ELNS1_3repE0EEENS1_30default_config_static_selectorELNS0_4arch9wavefront6targetE1EEEvS14_.uses_vcc, 0
	.set _ZN7rocprim17ROCPRIM_400000_NS6detail17trampoline_kernelINS0_14default_configENS1_22reduce_config_selectorIN6thrust23THRUST_200600_302600_NS5tupleIblNS6_9null_typeES8_S8_S8_S8_S8_S8_S8_EEEEZNS1_11reduce_implILb1ES3_NS6_12zip_iteratorINS7_INS6_11hip_rocprim26transform_input_iterator_tIbNSD_35transform_pair_of_input_iterators_tIbNS6_6detail15normal_iteratorINS6_10device_ptrIKiEEEESL_NS6_8equal_toIiEEEENSG_9not_fun_tINSD_8identityEEEEENSD_19counting_iterator_tIlEES8_S8_S8_S8_S8_S8_S8_S8_EEEEPS9_S9_NSD_9__find_if7functorIS9_EEEE10hipError_tPvRmT1_T2_T3_mT4_P12ihipStream_tbEUlT_E0_NS1_11comp_targetILNS1_3genE9ELNS1_11target_archE1100ELNS1_3gpuE3ELNS1_3repE0EEENS1_30default_config_static_selectorELNS0_4arch9wavefront6targetE1EEEvS14_.uses_flat_scratch, 0
	.set _ZN7rocprim17ROCPRIM_400000_NS6detail17trampoline_kernelINS0_14default_configENS1_22reduce_config_selectorIN6thrust23THRUST_200600_302600_NS5tupleIblNS6_9null_typeES8_S8_S8_S8_S8_S8_S8_EEEEZNS1_11reduce_implILb1ES3_NS6_12zip_iteratorINS7_INS6_11hip_rocprim26transform_input_iterator_tIbNSD_35transform_pair_of_input_iterators_tIbNS6_6detail15normal_iteratorINS6_10device_ptrIKiEEEESL_NS6_8equal_toIiEEEENSG_9not_fun_tINSD_8identityEEEEENSD_19counting_iterator_tIlEES8_S8_S8_S8_S8_S8_S8_S8_EEEEPS9_S9_NSD_9__find_if7functorIS9_EEEE10hipError_tPvRmT1_T2_T3_mT4_P12ihipStream_tbEUlT_E0_NS1_11comp_targetILNS1_3genE9ELNS1_11target_archE1100ELNS1_3gpuE3ELNS1_3repE0EEENS1_30default_config_static_selectorELNS0_4arch9wavefront6targetE1EEEvS14_.has_dyn_sized_stack, 0
	.set _ZN7rocprim17ROCPRIM_400000_NS6detail17trampoline_kernelINS0_14default_configENS1_22reduce_config_selectorIN6thrust23THRUST_200600_302600_NS5tupleIblNS6_9null_typeES8_S8_S8_S8_S8_S8_S8_EEEEZNS1_11reduce_implILb1ES3_NS6_12zip_iteratorINS7_INS6_11hip_rocprim26transform_input_iterator_tIbNSD_35transform_pair_of_input_iterators_tIbNS6_6detail15normal_iteratorINS6_10device_ptrIKiEEEESL_NS6_8equal_toIiEEEENSG_9not_fun_tINSD_8identityEEEEENSD_19counting_iterator_tIlEES8_S8_S8_S8_S8_S8_S8_S8_EEEEPS9_S9_NSD_9__find_if7functorIS9_EEEE10hipError_tPvRmT1_T2_T3_mT4_P12ihipStream_tbEUlT_E0_NS1_11comp_targetILNS1_3genE9ELNS1_11target_archE1100ELNS1_3gpuE3ELNS1_3repE0EEENS1_30default_config_static_selectorELNS0_4arch9wavefront6targetE1EEEvS14_.has_recursion, 0
	.set _ZN7rocprim17ROCPRIM_400000_NS6detail17trampoline_kernelINS0_14default_configENS1_22reduce_config_selectorIN6thrust23THRUST_200600_302600_NS5tupleIblNS6_9null_typeES8_S8_S8_S8_S8_S8_S8_EEEEZNS1_11reduce_implILb1ES3_NS6_12zip_iteratorINS7_INS6_11hip_rocprim26transform_input_iterator_tIbNSD_35transform_pair_of_input_iterators_tIbNS6_6detail15normal_iteratorINS6_10device_ptrIKiEEEESL_NS6_8equal_toIiEEEENSG_9not_fun_tINSD_8identityEEEEENSD_19counting_iterator_tIlEES8_S8_S8_S8_S8_S8_S8_S8_EEEEPS9_S9_NSD_9__find_if7functorIS9_EEEE10hipError_tPvRmT1_T2_T3_mT4_P12ihipStream_tbEUlT_E0_NS1_11comp_targetILNS1_3genE9ELNS1_11target_archE1100ELNS1_3gpuE3ELNS1_3repE0EEENS1_30default_config_static_selectorELNS0_4arch9wavefront6targetE1EEEvS14_.has_indirect_call, 0
	.section	.AMDGPU.csdata,"",@progbits
; Kernel info:
; codeLenInByte = 0
; TotalNumSgprs: 4
; NumVgprs: 0
; ScratchSize: 0
; MemoryBound: 0
; FloatMode: 240
; IeeeMode: 1
; LDSByteSize: 0 bytes/workgroup (compile time only)
; SGPRBlocks: 0
; VGPRBlocks: 0
; NumSGPRsForWavesPerEU: 4
; NumVGPRsForWavesPerEU: 1
; Occupancy: 10
; WaveLimiterHint : 0
; COMPUTE_PGM_RSRC2:SCRATCH_EN: 0
; COMPUTE_PGM_RSRC2:USER_SGPR: 6
; COMPUTE_PGM_RSRC2:TRAP_HANDLER: 0
; COMPUTE_PGM_RSRC2:TGID_X_EN: 1
; COMPUTE_PGM_RSRC2:TGID_Y_EN: 0
; COMPUTE_PGM_RSRC2:TGID_Z_EN: 0
; COMPUTE_PGM_RSRC2:TIDIG_COMP_CNT: 0
	.section	.text._ZN7rocprim17ROCPRIM_400000_NS6detail17trampoline_kernelINS0_14default_configENS1_22reduce_config_selectorIN6thrust23THRUST_200600_302600_NS5tupleIblNS6_9null_typeES8_S8_S8_S8_S8_S8_S8_EEEEZNS1_11reduce_implILb1ES3_NS6_12zip_iteratorINS7_INS6_11hip_rocprim26transform_input_iterator_tIbNSD_35transform_pair_of_input_iterators_tIbNS6_6detail15normal_iteratorINS6_10device_ptrIKiEEEESL_NS6_8equal_toIiEEEENSG_9not_fun_tINSD_8identityEEEEENSD_19counting_iterator_tIlEES8_S8_S8_S8_S8_S8_S8_S8_EEEEPS9_S9_NSD_9__find_if7functorIS9_EEEE10hipError_tPvRmT1_T2_T3_mT4_P12ihipStream_tbEUlT_E0_NS1_11comp_targetILNS1_3genE8ELNS1_11target_archE1030ELNS1_3gpuE2ELNS1_3repE0EEENS1_30default_config_static_selectorELNS0_4arch9wavefront6targetE1EEEvS14_,"axG",@progbits,_ZN7rocprim17ROCPRIM_400000_NS6detail17trampoline_kernelINS0_14default_configENS1_22reduce_config_selectorIN6thrust23THRUST_200600_302600_NS5tupleIblNS6_9null_typeES8_S8_S8_S8_S8_S8_S8_EEEEZNS1_11reduce_implILb1ES3_NS6_12zip_iteratorINS7_INS6_11hip_rocprim26transform_input_iterator_tIbNSD_35transform_pair_of_input_iterators_tIbNS6_6detail15normal_iteratorINS6_10device_ptrIKiEEEESL_NS6_8equal_toIiEEEENSG_9not_fun_tINSD_8identityEEEEENSD_19counting_iterator_tIlEES8_S8_S8_S8_S8_S8_S8_S8_EEEEPS9_S9_NSD_9__find_if7functorIS9_EEEE10hipError_tPvRmT1_T2_T3_mT4_P12ihipStream_tbEUlT_E0_NS1_11comp_targetILNS1_3genE8ELNS1_11target_archE1030ELNS1_3gpuE2ELNS1_3repE0EEENS1_30default_config_static_selectorELNS0_4arch9wavefront6targetE1EEEvS14_,comdat
	.protected	_ZN7rocprim17ROCPRIM_400000_NS6detail17trampoline_kernelINS0_14default_configENS1_22reduce_config_selectorIN6thrust23THRUST_200600_302600_NS5tupleIblNS6_9null_typeES8_S8_S8_S8_S8_S8_S8_EEEEZNS1_11reduce_implILb1ES3_NS6_12zip_iteratorINS7_INS6_11hip_rocprim26transform_input_iterator_tIbNSD_35transform_pair_of_input_iterators_tIbNS6_6detail15normal_iteratorINS6_10device_ptrIKiEEEESL_NS6_8equal_toIiEEEENSG_9not_fun_tINSD_8identityEEEEENSD_19counting_iterator_tIlEES8_S8_S8_S8_S8_S8_S8_S8_EEEEPS9_S9_NSD_9__find_if7functorIS9_EEEE10hipError_tPvRmT1_T2_T3_mT4_P12ihipStream_tbEUlT_E0_NS1_11comp_targetILNS1_3genE8ELNS1_11target_archE1030ELNS1_3gpuE2ELNS1_3repE0EEENS1_30default_config_static_selectorELNS0_4arch9wavefront6targetE1EEEvS14_ ; -- Begin function _ZN7rocprim17ROCPRIM_400000_NS6detail17trampoline_kernelINS0_14default_configENS1_22reduce_config_selectorIN6thrust23THRUST_200600_302600_NS5tupleIblNS6_9null_typeES8_S8_S8_S8_S8_S8_S8_EEEEZNS1_11reduce_implILb1ES3_NS6_12zip_iteratorINS7_INS6_11hip_rocprim26transform_input_iterator_tIbNSD_35transform_pair_of_input_iterators_tIbNS6_6detail15normal_iteratorINS6_10device_ptrIKiEEEESL_NS6_8equal_toIiEEEENSG_9not_fun_tINSD_8identityEEEEENSD_19counting_iterator_tIlEES8_S8_S8_S8_S8_S8_S8_S8_EEEEPS9_S9_NSD_9__find_if7functorIS9_EEEE10hipError_tPvRmT1_T2_T3_mT4_P12ihipStream_tbEUlT_E0_NS1_11comp_targetILNS1_3genE8ELNS1_11target_archE1030ELNS1_3gpuE2ELNS1_3repE0EEENS1_30default_config_static_selectorELNS0_4arch9wavefront6targetE1EEEvS14_
	.globl	_ZN7rocprim17ROCPRIM_400000_NS6detail17trampoline_kernelINS0_14default_configENS1_22reduce_config_selectorIN6thrust23THRUST_200600_302600_NS5tupleIblNS6_9null_typeES8_S8_S8_S8_S8_S8_S8_EEEEZNS1_11reduce_implILb1ES3_NS6_12zip_iteratorINS7_INS6_11hip_rocprim26transform_input_iterator_tIbNSD_35transform_pair_of_input_iterators_tIbNS6_6detail15normal_iteratorINS6_10device_ptrIKiEEEESL_NS6_8equal_toIiEEEENSG_9not_fun_tINSD_8identityEEEEENSD_19counting_iterator_tIlEES8_S8_S8_S8_S8_S8_S8_S8_EEEEPS9_S9_NSD_9__find_if7functorIS9_EEEE10hipError_tPvRmT1_T2_T3_mT4_P12ihipStream_tbEUlT_E0_NS1_11comp_targetILNS1_3genE8ELNS1_11target_archE1030ELNS1_3gpuE2ELNS1_3repE0EEENS1_30default_config_static_selectorELNS0_4arch9wavefront6targetE1EEEvS14_
	.p2align	8
	.type	_ZN7rocprim17ROCPRIM_400000_NS6detail17trampoline_kernelINS0_14default_configENS1_22reduce_config_selectorIN6thrust23THRUST_200600_302600_NS5tupleIblNS6_9null_typeES8_S8_S8_S8_S8_S8_S8_EEEEZNS1_11reduce_implILb1ES3_NS6_12zip_iteratorINS7_INS6_11hip_rocprim26transform_input_iterator_tIbNSD_35transform_pair_of_input_iterators_tIbNS6_6detail15normal_iteratorINS6_10device_ptrIKiEEEESL_NS6_8equal_toIiEEEENSG_9not_fun_tINSD_8identityEEEEENSD_19counting_iterator_tIlEES8_S8_S8_S8_S8_S8_S8_S8_EEEEPS9_S9_NSD_9__find_if7functorIS9_EEEE10hipError_tPvRmT1_T2_T3_mT4_P12ihipStream_tbEUlT_E0_NS1_11comp_targetILNS1_3genE8ELNS1_11target_archE1030ELNS1_3gpuE2ELNS1_3repE0EEENS1_30default_config_static_selectorELNS0_4arch9wavefront6targetE1EEEvS14_,@function
_ZN7rocprim17ROCPRIM_400000_NS6detail17trampoline_kernelINS0_14default_configENS1_22reduce_config_selectorIN6thrust23THRUST_200600_302600_NS5tupleIblNS6_9null_typeES8_S8_S8_S8_S8_S8_S8_EEEEZNS1_11reduce_implILb1ES3_NS6_12zip_iteratorINS7_INS6_11hip_rocprim26transform_input_iterator_tIbNSD_35transform_pair_of_input_iterators_tIbNS6_6detail15normal_iteratorINS6_10device_ptrIKiEEEESL_NS6_8equal_toIiEEEENSG_9not_fun_tINSD_8identityEEEEENSD_19counting_iterator_tIlEES8_S8_S8_S8_S8_S8_S8_S8_EEEEPS9_S9_NSD_9__find_if7functorIS9_EEEE10hipError_tPvRmT1_T2_T3_mT4_P12ihipStream_tbEUlT_E0_NS1_11comp_targetILNS1_3genE8ELNS1_11target_archE1030ELNS1_3gpuE2ELNS1_3repE0EEENS1_30default_config_static_selectorELNS0_4arch9wavefront6targetE1EEEvS14_: ; @_ZN7rocprim17ROCPRIM_400000_NS6detail17trampoline_kernelINS0_14default_configENS1_22reduce_config_selectorIN6thrust23THRUST_200600_302600_NS5tupleIblNS6_9null_typeES8_S8_S8_S8_S8_S8_S8_EEEEZNS1_11reduce_implILb1ES3_NS6_12zip_iteratorINS7_INS6_11hip_rocprim26transform_input_iterator_tIbNSD_35transform_pair_of_input_iterators_tIbNS6_6detail15normal_iteratorINS6_10device_ptrIKiEEEESL_NS6_8equal_toIiEEEENSG_9not_fun_tINSD_8identityEEEEENSD_19counting_iterator_tIlEES8_S8_S8_S8_S8_S8_S8_S8_EEEEPS9_S9_NSD_9__find_if7functorIS9_EEEE10hipError_tPvRmT1_T2_T3_mT4_P12ihipStream_tbEUlT_E0_NS1_11comp_targetILNS1_3genE8ELNS1_11target_archE1030ELNS1_3gpuE2ELNS1_3repE0EEENS1_30default_config_static_selectorELNS0_4arch9wavefront6targetE1EEEvS14_
; %bb.0:
	.section	.rodata,"a",@progbits
	.p2align	6, 0x0
	.amdhsa_kernel _ZN7rocprim17ROCPRIM_400000_NS6detail17trampoline_kernelINS0_14default_configENS1_22reduce_config_selectorIN6thrust23THRUST_200600_302600_NS5tupleIblNS6_9null_typeES8_S8_S8_S8_S8_S8_S8_EEEEZNS1_11reduce_implILb1ES3_NS6_12zip_iteratorINS7_INS6_11hip_rocprim26transform_input_iterator_tIbNSD_35transform_pair_of_input_iterators_tIbNS6_6detail15normal_iteratorINS6_10device_ptrIKiEEEESL_NS6_8equal_toIiEEEENSG_9not_fun_tINSD_8identityEEEEENSD_19counting_iterator_tIlEES8_S8_S8_S8_S8_S8_S8_S8_EEEEPS9_S9_NSD_9__find_if7functorIS9_EEEE10hipError_tPvRmT1_T2_T3_mT4_P12ihipStream_tbEUlT_E0_NS1_11comp_targetILNS1_3genE8ELNS1_11target_archE1030ELNS1_3gpuE2ELNS1_3repE0EEENS1_30default_config_static_selectorELNS0_4arch9wavefront6targetE1EEEvS14_
		.amdhsa_group_segment_fixed_size 0
		.amdhsa_private_segment_fixed_size 0
		.amdhsa_kernarg_size 104
		.amdhsa_user_sgpr_count 6
		.amdhsa_user_sgpr_private_segment_buffer 1
		.amdhsa_user_sgpr_dispatch_ptr 0
		.amdhsa_user_sgpr_queue_ptr 0
		.amdhsa_user_sgpr_kernarg_segment_ptr 1
		.amdhsa_user_sgpr_dispatch_id 0
		.amdhsa_user_sgpr_flat_scratch_init 0
		.amdhsa_user_sgpr_private_segment_size 0
		.amdhsa_uses_dynamic_stack 0
		.amdhsa_system_sgpr_private_segment_wavefront_offset 0
		.amdhsa_system_sgpr_workgroup_id_x 1
		.amdhsa_system_sgpr_workgroup_id_y 0
		.amdhsa_system_sgpr_workgroup_id_z 0
		.amdhsa_system_sgpr_workgroup_info 0
		.amdhsa_system_vgpr_workitem_id 0
		.amdhsa_next_free_vgpr 1
		.amdhsa_next_free_sgpr 0
		.amdhsa_reserve_vcc 0
		.amdhsa_reserve_flat_scratch 0
		.amdhsa_float_round_mode_32 0
		.amdhsa_float_round_mode_16_64 0
		.amdhsa_float_denorm_mode_32 3
		.amdhsa_float_denorm_mode_16_64 3
		.amdhsa_dx10_clamp 1
		.amdhsa_ieee_mode 1
		.amdhsa_fp16_overflow 0
		.amdhsa_exception_fp_ieee_invalid_op 0
		.amdhsa_exception_fp_denorm_src 0
		.amdhsa_exception_fp_ieee_div_zero 0
		.amdhsa_exception_fp_ieee_overflow 0
		.amdhsa_exception_fp_ieee_underflow 0
		.amdhsa_exception_fp_ieee_inexact 0
		.amdhsa_exception_int_div_zero 0
	.end_amdhsa_kernel
	.section	.text._ZN7rocprim17ROCPRIM_400000_NS6detail17trampoline_kernelINS0_14default_configENS1_22reduce_config_selectorIN6thrust23THRUST_200600_302600_NS5tupleIblNS6_9null_typeES8_S8_S8_S8_S8_S8_S8_EEEEZNS1_11reduce_implILb1ES3_NS6_12zip_iteratorINS7_INS6_11hip_rocprim26transform_input_iterator_tIbNSD_35transform_pair_of_input_iterators_tIbNS6_6detail15normal_iteratorINS6_10device_ptrIKiEEEESL_NS6_8equal_toIiEEEENSG_9not_fun_tINSD_8identityEEEEENSD_19counting_iterator_tIlEES8_S8_S8_S8_S8_S8_S8_S8_EEEEPS9_S9_NSD_9__find_if7functorIS9_EEEE10hipError_tPvRmT1_T2_T3_mT4_P12ihipStream_tbEUlT_E0_NS1_11comp_targetILNS1_3genE8ELNS1_11target_archE1030ELNS1_3gpuE2ELNS1_3repE0EEENS1_30default_config_static_selectorELNS0_4arch9wavefront6targetE1EEEvS14_,"axG",@progbits,_ZN7rocprim17ROCPRIM_400000_NS6detail17trampoline_kernelINS0_14default_configENS1_22reduce_config_selectorIN6thrust23THRUST_200600_302600_NS5tupleIblNS6_9null_typeES8_S8_S8_S8_S8_S8_S8_EEEEZNS1_11reduce_implILb1ES3_NS6_12zip_iteratorINS7_INS6_11hip_rocprim26transform_input_iterator_tIbNSD_35transform_pair_of_input_iterators_tIbNS6_6detail15normal_iteratorINS6_10device_ptrIKiEEEESL_NS6_8equal_toIiEEEENSG_9not_fun_tINSD_8identityEEEEENSD_19counting_iterator_tIlEES8_S8_S8_S8_S8_S8_S8_S8_EEEEPS9_S9_NSD_9__find_if7functorIS9_EEEE10hipError_tPvRmT1_T2_T3_mT4_P12ihipStream_tbEUlT_E0_NS1_11comp_targetILNS1_3genE8ELNS1_11target_archE1030ELNS1_3gpuE2ELNS1_3repE0EEENS1_30default_config_static_selectorELNS0_4arch9wavefront6targetE1EEEvS14_,comdat
.Lfunc_end476:
	.size	_ZN7rocprim17ROCPRIM_400000_NS6detail17trampoline_kernelINS0_14default_configENS1_22reduce_config_selectorIN6thrust23THRUST_200600_302600_NS5tupleIblNS6_9null_typeES8_S8_S8_S8_S8_S8_S8_EEEEZNS1_11reduce_implILb1ES3_NS6_12zip_iteratorINS7_INS6_11hip_rocprim26transform_input_iterator_tIbNSD_35transform_pair_of_input_iterators_tIbNS6_6detail15normal_iteratorINS6_10device_ptrIKiEEEESL_NS6_8equal_toIiEEEENSG_9not_fun_tINSD_8identityEEEEENSD_19counting_iterator_tIlEES8_S8_S8_S8_S8_S8_S8_S8_EEEEPS9_S9_NSD_9__find_if7functorIS9_EEEE10hipError_tPvRmT1_T2_T3_mT4_P12ihipStream_tbEUlT_E0_NS1_11comp_targetILNS1_3genE8ELNS1_11target_archE1030ELNS1_3gpuE2ELNS1_3repE0EEENS1_30default_config_static_selectorELNS0_4arch9wavefront6targetE1EEEvS14_, .Lfunc_end476-_ZN7rocprim17ROCPRIM_400000_NS6detail17trampoline_kernelINS0_14default_configENS1_22reduce_config_selectorIN6thrust23THRUST_200600_302600_NS5tupleIblNS6_9null_typeES8_S8_S8_S8_S8_S8_S8_EEEEZNS1_11reduce_implILb1ES3_NS6_12zip_iteratorINS7_INS6_11hip_rocprim26transform_input_iterator_tIbNSD_35transform_pair_of_input_iterators_tIbNS6_6detail15normal_iteratorINS6_10device_ptrIKiEEEESL_NS6_8equal_toIiEEEENSG_9not_fun_tINSD_8identityEEEEENSD_19counting_iterator_tIlEES8_S8_S8_S8_S8_S8_S8_S8_EEEEPS9_S9_NSD_9__find_if7functorIS9_EEEE10hipError_tPvRmT1_T2_T3_mT4_P12ihipStream_tbEUlT_E0_NS1_11comp_targetILNS1_3genE8ELNS1_11target_archE1030ELNS1_3gpuE2ELNS1_3repE0EEENS1_30default_config_static_selectorELNS0_4arch9wavefront6targetE1EEEvS14_
                                        ; -- End function
	.set _ZN7rocprim17ROCPRIM_400000_NS6detail17trampoline_kernelINS0_14default_configENS1_22reduce_config_selectorIN6thrust23THRUST_200600_302600_NS5tupleIblNS6_9null_typeES8_S8_S8_S8_S8_S8_S8_EEEEZNS1_11reduce_implILb1ES3_NS6_12zip_iteratorINS7_INS6_11hip_rocprim26transform_input_iterator_tIbNSD_35transform_pair_of_input_iterators_tIbNS6_6detail15normal_iteratorINS6_10device_ptrIKiEEEESL_NS6_8equal_toIiEEEENSG_9not_fun_tINSD_8identityEEEEENSD_19counting_iterator_tIlEES8_S8_S8_S8_S8_S8_S8_S8_EEEEPS9_S9_NSD_9__find_if7functorIS9_EEEE10hipError_tPvRmT1_T2_T3_mT4_P12ihipStream_tbEUlT_E0_NS1_11comp_targetILNS1_3genE8ELNS1_11target_archE1030ELNS1_3gpuE2ELNS1_3repE0EEENS1_30default_config_static_selectorELNS0_4arch9wavefront6targetE1EEEvS14_.num_vgpr, 0
	.set _ZN7rocprim17ROCPRIM_400000_NS6detail17trampoline_kernelINS0_14default_configENS1_22reduce_config_selectorIN6thrust23THRUST_200600_302600_NS5tupleIblNS6_9null_typeES8_S8_S8_S8_S8_S8_S8_EEEEZNS1_11reduce_implILb1ES3_NS6_12zip_iteratorINS7_INS6_11hip_rocprim26transform_input_iterator_tIbNSD_35transform_pair_of_input_iterators_tIbNS6_6detail15normal_iteratorINS6_10device_ptrIKiEEEESL_NS6_8equal_toIiEEEENSG_9not_fun_tINSD_8identityEEEEENSD_19counting_iterator_tIlEES8_S8_S8_S8_S8_S8_S8_S8_EEEEPS9_S9_NSD_9__find_if7functorIS9_EEEE10hipError_tPvRmT1_T2_T3_mT4_P12ihipStream_tbEUlT_E0_NS1_11comp_targetILNS1_3genE8ELNS1_11target_archE1030ELNS1_3gpuE2ELNS1_3repE0EEENS1_30default_config_static_selectorELNS0_4arch9wavefront6targetE1EEEvS14_.num_agpr, 0
	.set _ZN7rocprim17ROCPRIM_400000_NS6detail17trampoline_kernelINS0_14default_configENS1_22reduce_config_selectorIN6thrust23THRUST_200600_302600_NS5tupleIblNS6_9null_typeES8_S8_S8_S8_S8_S8_S8_EEEEZNS1_11reduce_implILb1ES3_NS6_12zip_iteratorINS7_INS6_11hip_rocprim26transform_input_iterator_tIbNSD_35transform_pair_of_input_iterators_tIbNS6_6detail15normal_iteratorINS6_10device_ptrIKiEEEESL_NS6_8equal_toIiEEEENSG_9not_fun_tINSD_8identityEEEEENSD_19counting_iterator_tIlEES8_S8_S8_S8_S8_S8_S8_S8_EEEEPS9_S9_NSD_9__find_if7functorIS9_EEEE10hipError_tPvRmT1_T2_T3_mT4_P12ihipStream_tbEUlT_E0_NS1_11comp_targetILNS1_3genE8ELNS1_11target_archE1030ELNS1_3gpuE2ELNS1_3repE0EEENS1_30default_config_static_selectorELNS0_4arch9wavefront6targetE1EEEvS14_.numbered_sgpr, 0
	.set _ZN7rocprim17ROCPRIM_400000_NS6detail17trampoline_kernelINS0_14default_configENS1_22reduce_config_selectorIN6thrust23THRUST_200600_302600_NS5tupleIblNS6_9null_typeES8_S8_S8_S8_S8_S8_S8_EEEEZNS1_11reduce_implILb1ES3_NS6_12zip_iteratorINS7_INS6_11hip_rocprim26transform_input_iterator_tIbNSD_35transform_pair_of_input_iterators_tIbNS6_6detail15normal_iteratorINS6_10device_ptrIKiEEEESL_NS6_8equal_toIiEEEENSG_9not_fun_tINSD_8identityEEEEENSD_19counting_iterator_tIlEES8_S8_S8_S8_S8_S8_S8_S8_EEEEPS9_S9_NSD_9__find_if7functorIS9_EEEE10hipError_tPvRmT1_T2_T3_mT4_P12ihipStream_tbEUlT_E0_NS1_11comp_targetILNS1_3genE8ELNS1_11target_archE1030ELNS1_3gpuE2ELNS1_3repE0EEENS1_30default_config_static_selectorELNS0_4arch9wavefront6targetE1EEEvS14_.num_named_barrier, 0
	.set _ZN7rocprim17ROCPRIM_400000_NS6detail17trampoline_kernelINS0_14default_configENS1_22reduce_config_selectorIN6thrust23THRUST_200600_302600_NS5tupleIblNS6_9null_typeES8_S8_S8_S8_S8_S8_S8_EEEEZNS1_11reduce_implILb1ES3_NS6_12zip_iteratorINS7_INS6_11hip_rocprim26transform_input_iterator_tIbNSD_35transform_pair_of_input_iterators_tIbNS6_6detail15normal_iteratorINS6_10device_ptrIKiEEEESL_NS6_8equal_toIiEEEENSG_9not_fun_tINSD_8identityEEEEENSD_19counting_iterator_tIlEES8_S8_S8_S8_S8_S8_S8_S8_EEEEPS9_S9_NSD_9__find_if7functorIS9_EEEE10hipError_tPvRmT1_T2_T3_mT4_P12ihipStream_tbEUlT_E0_NS1_11comp_targetILNS1_3genE8ELNS1_11target_archE1030ELNS1_3gpuE2ELNS1_3repE0EEENS1_30default_config_static_selectorELNS0_4arch9wavefront6targetE1EEEvS14_.private_seg_size, 0
	.set _ZN7rocprim17ROCPRIM_400000_NS6detail17trampoline_kernelINS0_14default_configENS1_22reduce_config_selectorIN6thrust23THRUST_200600_302600_NS5tupleIblNS6_9null_typeES8_S8_S8_S8_S8_S8_S8_EEEEZNS1_11reduce_implILb1ES3_NS6_12zip_iteratorINS7_INS6_11hip_rocprim26transform_input_iterator_tIbNSD_35transform_pair_of_input_iterators_tIbNS6_6detail15normal_iteratorINS6_10device_ptrIKiEEEESL_NS6_8equal_toIiEEEENSG_9not_fun_tINSD_8identityEEEEENSD_19counting_iterator_tIlEES8_S8_S8_S8_S8_S8_S8_S8_EEEEPS9_S9_NSD_9__find_if7functorIS9_EEEE10hipError_tPvRmT1_T2_T3_mT4_P12ihipStream_tbEUlT_E0_NS1_11comp_targetILNS1_3genE8ELNS1_11target_archE1030ELNS1_3gpuE2ELNS1_3repE0EEENS1_30default_config_static_selectorELNS0_4arch9wavefront6targetE1EEEvS14_.uses_vcc, 0
	.set _ZN7rocprim17ROCPRIM_400000_NS6detail17trampoline_kernelINS0_14default_configENS1_22reduce_config_selectorIN6thrust23THRUST_200600_302600_NS5tupleIblNS6_9null_typeES8_S8_S8_S8_S8_S8_S8_EEEEZNS1_11reduce_implILb1ES3_NS6_12zip_iteratorINS7_INS6_11hip_rocprim26transform_input_iterator_tIbNSD_35transform_pair_of_input_iterators_tIbNS6_6detail15normal_iteratorINS6_10device_ptrIKiEEEESL_NS6_8equal_toIiEEEENSG_9not_fun_tINSD_8identityEEEEENSD_19counting_iterator_tIlEES8_S8_S8_S8_S8_S8_S8_S8_EEEEPS9_S9_NSD_9__find_if7functorIS9_EEEE10hipError_tPvRmT1_T2_T3_mT4_P12ihipStream_tbEUlT_E0_NS1_11comp_targetILNS1_3genE8ELNS1_11target_archE1030ELNS1_3gpuE2ELNS1_3repE0EEENS1_30default_config_static_selectorELNS0_4arch9wavefront6targetE1EEEvS14_.uses_flat_scratch, 0
	.set _ZN7rocprim17ROCPRIM_400000_NS6detail17trampoline_kernelINS0_14default_configENS1_22reduce_config_selectorIN6thrust23THRUST_200600_302600_NS5tupleIblNS6_9null_typeES8_S8_S8_S8_S8_S8_S8_EEEEZNS1_11reduce_implILb1ES3_NS6_12zip_iteratorINS7_INS6_11hip_rocprim26transform_input_iterator_tIbNSD_35transform_pair_of_input_iterators_tIbNS6_6detail15normal_iteratorINS6_10device_ptrIKiEEEESL_NS6_8equal_toIiEEEENSG_9not_fun_tINSD_8identityEEEEENSD_19counting_iterator_tIlEES8_S8_S8_S8_S8_S8_S8_S8_EEEEPS9_S9_NSD_9__find_if7functorIS9_EEEE10hipError_tPvRmT1_T2_T3_mT4_P12ihipStream_tbEUlT_E0_NS1_11comp_targetILNS1_3genE8ELNS1_11target_archE1030ELNS1_3gpuE2ELNS1_3repE0EEENS1_30default_config_static_selectorELNS0_4arch9wavefront6targetE1EEEvS14_.has_dyn_sized_stack, 0
	.set _ZN7rocprim17ROCPRIM_400000_NS6detail17trampoline_kernelINS0_14default_configENS1_22reduce_config_selectorIN6thrust23THRUST_200600_302600_NS5tupleIblNS6_9null_typeES8_S8_S8_S8_S8_S8_S8_EEEEZNS1_11reduce_implILb1ES3_NS6_12zip_iteratorINS7_INS6_11hip_rocprim26transform_input_iterator_tIbNSD_35transform_pair_of_input_iterators_tIbNS6_6detail15normal_iteratorINS6_10device_ptrIKiEEEESL_NS6_8equal_toIiEEEENSG_9not_fun_tINSD_8identityEEEEENSD_19counting_iterator_tIlEES8_S8_S8_S8_S8_S8_S8_S8_EEEEPS9_S9_NSD_9__find_if7functorIS9_EEEE10hipError_tPvRmT1_T2_T3_mT4_P12ihipStream_tbEUlT_E0_NS1_11comp_targetILNS1_3genE8ELNS1_11target_archE1030ELNS1_3gpuE2ELNS1_3repE0EEENS1_30default_config_static_selectorELNS0_4arch9wavefront6targetE1EEEvS14_.has_recursion, 0
	.set _ZN7rocprim17ROCPRIM_400000_NS6detail17trampoline_kernelINS0_14default_configENS1_22reduce_config_selectorIN6thrust23THRUST_200600_302600_NS5tupleIblNS6_9null_typeES8_S8_S8_S8_S8_S8_S8_EEEEZNS1_11reduce_implILb1ES3_NS6_12zip_iteratorINS7_INS6_11hip_rocprim26transform_input_iterator_tIbNSD_35transform_pair_of_input_iterators_tIbNS6_6detail15normal_iteratorINS6_10device_ptrIKiEEEESL_NS6_8equal_toIiEEEENSG_9not_fun_tINSD_8identityEEEEENSD_19counting_iterator_tIlEES8_S8_S8_S8_S8_S8_S8_S8_EEEEPS9_S9_NSD_9__find_if7functorIS9_EEEE10hipError_tPvRmT1_T2_T3_mT4_P12ihipStream_tbEUlT_E0_NS1_11comp_targetILNS1_3genE8ELNS1_11target_archE1030ELNS1_3gpuE2ELNS1_3repE0EEENS1_30default_config_static_selectorELNS0_4arch9wavefront6targetE1EEEvS14_.has_indirect_call, 0
	.section	.AMDGPU.csdata,"",@progbits
; Kernel info:
; codeLenInByte = 0
; TotalNumSgprs: 4
; NumVgprs: 0
; ScratchSize: 0
; MemoryBound: 0
; FloatMode: 240
; IeeeMode: 1
; LDSByteSize: 0 bytes/workgroup (compile time only)
; SGPRBlocks: 0
; VGPRBlocks: 0
; NumSGPRsForWavesPerEU: 4
; NumVGPRsForWavesPerEU: 1
; Occupancy: 10
; WaveLimiterHint : 0
; COMPUTE_PGM_RSRC2:SCRATCH_EN: 0
; COMPUTE_PGM_RSRC2:USER_SGPR: 6
; COMPUTE_PGM_RSRC2:TRAP_HANDLER: 0
; COMPUTE_PGM_RSRC2:TGID_X_EN: 1
; COMPUTE_PGM_RSRC2:TGID_Y_EN: 0
; COMPUTE_PGM_RSRC2:TGID_Z_EN: 0
; COMPUTE_PGM_RSRC2:TIDIG_COMP_CNT: 0
	.section	.text._ZN7rocprim17ROCPRIM_400000_NS6detail17trampoline_kernelINS0_14default_configENS1_22reduce_config_selectorIN6thrust23THRUST_200600_302600_NS5tupleIblNS6_9null_typeES8_S8_S8_S8_S8_S8_S8_EEEEZNS1_11reduce_implILb1ES3_NS6_12zip_iteratorINS7_INS6_11hip_rocprim26transform_input_iterator_tIbNSD_35transform_pair_of_input_iterators_tIbNS6_6detail15normal_iteratorINS6_10device_ptrIKiEEEESL_NS6_8equal_toIiEEEENSG_9not_fun_tINSD_8identityEEEEENSD_19counting_iterator_tIlEES8_S8_S8_S8_S8_S8_S8_S8_EEEEPS9_S9_NSD_9__find_if7functorIS9_EEEE10hipError_tPvRmT1_T2_T3_mT4_P12ihipStream_tbEUlT_E1_NS1_11comp_targetILNS1_3genE0ELNS1_11target_archE4294967295ELNS1_3gpuE0ELNS1_3repE0EEENS1_30default_config_static_selectorELNS0_4arch9wavefront6targetE1EEEvS14_,"axG",@progbits,_ZN7rocprim17ROCPRIM_400000_NS6detail17trampoline_kernelINS0_14default_configENS1_22reduce_config_selectorIN6thrust23THRUST_200600_302600_NS5tupleIblNS6_9null_typeES8_S8_S8_S8_S8_S8_S8_EEEEZNS1_11reduce_implILb1ES3_NS6_12zip_iteratorINS7_INS6_11hip_rocprim26transform_input_iterator_tIbNSD_35transform_pair_of_input_iterators_tIbNS6_6detail15normal_iteratorINS6_10device_ptrIKiEEEESL_NS6_8equal_toIiEEEENSG_9not_fun_tINSD_8identityEEEEENSD_19counting_iterator_tIlEES8_S8_S8_S8_S8_S8_S8_S8_EEEEPS9_S9_NSD_9__find_if7functorIS9_EEEE10hipError_tPvRmT1_T2_T3_mT4_P12ihipStream_tbEUlT_E1_NS1_11comp_targetILNS1_3genE0ELNS1_11target_archE4294967295ELNS1_3gpuE0ELNS1_3repE0EEENS1_30default_config_static_selectorELNS0_4arch9wavefront6targetE1EEEvS14_,comdat
	.protected	_ZN7rocprim17ROCPRIM_400000_NS6detail17trampoline_kernelINS0_14default_configENS1_22reduce_config_selectorIN6thrust23THRUST_200600_302600_NS5tupleIblNS6_9null_typeES8_S8_S8_S8_S8_S8_S8_EEEEZNS1_11reduce_implILb1ES3_NS6_12zip_iteratorINS7_INS6_11hip_rocprim26transform_input_iterator_tIbNSD_35transform_pair_of_input_iterators_tIbNS6_6detail15normal_iteratorINS6_10device_ptrIKiEEEESL_NS6_8equal_toIiEEEENSG_9not_fun_tINSD_8identityEEEEENSD_19counting_iterator_tIlEES8_S8_S8_S8_S8_S8_S8_S8_EEEEPS9_S9_NSD_9__find_if7functorIS9_EEEE10hipError_tPvRmT1_T2_T3_mT4_P12ihipStream_tbEUlT_E1_NS1_11comp_targetILNS1_3genE0ELNS1_11target_archE4294967295ELNS1_3gpuE0ELNS1_3repE0EEENS1_30default_config_static_selectorELNS0_4arch9wavefront6targetE1EEEvS14_ ; -- Begin function _ZN7rocprim17ROCPRIM_400000_NS6detail17trampoline_kernelINS0_14default_configENS1_22reduce_config_selectorIN6thrust23THRUST_200600_302600_NS5tupleIblNS6_9null_typeES8_S8_S8_S8_S8_S8_S8_EEEEZNS1_11reduce_implILb1ES3_NS6_12zip_iteratorINS7_INS6_11hip_rocprim26transform_input_iterator_tIbNSD_35transform_pair_of_input_iterators_tIbNS6_6detail15normal_iteratorINS6_10device_ptrIKiEEEESL_NS6_8equal_toIiEEEENSG_9not_fun_tINSD_8identityEEEEENSD_19counting_iterator_tIlEES8_S8_S8_S8_S8_S8_S8_S8_EEEEPS9_S9_NSD_9__find_if7functorIS9_EEEE10hipError_tPvRmT1_T2_T3_mT4_P12ihipStream_tbEUlT_E1_NS1_11comp_targetILNS1_3genE0ELNS1_11target_archE4294967295ELNS1_3gpuE0ELNS1_3repE0EEENS1_30default_config_static_selectorELNS0_4arch9wavefront6targetE1EEEvS14_
	.globl	_ZN7rocprim17ROCPRIM_400000_NS6detail17trampoline_kernelINS0_14default_configENS1_22reduce_config_selectorIN6thrust23THRUST_200600_302600_NS5tupleIblNS6_9null_typeES8_S8_S8_S8_S8_S8_S8_EEEEZNS1_11reduce_implILb1ES3_NS6_12zip_iteratorINS7_INS6_11hip_rocprim26transform_input_iterator_tIbNSD_35transform_pair_of_input_iterators_tIbNS6_6detail15normal_iteratorINS6_10device_ptrIKiEEEESL_NS6_8equal_toIiEEEENSG_9not_fun_tINSD_8identityEEEEENSD_19counting_iterator_tIlEES8_S8_S8_S8_S8_S8_S8_S8_EEEEPS9_S9_NSD_9__find_if7functorIS9_EEEE10hipError_tPvRmT1_T2_T3_mT4_P12ihipStream_tbEUlT_E1_NS1_11comp_targetILNS1_3genE0ELNS1_11target_archE4294967295ELNS1_3gpuE0ELNS1_3repE0EEENS1_30default_config_static_selectorELNS0_4arch9wavefront6targetE1EEEvS14_
	.p2align	8
	.type	_ZN7rocprim17ROCPRIM_400000_NS6detail17trampoline_kernelINS0_14default_configENS1_22reduce_config_selectorIN6thrust23THRUST_200600_302600_NS5tupleIblNS6_9null_typeES8_S8_S8_S8_S8_S8_S8_EEEEZNS1_11reduce_implILb1ES3_NS6_12zip_iteratorINS7_INS6_11hip_rocprim26transform_input_iterator_tIbNSD_35transform_pair_of_input_iterators_tIbNS6_6detail15normal_iteratorINS6_10device_ptrIKiEEEESL_NS6_8equal_toIiEEEENSG_9not_fun_tINSD_8identityEEEEENSD_19counting_iterator_tIlEES8_S8_S8_S8_S8_S8_S8_S8_EEEEPS9_S9_NSD_9__find_if7functorIS9_EEEE10hipError_tPvRmT1_T2_T3_mT4_P12ihipStream_tbEUlT_E1_NS1_11comp_targetILNS1_3genE0ELNS1_11target_archE4294967295ELNS1_3gpuE0ELNS1_3repE0EEENS1_30default_config_static_selectorELNS0_4arch9wavefront6targetE1EEEvS14_,@function
_ZN7rocprim17ROCPRIM_400000_NS6detail17trampoline_kernelINS0_14default_configENS1_22reduce_config_selectorIN6thrust23THRUST_200600_302600_NS5tupleIblNS6_9null_typeES8_S8_S8_S8_S8_S8_S8_EEEEZNS1_11reduce_implILb1ES3_NS6_12zip_iteratorINS7_INS6_11hip_rocprim26transform_input_iterator_tIbNSD_35transform_pair_of_input_iterators_tIbNS6_6detail15normal_iteratorINS6_10device_ptrIKiEEEESL_NS6_8equal_toIiEEEENSG_9not_fun_tINSD_8identityEEEEENSD_19counting_iterator_tIlEES8_S8_S8_S8_S8_S8_S8_S8_EEEEPS9_S9_NSD_9__find_if7functorIS9_EEEE10hipError_tPvRmT1_T2_T3_mT4_P12ihipStream_tbEUlT_E1_NS1_11comp_targetILNS1_3genE0ELNS1_11target_archE4294967295ELNS1_3gpuE0ELNS1_3repE0EEENS1_30default_config_static_selectorELNS0_4arch9wavefront6targetE1EEEvS14_: ; @_ZN7rocprim17ROCPRIM_400000_NS6detail17trampoline_kernelINS0_14default_configENS1_22reduce_config_selectorIN6thrust23THRUST_200600_302600_NS5tupleIblNS6_9null_typeES8_S8_S8_S8_S8_S8_S8_EEEEZNS1_11reduce_implILb1ES3_NS6_12zip_iteratorINS7_INS6_11hip_rocprim26transform_input_iterator_tIbNSD_35transform_pair_of_input_iterators_tIbNS6_6detail15normal_iteratorINS6_10device_ptrIKiEEEESL_NS6_8equal_toIiEEEENSG_9not_fun_tINSD_8identityEEEEENSD_19counting_iterator_tIlEES8_S8_S8_S8_S8_S8_S8_S8_EEEEPS9_S9_NSD_9__find_if7functorIS9_EEEE10hipError_tPvRmT1_T2_T3_mT4_P12ihipStream_tbEUlT_E1_NS1_11comp_targetILNS1_3genE0ELNS1_11target_archE4294967295ELNS1_3gpuE0ELNS1_3repE0EEENS1_30default_config_static_selectorELNS0_4arch9wavefront6targetE1EEEvS14_
; %bb.0:
	.section	.rodata,"a",@progbits
	.p2align	6, 0x0
	.amdhsa_kernel _ZN7rocprim17ROCPRIM_400000_NS6detail17trampoline_kernelINS0_14default_configENS1_22reduce_config_selectorIN6thrust23THRUST_200600_302600_NS5tupleIblNS6_9null_typeES8_S8_S8_S8_S8_S8_S8_EEEEZNS1_11reduce_implILb1ES3_NS6_12zip_iteratorINS7_INS6_11hip_rocprim26transform_input_iterator_tIbNSD_35transform_pair_of_input_iterators_tIbNS6_6detail15normal_iteratorINS6_10device_ptrIKiEEEESL_NS6_8equal_toIiEEEENSG_9not_fun_tINSD_8identityEEEEENSD_19counting_iterator_tIlEES8_S8_S8_S8_S8_S8_S8_S8_EEEEPS9_S9_NSD_9__find_if7functorIS9_EEEE10hipError_tPvRmT1_T2_T3_mT4_P12ihipStream_tbEUlT_E1_NS1_11comp_targetILNS1_3genE0ELNS1_11target_archE4294967295ELNS1_3gpuE0ELNS1_3repE0EEENS1_30default_config_static_selectorELNS0_4arch9wavefront6targetE1EEEvS14_
		.amdhsa_group_segment_fixed_size 0
		.amdhsa_private_segment_fixed_size 0
		.amdhsa_kernarg_size 88
		.amdhsa_user_sgpr_count 6
		.amdhsa_user_sgpr_private_segment_buffer 1
		.amdhsa_user_sgpr_dispatch_ptr 0
		.amdhsa_user_sgpr_queue_ptr 0
		.amdhsa_user_sgpr_kernarg_segment_ptr 1
		.amdhsa_user_sgpr_dispatch_id 0
		.amdhsa_user_sgpr_flat_scratch_init 0
		.amdhsa_user_sgpr_private_segment_size 0
		.amdhsa_uses_dynamic_stack 0
		.amdhsa_system_sgpr_private_segment_wavefront_offset 0
		.amdhsa_system_sgpr_workgroup_id_x 1
		.amdhsa_system_sgpr_workgroup_id_y 0
		.amdhsa_system_sgpr_workgroup_id_z 0
		.amdhsa_system_sgpr_workgroup_info 0
		.amdhsa_system_vgpr_workitem_id 0
		.amdhsa_next_free_vgpr 1
		.amdhsa_next_free_sgpr 0
		.amdhsa_reserve_vcc 0
		.amdhsa_reserve_flat_scratch 0
		.amdhsa_float_round_mode_32 0
		.amdhsa_float_round_mode_16_64 0
		.amdhsa_float_denorm_mode_32 3
		.amdhsa_float_denorm_mode_16_64 3
		.amdhsa_dx10_clamp 1
		.amdhsa_ieee_mode 1
		.amdhsa_fp16_overflow 0
		.amdhsa_exception_fp_ieee_invalid_op 0
		.amdhsa_exception_fp_denorm_src 0
		.amdhsa_exception_fp_ieee_div_zero 0
		.amdhsa_exception_fp_ieee_overflow 0
		.amdhsa_exception_fp_ieee_underflow 0
		.amdhsa_exception_fp_ieee_inexact 0
		.amdhsa_exception_int_div_zero 0
	.end_amdhsa_kernel
	.section	.text._ZN7rocprim17ROCPRIM_400000_NS6detail17trampoline_kernelINS0_14default_configENS1_22reduce_config_selectorIN6thrust23THRUST_200600_302600_NS5tupleIblNS6_9null_typeES8_S8_S8_S8_S8_S8_S8_EEEEZNS1_11reduce_implILb1ES3_NS6_12zip_iteratorINS7_INS6_11hip_rocprim26transform_input_iterator_tIbNSD_35transform_pair_of_input_iterators_tIbNS6_6detail15normal_iteratorINS6_10device_ptrIKiEEEESL_NS6_8equal_toIiEEEENSG_9not_fun_tINSD_8identityEEEEENSD_19counting_iterator_tIlEES8_S8_S8_S8_S8_S8_S8_S8_EEEEPS9_S9_NSD_9__find_if7functorIS9_EEEE10hipError_tPvRmT1_T2_T3_mT4_P12ihipStream_tbEUlT_E1_NS1_11comp_targetILNS1_3genE0ELNS1_11target_archE4294967295ELNS1_3gpuE0ELNS1_3repE0EEENS1_30default_config_static_selectorELNS0_4arch9wavefront6targetE1EEEvS14_,"axG",@progbits,_ZN7rocprim17ROCPRIM_400000_NS6detail17trampoline_kernelINS0_14default_configENS1_22reduce_config_selectorIN6thrust23THRUST_200600_302600_NS5tupleIblNS6_9null_typeES8_S8_S8_S8_S8_S8_S8_EEEEZNS1_11reduce_implILb1ES3_NS6_12zip_iteratorINS7_INS6_11hip_rocprim26transform_input_iterator_tIbNSD_35transform_pair_of_input_iterators_tIbNS6_6detail15normal_iteratorINS6_10device_ptrIKiEEEESL_NS6_8equal_toIiEEEENSG_9not_fun_tINSD_8identityEEEEENSD_19counting_iterator_tIlEES8_S8_S8_S8_S8_S8_S8_S8_EEEEPS9_S9_NSD_9__find_if7functorIS9_EEEE10hipError_tPvRmT1_T2_T3_mT4_P12ihipStream_tbEUlT_E1_NS1_11comp_targetILNS1_3genE0ELNS1_11target_archE4294967295ELNS1_3gpuE0ELNS1_3repE0EEENS1_30default_config_static_selectorELNS0_4arch9wavefront6targetE1EEEvS14_,comdat
.Lfunc_end477:
	.size	_ZN7rocprim17ROCPRIM_400000_NS6detail17trampoline_kernelINS0_14default_configENS1_22reduce_config_selectorIN6thrust23THRUST_200600_302600_NS5tupleIblNS6_9null_typeES8_S8_S8_S8_S8_S8_S8_EEEEZNS1_11reduce_implILb1ES3_NS6_12zip_iteratorINS7_INS6_11hip_rocprim26transform_input_iterator_tIbNSD_35transform_pair_of_input_iterators_tIbNS6_6detail15normal_iteratorINS6_10device_ptrIKiEEEESL_NS6_8equal_toIiEEEENSG_9not_fun_tINSD_8identityEEEEENSD_19counting_iterator_tIlEES8_S8_S8_S8_S8_S8_S8_S8_EEEEPS9_S9_NSD_9__find_if7functorIS9_EEEE10hipError_tPvRmT1_T2_T3_mT4_P12ihipStream_tbEUlT_E1_NS1_11comp_targetILNS1_3genE0ELNS1_11target_archE4294967295ELNS1_3gpuE0ELNS1_3repE0EEENS1_30default_config_static_selectorELNS0_4arch9wavefront6targetE1EEEvS14_, .Lfunc_end477-_ZN7rocprim17ROCPRIM_400000_NS6detail17trampoline_kernelINS0_14default_configENS1_22reduce_config_selectorIN6thrust23THRUST_200600_302600_NS5tupleIblNS6_9null_typeES8_S8_S8_S8_S8_S8_S8_EEEEZNS1_11reduce_implILb1ES3_NS6_12zip_iteratorINS7_INS6_11hip_rocprim26transform_input_iterator_tIbNSD_35transform_pair_of_input_iterators_tIbNS6_6detail15normal_iteratorINS6_10device_ptrIKiEEEESL_NS6_8equal_toIiEEEENSG_9not_fun_tINSD_8identityEEEEENSD_19counting_iterator_tIlEES8_S8_S8_S8_S8_S8_S8_S8_EEEEPS9_S9_NSD_9__find_if7functorIS9_EEEE10hipError_tPvRmT1_T2_T3_mT4_P12ihipStream_tbEUlT_E1_NS1_11comp_targetILNS1_3genE0ELNS1_11target_archE4294967295ELNS1_3gpuE0ELNS1_3repE0EEENS1_30default_config_static_selectorELNS0_4arch9wavefront6targetE1EEEvS14_
                                        ; -- End function
	.set _ZN7rocprim17ROCPRIM_400000_NS6detail17trampoline_kernelINS0_14default_configENS1_22reduce_config_selectorIN6thrust23THRUST_200600_302600_NS5tupleIblNS6_9null_typeES8_S8_S8_S8_S8_S8_S8_EEEEZNS1_11reduce_implILb1ES3_NS6_12zip_iteratorINS7_INS6_11hip_rocprim26transform_input_iterator_tIbNSD_35transform_pair_of_input_iterators_tIbNS6_6detail15normal_iteratorINS6_10device_ptrIKiEEEESL_NS6_8equal_toIiEEEENSG_9not_fun_tINSD_8identityEEEEENSD_19counting_iterator_tIlEES8_S8_S8_S8_S8_S8_S8_S8_EEEEPS9_S9_NSD_9__find_if7functorIS9_EEEE10hipError_tPvRmT1_T2_T3_mT4_P12ihipStream_tbEUlT_E1_NS1_11comp_targetILNS1_3genE0ELNS1_11target_archE4294967295ELNS1_3gpuE0ELNS1_3repE0EEENS1_30default_config_static_selectorELNS0_4arch9wavefront6targetE1EEEvS14_.num_vgpr, 0
	.set _ZN7rocprim17ROCPRIM_400000_NS6detail17trampoline_kernelINS0_14default_configENS1_22reduce_config_selectorIN6thrust23THRUST_200600_302600_NS5tupleIblNS6_9null_typeES8_S8_S8_S8_S8_S8_S8_EEEEZNS1_11reduce_implILb1ES3_NS6_12zip_iteratorINS7_INS6_11hip_rocprim26transform_input_iterator_tIbNSD_35transform_pair_of_input_iterators_tIbNS6_6detail15normal_iteratorINS6_10device_ptrIKiEEEESL_NS6_8equal_toIiEEEENSG_9not_fun_tINSD_8identityEEEEENSD_19counting_iterator_tIlEES8_S8_S8_S8_S8_S8_S8_S8_EEEEPS9_S9_NSD_9__find_if7functorIS9_EEEE10hipError_tPvRmT1_T2_T3_mT4_P12ihipStream_tbEUlT_E1_NS1_11comp_targetILNS1_3genE0ELNS1_11target_archE4294967295ELNS1_3gpuE0ELNS1_3repE0EEENS1_30default_config_static_selectorELNS0_4arch9wavefront6targetE1EEEvS14_.num_agpr, 0
	.set _ZN7rocprim17ROCPRIM_400000_NS6detail17trampoline_kernelINS0_14default_configENS1_22reduce_config_selectorIN6thrust23THRUST_200600_302600_NS5tupleIblNS6_9null_typeES8_S8_S8_S8_S8_S8_S8_EEEEZNS1_11reduce_implILb1ES3_NS6_12zip_iteratorINS7_INS6_11hip_rocprim26transform_input_iterator_tIbNSD_35transform_pair_of_input_iterators_tIbNS6_6detail15normal_iteratorINS6_10device_ptrIKiEEEESL_NS6_8equal_toIiEEEENSG_9not_fun_tINSD_8identityEEEEENSD_19counting_iterator_tIlEES8_S8_S8_S8_S8_S8_S8_S8_EEEEPS9_S9_NSD_9__find_if7functorIS9_EEEE10hipError_tPvRmT1_T2_T3_mT4_P12ihipStream_tbEUlT_E1_NS1_11comp_targetILNS1_3genE0ELNS1_11target_archE4294967295ELNS1_3gpuE0ELNS1_3repE0EEENS1_30default_config_static_selectorELNS0_4arch9wavefront6targetE1EEEvS14_.numbered_sgpr, 0
	.set _ZN7rocprim17ROCPRIM_400000_NS6detail17trampoline_kernelINS0_14default_configENS1_22reduce_config_selectorIN6thrust23THRUST_200600_302600_NS5tupleIblNS6_9null_typeES8_S8_S8_S8_S8_S8_S8_EEEEZNS1_11reduce_implILb1ES3_NS6_12zip_iteratorINS7_INS6_11hip_rocprim26transform_input_iterator_tIbNSD_35transform_pair_of_input_iterators_tIbNS6_6detail15normal_iteratorINS6_10device_ptrIKiEEEESL_NS6_8equal_toIiEEEENSG_9not_fun_tINSD_8identityEEEEENSD_19counting_iterator_tIlEES8_S8_S8_S8_S8_S8_S8_S8_EEEEPS9_S9_NSD_9__find_if7functorIS9_EEEE10hipError_tPvRmT1_T2_T3_mT4_P12ihipStream_tbEUlT_E1_NS1_11comp_targetILNS1_3genE0ELNS1_11target_archE4294967295ELNS1_3gpuE0ELNS1_3repE0EEENS1_30default_config_static_selectorELNS0_4arch9wavefront6targetE1EEEvS14_.num_named_barrier, 0
	.set _ZN7rocprim17ROCPRIM_400000_NS6detail17trampoline_kernelINS0_14default_configENS1_22reduce_config_selectorIN6thrust23THRUST_200600_302600_NS5tupleIblNS6_9null_typeES8_S8_S8_S8_S8_S8_S8_EEEEZNS1_11reduce_implILb1ES3_NS6_12zip_iteratorINS7_INS6_11hip_rocprim26transform_input_iterator_tIbNSD_35transform_pair_of_input_iterators_tIbNS6_6detail15normal_iteratorINS6_10device_ptrIKiEEEESL_NS6_8equal_toIiEEEENSG_9not_fun_tINSD_8identityEEEEENSD_19counting_iterator_tIlEES8_S8_S8_S8_S8_S8_S8_S8_EEEEPS9_S9_NSD_9__find_if7functorIS9_EEEE10hipError_tPvRmT1_T2_T3_mT4_P12ihipStream_tbEUlT_E1_NS1_11comp_targetILNS1_3genE0ELNS1_11target_archE4294967295ELNS1_3gpuE0ELNS1_3repE0EEENS1_30default_config_static_selectorELNS0_4arch9wavefront6targetE1EEEvS14_.private_seg_size, 0
	.set _ZN7rocprim17ROCPRIM_400000_NS6detail17trampoline_kernelINS0_14default_configENS1_22reduce_config_selectorIN6thrust23THRUST_200600_302600_NS5tupleIblNS6_9null_typeES8_S8_S8_S8_S8_S8_S8_EEEEZNS1_11reduce_implILb1ES3_NS6_12zip_iteratorINS7_INS6_11hip_rocprim26transform_input_iterator_tIbNSD_35transform_pair_of_input_iterators_tIbNS6_6detail15normal_iteratorINS6_10device_ptrIKiEEEESL_NS6_8equal_toIiEEEENSG_9not_fun_tINSD_8identityEEEEENSD_19counting_iterator_tIlEES8_S8_S8_S8_S8_S8_S8_S8_EEEEPS9_S9_NSD_9__find_if7functorIS9_EEEE10hipError_tPvRmT1_T2_T3_mT4_P12ihipStream_tbEUlT_E1_NS1_11comp_targetILNS1_3genE0ELNS1_11target_archE4294967295ELNS1_3gpuE0ELNS1_3repE0EEENS1_30default_config_static_selectorELNS0_4arch9wavefront6targetE1EEEvS14_.uses_vcc, 0
	.set _ZN7rocprim17ROCPRIM_400000_NS6detail17trampoline_kernelINS0_14default_configENS1_22reduce_config_selectorIN6thrust23THRUST_200600_302600_NS5tupleIblNS6_9null_typeES8_S8_S8_S8_S8_S8_S8_EEEEZNS1_11reduce_implILb1ES3_NS6_12zip_iteratorINS7_INS6_11hip_rocprim26transform_input_iterator_tIbNSD_35transform_pair_of_input_iterators_tIbNS6_6detail15normal_iteratorINS6_10device_ptrIKiEEEESL_NS6_8equal_toIiEEEENSG_9not_fun_tINSD_8identityEEEEENSD_19counting_iterator_tIlEES8_S8_S8_S8_S8_S8_S8_S8_EEEEPS9_S9_NSD_9__find_if7functorIS9_EEEE10hipError_tPvRmT1_T2_T3_mT4_P12ihipStream_tbEUlT_E1_NS1_11comp_targetILNS1_3genE0ELNS1_11target_archE4294967295ELNS1_3gpuE0ELNS1_3repE0EEENS1_30default_config_static_selectorELNS0_4arch9wavefront6targetE1EEEvS14_.uses_flat_scratch, 0
	.set _ZN7rocprim17ROCPRIM_400000_NS6detail17trampoline_kernelINS0_14default_configENS1_22reduce_config_selectorIN6thrust23THRUST_200600_302600_NS5tupleIblNS6_9null_typeES8_S8_S8_S8_S8_S8_S8_EEEEZNS1_11reduce_implILb1ES3_NS6_12zip_iteratorINS7_INS6_11hip_rocprim26transform_input_iterator_tIbNSD_35transform_pair_of_input_iterators_tIbNS6_6detail15normal_iteratorINS6_10device_ptrIKiEEEESL_NS6_8equal_toIiEEEENSG_9not_fun_tINSD_8identityEEEEENSD_19counting_iterator_tIlEES8_S8_S8_S8_S8_S8_S8_S8_EEEEPS9_S9_NSD_9__find_if7functorIS9_EEEE10hipError_tPvRmT1_T2_T3_mT4_P12ihipStream_tbEUlT_E1_NS1_11comp_targetILNS1_3genE0ELNS1_11target_archE4294967295ELNS1_3gpuE0ELNS1_3repE0EEENS1_30default_config_static_selectorELNS0_4arch9wavefront6targetE1EEEvS14_.has_dyn_sized_stack, 0
	.set _ZN7rocprim17ROCPRIM_400000_NS6detail17trampoline_kernelINS0_14default_configENS1_22reduce_config_selectorIN6thrust23THRUST_200600_302600_NS5tupleIblNS6_9null_typeES8_S8_S8_S8_S8_S8_S8_EEEEZNS1_11reduce_implILb1ES3_NS6_12zip_iteratorINS7_INS6_11hip_rocprim26transform_input_iterator_tIbNSD_35transform_pair_of_input_iterators_tIbNS6_6detail15normal_iteratorINS6_10device_ptrIKiEEEESL_NS6_8equal_toIiEEEENSG_9not_fun_tINSD_8identityEEEEENSD_19counting_iterator_tIlEES8_S8_S8_S8_S8_S8_S8_S8_EEEEPS9_S9_NSD_9__find_if7functorIS9_EEEE10hipError_tPvRmT1_T2_T3_mT4_P12ihipStream_tbEUlT_E1_NS1_11comp_targetILNS1_3genE0ELNS1_11target_archE4294967295ELNS1_3gpuE0ELNS1_3repE0EEENS1_30default_config_static_selectorELNS0_4arch9wavefront6targetE1EEEvS14_.has_recursion, 0
	.set _ZN7rocprim17ROCPRIM_400000_NS6detail17trampoline_kernelINS0_14default_configENS1_22reduce_config_selectorIN6thrust23THRUST_200600_302600_NS5tupleIblNS6_9null_typeES8_S8_S8_S8_S8_S8_S8_EEEEZNS1_11reduce_implILb1ES3_NS6_12zip_iteratorINS7_INS6_11hip_rocprim26transform_input_iterator_tIbNSD_35transform_pair_of_input_iterators_tIbNS6_6detail15normal_iteratorINS6_10device_ptrIKiEEEESL_NS6_8equal_toIiEEEENSG_9not_fun_tINSD_8identityEEEEENSD_19counting_iterator_tIlEES8_S8_S8_S8_S8_S8_S8_S8_EEEEPS9_S9_NSD_9__find_if7functorIS9_EEEE10hipError_tPvRmT1_T2_T3_mT4_P12ihipStream_tbEUlT_E1_NS1_11comp_targetILNS1_3genE0ELNS1_11target_archE4294967295ELNS1_3gpuE0ELNS1_3repE0EEENS1_30default_config_static_selectorELNS0_4arch9wavefront6targetE1EEEvS14_.has_indirect_call, 0
	.section	.AMDGPU.csdata,"",@progbits
; Kernel info:
; codeLenInByte = 0
; TotalNumSgprs: 4
; NumVgprs: 0
; ScratchSize: 0
; MemoryBound: 0
; FloatMode: 240
; IeeeMode: 1
; LDSByteSize: 0 bytes/workgroup (compile time only)
; SGPRBlocks: 0
; VGPRBlocks: 0
; NumSGPRsForWavesPerEU: 4
; NumVGPRsForWavesPerEU: 1
; Occupancy: 10
; WaveLimiterHint : 0
; COMPUTE_PGM_RSRC2:SCRATCH_EN: 0
; COMPUTE_PGM_RSRC2:USER_SGPR: 6
; COMPUTE_PGM_RSRC2:TRAP_HANDLER: 0
; COMPUTE_PGM_RSRC2:TGID_X_EN: 1
; COMPUTE_PGM_RSRC2:TGID_Y_EN: 0
; COMPUTE_PGM_RSRC2:TGID_Z_EN: 0
; COMPUTE_PGM_RSRC2:TIDIG_COMP_CNT: 0
	.section	.text._ZN7rocprim17ROCPRIM_400000_NS6detail17trampoline_kernelINS0_14default_configENS1_22reduce_config_selectorIN6thrust23THRUST_200600_302600_NS5tupleIblNS6_9null_typeES8_S8_S8_S8_S8_S8_S8_EEEEZNS1_11reduce_implILb1ES3_NS6_12zip_iteratorINS7_INS6_11hip_rocprim26transform_input_iterator_tIbNSD_35transform_pair_of_input_iterators_tIbNS6_6detail15normal_iteratorINS6_10device_ptrIKiEEEESL_NS6_8equal_toIiEEEENSG_9not_fun_tINSD_8identityEEEEENSD_19counting_iterator_tIlEES8_S8_S8_S8_S8_S8_S8_S8_EEEEPS9_S9_NSD_9__find_if7functorIS9_EEEE10hipError_tPvRmT1_T2_T3_mT4_P12ihipStream_tbEUlT_E1_NS1_11comp_targetILNS1_3genE5ELNS1_11target_archE942ELNS1_3gpuE9ELNS1_3repE0EEENS1_30default_config_static_selectorELNS0_4arch9wavefront6targetE1EEEvS14_,"axG",@progbits,_ZN7rocprim17ROCPRIM_400000_NS6detail17trampoline_kernelINS0_14default_configENS1_22reduce_config_selectorIN6thrust23THRUST_200600_302600_NS5tupleIblNS6_9null_typeES8_S8_S8_S8_S8_S8_S8_EEEEZNS1_11reduce_implILb1ES3_NS6_12zip_iteratorINS7_INS6_11hip_rocprim26transform_input_iterator_tIbNSD_35transform_pair_of_input_iterators_tIbNS6_6detail15normal_iteratorINS6_10device_ptrIKiEEEESL_NS6_8equal_toIiEEEENSG_9not_fun_tINSD_8identityEEEEENSD_19counting_iterator_tIlEES8_S8_S8_S8_S8_S8_S8_S8_EEEEPS9_S9_NSD_9__find_if7functorIS9_EEEE10hipError_tPvRmT1_T2_T3_mT4_P12ihipStream_tbEUlT_E1_NS1_11comp_targetILNS1_3genE5ELNS1_11target_archE942ELNS1_3gpuE9ELNS1_3repE0EEENS1_30default_config_static_selectorELNS0_4arch9wavefront6targetE1EEEvS14_,comdat
	.protected	_ZN7rocprim17ROCPRIM_400000_NS6detail17trampoline_kernelINS0_14default_configENS1_22reduce_config_selectorIN6thrust23THRUST_200600_302600_NS5tupleIblNS6_9null_typeES8_S8_S8_S8_S8_S8_S8_EEEEZNS1_11reduce_implILb1ES3_NS6_12zip_iteratorINS7_INS6_11hip_rocprim26transform_input_iterator_tIbNSD_35transform_pair_of_input_iterators_tIbNS6_6detail15normal_iteratorINS6_10device_ptrIKiEEEESL_NS6_8equal_toIiEEEENSG_9not_fun_tINSD_8identityEEEEENSD_19counting_iterator_tIlEES8_S8_S8_S8_S8_S8_S8_S8_EEEEPS9_S9_NSD_9__find_if7functorIS9_EEEE10hipError_tPvRmT1_T2_T3_mT4_P12ihipStream_tbEUlT_E1_NS1_11comp_targetILNS1_3genE5ELNS1_11target_archE942ELNS1_3gpuE9ELNS1_3repE0EEENS1_30default_config_static_selectorELNS0_4arch9wavefront6targetE1EEEvS14_ ; -- Begin function _ZN7rocprim17ROCPRIM_400000_NS6detail17trampoline_kernelINS0_14default_configENS1_22reduce_config_selectorIN6thrust23THRUST_200600_302600_NS5tupleIblNS6_9null_typeES8_S8_S8_S8_S8_S8_S8_EEEEZNS1_11reduce_implILb1ES3_NS6_12zip_iteratorINS7_INS6_11hip_rocprim26transform_input_iterator_tIbNSD_35transform_pair_of_input_iterators_tIbNS6_6detail15normal_iteratorINS6_10device_ptrIKiEEEESL_NS6_8equal_toIiEEEENSG_9not_fun_tINSD_8identityEEEEENSD_19counting_iterator_tIlEES8_S8_S8_S8_S8_S8_S8_S8_EEEEPS9_S9_NSD_9__find_if7functorIS9_EEEE10hipError_tPvRmT1_T2_T3_mT4_P12ihipStream_tbEUlT_E1_NS1_11comp_targetILNS1_3genE5ELNS1_11target_archE942ELNS1_3gpuE9ELNS1_3repE0EEENS1_30default_config_static_selectorELNS0_4arch9wavefront6targetE1EEEvS14_
	.globl	_ZN7rocprim17ROCPRIM_400000_NS6detail17trampoline_kernelINS0_14default_configENS1_22reduce_config_selectorIN6thrust23THRUST_200600_302600_NS5tupleIblNS6_9null_typeES8_S8_S8_S8_S8_S8_S8_EEEEZNS1_11reduce_implILb1ES3_NS6_12zip_iteratorINS7_INS6_11hip_rocprim26transform_input_iterator_tIbNSD_35transform_pair_of_input_iterators_tIbNS6_6detail15normal_iteratorINS6_10device_ptrIKiEEEESL_NS6_8equal_toIiEEEENSG_9not_fun_tINSD_8identityEEEEENSD_19counting_iterator_tIlEES8_S8_S8_S8_S8_S8_S8_S8_EEEEPS9_S9_NSD_9__find_if7functorIS9_EEEE10hipError_tPvRmT1_T2_T3_mT4_P12ihipStream_tbEUlT_E1_NS1_11comp_targetILNS1_3genE5ELNS1_11target_archE942ELNS1_3gpuE9ELNS1_3repE0EEENS1_30default_config_static_selectorELNS0_4arch9wavefront6targetE1EEEvS14_
	.p2align	8
	.type	_ZN7rocprim17ROCPRIM_400000_NS6detail17trampoline_kernelINS0_14default_configENS1_22reduce_config_selectorIN6thrust23THRUST_200600_302600_NS5tupleIblNS6_9null_typeES8_S8_S8_S8_S8_S8_S8_EEEEZNS1_11reduce_implILb1ES3_NS6_12zip_iteratorINS7_INS6_11hip_rocprim26transform_input_iterator_tIbNSD_35transform_pair_of_input_iterators_tIbNS6_6detail15normal_iteratorINS6_10device_ptrIKiEEEESL_NS6_8equal_toIiEEEENSG_9not_fun_tINSD_8identityEEEEENSD_19counting_iterator_tIlEES8_S8_S8_S8_S8_S8_S8_S8_EEEEPS9_S9_NSD_9__find_if7functorIS9_EEEE10hipError_tPvRmT1_T2_T3_mT4_P12ihipStream_tbEUlT_E1_NS1_11comp_targetILNS1_3genE5ELNS1_11target_archE942ELNS1_3gpuE9ELNS1_3repE0EEENS1_30default_config_static_selectorELNS0_4arch9wavefront6targetE1EEEvS14_,@function
_ZN7rocprim17ROCPRIM_400000_NS6detail17trampoline_kernelINS0_14default_configENS1_22reduce_config_selectorIN6thrust23THRUST_200600_302600_NS5tupleIblNS6_9null_typeES8_S8_S8_S8_S8_S8_S8_EEEEZNS1_11reduce_implILb1ES3_NS6_12zip_iteratorINS7_INS6_11hip_rocprim26transform_input_iterator_tIbNSD_35transform_pair_of_input_iterators_tIbNS6_6detail15normal_iteratorINS6_10device_ptrIKiEEEESL_NS6_8equal_toIiEEEENSG_9not_fun_tINSD_8identityEEEEENSD_19counting_iterator_tIlEES8_S8_S8_S8_S8_S8_S8_S8_EEEEPS9_S9_NSD_9__find_if7functorIS9_EEEE10hipError_tPvRmT1_T2_T3_mT4_P12ihipStream_tbEUlT_E1_NS1_11comp_targetILNS1_3genE5ELNS1_11target_archE942ELNS1_3gpuE9ELNS1_3repE0EEENS1_30default_config_static_selectorELNS0_4arch9wavefront6targetE1EEEvS14_: ; @_ZN7rocprim17ROCPRIM_400000_NS6detail17trampoline_kernelINS0_14default_configENS1_22reduce_config_selectorIN6thrust23THRUST_200600_302600_NS5tupleIblNS6_9null_typeES8_S8_S8_S8_S8_S8_S8_EEEEZNS1_11reduce_implILb1ES3_NS6_12zip_iteratorINS7_INS6_11hip_rocprim26transform_input_iterator_tIbNSD_35transform_pair_of_input_iterators_tIbNS6_6detail15normal_iteratorINS6_10device_ptrIKiEEEESL_NS6_8equal_toIiEEEENSG_9not_fun_tINSD_8identityEEEEENSD_19counting_iterator_tIlEES8_S8_S8_S8_S8_S8_S8_S8_EEEEPS9_S9_NSD_9__find_if7functorIS9_EEEE10hipError_tPvRmT1_T2_T3_mT4_P12ihipStream_tbEUlT_E1_NS1_11comp_targetILNS1_3genE5ELNS1_11target_archE942ELNS1_3gpuE9ELNS1_3repE0EEENS1_30default_config_static_selectorELNS0_4arch9wavefront6targetE1EEEvS14_
; %bb.0:
	.section	.rodata,"a",@progbits
	.p2align	6, 0x0
	.amdhsa_kernel _ZN7rocprim17ROCPRIM_400000_NS6detail17trampoline_kernelINS0_14default_configENS1_22reduce_config_selectorIN6thrust23THRUST_200600_302600_NS5tupleIblNS6_9null_typeES8_S8_S8_S8_S8_S8_S8_EEEEZNS1_11reduce_implILb1ES3_NS6_12zip_iteratorINS7_INS6_11hip_rocprim26transform_input_iterator_tIbNSD_35transform_pair_of_input_iterators_tIbNS6_6detail15normal_iteratorINS6_10device_ptrIKiEEEESL_NS6_8equal_toIiEEEENSG_9not_fun_tINSD_8identityEEEEENSD_19counting_iterator_tIlEES8_S8_S8_S8_S8_S8_S8_S8_EEEEPS9_S9_NSD_9__find_if7functorIS9_EEEE10hipError_tPvRmT1_T2_T3_mT4_P12ihipStream_tbEUlT_E1_NS1_11comp_targetILNS1_3genE5ELNS1_11target_archE942ELNS1_3gpuE9ELNS1_3repE0EEENS1_30default_config_static_selectorELNS0_4arch9wavefront6targetE1EEEvS14_
		.amdhsa_group_segment_fixed_size 0
		.amdhsa_private_segment_fixed_size 0
		.amdhsa_kernarg_size 88
		.amdhsa_user_sgpr_count 6
		.amdhsa_user_sgpr_private_segment_buffer 1
		.amdhsa_user_sgpr_dispatch_ptr 0
		.amdhsa_user_sgpr_queue_ptr 0
		.amdhsa_user_sgpr_kernarg_segment_ptr 1
		.amdhsa_user_sgpr_dispatch_id 0
		.amdhsa_user_sgpr_flat_scratch_init 0
		.amdhsa_user_sgpr_private_segment_size 0
		.amdhsa_uses_dynamic_stack 0
		.amdhsa_system_sgpr_private_segment_wavefront_offset 0
		.amdhsa_system_sgpr_workgroup_id_x 1
		.amdhsa_system_sgpr_workgroup_id_y 0
		.amdhsa_system_sgpr_workgroup_id_z 0
		.amdhsa_system_sgpr_workgroup_info 0
		.amdhsa_system_vgpr_workitem_id 0
		.amdhsa_next_free_vgpr 1
		.amdhsa_next_free_sgpr 0
		.amdhsa_reserve_vcc 0
		.amdhsa_reserve_flat_scratch 0
		.amdhsa_float_round_mode_32 0
		.amdhsa_float_round_mode_16_64 0
		.amdhsa_float_denorm_mode_32 3
		.amdhsa_float_denorm_mode_16_64 3
		.amdhsa_dx10_clamp 1
		.amdhsa_ieee_mode 1
		.amdhsa_fp16_overflow 0
		.amdhsa_exception_fp_ieee_invalid_op 0
		.amdhsa_exception_fp_denorm_src 0
		.amdhsa_exception_fp_ieee_div_zero 0
		.amdhsa_exception_fp_ieee_overflow 0
		.amdhsa_exception_fp_ieee_underflow 0
		.amdhsa_exception_fp_ieee_inexact 0
		.amdhsa_exception_int_div_zero 0
	.end_amdhsa_kernel
	.section	.text._ZN7rocprim17ROCPRIM_400000_NS6detail17trampoline_kernelINS0_14default_configENS1_22reduce_config_selectorIN6thrust23THRUST_200600_302600_NS5tupleIblNS6_9null_typeES8_S8_S8_S8_S8_S8_S8_EEEEZNS1_11reduce_implILb1ES3_NS6_12zip_iteratorINS7_INS6_11hip_rocprim26transform_input_iterator_tIbNSD_35transform_pair_of_input_iterators_tIbNS6_6detail15normal_iteratorINS6_10device_ptrIKiEEEESL_NS6_8equal_toIiEEEENSG_9not_fun_tINSD_8identityEEEEENSD_19counting_iterator_tIlEES8_S8_S8_S8_S8_S8_S8_S8_EEEEPS9_S9_NSD_9__find_if7functorIS9_EEEE10hipError_tPvRmT1_T2_T3_mT4_P12ihipStream_tbEUlT_E1_NS1_11comp_targetILNS1_3genE5ELNS1_11target_archE942ELNS1_3gpuE9ELNS1_3repE0EEENS1_30default_config_static_selectorELNS0_4arch9wavefront6targetE1EEEvS14_,"axG",@progbits,_ZN7rocprim17ROCPRIM_400000_NS6detail17trampoline_kernelINS0_14default_configENS1_22reduce_config_selectorIN6thrust23THRUST_200600_302600_NS5tupleIblNS6_9null_typeES8_S8_S8_S8_S8_S8_S8_EEEEZNS1_11reduce_implILb1ES3_NS6_12zip_iteratorINS7_INS6_11hip_rocprim26transform_input_iterator_tIbNSD_35transform_pair_of_input_iterators_tIbNS6_6detail15normal_iteratorINS6_10device_ptrIKiEEEESL_NS6_8equal_toIiEEEENSG_9not_fun_tINSD_8identityEEEEENSD_19counting_iterator_tIlEES8_S8_S8_S8_S8_S8_S8_S8_EEEEPS9_S9_NSD_9__find_if7functorIS9_EEEE10hipError_tPvRmT1_T2_T3_mT4_P12ihipStream_tbEUlT_E1_NS1_11comp_targetILNS1_3genE5ELNS1_11target_archE942ELNS1_3gpuE9ELNS1_3repE0EEENS1_30default_config_static_selectorELNS0_4arch9wavefront6targetE1EEEvS14_,comdat
.Lfunc_end478:
	.size	_ZN7rocprim17ROCPRIM_400000_NS6detail17trampoline_kernelINS0_14default_configENS1_22reduce_config_selectorIN6thrust23THRUST_200600_302600_NS5tupleIblNS6_9null_typeES8_S8_S8_S8_S8_S8_S8_EEEEZNS1_11reduce_implILb1ES3_NS6_12zip_iteratorINS7_INS6_11hip_rocprim26transform_input_iterator_tIbNSD_35transform_pair_of_input_iterators_tIbNS6_6detail15normal_iteratorINS6_10device_ptrIKiEEEESL_NS6_8equal_toIiEEEENSG_9not_fun_tINSD_8identityEEEEENSD_19counting_iterator_tIlEES8_S8_S8_S8_S8_S8_S8_S8_EEEEPS9_S9_NSD_9__find_if7functorIS9_EEEE10hipError_tPvRmT1_T2_T3_mT4_P12ihipStream_tbEUlT_E1_NS1_11comp_targetILNS1_3genE5ELNS1_11target_archE942ELNS1_3gpuE9ELNS1_3repE0EEENS1_30default_config_static_selectorELNS0_4arch9wavefront6targetE1EEEvS14_, .Lfunc_end478-_ZN7rocprim17ROCPRIM_400000_NS6detail17trampoline_kernelINS0_14default_configENS1_22reduce_config_selectorIN6thrust23THRUST_200600_302600_NS5tupleIblNS6_9null_typeES8_S8_S8_S8_S8_S8_S8_EEEEZNS1_11reduce_implILb1ES3_NS6_12zip_iteratorINS7_INS6_11hip_rocprim26transform_input_iterator_tIbNSD_35transform_pair_of_input_iterators_tIbNS6_6detail15normal_iteratorINS6_10device_ptrIKiEEEESL_NS6_8equal_toIiEEEENSG_9not_fun_tINSD_8identityEEEEENSD_19counting_iterator_tIlEES8_S8_S8_S8_S8_S8_S8_S8_EEEEPS9_S9_NSD_9__find_if7functorIS9_EEEE10hipError_tPvRmT1_T2_T3_mT4_P12ihipStream_tbEUlT_E1_NS1_11comp_targetILNS1_3genE5ELNS1_11target_archE942ELNS1_3gpuE9ELNS1_3repE0EEENS1_30default_config_static_selectorELNS0_4arch9wavefront6targetE1EEEvS14_
                                        ; -- End function
	.set _ZN7rocprim17ROCPRIM_400000_NS6detail17trampoline_kernelINS0_14default_configENS1_22reduce_config_selectorIN6thrust23THRUST_200600_302600_NS5tupleIblNS6_9null_typeES8_S8_S8_S8_S8_S8_S8_EEEEZNS1_11reduce_implILb1ES3_NS6_12zip_iteratorINS7_INS6_11hip_rocprim26transform_input_iterator_tIbNSD_35transform_pair_of_input_iterators_tIbNS6_6detail15normal_iteratorINS6_10device_ptrIKiEEEESL_NS6_8equal_toIiEEEENSG_9not_fun_tINSD_8identityEEEEENSD_19counting_iterator_tIlEES8_S8_S8_S8_S8_S8_S8_S8_EEEEPS9_S9_NSD_9__find_if7functorIS9_EEEE10hipError_tPvRmT1_T2_T3_mT4_P12ihipStream_tbEUlT_E1_NS1_11comp_targetILNS1_3genE5ELNS1_11target_archE942ELNS1_3gpuE9ELNS1_3repE0EEENS1_30default_config_static_selectorELNS0_4arch9wavefront6targetE1EEEvS14_.num_vgpr, 0
	.set _ZN7rocprim17ROCPRIM_400000_NS6detail17trampoline_kernelINS0_14default_configENS1_22reduce_config_selectorIN6thrust23THRUST_200600_302600_NS5tupleIblNS6_9null_typeES8_S8_S8_S8_S8_S8_S8_EEEEZNS1_11reduce_implILb1ES3_NS6_12zip_iteratorINS7_INS6_11hip_rocprim26transform_input_iterator_tIbNSD_35transform_pair_of_input_iterators_tIbNS6_6detail15normal_iteratorINS6_10device_ptrIKiEEEESL_NS6_8equal_toIiEEEENSG_9not_fun_tINSD_8identityEEEEENSD_19counting_iterator_tIlEES8_S8_S8_S8_S8_S8_S8_S8_EEEEPS9_S9_NSD_9__find_if7functorIS9_EEEE10hipError_tPvRmT1_T2_T3_mT4_P12ihipStream_tbEUlT_E1_NS1_11comp_targetILNS1_3genE5ELNS1_11target_archE942ELNS1_3gpuE9ELNS1_3repE0EEENS1_30default_config_static_selectorELNS0_4arch9wavefront6targetE1EEEvS14_.num_agpr, 0
	.set _ZN7rocprim17ROCPRIM_400000_NS6detail17trampoline_kernelINS0_14default_configENS1_22reduce_config_selectorIN6thrust23THRUST_200600_302600_NS5tupleIblNS6_9null_typeES8_S8_S8_S8_S8_S8_S8_EEEEZNS1_11reduce_implILb1ES3_NS6_12zip_iteratorINS7_INS6_11hip_rocprim26transform_input_iterator_tIbNSD_35transform_pair_of_input_iterators_tIbNS6_6detail15normal_iteratorINS6_10device_ptrIKiEEEESL_NS6_8equal_toIiEEEENSG_9not_fun_tINSD_8identityEEEEENSD_19counting_iterator_tIlEES8_S8_S8_S8_S8_S8_S8_S8_EEEEPS9_S9_NSD_9__find_if7functorIS9_EEEE10hipError_tPvRmT1_T2_T3_mT4_P12ihipStream_tbEUlT_E1_NS1_11comp_targetILNS1_3genE5ELNS1_11target_archE942ELNS1_3gpuE9ELNS1_3repE0EEENS1_30default_config_static_selectorELNS0_4arch9wavefront6targetE1EEEvS14_.numbered_sgpr, 0
	.set _ZN7rocprim17ROCPRIM_400000_NS6detail17trampoline_kernelINS0_14default_configENS1_22reduce_config_selectorIN6thrust23THRUST_200600_302600_NS5tupleIblNS6_9null_typeES8_S8_S8_S8_S8_S8_S8_EEEEZNS1_11reduce_implILb1ES3_NS6_12zip_iteratorINS7_INS6_11hip_rocprim26transform_input_iterator_tIbNSD_35transform_pair_of_input_iterators_tIbNS6_6detail15normal_iteratorINS6_10device_ptrIKiEEEESL_NS6_8equal_toIiEEEENSG_9not_fun_tINSD_8identityEEEEENSD_19counting_iterator_tIlEES8_S8_S8_S8_S8_S8_S8_S8_EEEEPS9_S9_NSD_9__find_if7functorIS9_EEEE10hipError_tPvRmT1_T2_T3_mT4_P12ihipStream_tbEUlT_E1_NS1_11comp_targetILNS1_3genE5ELNS1_11target_archE942ELNS1_3gpuE9ELNS1_3repE0EEENS1_30default_config_static_selectorELNS0_4arch9wavefront6targetE1EEEvS14_.num_named_barrier, 0
	.set _ZN7rocprim17ROCPRIM_400000_NS6detail17trampoline_kernelINS0_14default_configENS1_22reduce_config_selectorIN6thrust23THRUST_200600_302600_NS5tupleIblNS6_9null_typeES8_S8_S8_S8_S8_S8_S8_EEEEZNS1_11reduce_implILb1ES3_NS6_12zip_iteratorINS7_INS6_11hip_rocprim26transform_input_iterator_tIbNSD_35transform_pair_of_input_iterators_tIbNS6_6detail15normal_iteratorINS6_10device_ptrIKiEEEESL_NS6_8equal_toIiEEEENSG_9not_fun_tINSD_8identityEEEEENSD_19counting_iterator_tIlEES8_S8_S8_S8_S8_S8_S8_S8_EEEEPS9_S9_NSD_9__find_if7functorIS9_EEEE10hipError_tPvRmT1_T2_T3_mT4_P12ihipStream_tbEUlT_E1_NS1_11comp_targetILNS1_3genE5ELNS1_11target_archE942ELNS1_3gpuE9ELNS1_3repE0EEENS1_30default_config_static_selectorELNS0_4arch9wavefront6targetE1EEEvS14_.private_seg_size, 0
	.set _ZN7rocprim17ROCPRIM_400000_NS6detail17trampoline_kernelINS0_14default_configENS1_22reduce_config_selectorIN6thrust23THRUST_200600_302600_NS5tupleIblNS6_9null_typeES8_S8_S8_S8_S8_S8_S8_EEEEZNS1_11reduce_implILb1ES3_NS6_12zip_iteratorINS7_INS6_11hip_rocprim26transform_input_iterator_tIbNSD_35transform_pair_of_input_iterators_tIbNS6_6detail15normal_iteratorINS6_10device_ptrIKiEEEESL_NS6_8equal_toIiEEEENSG_9not_fun_tINSD_8identityEEEEENSD_19counting_iterator_tIlEES8_S8_S8_S8_S8_S8_S8_S8_EEEEPS9_S9_NSD_9__find_if7functorIS9_EEEE10hipError_tPvRmT1_T2_T3_mT4_P12ihipStream_tbEUlT_E1_NS1_11comp_targetILNS1_3genE5ELNS1_11target_archE942ELNS1_3gpuE9ELNS1_3repE0EEENS1_30default_config_static_selectorELNS0_4arch9wavefront6targetE1EEEvS14_.uses_vcc, 0
	.set _ZN7rocprim17ROCPRIM_400000_NS6detail17trampoline_kernelINS0_14default_configENS1_22reduce_config_selectorIN6thrust23THRUST_200600_302600_NS5tupleIblNS6_9null_typeES8_S8_S8_S8_S8_S8_S8_EEEEZNS1_11reduce_implILb1ES3_NS6_12zip_iteratorINS7_INS6_11hip_rocprim26transform_input_iterator_tIbNSD_35transform_pair_of_input_iterators_tIbNS6_6detail15normal_iteratorINS6_10device_ptrIKiEEEESL_NS6_8equal_toIiEEEENSG_9not_fun_tINSD_8identityEEEEENSD_19counting_iterator_tIlEES8_S8_S8_S8_S8_S8_S8_S8_EEEEPS9_S9_NSD_9__find_if7functorIS9_EEEE10hipError_tPvRmT1_T2_T3_mT4_P12ihipStream_tbEUlT_E1_NS1_11comp_targetILNS1_3genE5ELNS1_11target_archE942ELNS1_3gpuE9ELNS1_3repE0EEENS1_30default_config_static_selectorELNS0_4arch9wavefront6targetE1EEEvS14_.uses_flat_scratch, 0
	.set _ZN7rocprim17ROCPRIM_400000_NS6detail17trampoline_kernelINS0_14default_configENS1_22reduce_config_selectorIN6thrust23THRUST_200600_302600_NS5tupleIblNS6_9null_typeES8_S8_S8_S8_S8_S8_S8_EEEEZNS1_11reduce_implILb1ES3_NS6_12zip_iteratorINS7_INS6_11hip_rocprim26transform_input_iterator_tIbNSD_35transform_pair_of_input_iterators_tIbNS6_6detail15normal_iteratorINS6_10device_ptrIKiEEEESL_NS6_8equal_toIiEEEENSG_9not_fun_tINSD_8identityEEEEENSD_19counting_iterator_tIlEES8_S8_S8_S8_S8_S8_S8_S8_EEEEPS9_S9_NSD_9__find_if7functorIS9_EEEE10hipError_tPvRmT1_T2_T3_mT4_P12ihipStream_tbEUlT_E1_NS1_11comp_targetILNS1_3genE5ELNS1_11target_archE942ELNS1_3gpuE9ELNS1_3repE0EEENS1_30default_config_static_selectorELNS0_4arch9wavefront6targetE1EEEvS14_.has_dyn_sized_stack, 0
	.set _ZN7rocprim17ROCPRIM_400000_NS6detail17trampoline_kernelINS0_14default_configENS1_22reduce_config_selectorIN6thrust23THRUST_200600_302600_NS5tupleIblNS6_9null_typeES8_S8_S8_S8_S8_S8_S8_EEEEZNS1_11reduce_implILb1ES3_NS6_12zip_iteratorINS7_INS6_11hip_rocprim26transform_input_iterator_tIbNSD_35transform_pair_of_input_iterators_tIbNS6_6detail15normal_iteratorINS6_10device_ptrIKiEEEESL_NS6_8equal_toIiEEEENSG_9not_fun_tINSD_8identityEEEEENSD_19counting_iterator_tIlEES8_S8_S8_S8_S8_S8_S8_S8_EEEEPS9_S9_NSD_9__find_if7functorIS9_EEEE10hipError_tPvRmT1_T2_T3_mT4_P12ihipStream_tbEUlT_E1_NS1_11comp_targetILNS1_3genE5ELNS1_11target_archE942ELNS1_3gpuE9ELNS1_3repE0EEENS1_30default_config_static_selectorELNS0_4arch9wavefront6targetE1EEEvS14_.has_recursion, 0
	.set _ZN7rocprim17ROCPRIM_400000_NS6detail17trampoline_kernelINS0_14default_configENS1_22reduce_config_selectorIN6thrust23THRUST_200600_302600_NS5tupleIblNS6_9null_typeES8_S8_S8_S8_S8_S8_S8_EEEEZNS1_11reduce_implILb1ES3_NS6_12zip_iteratorINS7_INS6_11hip_rocprim26transform_input_iterator_tIbNSD_35transform_pair_of_input_iterators_tIbNS6_6detail15normal_iteratorINS6_10device_ptrIKiEEEESL_NS6_8equal_toIiEEEENSG_9not_fun_tINSD_8identityEEEEENSD_19counting_iterator_tIlEES8_S8_S8_S8_S8_S8_S8_S8_EEEEPS9_S9_NSD_9__find_if7functorIS9_EEEE10hipError_tPvRmT1_T2_T3_mT4_P12ihipStream_tbEUlT_E1_NS1_11comp_targetILNS1_3genE5ELNS1_11target_archE942ELNS1_3gpuE9ELNS1_3repE0EEENS1_30default_config_static_selectorELNS0_4arch9wavefront6targetE1EEEvS14_.has_indirect_call, 0
	.section	.AMDGPU.csdata,"",@progbits
; Kernel info:
; codeLenInByte = 0
; TotalNumSgprs: 4
; NumVgprs: 0
; ScratchSize: 0
; MemoryBound: 0
; FloatMode: 240
; IeeeMode: 1
; LDSByteSize: 0 bytes/workgroup (compile time only)
; SGPRBlocks: 0
; VGPRBlocks: 0
; NumSGPRsForWavesPerEU: 4
; NumVGPRsForWavesPerEU: 1
; Occupancy: 10
; WaveLimiterHint : 0
; COMPUTE_PGM_RSRC2:SCRATCH_EN: 0
; COMPUTE_PGM_RSRC2:USER_SGPR: 6
; COMPUTE_PGM_RSRC2:TRAP_HANDLER: 0
; COMPUTE_PGM_RSRC2:TGID_X_EN: 1
; COMPUTE_PGM_RSRC2:TGID_Y_EN: 0
; COMPUTE_PGM_RSRC2:TGID_Z_EN: 0
; COMPUTE_PGM_RSRC2:TIDIG_COMP_CNT: 0
	.section	.text._ZN7rocprim17ROCPRIM_400000_NS6detail17trampoline_kernelINS0_14default_configENS1_22reduce_config_selectorIN6thrust23THRUST_200600_302600_NS5tupleIblNS6_9null_typeES8_S8_S8_S8_S8_S8_S8_EEEEZNS1_11reduce_implILb1ES3_NS6_12zip_iteratorINS7_INS6_11hip_rocprim26transform_input_iterator_tIbNSD_35transform_pair_of_input_iterators_tIbNS6_6detail15normal_iteratorINS6_10device_ptrIKiEEEESL_NS6_8equal_toIiEEEENSG_9not_fun_tINSD_8identityEEEEENSD_19counting_iterator_tIlEES8_S8_S8_S8_S8_S8_S8_S8_EEEEPS9_S9_NSD_9__find_if7functorIS9_EEEE10hipError_tPvRmT1_T2_T3_mT4_P12ihipStream_tbEUlT_E1_NS1_11comp_targetILNS1_3genE4ELNS1_11target_archE910ELNS1_3gpuE8ELNS1_3repE0EEENS1_30default_config_static_selectorELNS0_4arch9wavefront6targetE1EEEvS14_,"axG",@progbits,_ZN7rocprim17ROCPRIM_400000_NS6detail17trampoline_kernelINS0_14default_configENS1_22reduce_config_selectorIN6thrust23THRUST_200600_302600_NS5tupleIblNS6_9null_typeES8_S8_S8_S8_S8_S8_S8_EEEEZNS1_11reduce_implILb1ES3_NS6_12zip_iteratorINS7_INS6_11hip_rocprim26transform_input_iterator_tIbNSD_35transform_pair_of_input_iterators_tIbNS6_6detail15normal_iteratorINS6_10device_ptrIKiEEEESL_NS6_8equal_toIiEEEENSG_9not_fun_tINSD_8identityEEEEENSD_19counting_iterator_tIlEES8_S8_S8_S8_S8_S8_S8_S8_EEEEPS9_S9_NSD_9__find_if7functorIS9_EEEE10hipError_tPvRmT1_T2_T3_mT4_P12ihipStream_tbEUlT_E1_NS1_11comp_targetILNS1_3genE4ELNS1_11target_archE910ELNS1_3gpuE8ELNS1_3repE0EEENS1_30default_config_static_selectorELNS0_4arch9wavefront6targetE1EEEvS14_,comdat
	.protected	_ZN7rocprim17ROCPRIM_400000_NS6detail17trampoline_kernelINS0_14default_configENS1_22reduce_config_selectorIN6thrust23THRUST_200600_302600_NS5tupleIblNS6_9null_typeES8_S8_S8_S8_S8_S8_S8_EEEEZNS1_11reduce_implILb1ES3_NS6_12zip_iteratorINS7_INS6_11hip_rocprim26transform_input_iterator_tIbNSD_35transform_pair_of_input_iterators_tIbNS6_6detail15normal_iteratorINS6_10device_ptrIKiEEEESL_NS6_8equal_toIiEEEENSG_9not_fun_tINSD_8identityEEEEENSD_19counting_iterator_tIlEES8_S8_S8_S8_S8_S8_S8_S8_EEEEPS9_S9_NSD_9__find_if7functorIS9_EEEE10hipError_tPvRmT1_T2_T3_mT4_P12ihipStream_tbEUlT_E1_NS1_11comp_targetILNS1_3genE4ELNS1_11target_archE910ELNS1_3gpuE8ELNS1_3repE0EEENS1_30default_config_static_selectorELNS0_4arch9wavefront6targetE1EEEvS14_ ; -- Begin function _ZN7rocprim17ROCPRIM_400000_NS6detail17trampoline_kernelINS0_14default_configENS1_22reduce_config_selectorIN6thrust23THRUST_200600_302600_NS5tupleIblNS6_9null_typeES8_S8_S8_S8_S8_S8_S8_EEEEZNS1_11reduce_implILb1ES3_NS6_12zip_iteratorINS7_INS6_11hip_rocprim26transform_input_iterator_tIbNSD_35transform_pair_of_input_iterators_tIbNS6_6detail15normal_iteratorINS6_10device_ptrIKiEEEESL_NS6_8equal_toIiEEEENSG_9not_fun_tINSD_8identityEEEEENSD_19counting_iterator_tIlEES8_S8_S8_S8_S8_S8_S8_S8_EEEEPS9_S9_NSD_9__find_if7functorIS9_EEEE10hipError_tPvRmT1_T2_T3_mT4_P12ihipStream_tbEUlT_E1_NS1_11comp_targetILNS1_3genE4ELNS1_11target_archE910ELNS1_3gpuE8ELNS1_3repE0EEENS1_30default_config_static_selectorELNS0_4arch9wavefront6targetE1EEEvS14_
	.globl	_ZN7rocprim17ROCPRIM_400000_NS6detail17trampoline_kernelINS0_14default_configENS1_22reduce_config_selectorIN6thrust23THRUST_200600_302600_NS5tupleIblNS6_9null_typeES8_S8_S8_S8_S8_S8_S8_EEEEZNS1_11reduce_implILb1ES3_NS6_12zip_iteratorINS7_INS6_11hip_rocprim26transform_input_iterator_tIbNSD_35transform_pair_of_input_iterators_tIbNS6_6detail15normal_iteratorINS6_10device_ptrIKiEEEESL_NS6_8equal_toIiEEEENSG_9not_fun_tINSD_8identityEEEEENSD_19counting_iterator_tIlEES8_S8_S8_S8_S8_S8_S8_S8_EEEEPS9_S9_NSD_9__find_if7functorIS9_EEEE10hipError_tPvRmT1_T2_T3_mT4_P12ihipStream_tbEUlT_E1_NS1_11comp_targetILNS1_3genE4ELNS1_11target_archE910ELNS1_3gpuE8ELNS1_3repE0EEENS1_30default_config_static_selectorELNS0_4arch9wavefront6targetE1EEEvS14_
	.p2align	8
	.type	_ZN7rocprim17ROCPRIM_400000_NS6detail17trampoline_kernelINS0_14default_configENS1_22reduce_config_selectorIN6thrust23THRUST_200600_302600_NS5tupleIblNS6_9null_typeES8_S8_S8_S8_S8_S8_S8_EEEEZNS1_11reduce_implILb1ES3_NS6_12zip_iteratorINS7_INS6_11hip_rocprim26transform_input_iterator_tIbNSD_35transform_pair_of_input_iterators_tIbNS6_6detail15normal_iteratorINS6_10device_ptrIKiEEEESL_NS6_8equal_toIiEEEENSG_9not_fun_tINSD_8identityEEEEENSD_19counting_iterator_tIlEES8_S8_S8_S8_S8_S8_S8_S8_EEEEPS9_S9_NSD_9__find_if7functorIS9_EEEE10hipError_tPvRmT1_T2_T3_mT4_P12ihipStream_tbEUlT_E1_NS1_11comp_targetILNS1_3genE4ELNS1_11target_archE910ELNS1_3gpuE8ELNS1_3repE0EEENS1_30default_config_static_selectorELNS0_4arch9wavefront6targetE1EEEvS14_,@function
_ZN7rocprim17ROCPRIM_400000_NS6detail17trampoline_kernelINS0_14default_configENS1_22reduce_config_selectorIN6thrust23THRUST_200600_302600_NS5tupleIblNS6_9null_typeES8_S8_S8_S8_S8_S8_S8_EEEEZNS1_11reduce_implILb1ES3_NS6_12zip_iteratorINS7_INS6_11hip_rocprim26transform_input_iterator_tIbNSD_35transform_pair_of_input_iterators_tIbNS6_6detail15normal_iteratorINS6_10device_ptrIKiEEEESL_NS6_8equal_toIiEEEENSG_9not_fun_tINSD_8identityEEEEENSD_19counting_iterator_tIlEES8_S8_S8_S8_S8_S8_S8_S8_EEEEPS9_S9_NSD_9__find_if7functorIS9_EEEE10hipError_tPvRmT1_T2_T3_mT4_P12ihipStream_tbEUlT_E1_NS1_11comp_targetILNS1_3genE4ELNS1_11target_archE910ELNS1_3gpuE8ELNS1_3repE0EEENS1_30default_config_static_selectorELNS0_4arch9wavefront6targetE1EEEvS14_: ; @_ZN7rocprim17ROCPRIM_400000_NS6detail17trampoline_kernelINS0_14default_configENS1_22reduce_config_selectorIN6thrust23THRUST_200600_302600_NS5tupleIblNS6_9null_typeES8_S8_S8_S8_S8_S8_S8_EEEEZNS1_11reduce_implILb1ES3_NS6_12zip_iteratorINS7_INS6_11hip_rocprim26transform_input_iterator_tIbNSD_35transform_pair_of_input_iterators_tIbNS6_6detail15normal_iteratorINS6_10device_ptrIKiEEEESL_NS6_8equal_toIiEEEENSG_9not_fun_tINSD_8identityEEEEENSD_19counting_iterator_tIlEES8_S8_S8_S8_S8_S8_S8_S8_EEEEPS9_S9_NSD_9__find_if7functorIS9_EEEE10hipError_tPvRmT1_T2_T3_mT4_P12ihipStream_tbEUlT_E1_NS1_11comp_targetILNS1_3genE4ELNS1_11target_archE910ELNS1_3gpuE8ELNS1_3repE0EEENS1_30default_config_static_selectorELNS0_4arch9wavefront6targetE1EEEvS14_
; %bb.0:
	.section	.rodata,"a",@progbits
	.p2align	6, 0x0
	.amdhsa_kernel _ZN7rocprim17ROCPRIM_400000_NS6detail17trampoline_kernelINS0_14default_configENS1_22reduce_config_selectorIN6thrust23THRUST_200600_302600_NS5tupleIblNS6_9null_typeES8_S8_S8_S8_S8_S8_S8_EEEEZNS1_11reduce_implILb1ES3_NS6_12zip_iteratorINS7_INS6_11hip_rocprim26transform_input_iterator_tIbNSD_35transform_pair_of_input_iterators_tIbNS6_6detail15normal_iteratorINS6_10device_ptrIKiEEEESL_NS6_8equal_toIiEEEENSG_9not_fun_tINSD_8identityEEEEENSD_19counting_iterator_tIlEES8_S8_S8_S8_S8_S8_S8_S8_EEEEPS9_S9_NSD_9__find_if7functorIS9_EEEE10hipError_tPvRmT1_T2_T3_mT4_P12ihipStream_tbEUlT_E1_NS1_11comp_targetILNS1_3genE4ELNS1_11target_archE910ELNS1_3gpuE8ELNS1_3repE0EEENS1_30default_config_static_selectorELNS0_4arch9wavefront6targetE1EEEvS14_
		.amdhsa_group_segment_fixed_size 0
		.amdhsa_private_segment_fixed_size 0
		.amdhsa_kernarg_size 88
		.amdhsa_user_sgpr_count 6
		.amdhsa_user_sgpr_private_segment_buffer 1
		.amdhsa_user_sgpr_dispatch_ptr 0
		.amdhsa_user_sgpr_queue_ptr 0
		.amdhsa_user_sgpr_kernarg_segment_ptr 1
		.amdhsa_user_sgpr_dispatch_id 0
		.amdhsa_user_sgpr_flat_scratch_init 0
		.amdhsa_user_sgpr_private_segment_size 0
		.amdhsa_uses_dynamic_stack 0
		.amdhsa_system_sgpr_private_segment_wavefront_offset 0
		.amdhsa_system_sgpr_workgroup_id_x 1
		.amdhsa_system_sgpr_workgroup_id_y 0
		.amdhsa_system_sgpr_workgroup_id_z 0
		.amdhsa_system_sgpr_workgroup_info 0
		.amdhsa_system_vgpr_workitem_id 0
		.amdhsa_next_free_vgpr 1
		.amdhsa_next_free_sgpr 0
		.amdhsa_reserve_vcc 0
		.amdhsa_reserve_flat_scratch 0
		.amdhsa_float_round_mode_32 0
		.amdhsa_float_round_mode_16_64 0
		.amdhsa_float_denorm_mode_32 3
		.amdhsa_float_denorm_mode_16_64 3
		.amdhsa_dx10_clamp 1
		.amdhsa_ieee_mode 1
		.amdhsa_fp16_overflow 0
		.amdhsa_exception_fp_ieee_invalid_op 0
		.amdhsa_exception_fp_denorm_src 0
		.amdhsa_exception_fp_ieee_div_zero 0
		.amdhsa_exception_fp_ieee_overflow 0
		.amdhsa_exception_fp_ieee_underflow 0
		.amdhsa_exception_fp_ieee_inexact 0
		.amdhsa_exception_int_div_zero 0
	.end_amdhsa_kernel
	.section	.text._ZN7rocprim17ROCPRIM_400000_NS6detail17trampoline_kernelINS0_14default_configENS1_22reduce_config_selectorIN6thrust23THRUST_200600_302600_NS5tupleIblNS6_9null_typeES8_S8_S8_S8_S8_S8_S8_EEEEZNS1_11reduce_implILb1ES3_NS6_12zip_iteratorINS7_INS6_11hip_rocprim26transform_input_iterator_tIbNSD_35transform_pair_of_input_iterators_tIbNS6_6detail15normal_iteratorINS6_10device_ptrIKiEEEESL_NS6_8equal_toIiEEEENSG_9not_fun_tINSD_8identityEEEEENSD_19counting_iterator_tIlEES8_S8_S8_S8_S8_S8_S8_S8_EEEEPS9_S9_NSD_9__find_if7functorIS9_EEEE10hipError_tPvRmT1_T2_T3_mT4_P12ihipStream_tbEUlT_E1_NS1_11comp_targetILNS1_3genE4ELNS1_11target_archE910ELNS1_3gpuE8ELNS1_3repE0EEENS1_30default_config_static_selectorELNS0_4arch9wavefront6targetE1EEEvS14_,"axG",@progbits,_ZN7rocprim17ROCPRIM_400000_NS6detail17trampoline_kernelINS0_14default_configENS1_22reduce_config_selectorIN6thrust23THRUST_200600_302600_NS5tupleIblNS6_9null_typeES8_S8_S8_S8_S8_S8_S8_EEEEZNS1_11reduce_implILb1ES3_NS6_12zip_iteratorINS7_INS6_11hip_rocprim26transform_input_iterator_tIbNSD_35transform_pair_of_input_iterators_tIbNS6_6detail15normal_iteratorINS6_10device_ptrIKiEEEESL_NS6_8equal_toIiEEEENSG_9not_fun_tINSD_8identityEEEEENSD_19counting_iterator_tIlEES8_S8_S8_S8_S8_S8_S8_S8_EEEEPS9_S9_NSD_9__find_if7functorIS9_EEEE10hipError_tPvRmT1_T2_T3_mT4_P12ihipStream_tbEUlT_E1_NS1_11comp_targetILNS1_3genE4ELNS1_11target_archE910ELNS1_3gpuE8ELNS1_3repE0EEENS1_30default_config_static_selectorELNS0_4arch9wavefront6targetE1EEEvS14_,comdat
.Lfunc_end479:
	.size	_ZN7rocprim17ROCPRIM_400000_NS6detail17trampoline_kernelINS0_14default_configENS1_22reduce_config_selectorIN6thrust23THRUST_200600_302600_NS5tupleIblNS6_9null_typeES8_S8_S8_S8_S8_S8_S8_EEEEZNS1_11reduce_implILb1ES3_NS6_12zip_iteratorINS7_INS6_11hip_rocprim26transform_input_iterator_tIbNSD_35transform_pair_of_input_iterators_tIbNS6_6detail15normal_iteratorINS6_10device_ptrIKiEEEESL_NS6_8equal_toIiEEEENSG_9not_fun_tINSD_8identityEEEEENSD_19counting_iterator_tIlEES8_S8_S8_S8_S8_S8_S8_S8_EEEEPS9_S9_NSD_9__find_if7functorIS9_EEEE10hipError_tPvRmT1_T2_T3_mT4_P12ihipStream_tbEUlT_E1_NS1_11comp_targetILNS1_3genE4ELNS1_11target_archE910ELNS1_3gpuE8ELNS1_3repE0EEENS1_30default_config_static_selectorELNS0_4arch9wavefront6targetE1EEEvS14_, .Lfunc_end479-_ZN7rocprim17ROCPRIM_400000_NS6detail17trampoline_kernelINS0_14default_configENS1_22reduce_config_selectorIN6thrust23THRUST_200600_302600_NS5tupleIblNS6_9null_typeES8_S8_S8_S8_S8_S8_S8_EEEEZNS1_11reduce_implILb1ES3_NS6_12zip_iteratorINS7_INS6_11hip_rocprim26transform_input_iterator_tIbNSD_35transform_pair_of_input_iterators_tIbNS6_6detail15normal_iteratorINS6_10device_ptrIKiEEEESL_NS6_8equal_toIiEEEENSG_9not_fun_tINSD_8identityEEEEENSD_19counting_iterator_tIlEES8_S8_S8_S8_S8_S8_S8_S8_EEEEPS9_S9_NSD_9__find_if7functorIS9_EEEE10hipError_tPvRmT1_T2_T3_mT4_P12ihipStream_tbEUlT_E1_NS1_11comp_targetILNS1_3genE4ELNS1_11target_archE910ELNS1_3gpuE8ELNS1_3repE0EEENS1_30default_config_static_selectorELNS0_4arch9wavefront6targetE1EEEvS14_
                                        ; -- End function
	.set _ZN7rocprim17ROCPRIM_400000_NS6detail17trampoline_kernelINS0_14default_configENS1_22reduce_config_selectorIN6thrust23THRUST_200600_302600_NS5tupleIblNS6_9null_typeES8_S8_S8_S8_S8_S8_S8_EEEEZNS1_11reduce_implILb1ES3_NS6_12zip_iteratorINS7_INS6_11hip_rocprim26transform_input_iterator_tIbNSD_35transform_pair_of_input_iterators_tIbNS6_6detail15normal_iteratorINS6_10device_ptrIKiEEEESL_NS6_8equal_toIiEEEENSG_9not_fun_tINSD_8identityEEEEENSD_19counting_iterator_tIlEES8_S8_S8_S8_S8_S8_S8_S8_EEEEPS9_S9_NSD_9__find_if7functorIS9_EEEE10hipError_tPvRmT1_T2_T3_mT4_P12ihipStream_tbEUlT_E1_NS1_11comp_targetILNS1_3genE4ELNS1_11target_archE910ELNS1_3gpuE8ELNS1_3repE0EEENS1_30default_config_static_selectorELNS0_4arch9wavefront6targetE1EEEvS14_.num_vgpr, 0
	.set _ZN7rocprim17ROCPRIM_400000_NS6detail17trampoline_kernelINS0_14default_configENS1_22reduce_config_selectorIN6thrust23THRUST_200600_302600_NS5tupleIblNS6_9null_typeES8_S8_S8_S8_S8_S8_S8_EEEEZNS1_11reduce_implILb1ES3_NS6_12zip_iteratorINS7_INS6_11hip_rocprim26transform_input_iterator_tIbNSD_35transform_pair_of_input_iterators_tIbNS6_6detail15normal_iteratorINS6_10device_ptrIKiEEEESL_NS6_8equal_toIiEEEENSG_9not_fun_tINSD_8identityEEEEENSD_19counting_iterator_tIlEES8_S8_S8_S8_S8_S8_S8_S8_EEEEPS9_S9_NSD_9__find_if7functorIS9_EEEE10hipError_tPvRmT1_T2_T3_mT4_P12ihipStream_tbEUlT_E1_NS1_11comp_targetILNS1_3genE4ELNS1_11target_archE910ELNS1_3gpuE8ELNS1_3repE0EEENS1_30default_config_static_selectorELNS0_4arch9wavefront6targetE1EEEvS14_.num_agpr, 0
	.set _ZN7rocprim17ROCPRIM_400000_NS6detail17trampoline_kernelINS0_14default_configENS1_22reduce_config_selectorIN6thrust23THRUST_200600_302600_NS5tupleIblNS6_9null_typeES8_S8_S8_S8_S8_S8_S8_EEEEZNS1_11reduce_implILb1ES3_NS6_12zip_iteratorINS7_INS6_11hip_rocprim26transform_input_iterator_tIbNSD_35transform_pair_of_input_iterators_tIbNS6_6detail15normal_iteratorINS6_10device_ptrIKiEEEESL_NS6_8equal_toIiEEEENSG_9not_fun_tINSD_8identityEEEEENSD_19counting_iterator_tIlEES8_S8_S8_S8_S8_S8_S8_S8_EEEEPS9_S9_NSD_9__find_if7functorIS9_EEEE10hipError_tPvRmT1_T2_T3_mT4_P12ihipStream_tbEUlT_E1_NS1_11comp_targetILNS1_3genE4ELNS1_11target_archE910ELNS1_3gpuE8ELNS1_3repE0EEENS1_30default_config_static_selectorELNS0_4arch9wavefront6targetE1EEEvS14_.numbered_sgpr, 0
	.set _ZN7rocprim17ROCPRIM_400000_NS6detail17trampoline_kernelINS0_14default_configENS1_22reduce_config_selectorIN6thrust23THRUST_200600_302600_NS5tupleIblNS6_9null_typeES8_S8_S8_S8_S8_S8_S8_EEEEZNS1_11reduce_implILb1ES3_NS6_12zip_iteratorINS7_INS6_11hip_rocprim26transform_input_iterator_tIbNSD_35transform_pair_of_input_iterators_tIbNS6_6detail15normal_iteratorINS6_10device_ptrIKiEEEESL_NS6_8equal_toIiEEEENSG_9not_fun_tINSD_8identityEEEEENSD_19counting_iterator_tIlEES8_S8_S8_S8_S8_S8_S8_S8_EEEEPS9_S9_NSD_9__find_if7functorIS9_EEEE10hipError_tPvRmT1_T2_T3_mT4_P12ihipStream_tbEUlT_E1_NS1_11comp_targetILNS1_3genE4ELNS1_11target_archE910ELNS1_3gpuE8ELNS1_3repE0EEENS1_30default_config_static_selectorELNS0_4arch9wavefront6targetE1EEEvS14_.num_named_barrier, 0
	.set _ZN7rocprim17ROCPRIM_400000_NS6detail17trampoline_kernelINS0_14default_configENS1_22reduce_config_selectorIN6thrust23THRUST_200600_302600_NS5tupleIblNS6_9null_typeES8_S8_S8_S8_S8_S8_S8_EEEEZNS1_11reduce_implILb1ES3_NS6_12zip_iteratorINS7_INS6_11hip_rocprim26transform_input_iterator_tIbNSD_35transform_pair_of_input_iterators_tIbNS6_6detail15normal_iteratorINS6_10device_ptrIKiEEEESL_NS6_8equal_toIiEEEENSG_9not_fun_tINSD_8identityEEEEENSD_19counting_iterator_tIlEES8_S8_S8_S8_S8_S8_S8_S8_EEEEPS9_S9_NSD_9__find_if7functorIS9_EEEE10hipError_tPvRmT1_T2_T3_mT4_P12ihipStream_tbEUlT_E1_NS1_11comp_targetILNS1_3genE4ELNS1_11target_archE910ELNS1_3gpuE8ELNS1_3repE0EEENS1_30default_config_static_selectorELNS0_4arch9wavefront6targetE1EEEvS14_.private_seg_size, 0
	.set _ZN7rocprim17ROCPRIM_400000_NS6detail17trampoline_kernelINS0_14default_configENS1_22reduce_config_selectorIN6thrust23THRUST_200600_302600_NS5tupleIblNS6_9null_typeES8_S8_S8_S8_S8_S8_S8_EEEEZNS1_11reduce_implILb1ES3_NS6_12zip_iteratorINS7_INS6_11hip_rocprim26transform_input_iterator_tIbNSD_35transform_pair_of_input_iterators_tIbNS6_6detail15normal_iteratorINS6_10device_ptrIKiEEEESL_NS6_8equal_toIiEEEENSG_9not_fun_tINSD_8identityEEEEENSD_19counting_iterator_tIlEES8_S8_S8_S8_S8_S8_S8_S8_EEEEPS9_S9_NSD_9__find_if7functorIS9_EEEE10hipError_tPvRmT1_T2_T3_mT4_P12ihipStream_tbEUlT_E1_NS1_11comp_targetILNS1_3genE4ELNS1_11target_archE910ELNS1_3gpuE8ELNS1_3repE0EEENS1_30default_config_static_selectorELNS0_4arch9wavefront6targetE1EEEvS14_.uses_vcc, 0
	.set _ZN7rocprim17ROCPRIM_400000_NS6detail17trampoline_kernelINS0_14default_configENS1_22reduce_config_selectorIN6thrust23THRUST_200600_302600_NS5tupleIblNS6_9null_typeES8_S8_S8_S8_S8_S8_S8_EEEEZNS1_11reduce_implILb1ES3_NS6_12zip_iteratorINS7_INS6_11hip_rocprim26transform_input_iterator_tIbNSD_35transform_pair_of_input_iterators_tIbNS6_6detail15normal_iteratorINS6_10device_ptrIKiEEEESL_NS6_8equal_toIiEEEENSG_9not_fun_tINSD_8identityEEEEENSD_19counting_iterator_tIlEES8_S8_S8_S8_S8_S8_S8_S8_EEEEPS9_S9_NSD_9__find_if7functorIS9_EEEE10hipError_tPvRmT1_T2_T3_mT4_P12ihipStream_tbEUlT_E1_NS1_11comp_targetILNS1_3genE4ELNS1_11target_archE910ELNS1_3gpuE8ELNS1_3repE0EEENS1_30default_config_static_selectorELNS0_4arch9wavefront6targetE1EEEvS14_.uses_flat_scratch, 0
	.set _ZN7rocprim17ROCPRIM_400000_NS6detail17trampoline_kernelINS0_14default_configENS1_22reduce_config_selectorIN6thrust23THRUST_200600_302600_NS5tupleIblNS6_9null_typeES8_S8_S8_S8_S8_S8_S8_EEEEZNS1_11reduce_implILb1ES3_NS6_12zip_iteratorINS7_INS6_11hip_rocprim26transform_input_iterator_tIbNSD_35transform_pair_of_input_iterators_tIbNS6_6detail15normal_iteratorINS6_10device_ptrIKiEEEESL_NS6_8equal_toIiEEEENSG_9not_fun_tINSD_8identityEEEEENSD_19counting_iterator_tIlEES8_S8_S8_S8_S8_S8_S8_S8_EEEEPS9_S9_NSD_9__find_if7functorIS9_EEEE10hipError_tPvRmT1_T2_T3_mT4_P12ihipStream_tbEUlT_E1_NS1_11comp_targetILNS1_3genE4ELNS1_11target_archE910ELNS1_3gpuE8ELNS1_3repE0EEENS1_30default_config_static_selectorELNS0_4arch9wavefront6targetE1EEEvS14_.has_dyn_sized_stack, 0
	.set _ZN7rocprim17ROCPRIM_400000_NS6detail17trampoline_kernelINS0_14default_configENS1_22reduce_config_selectorIN6thrust23THRUST_200600_302600_NS5tupleIblNS6_9null_typeES8_S8_S8_S8_S8_S8_S8_EEEEZNS1_11reduce_implILb1ES3_NS6_12zip_iteratorINS7_INS6_11hip_rocprim26transform_input_iterator_tIbNSD_35transform_pair_of_input_iterators_tIbNS6_6detail15normal_iteratorINS6_10device_ptrIKiEEEESL_NS6_8equal_toIiEEEENSG_9not_fun_tINSD_8identityEEEEENSD_19counting_iterator_tIlEES8_S8_S8_S8_S8_S8_S8_S8_EEEEPS9_S9_NSD_9__find_if7functorIS9_EEEE10hipError_tPvRmT1_T2_T3_mT4_P12ihipStream_tbEUlT_E1_NS1_11comp_targetILNS1_3genE4ELNS1_11target_archE910ELNS1_3gpuE8ELNS1_3repE0EEENS1_30default_config_static_selectorELNS0_4arch9wavefront6targetE1EEEvS14_.has_recursion, 0
	.set _ZN7rocprim17ROCPRIM_400000_NS6detail17trampoline_kernelINS0_14default_configENS1_22reduce_config_selectorIN6thrust23THRUST_200600_302600_NS5tupleIblNS6_9null_typeES8_S8_S8_S8_S8_S8_S8_EEEEZNS1_11reduce_implILb1ES3_NS6_12zip_iteratorINS7_INS6_11hip_rocprim26transform_input_iterator_tIbNSD_35transform_pair_of_input_iterators_tIbNS6_6detail15normal_iteratorINS6_10device_ptrIKiEEEESL_NS6_8equal_toIiEEEENSG_9not_fun_tINSD_8identityEEEEENSD_19counting_iterator_tIlEES8_S8_S8_S8_S8_S8_S8_S8_EEEEPS9_S9_NSD_9__find_if7functorIS9_EEEE10hipError_tPvRmT1_T2_T3_mT4_P12ihipStream_tbEUlT_E1_NS1_11comp_targetILNS1_3genE4ELNS1_11target_archE910ELNS1_3gpuE8ELNS1_3repE0EEENS1_30default_config_static_selectorELNS0_4arch9wavefront6targetE1EEEvS14_.has_indirect_call, 0
	.section	.AMDGPU.csdata,"",@progbits
; Kernel info:
; codeLenInByte = 0
; TotalNumSgprs: 4
; NumVgprs: 0
; ScratchSize: 0
; MemoryBound: 0
; FloatMode: 240
; IeeeMode: 1
; LDSByteSize: 0 bytes/workgroup (compile time only)
; SGPRBlocks: 0
; VGPRBlocks: 0
; NumSGPRsForWavesPerEU: 4
; NumVGPRsForWavesPerEU: 1
; Occupancy: 10
; WaveLimiterHint : 0
; COMPUTE_PGM_RSRC2:SCRATCH_EN: 0
; COMPUTE_PGM_RSRC2:USER_SGPR: 6
; COMPUTE_PGM_RSRC2:TRAP_HANDLER: 0
; COMPUTE_PGM_RSRC2:TGID_X_EN: 1
; COMPUTE_PGM_RSRC2:TGID_Y_EN: 0
; COMPUTE_PGM_RSRC2:TGID_Z_EN: 0
; COMPUTE_PGM_RSRC2:TIDIG_COMP_CNT: 0
	.section	.text._ZN7rocprim17ROCPRIM_400000_NS6detail17trampoline_kernelINS0_14default_configENS1_22reduce_config_selectorIN6thrust23THRUST_200600_302600_NS5tupleIblNS6_9null_typeES8_S8_S8_S8_S8_S8_S8_EEEEZNS1_11reduce_implILb1ES3_NS6_12zip_iteratorINS7_INS6_11hip_rocprim26transform_input_iterator_tIbNSD_35transform_pair_of_input_iterators_tIbNS6_6detail15normal_iteratorINS6_10device_ptrIKiEEEESL_NS6_8equal_toIiEEEENSG_9not_fun_tINSD_8identityEEEEENSD_19counting_iterator_tIlEES8_S8_S8_S8_S8_S8_S8_S8_EEEEPS9_S9_NSD_9__find_if7functorIS9_EEEE10hipError_tPvRmT1_T2_T3_mT4_P12ihipStream_tbEUlT_E1_NS1_11comp_targetILNS1_3genE3ELNS1_11target_archE908ELNS1_3gpuE7ELNS1_3repE0EEENS1_30default_config_static_selectorELNS0_4arch9wavefront6targetE1EEEvS14_,"axG",@progbits,_ZN7rocprim17ROCPRIM_400000_NS6detail17trampoline_kernelINS0_14default_configENS1_22reduce_config_selectorIN6thrust23THRUST_200600_302600_NS5tupleIblNS6_9null_typeES8_S8_S8_S8_S8_S8_S8_EEEEZNS1_11reduce_implILb1ES3_NS6_12zip_iteratorINS7_INS6_11hip_rocprim26transform_input_iterator_tIbNSD_35transform_pair_of_input_iterators_tIbNS6_6detail15normal_iteratorINS6_10device_ptrIKiEEEESL_NS6_8equal_toIiEEEENSG_9not_fun_tINSD_8identityEEEEENSD_19counting_iterator_tIlEES8_S8_S8_S8_S8_S8_S8_S8_EEEEPS9_S9_NSD_9__find_if7functorIS9_EEEE10hipError_tPvRmT1_T2_T3_mT4_P12ihipStream_tbEUlT_E1_NS1_11comp_targetILNS1_3genE3ELNS1_11target_archE908ELNS1_3gpuE7ELNS1_3repE0EEENS1_30default_config_static_selectorELNS0_4arch9wavefront6targetE1EEEvS14_,comdat
	.protected	_ZN7rocprim17ROCPRIM_400000_NS6detail17trampoline_kernelINS0_14default_configENS1_22reduce_config_selectorIN6thrust23THRUST_200600_302600_NS5tupleIblNS6_9null_typeES8_S8_S8_S8_S8_S8_S8_EEEEZNS1_11reduce_implILb1ES3_NS6_12zip_iteratorINS7_INS6_11hip_rocprim26transform_input_iterator_tIbNSD_35transform_pair_of_input_iterators_tIbNS6_6detail15normal_iteratorINS6_10device_ptrIKiEEEESL_NS6_8equal_toIiEEEENSG_9not_fun_tINSD_8identityEEEEENSD_19counting_iterator_tIlEES8_S8_S8_S8_S8_S8_S8_S8_EEEEPS9_S9_NSD_9__find_if7functorIS9_EEEE10hipError_tPvRmT1_T2_T3_mT4_P12ihipStream_tbEUlT_E1_NS1_11comp_targetILNS1_3genE3ELNS1_11target_archE908ELNS1_3gpuE7ELNS1_3repE0EEENS1_30default_config_static_selectorELNS0_4arch9wavefront6targetE1EEEvS14_ ; -- Begin function _ZN7rocprim17ROCPRIM_400000_NS6detail17trampoline_kernelINS0_14default_configENS1_22reduce_config_selectorIN6thrust23THRUST_200600_302600_NS5tupleIblNS6_9null_typeES8_S8_S8_S8_S8_S8_S8_EEEEZNS1_11reduce_implILb1ES3_NS6_12zip_iteratorINS7_INS6_11hip_rocprim26transform_input_iterator_tIbNSD_35transform_pair_of_input_iterators_tIbNS6_6detail15normal_iteratorINS6_10device_ptrIKiEEEESL_NS6_8equal_toIiEEEENSG_9not_fun_tINSD_8identityEEEEENSD_19counting_iterator_tIlEES8_S8_S8_S8_S8_S8_S8_S8_EEEEPS9_S9_NSD_9__find_if7functorIS9_EEEE10hipError_tPvRmT1_T2_T3_mT4_P12ihipStream_tbEUlT_E1_NS1_11comp_targetILNS1_3genE3ELNS1_11target_archE908ELNS1_3gpuE7ELNS1_3repE0EEENS1_30default_config_static_selectorELNS0_4arch9wavefront6targetE1EEEvS14_
	.globl	_ZN7rocprim17ROCPRIM_400000_NS6detail17trampoline_kernelINS0_14default_configENS1_22reduce_config_selectorIN6thrust23THRUST_200600_302600_NS5tupleIblNS6_9null_typeES8_S8_S8_S8_S8_S8_S8_EEEEZNS1_11reduce_implILb1ES3_NS6_12zip_iteratorINS7_INS6_11hip_rocprim26transform_input_iterator_tIbNSD_35transform_pair_of_input_iterators_tIbNS6_6detail15normal_iteratorINS6_10device_ptrIKiEEEESL_NS6_8equal_toIiEEEENSG_9not_fun_tINSD_8identityEEEEENSD_19counting_iterator_tIlEES8_S8_S8_S8_S8_S8_S8_S8_EEEEPS9_S9_NSD_9__find_if7functorIS9_EEEE10hipError_tPvRmT1_T2_T3_mT4_P12ihipStream_tbEUlT_E1_NS1_11comp_targetILNS1_3genE3ELNS1_11target_archE908ELNS1_3gpuE7ELNS1_3repE0EEENS1_30default_config_static_selectorELNS0_4arch9wavefront6targetE1EEEvS14_
	.p2align	8
	.type	_ZN7rocprim17ROCPRIM_400000_NS6detail17trampoline_kernelINS0_14default_configENS1_22reduce_config_selectorIN6thrust23THRUST_200600_302600_NS5tupleIblNS6_9null_typeES8_S8_S8_S8_S8_S8_S8_EEEEZNS1_11reduce_implILb1ES3_NS6_12zip_iteratorINS7_INS6_11hip_rocprim26transform_input_iterator_tIbNSD_35transform_pair_of_input_iterators_tIbNS6_6detail15normal_iteratorINS6_10device_ptrIKiEEEESL_NS6_8equal_toIiEEEENSG_9not_fun_tINSD_8identityEEEEENSD_19counting_iterator_tIlEES8_S8_S8_S8_S8_S8_S8_S8_EEEEPS9_S9_NSD_9__find_if7functorIS9_EEEE10hipError_tPvRmT1_T2_T3_mT4_P12ihipStream_tbEUlT_E1_NS1_11comp_targetILNS1_3genE3ELNS1_11target_archE908ELNS1_3gpuE7ELNS1_3repE0EEENS1_30default_config_static_selectorELNS0_4arch9wavefront6targetE1EEEvS14_,@function
_ZN7rocprim17ROCPRIM_400000_NS6detail17trampoline_kernelINS0_14default_configENS1_22reduce_config_selectorIN6thrust23THRUST_200600_302600_NS5tupleIblNS6_9null_typeES8_S8_S8_S8_S8_S8_S8_EEEEZNS1_11reduce_implILb1ES3_NS6_12zip_iteratorINS7_INS6_11hip_rocprim26transform_input_iterator_tIbNSD_35transform_pair_of_input_iterators_tIbNS6_6detail15normal_iteratorINS6_10device_ptrIKiEEEESL_NS6_8equal_toIiEEEENSG_9not_fun_tINSD_8identityEEEEENSD_19counting_iterator_tIlEES8_S8_S8_S8_S8_S8_S8_S8_EEEEPS9_S9_NSD_9__find_if7functorIS9_EEEE10hipError_tPvRmT1_T2_T3_mT4_P12ihipStream_tbEUlT_E1_NS1_11comp_targetILNS1_3genE3ELNS1_11target_archE908ELNS1_3gpuE7ELNS1_3repE0EEENS1_30default_config_static_selectorELNS0_4arch9wavefront6targetE1EEEvS14_: ; @_ZN7rocprim17ROCPRIM_400000_NS6detail17trampoline_kernelINS0_14default_configENS1_22reduce_config_selectorIN6thrust23THRUST_200600_302600_NS5tupleIblNS6_9null_typeES8_S8_S8_S8_S8_S8_S8_EEEEZNS1_11reduce_implILb1ES3_NS6_12zip_iteratorINS7_INS6_11hip_rocprim26transform_input_iterator_tIbNSD_35transform_pair_of_input_iterators_tIbNS6_6detail15normal_iteratorINS6_10device_ptrIKiEEEESL_NS6_8equal_toIiEEEENSG_9not_fun_tINSD_8identityEEEEENSD_19counting_iterator_tIlEES8_S8_S8_S8_S8_S8_S8_S8_EEEEPS9_S9_NSD_9__find_if7functorIS9_EEEE10hipError_tPvRmT1_T2_T3_mT4_P12ihipStream_tbEUlT_E1_NS1_11comp_targetILNS1_3genE3ELNS1_11target_archE908ELNS1_3gpuE7ELNS1_3repE0EEENS1_30default_config_static_selectorELNS0_4arch9wavefront6targetE1EEEvS14_
; %bb.0:
	.section	.rodata,"a",@progbits
	.p2align	6, 0x0
	.amdhsa_kernel _ZN7rocprim17ROCPRIM_400000_NS6detail17trampoline_kernelINS0_14default_configENS1_22reduce_config_selectorIN6thrust23THRUST_200600_302600_NS5tupleIblNS6_9null_typeES8_S8_S8_S8_S8_S8_S8_EEEEZNS1_11reduce_implILb1ES3_NS6_12zip_iteratorINS7_INS6_11hip_rocprim26transform_input_iterator_tIbNSD_35transform_pair_of_input_iterators_tIbNS6_6detail15normal_iteratorINS6_10device_ptrIKiEEEESL_NS6_8equal_toIiEEEENSG_9not_fun_tINSD_8identityEEEEENSD_19counting_iterator_tIlEES8_S8_S8_S8_S8_S8_S8_S8_EEEEPS9_S9_NSD_9__find_if7functorIS9_EEEE10hipError_tPvRmT1_T2_T3_mT4_P12ihipStream_tbEUlT_E1_NS1_11comp_targetILNS1_3genE3ELNS1_11target_archE908ELNS1_3gpuE7ELNS1_3repE0EEENS1_30default_config_static_selectorELNS0_4arch9wavefront6targetE1EEEvS14_
		.amdhsa_group_segment_fixed_size 0
		.amdhsa_private_segment_fixed_size 0
		.amdhsa_kernarg_size 88
		.amdhsa_user_sgpr_count 6
		.amdhsa_user_sgpr_private_segment_buffer 1
		.amdhsa_user_sgpr_dispatch_ptr 0
		.amdhsa_user_sgpr_queue_ptr 0
		.amdhsa_user_sgpr_kernarg_segment_ptr 1
		.amdhsa_user_sgpr_dispatch_id 0
		.amdhsa_user_sgpr_flat_scratch_init 0
		.amdhsa_user_sgpr_private_segment_size 0
		.amdhsa_uses_dynamic_stack 0
		.amdhsa_system_sgpr_private_segment_wavefront_offset 0
		.amdhsa_system_sgpr_workgroup_id_x 1
		.amdhsa_system_sgpr_workgroup_id_y 0
		.amdhsa_system_sgpr_workgroup_id_z 0
		.amdhsa_system_sgpr_workgroup_info 0
		.amdhsa_system_vgpr_workitem_id 0
		.amdhsa_next_free_vgpr 1
		.amdhsa_next_free_sgpr 0
		.amdhsa_reserve_vcc 0
		.amdhsa_reserve_flat_scratch 0
		.amdhsa_float_round_mode_32 0
		.amdhsa_float_round_mode_16_64 0
		.amdhsa_float_denorm_mode_32 3
		.amdhsa_float_denorm_mode_16_64 3
		.amdhsa_dx10_clamp 1
		.amdhsa_ieee_mode 1
		.amdhsa_fp16_overflow 0
		.amdhsa_exception_fp_ieee_invalid_op 0
		.amdhsa_exception_fp_denorm_src 0
		.amdhsa_exception_fp_ieee_div_zero 0
		.amdhsa_exception_fp_ieee_overflow 0
		.amdhsa_exception_fp_ieee_underflow 0
		.amdhsa_exception_fp_ieee_inexact 0
		.amdhsa_exception_int_div_zero 0
	.end_amdhsa_kernel
	.section	.text._ZN7rocprim17ROCPRIM_400000_NS6detail17trampoline_kernelINS0_14default_configENS1_22reduce_config_selectorIN6thrust23THRUST_200600_302600_NS5tupleIblNS6_9null_typeES8_S8_S8_S8_S8_S8_S8_EEEEZNS1_11reduce_implILb1ES3_NS6_12zip_iteratorINS7_INS6_11hip_rocprim26transform_input_iterator_tIbNSD_35transform_pair_of_input_iterators_tIbNS6_6detail15normal_iteratorINS6_10device_ptrIKiEEEESL_NS6_8equal_toIiEEEENSG_9not_fun_tINSD_8identityEEEEENSD_19counting_iterator_tIlEES8_S8_S8_S8_S8_S8_S8_S8_EEEEPS9_S9_NSD_9__find_if7functorIS9_EEEE10hipError_tPvRmT1_T2_T3_mT4_P12ihipStream_tbEUlT_E1_NS1_11comp_targetILNS1_3genE3ELNS1_11target_archE908ELNS1_3gpuE7ELNS1_3repE0EEENS1_30default_config_static_selectorELNS0_4arch9wavefront6targetE1EEEvS14_,"axG",@progbits,_ZN7rocprim17ROCPRIM_400000_NS6detail17trampoline_kernelINS0_14default_configENS1_22reduce_config_selectorIN6thrust23THRUST_200600_302600_NS5tupleIblNS6_9null_typeES8_S8_S8_S8_S8_S8_S8_EEEEZNS1_11reduce_implILb1ES3_NS6_12zip_iteratorINS7_INS6_11hip_rocprim26transform_input_iterator_tIbNSD_35transform_pair_of_input_iterators_tIbNS6_6detail15normal_iteratorINS6_10device_ptrIKiEEEESL_NS6_8equal_toIiEEEENSG_9not_fun_tINSD_8identityEEEEENSD_19counting_iterator_tIlEES8_S8_S8_S8_S8_S8_S8_S8_EEEEPS9_S9_NSD_9__find_if7functorIS9_EEEE10hipError_tPvRmT1_T2_T3_mT4_P12ihipStream_tbEUlT_E1_NS1_11comp_targetILNS1_3genE3ELNS1_11target_archE908ELNS1_3gpuE7ELNS1_3repE0EEENS1_30default_config_static_selectorELNS0_4arch9wavefront6targetE1EEEvS14_,comdat
.Lfunc_end480:
	.size	_ZN7rocprim17ROCPRIM_400000_NS6detail17trampoline_kernelINS0_14default_configENS1_22reduce_config_selectorIN6thrust23THRUST_200600_302600_NS5tupleIblNS6_9null_typeES8_S8_S8_S8_S8_S8_S8_EEEEZNS1_11reduce_implILb1ES3_NS6_12zip_iteratorINS7_INS6_11hip_rocprim26transform_input_iterator_tIbNSD_35transform_pair_of_input_iterators_tIbNS6_6detail15normal_iteratorINS6_10device_ptrIKiEEEESL_NS6_8equal_toIiEEEENSG_9not_fun_tINSD_8identityEEEEENSD_19counting_iterator_tIlEES8_S8_S8_S8_S8_S8_S8_S8_EEEEPS9_S9_NSD_9__find_if7functorIS9_EEEE10hipError_tPvRmT1_T2_T3_mT4_P12ihipStream_tbEUlT_E1_NS1_11comp_targetILNS1_3genE3ELNS1_11target_archE908ELNS1_3gpuE7ELNS1_3repE0EEENS1_30default_config_static_selectorELNS0_4arch9wavefront6targetE1EEEvS14_, .Lfunc_end480-_ZN7rocprim17ROCPRIM_400000_NS6detail17trampoline_kernelINS0_14default_configENS1_22reduce_config_selectorIN6thrust23THRUST_200600_302600_NS5tupleIblNS6_9null_typeES8_S8_S8_S8_S8_S8_S8_EEEEZNS1_11reduce_implILb1ES3_NS6_12zip_iteratorINS7_INS6_11hip_rocprim26transform_input_iterator_tIbNSD_35transform_pair_of_input_iterators_tIbNS6_6detail15normal_iteratorINS6_10device_ptrIKiEEEESL_NS6_8equal_toIiEEEENSG_9not_fun_tINSD_8identityEEEEENSD_19counting_iterator_tIlEES8_S8_S8_S8_S8_S8_S8_S8_EEEEPS9_S9_NSD_9__find_if7functorIS9_EEEE10hipError_tPvRmT1_T2_T3_mT4_P12ihipStream_tbEUlT_E1_NS1_11comp_targetILNS1_3genE3ELNS1_11target_archE908ELNS1_3gpuE7ELNS1_3repE0EEENS1_30default_config_static_selectorELNS0_4arch9wavefront6targetE1EEEvS14_
                                        ; -- End function
	.set _ZN7rocprim17ROCPRIM_400000_NS6detail17trampoline_kernelINS0_14default_configENS1_22reduce_config_selectorIN6thrust23THRUST_200600_302600_NS5tupleIblNS6_9null_typeES8_S8_S8_S8_S8_S8_S8_EEEEZNS1_11reduce_implILb1ES3_NS6_12zip_iteratorINS7_INS6_11hip_rocprim26transform_input_iterator_tIbNSD_35transform_pair_of_input_iterators_tIbNS6_6detail15normal_iteratorINS6_10device_ptrIKiEEEESL_NS6_8equal_toIiEEEENSG_9not_fun_tINSD_8identityEEEEENSD_19counting_iterator_tIlEES8_S8_S8_S8_S8_S8_S8_S8_EEEEPS9_S9_NSD_9__find_if7functorIS9_EEEE10hipError_tPvRmT1_T2_T3_mT4_P12ihipStream_tbEUlT_E1_NS1_11comp_targetILNS1_3genE3ELNS1_11target_archE908ELNS1_3gpuE7ELNS1_3repE0EEENS1_30default_config_static_selectorELNS0_4arch9wavefront6targetE1EEEvS14_.num_vgpr, 0
	.set _ZN7rocprim17ROCPRIM_400000_NS6detail17trampoline_kernelINS0_14default_configENS1_22reduce_config_selectorIN6thrust23THRUST_200600_302600_NS5tupleIblNS6_9null_typeES8_S8_S8_S8_S8_S8_S8_EEEEZNS1_11reduce_implILb1ES3_NS6_12zip_iteratorINS7_INS6_11hip_rocprim26transform_input_iterator_tIbNSD_35transform_pair_of_input_iterators_tIbNS6_6detail15normal_iteratorINS6_10device_ptrIKiEEEESL_NS6_8equal_toIiEEEENSG_9not_fun_tINSD_8identityEEEEENSD_19counting_iterator_tIlEES8_S8_S8_S8_S8_S8_S8_S8_EEEEPS9_S9_NSD_9__find_if7functorIS9_EEEE10hipError_tPvRmT1_T2_T3_mT4_P12ihipStream_tbEUlT_E1_NS1_11comp_targetILNS1_3genE3ELNS1_11target_archE908ELNS1_3gpuE7ELNS1_3repE0EEENS1_30default_config_static_selectorELNS0_4arch9wavefront6targetE1EEEvS14_.num_agpr, 0
	.set _ZN7rocprim17ROCPRIM_400000_NS6detail17trampoline_kernelINS0_14default_configENS1_22reduce_config_selectorIN6thrust23THRUST_200600_302600_NS5tupleIblNS6_9null_typeES8_S8_S8_S8_S8_S8_S8_EEEEZNS1_11reduce_implILb1ES3_NS6_12zip_iteratorINS7_INS6_11hip_rocprim26transform_input_iterator_tIbNSD_35transform_pair_of_input_iterators_tIbNS6_6detail15normal_iteratorINS6_10device_ptrIKiEEEESL_NS6_8equal_toIiEEEENSG_9not_fun_tINSD_8identityEEEEENSD_19counting_iterator_tIlEES8_S8_S8_S8_S8_S8_S8_S8_EEEEPS9_S9_NSD_9__find_if7functorIS9_EEEE10hipError_tPvRmT1_T2_T3_mT4_P12ihipStream_tbEUlT_E1_NS1_11comp_targetILNS1_3genE3ELNS1_11target_archE908ELNS1_3gpuE7ELNS1_3repE0EEENS1_30default_config_static_selectorELNS0_4arch9wavefront6targetE1EEEvS14_.numbered_sgpr, 0
	.set _ZN7rocprim17ROCPRIM_400000_NS6detail17trampoline_kernelINS0_14default_configENS1_22reduce_config_selectorIN6thrust23THRUST_200600_302600_NS5tupleIblNS6_9null_typeES8_S8_S8_S8_S8_S8_S8_EEEEZNS1_11reduce_implILb1ES3_NS6_12zip_iteratorINS7_INS6_11hip_rocprim26transform_input_iterator_tIbNSD_35transform_pair_of_input_iterators_tIbNS6_6detail15normal_iteratorINS6_10device_ptrIKiEEEESL_NS6_8equal_toIiEEEENSG_9not_fun_tINSD_8identityEEEEENSD_19counting_iterator_tIlEES8_S8_S8_S8_S8_S8_S8_S8_EEEEPS9_S9_NSD_9__find_if7functorIS9_EEEE10hipError_tPvRmT1_T2_T3_mT4_P12ihipStream_tbEUlT_E1_NS1_11comp_targetILNS1_3genE3ELNS1_11target_archE908ELNS1_3gpuE7ELNS1_3repE0EEENS1_30default_config_static_selectorELNS0_4arch9wavefront6targetE1EEEvS14_.num_named_barrier, 0
	.set _ZN7rocprim17ROCPRIM_400000_NS6detail17trampoline_kernelINS0_14default_configENS1_22reduce_config_selectorIN6thrust23THRUST_200600_302600_NS5tupleIblNS6_9null_typeES8_S8_S8_S8_S8_S8_S8_EEEEZNS1_11reduce_implILb1ES3_NS6_12zip_iteratorINS7_INS6_11hip_rocprim26transform_input_iterator_tIbNSD_35transform_pair_of_input_iterators_tIbNS6_6detail15normal_iteratorINS6_10device_ptrIKiEEEESL_NS6_8equal_toIiEEEENSG_9not_fun_tINSD_8identityEEEEENSD_19counting_iterator_tIlEES8_S8_S8_S8_S8_S8_S8_S8_EEEEPS9_S9_NSD_9__find_if7functorIS9_EEEE10hipError_tPvRmT1_T2_T3_mT4_P12ihipStream_tbEUlT_E1_NS1_11comp_targetILNS1_3genE3ELNS1_11target_archE908ELNS1_3gpuE7ELNS1_3repE0EEENS1_30default_config_static_selectorELNS0_4arch9wavefront6targetE1EEEvS14_.private_seg_size, 0
	.set _ZN7rocprim17ROCPRIM_400000_NS6detail17trampoline_kernelINS0_14default_configENS1_22reduce_config_selectorIN6thrust23THRUST_200600_302600_NS5tupleIblNS6_9null_typeES8_S8_S8_S8_S8_S8_S8_EEEEZNS1_11reduce_implILb1ES3_NS6_12zip_iteratorINS7_INS6_11hip_rocprim26transform_input_iterator_tIbNSD_35transform_pair_of_input_iterators_tIbNS6_6detail15normal_iteratorINS6_10device_ptrIKiEEEESL_NS6_8equal_toIiEEEENSG_9not_fun_tINSD_8identityEEEEENSD_19counting_iterator_tIlEES8_S8_S8_S8_S8_S8_S8_S8_EEEEPS9_S9_NSD_9__find_if7functorIS9_EEEE10hipError_tPvRmT1_T2_T3_mT4_P12ihipStream_tbEUlT_E1_NS1_11comp_targetILNS1_3genE3ELNS1_11target_archE908ELNS1_3gpuE7ELNS1_3repE0EEENS1_30default_config_static_selectorELNS0_4arch9wavefront6targetE1EEEvS14_.uses_vcc, 0
	.set _ZN7rocprim17ROCPRIM_400000_NS6detail17trampoline_kernelINS0_14default_configENS1_22reduce_config_selectorIN6thrust23THRUST_200600_302600_NS5tupleIblNS6_9null_typeES8_S8_S8_S8_S8_S8_S8_EEEEZNS1_11reduce_implILb1ES3_NS6_12zip_iteratorINS7_INS6_11hip_rocprim26transform_input_iterator_tIbNSD_35transform_pair_of_input_iterators_tIbNS6_6detail15normal_iteratorINS6_10device_ptrIKiEEEESL_NS6_8equal_toIiEEEENSG_9not_fun_tINSD_8identityEEEEENSD_19counting_iterator_tIlEES8_S8_S8_S8_S8_S8_S8_S8_EEEEPS9_S9_NSD_9__find_if7functorIS9_EEEE10hipError_tPvRmT1_T2_T3_mT4_P12ihipStream_tbEUlT_E1_NS1_11comp_targetILNS1_3genE3ELNS1_11target_archE908ELNS1_3gpuE7ELNS1_3repE0EEENS1_30default_config_static_selectorELNS0_4arch9wavefront6targetE1EEEvS14_.uses_flat_scratch, 0
	.set _ZN7rocprim17ROCPRIM_400000_NS6detail17trampoline_kernelINS0_14default_configENS1_22reduce_config_selectorIN6thrust23THRUST_200600_302600_NS5tupleIblNS6_9null_typeES8_S8_S8_S8_S8_S8_S8_EEEEZNS1_11reduce_implILb1ES3_NS6_12zip_iteratorINS7_INS6_11hip_rocprim26transform_input_iterator_tIbNSD_35transform_pair_of_input_iterators_tIbNS6_6detail15normal_iteratorINS6_10device_ptrIKiEEEESL_NS6_8equal_toIiEEEENSG_9not_fun_tINSD_8identityEEEEENSD_19counting_iterator_tIlEES8_S8_S8_S8_S8_S8_S8_S8_EEEEPS9_S9_NSD_9__find_if7functorIS9_EEEE10hipError_tPvRmT1_T2_T3_mT4_P12ihipStream_tbEUlT_E1_NS1_11comp_targetILNS1_3genE3ELNS1_11target_archE908ELNS1_3gpuE7ELNS1_3repE0EEENS1_30default_config_static_selectorELNS0_4arch9wavefront6targetE1EEEvS14_.has_dyn_sized_stack, 0
	.set _ZN7rocprim17ROCPRIM_400000_NS6detail17trampoline_kernelINS0_14default_configENS1_22reduce_config_selectorIN6thrust23THRUST_200600_302600_NS5tupleIblNS6_9null_typeES8_S8_S8_S8_S8_S8_S8_EEEEZNS1_11reduce_implILb1ES3_NS6_12zip_iteratorINS7_INS6_11hip_rocprim26transform_input_iterator_tIbNSD_35transform_pair_of_input_iterators_tIbNS6_6detail15normal_iteratorINS6_10device_ptrIKiEEEESL_NS6_8equal_toIiEEEENSG_9not_fun_tINSD_8identityEEEEENSD_19counting_iterator_tIlEES8_S8_S8_S8_S8_S8_S8_S8_EEEEPS9_S9_NSD_9__find_if7functorIS9_EEEE10hipError_tPvRmT1_T2_T3_mT4_P12ihipStream_tbEUlT_E1_NS1_11comp_targetILNS1_3genE3ELNS1_11target_archE908ELNS1_3gpuE7ELNS1_3repE0EEENS1_30default_config_static_selectorELNS0_4arch9wavefront6targetE1EEEvS14_.has_recursion, 0
	.set _ZN7rocprim17ROCPRIM_400000_NS6detail17trampoline_kernelINS0_14default_configENS1_22reduce_config_selectorIN6thrust23THRUST_200600_302600_NS5tupleIblNS6_9null_typeES8_S8_S8_S8_S8_S8_S8_EEEEZNS1_11reduce_implILb1ES3_NS6_12zip_iteratorINS7_INS6_11hip_rocprim26transform_input_iterator_tIbNSD_35transform_pair_of_input_iterators_tIbNS6_6detail15normal_iteratorINS6_10device_ptrIKiEEEESL_NS6_8equal_toIiEEEENSG_9not_fun_tINSD_8identityEEEEENSD_19counting_iterator_tIlEES8_S8_S8_S8_S8_S8_S8_S8_EEEEPS9_S9_NSD_9__find_if7functorIS9_EEEE10hipError_tPvRmT1_T2_T3_mT4_P12ihipStream_tbEUlT_E1_NS1_11comp_targetILNS1_3genE3ELNS1_11target_archE908ELNS1_3gpuE7ELNS1_3repE0EEENS1_30default_config_static_selectorELNS0_4arch9wavefront6targetE1EEEvS14_.has_indirect_call, 0
	.section	.AMDGPU.csdata,"",@progbits
; Kernel info:
; codeLenInByte = 0
; TotalNumSgprs: 4
; NumVgprs: 0
; ScratchSize: 0
; MemoryBound: 0
; FloatMode: 240
; IeeeMode: 1
; LDSByteSize: 0 bytes/workgroup (compile time only)
; SGPRBlocks: 0
; VGPRBlocks: 0
; NumSGPRsForWavesPerEU: 4
; NumVGPRsForWavesPerEU: 1
; Occupancy: 10
; WaveLimiterHint : 0
; COMPUTE_PGM_RSRC2:SCRATCH_EN: 0
; COMPUTE_PGM_RSRC2:USER_SGPR: 6
; COMPUTE_PGM_RSRC2:TRAP_HANDLER: 0
; COMPUTE_PGM_RSRC2:TGID_X_EN: 1
; COMPUTE_PGM_RSRC2:TGID_Y_EN: 0
; COMPUTE_PGM_RSRC2:TGID_Z_EN: 0
; COMPUTE_PGM_RSRC2:TIDIG_COMP_CNT: 0
	.section	.text._ZN7rocprim17ROCPRIM_400000_NS6detail17trampoline_kernelINS0_14default_configENS1_22reduce_config_selectorIN6thrust23THRUST_200600_302600_NS5tupleIblNS6_9null_typeES8_S8_S8_S8_S8_S8_S8_EEEEZNS1_11reduce_implILb1ES3_NS6_12zip_iteratorINS7_INS6_11hip_rocprim26transform_input_iterator_tIbNSD_35transform_pair_of_input_iterators_tIbNS6_6detail15normal_iteratorINS6_10device_ptrIKiEEEESL_NS6_8equal_toIiEEEENSG_9not_fun_tINSD_8identityEEEEENSD_19counting_iterator_tIlEES8_S8_S8_S8_S8_S8_S8_S8_EEEEPS9_S9_NSD_9__find_if7functorIS9_EEEE10hipError_tPvRmT1_T2_T3_mT4_P12ihipStream_tbEUlT_E1_NS1_11comp_targetILNS1_3genE2ELNS1_11target_archE906ELNS1_3gpuE6ELNS1_3repE0EEENS1_30default_config_static_selectorELNS0_4arch9wavefront6targetE1EEEvS14_,"axG",@progbits,_ZN7rocprim17ROCPRIM_400000_NS6detail17trampoline_kernelINS0_14default_configENS1_22reduce_config_selectorIN6thrust23THRUST_200600_302600_NS5tupleIblNS6_9null_typeES8_S8_S8_S8_S8_S8_S8_EEEEZNS1_11reduce_implILb1ES3_NS6_12zip_iteratorINS7_INS6_11hip_rocprim26transform_input_iterator_tIbNSD_35transform_pair_of_input_iterators_tIbNS6_6detail15normal_iteratorINS6_10device_ptrIKiEEEESL_NS6_8equal_toIiEEEENSG_9not_fun_tINSD_8identityEEEEENSD_19counting_iterator_tIlEES8_S8_S8_S8_S8_S8_S8_S8_EEEEPS9_S9_NSD_9__find_if7functorIS9_EEEE10hipError_tPvRmT1_T2_T3_mT4_P12ihipStream_tbEUlT_E1_NS1_11comp_targetILNS1_3genE2ELNS1_11target_archE906ELNS1_3gpuE6ELNS1_3repE0EEENS1_30default_config_static_selectorELNS0_4arch9wavefront6targetE1EEEvS14_,comdat
	.protected	_ZN7rocprim17ROCPRIM_400000_NS6detail17trampoline_kernelINS0_14default_configENS1_22reduce_config_selectorIN6thrust23THRUST_200600_302600_NS5tupleIblNS6_9null_typeES8_S8_S8_S8_S8_S8_S8_EEEEZNS1_11reduce_implILb1ES3_NS6_12zip_iteratorINS7_INS6_11hip_rocprim26transform_input_iterator_tIbNSD_35transform_pair_of_input_iterators_tIbNS6_6detail15normal_iteratorINS6_10device_ptrIKiEEEESL_NS6_8equal_toIiEEEENSG_9not_fun_tINSD_8identityEEEEENSD_19counting_iterator_tIlEES8_S8_S8_S8_S8_S8_S8_S8_EEEEPS9_S9_NSD_9__find_if7functorIS9_EEEE10hipError_tPvRmT1_T2_T3_mT4_P12ihipStream_tbEUlT_E1_NS1_11comp_targetILNS1_3genE2ELNS1_11target_archE906ELNS1_3gpuE6ELNS1_3repE0EEENS1_30default_config_static_selectorELNS0_4arch9wavefront6targetE1EEEvS14_ ; -- Begin function _ZN7rocprim17ROCPRIM_400000_NS6detail17trampoline_kernelINS0_14default_configENS1_22reduce_config_selectorIN6thrust23THRUST_200600_302600_NS5tupleIblNS6_9null_typeES8_S8_S8_S8_S8_S8_S8_EEEEZNS1_11reduce_implILb1ES3_NS6_12zip_iteratorINS7_INS6_11hip_rocprim26transform_input_iterator_tIbNSD_35transform_pair_of_input_iterators_tIbNS6_6detail15normal_iteratorINS6_10device_ptrIKiEEEESL_NS6_8equal_toIiEEEENSG_9not_fun_tINSD_8identityEEEEENSD_19counting_iterator_tIlEES8_S8_S8_S8_S8_S8_S8_S8_EEEEPS9_S9_NSD_9__find_if7functorIS9_EEEE10hipError_tPvRmT1_T2_T3_mT4_P12ihipStream_tbEUlT_E1_NS1_11comp_targetILNS1_3genE2ELNS1_11target_archE906ELNS1_3gpuE6ELNS1_3repE0EEENS1_30default_config_static_selectorELNS0_4arch9wavefront6targetE1EEEvS14_
	.globl	_ZN7rocprim17ROCPRIM_400000_NS6detail17trampoline_kernelINS0_14default_configENS1_22reduce_config_selectorIN6thrust23THRUST_200600_302600_NS5tupleIblNS6_9null_typeES8_S8_S8_S8_S8_S8_S8_EEEEZNS1_11reduce_implILb1ES3_NS6_12zip_iteratorINS7_INS6_11hip_rocprim26transform_input_iterator_tIbNSD_35transform_pair_of_input_iterators_tIbNS6_6detail15normal_iteratorINS6_10device_ptrIKiEEEESL_NS6_8equal_toIiEEEENSG_9not_fun_tINSD_8identityEEEEENSD_19counting_iterator_tIlEES8_S8_S8_S8_S8_S8_S8_S8_EEEEPS9_S9_NSD_9__find_if7functorIS9_EEEE10hipError_tPvRmT1_T2_T3_mT4_P12ihipStream_tbEUlT_E1_NS1_11comp_targetILNS1_3genE2ELNS1_11target_archE906ELNS1_3gpuE6ELNS1_3repE0EEENS1_30default_config_static_selectorELNS0_4arch9wavefront6targetE1EEEvS14_
	.p2align	8
	.type	_ZN7rocprim17ROCPRIM_400000_NS6detail17trampoline_kernelINS0_14default_configENS1_22reduce_config_selectorIN6thrust23THRUST_200600_302600_NS5tupleIblNS6_9null_typeES8_S8_S8_S8_S8_S8_S8_EEEEZNS1_11reduce_implILb1ES3_NS6_12zip_iteratorINS7_INS6_11hip_rocprim26transform_input_iterator_tIbNSD_35transform_pair_of_input_iterators_tIbNS6_6detail15normal_iteratorINS6_10device_ptrIKiEEEESL_NS6_8equal_toIiEEEENSG_9not_fun_tINSD_8identityEEEEENSD_19counting_iterator_tIlEES8_S8_S8_S8_S8_S8_S8_S8_EEEEPS9_S9_NSD_9__find_if7functorIS9_EEEE10hipError_tPvRmT1_T2_T3_mT4_P12ihipStream_tbEUlT_E1_NS1_11comp_targetILNS1_3genE2ELNS1_11target_archE906ELNS1_3gpuE6ELNS1_3repE0EEENS1_30default_config_static_selectorELNS0_4arch9wavefront6targetE1EEEvS14_,@function
_ZN7rocprim17ROCPRIM_400000_NS6detail17trampoline_kernelINS0_14default_configENS1_22reduce_config_selectorIN6thrust23THRUST_200600_302600_NS5tupleIblNS6_9null_typeES8_S8_S8_S8_S8_S8_S8_EEEEZNS1_11reduce_implILb1ES3_NS6_12zip_iteratorINS7_INS6_11hip_rocprim26transform_input_iterator_tIbNSD_35transform_pair_of_input_iterators_tIbNS6_6detail15normal_iteratorINS6_10device_ptrIKiEEEESL_NS6_8equal_toIiEEEENSG_9not_fun_tINSD_8identityEEEEENSD_19counting_iterator_tIlEES8_S8_S8_S8_S8_S8_S8_S8_EEEEPS9_S9_NSD_9__find_if7functorIS9_EEEE10hipError_tPvRmT1_T2_T3_mT4_P12ihipStream_tbEUlT_E1_NS1_11comp_targetILNS1_3genE2ELNS1_11target_archE906ELNS1_3gpuE6ELNS1_3repE0EEENS1_30default_config_static_selectorELNS0_4arch9wavefront6targetE1EEEvS14_: ; @_ZN7rocprim17ROCPRIM_400000_NS6detail17trampoline_kernelINS0_14default_configENS1_22reduce_config_selectorIN6thrust23THRUST_200600_302600_NS5tupleIblNS6_9null_typeES8_S8_S8_S8_S8_S8_S8_EEEEZNS1_11reduce_implILb1ES3_NS6_12zip_iteratorINS7_INS6_11hip_rocprim26transform_input_iterator_tIbNSD_35transform_pair_of_input_iterators_tIbNS6_6detail15normal_iteratorINS6_10device_ptrIKiEEEESL_NS6_8equal_toIiEEEENSG_9not_fun_tINSD_8identityEEEEENSD_19counting_iterator_tIlEES8_S8_S8_S8_S8_S8_S8_S8_EEEEPS9_S9_NSD_9__find_if7functorIS9_EEEE10hipError_tPvRmT1_T2_T3_mT4_P12ihipStream_tbEUlT_E1_NS1_11comp_targetILNS1_3genE2ELNS1_11target_archE906ELNS1_3gpuE6ELNS1_3repE0EEENS1_30default_config_static_selectorELNS0_4arch9wavefront6targetE1EEEvS14_
; %bb.0:
	s_load_dword s38, s[4:5], 0x4
	s_load_dwordx4 s[24:27], s[4:5], 0x8
	s_load_dwordx4 s[20:23], s[4:5], 0x28
	s_load_dword s33, s[4:5], 0x40
	s_load_dwordx2 s[18:19], s[4:5], 0x48
	s_waitcnt lgkmcnt(0)
	s_cmp_lt_i32 s38, 4
	s_cbranch_scc1 .LBB481_13
; %bb.1:
	s_cmp_gt_i32 s38, 7
	s_cbranch_scc0 .LBB481_14
; %bb.2:
	s_cmp_eq_u32 s38, 8
	s_mov_b64 s[28:29], 0
	s_cbranch_scc0 .LBB481_15
; %bb.3:
	s_mov_b32 s7, 0
	s_lshl_b32 s36, s6, 10
	s_mov_b32 s37, s7
	s_lshr_b64 s[0:1], s[22:23], 10
	s_lshl_b64 s[2:3], s[36:37], 2
	s_add_u32 s30, s24, s2
	s_addc_u32 s31, s25, s3
	s_add_u32 s34, s26, s2
	s_addc_u32 s35, s27, s3
	s_add_u32 s40, s20, s36
	s_addc_u32 s41, s21, 0
	s_cmp_lg_u64 s[0:1], s[6:7]
	s_cbranch_scc0 .LBB481_28
; %bb.4:
	v_lshlrev_b32_e32 v1, 2, v0
	global_load_dword v2, v1, s[30:31] offset:1024
	global_load_dword v3, v1, s[30:31] offset:2048
	;; [unrolled: 1-line block ×14, first 2 shown]
	global_load_dword v16, v1, s[30:31]
	s_nop 0
	global_load_dword v1, v1, s[34:35]
	v_mov_b32_e32 v18, 0x100
	v_mov_b32_e32 v19, 0x80
	;; [unrolled: 1-line block ×7, first 2 shown]
	s_waitcnt vmcnt(13)
	v_cmp_ne_u32_e32 vcc, v2, v4
	v_mbcnt_lo_u32_b32 v4, -1, 0
	s_waitcnt vmcnt(12)
	v_cmp_ne_u32_e64 s[0:1], v3, v5
	v_add_co_u32_e64 v5, s[2:3], s40, v0
	v_mbcnt_hi_u32_b32 v3, -1, v4
	v_addc_co_u32_e64 v17, s[2:3], 0, v17, s[2:3]
	s_waitcnt vmcnt(6)
	v_cmp_ne_u32_e64 s[2:3], v11, v6
	s_waitcnt vmcnt(4)
	v_cmp_ne_u32_e64 s[14:15], v13, v8
	;; [unrolled: 2-line block ×4, first 2 shown]
	v_cndmask_b32_e64 v4, v18, v19, s[10:11]
	s_waitcnt vmcnt(0)
	v_cmp_ne_u32_e64 s[16:17], v16, v1
	s_or_b64 s[10:11], s[16:17], s[10:11]
	s_or_b64 vcc, s[10:11], vcc
	v_cndmask_b32_e64 v6, v20, v21, s[12:13]
	v_cndmask_b32_e64 v1, v4, 0, s[16:17]
	s_or_b64 s[10:11], vcc, s[12:13]
	v_cndmask_b32_e32 v1, v6, v1, vcc
	s_or_b64 vcc, s[10:11], s[0:1]
	v_cmp_ne_u32_e64 s[8:9], v12, v7
	v_cndmask_b32_e64 v7, v22, v23, s[14:15]
	s_or_b64 s[0:1], vcc, s[14:15]
	v_mov_b32_e32 v2, 0x380
	v_cndmask_b32_e32 v1, v7, v1, vcc
	s_or_b64 vcc, s[0:1], s[2:3]
	v_cndmask_b32_e32 v1, v2, v1, vcc
	v_add_co_u32_e64 v1, s[0:1], v5, v1
	v_addc_co_u32_e64 v2, s[0:1], 0, v17, s[0:1]
	s_or_b64 s[0:1], vcc, s[8:9]
	v_mov_b32_dpp v4, v1 quad_perm:[1,0,3,2] row_mask:0xf bank_mask:0xf bound_ctrl:1
	v_mov_b32_dpp v5, v2 quad_perm:[1,0,3,2] row_mask:0xf bank_mask:0xf bound_ctrl:1
	v_cndmask_b32_e64 v6, 0, 1, s[0:1]
	v_cmp_lt_i64_e32 vcc, v[1:2], v[4:5]
	s_and_b64 vcc, s[0:1], vcc
	v_mov_b32_dpp v7, v6 quad_perm:[1,0,3,2] row_mask:0xf bank_mask:0xf bound_ctrl:1
	v_and_b32_e32 v7, 1, v7
	v_cndmask_b32_e32 v4, v4, v1, vcc
	v_cndmask_b32_e32 v5, v5, v2, vcc
	v_cmp_eq_u32_e32 vcc, 1, v7
	v_cndmask_b32_e32 v2, v2, v5, vcc
	v_cndmask_b32_e32 v1, v1, v4, vcc
	v_cndmask_b32_e64 v6, v6, 1, vcc
	v_mov_b32_dpp v5, v2 quad_perm:[2,3,0,1] row_mask:0xf bank_mask:0xf bound_ctrl:1
	v_mov_b32_dpp v4, v1 quad_perm:[2,3,0,1] row_mask:0xf bank_mask:0xf bound_ctrl:1
	v_and_b32_e32 v8, 1, v6
	v_cmp_lt_i64_e64 s[0:1], v[1:2], v[4:5]
	v_mov_b32_dpp v7, v6 quad_perm:[2,3,0,1] row_mask:0xf bank_mask:0xf bound_ctrl:1
	v_cmp_eq_u32_e32 vcc, 1, v8
	v_and_b32_e32 v7, 1, v7
	s_and_b64 vcc, vcc, s[0:1]
	v_cmp_eq_u32_e64 s[2:3], 1, v7
	v_cndmask_b32_e32 v4, v4, v1, vcc
	v_cndmask_b32_e32 v5, v5, v2, vcc
	v_cndmask_b32_e64 v1, v1, v4, s[2:3]
	v_cndmask_b32_e64 v2, v2, v5, s[2:3]
	;; [unrolled: 1-line block ×3, first 2 shown]
	v_mov_b32_dpp v4, v1 row_ror:4 row_mask:0xf bank_mask:0xf bound_ctrl:1
	v_mov_b32_dpp v5, v2 row_ror:4 row_mask:0xf bank_mask:0xf bound_ctrl:1
	v_and_b32_e32 v8, 1, v6
	v_cmp_lt_i64_e64 s[2:3], v[1:2], v[4:5]
	v_mov_b32_dpp v7, v6 row_ror:4 row_mask:0xf bank_mask:0xf bound_ctrl:1
	v_cmp_eq_u32_e32 vcc, 1, v8
	v_and_b32_e32 v7, 1, v7
	s_and_b64 vcc, vcc, s[2:3]
	v_cmp_eq_u32_e64 s[0:1], 1, v7
	v_cndmask_b32_e32 v4, v4, v1, vcc
	v_cndmask_b32_e32 v5, v5, v2, vcc
	v_cndmask_b32_e64 v1, v1, v4, s[0:1]
	v_cndmask_b32_e64 v2, v2, v5, s[0:1]
	;; [unrolled: 1-line block ×3, first 2 shown]
	v_mov_b32_dpp v4, v1 row_ror:8 row_mask:0xf bank_mask:0xf bound_ctrl:1
	v_mov_b32_dpp v5, v2 row_ror:8 row_mask:0xf bank_mask:0xf bound_ctrl:1
	v_and_b32_e32 v8, 1, v6
	v_cmp_lt_i64_e32 vcc, v[1:2], v[4:5]
	v_mov_b32_dpp v7, v6 row_ror:8 row_mask:0xf bank_mask:0xf bound_ctrl:1
	v_cmp_eq_u32_e64 s[8:9], 1, v8
	v_and_b32_e32 v7, 1, v7
	s_and_b64 vcc, s[8:9], vcc
	v_cmp_eq_u32_e64 s[10:11], 1, v7
	v_cndmask_b32_e32 v4, v4, v1, vcc
	v_cndmask_b32_e32 v5, v5, v2, vcc
	v_cndmask_b32_e64 v1, v1, v4, s[10:11]
	v_cndmask_b32_e64 v2, v2, v5, s[10:11]
	;; [unrolled: 1-line block ×3, first 2 shown]
	v_mov_b32_dpp v4, v1 row_bcast:15 row_mask:0xf bank_mask:0xf bound_ctrl:1
	v_mov_b32_dpp v5, v2 row_bcast:15 row_mask:0xf bank_mask:0xf bound_ctrl:1
	v_and_b32_e32 v8, 1, v6
	v_cmp_lt_i64_e64 s[0:1], v[1:2], v[4:5]
	v_mov_b32_dpp v7, v6 row_bcast:15 row_mask:0xf bank_mask:0xf bound_ctrl:1
	v_cmp_eq_u32_e32 vcc, 1, v8
	v_and_b32_e32 v7, 1, v7
	s_and_b64 vcc, vcc, s[0:1]
	v_cmp_eq_u32_e64 s[2:3], 1, v7
	v_cndmask_b32_e32 v4, v4, v1, vcc
	v_cndmask_b32_e32 v5, v5, v2, vcc
	v_cndmask_b32_e64 v2, v2, v5, s[2:3]
	v_cndmask_b32_e64 v1, v1, v4, s[2:3]
	;; [unrolled: 1-line block ×3, first 2 shown]
	v_mov_b32_dpp v5, v2 row_bcast:31 row_mask:0xf bank_mask:0xf bound_ctrl:1
	v_mov_b32_dpp v4, v1 row_bcast:31 row_mask:0xf bank_mask:0xf bound_ctrl:1
	v_and_b32_e32 v8, 1, v6
	v_cmp_lt_i64_e64 s[0:1], v[1:2], v[4:5]
	v_mov_b32_dpp v7, v6 row_bcast:31 row_mask:0xf bank_mask:0xf bound_ctrl:1
	v_cmp_eq_u32_e32 vcc, 1, v8
	v_and_b32_e32 v7, 1, v7
	s_and_b64 vcc, vcc, s[0:1]
	v_cmp_eq_u32_e64 s[2:3], 1, v7
	v_cndmask_b32_e32 v5, v5, v2, vcc
	v_cndmask_b32_e32 v4, v4, v1, vcc
	v_cndmask_b32_e64 v2, v2, v5, s[2:3]
	v_lshlrev_b32_e32 v5, 2, v3
	v_cndmask_b32_e64 v6, v6, 1, s[2:3]
	v_cndmask_b32_e64 v1, v1, v4, s[2:3]
	v_or_b32_e32 v4, 0xfc, v5
	ds_bpermute_b32 v17, v4, v6
	ds_bpermute_b32 v1, v4, v1
	;; [unrolled: 1-line block ×3, first 2 shown]
	v_cmp_eq_u32_e32 vcc, 0, v3
	s_and_saveexec_b64 s[0:1], vcc
	s_cbranch_execz .LBB481_6
; %bb.5:
	v_lshrrev_b32_e32 v4, 2, v0
	v_and_b32_e32 v4, 16, v4
	s_waitcnt lgkmcnt(2)
	ds_write_b8 v4, v17 offset:96
	s_waitcnt lgkmcnt(1)
	ds_write_b64 v4, v[1:2] offset:104
.LBB481_6:
	s_or_b64 exec, exec, s[0:1]
	v_cmp_gt_u32_e32 vcc, 64, v0
	s_waitcnt lgkmcnt(0)
	s_barrier
	s_and_saveexec_b64 s[0:1], vcc
	s_cbranch_execz .LBB481_12
; %bb.7:
	v_and_b32_e32 v1, 1, v3
	v_lshlrev_b32_e32 v1, 4, v1
	ds_read_u8 v7, v1 offset:96
	ds_read_b64 v[3:4], v1 offset:104
	v_or_b32_e32 v2, 4, v5
	s_waitcnt lgkmcnt(1)
	v_and_b32_e32 v1, 0xff, v7
	ds_bpermute_b32 v8, v2, v1
	s_waitcnt lgkmcnt(1)
	ds_bpermute_b32 v5, v2, v3
	ds_bpermute_b32 v6, v2, v4
	s_waitcnt lgkmcnt(2)
	v_and_b32_e32 v1, v7, v8
	v_and_b32_e32 v1, 1, v1
	v_cmp_eq_u32_e32 vcc, 1, v1
                                        ; implicit-def: $vgpr1_vgpr2
	s_and_saveexec_b64 s[2:3], vcc
	s_xor_b64 s[2:3], exec, s[2:3]
	s_cbranch_execz .LBB481_9
; %bb.8:
	s_waitcnt lgkmcnt(0)
	v_cmp_lt_i64_e32 vcc, v[5:6], v[3:4]
                                        ; implicit-def: $vgpr7
                                        ; implicit-def: $vgpr8
	v_cndmask_b32_e32 v2, v4, v6, vcc
	v_cndmask_b32_e32 v1, v3, v5, vcc
                                        ; implicit-def: $vgpr5_vgpr6
                                        ; implicit-def: $vgpr3_vgpr4
.LBB481_9:
	s_or_saveexec_b64 s[2:3], s[2:3]
	v_mov_b32_e32 v17, 1
	s_xor_b64 exec, exec, s[2:3]
	s_cbranch_execz .LBB481_11
; %bb.10:
	v_and_b32_e32 v1, 1, v7
	v_cmp_eq_u32_e32 vcc, 1, v1
	s_waitcnt lgkmcnt(0)
	v_cndmask_b32_e32 v2, v6, v4, vcc
	v_cndmask_b32_e32 v1, v5, v3, vcc
	v_cndmask_b32_e64 v17, v8, 1, vcc
.LBB481_11:
	s_or_b64 exec, exec, s[2:3]
.LBB481_12:
	s_or_b64 exec, exec, s[0:1]
	s_branch .LBB481_145
.LBB481_13:
	s_mov_b64 s[14:15], 0
                                        ; implicit-def: $vgpr3_vgpr4
                                        ; implicit-def: $vgpr5
                                        ; implicit-def: $vgpr1_vgpr2
	s_cbranch_execnz .LBB481_219
	s_branch .LBB481_306
.LBB481_14:
	s_mov_b64 s[28:29], -1
.LBB481_15:
	s_mov_b64 s[14:15], 0
                                        ; implicit-def: $vgpr3_vgpr4
                                        ; implicit-def: $vgpr5
                                        ; implicit-def: $vgpr1_vgpr2
	s_and_b64 vcc, exec, s[28:29]
	s_cbranch_vccz .LBB481_150
.LBB481_16:
	s_cmp_eq_u32 s38, 4
	s_cbranch_scc0 .LBB481_27
; %bb.17:
	s_mov_b32 s7, 0
	s_lshl_b32 s30, s6, 9
	s_mov_b32 s31, s7
	s_lshr_b64 s[0:1], s[22:23], 9
	s_lshl_b64 s[2:3], s[30:31], 2
	s_add_u32 s16, s24, s2
	s_addc_u32 s17, s25, s3
	s_add_u32 s28, s26, s2
	s_addc_u32 s29, s27, s3
	;; [unrolled: 2-line block ×3, first 2 shown]
	s_cmp_lg_u64 s[0:1], s[6:7]
	s_cbranch_scc0 .LBB481_51
; %bb.18:
	v_lshlrev_b32_e32 v1, 2, v0
	global_load_dword v2, v1, s[28:29] offset:512
	s_waitcnt lgkmcnt(0)
	global_load_dword v4, v1, s[16:17] offset:1024
	global_load_dword v6, v1, s[28:29] offset:1024
	;; [unrolled: 1-line block ×5, first 2 shown]
	global_load_dword v10, v1, s[28:29]
	global_load_dword v11, v1, s[16:17]
	v_mov_b32_e32 v1, s34
	v_add_co_u32_e32 v15, vcc, s31, v0
	v_mov_b32_e32 v12, 0x100
	v_mov_b32_e32 v13, 0x80
	v_addc_co_u32_e32 v16, vcc, 0, v1, vcc
	v_mov_b32_e32 v14, 0x180
	v_mbcnt_lo_u32_b32 v3, -1, 0
	v_mbcnt_hi_u32_b32 v3, -1, v3
	v_lshlrev_b32_e32 v5, 2, v3
	v_or_b32_e32 v17, 0xfc, v5
	s_waitcnt vmcnt(5)
	v_cmp_ne_u32_e32 vcc, v4, v6
	s_waitcnt vmcnt(3)
	v_cmp_ne_u32_e64 s[0:1], v8, v7
	s_waitcnt vmcnt(2)
	v_cmp_ne_u32_e64 s[2:3], v9, v2
	v_cndmask_b32_e64 v1, v12, v13, s[2:3]
	s_waitcnt vmcnt(0)
	v_cmp_ne_u32_e64 s[8:9], v11, v10
	s_or_b64 s[2:3], s[8:9], s[2:3]
	v_cndmask_b32_e64 v1, v1, 0, s[8:9]
	s_or_b64 vcc, s[2:3], vcc
	v_cndmask_b32_e32 v1, v14, v1, vcc
	v_add_co_u32_e64 v1, s[2:3], v15, v1
	v_addc_co_u32_e64 v2, s[2:3], 0, v16, s[2:3]
	s_or_b64 s[0:1], vcc, s[0:1]
	v_mov_b32_dpp v6, v1 quad_perm:[1,0,3,2] row_mask:0xf bank_mask:0xf bound_ctrl:1
	v_mov_b32_dpp v7, v2 quad_perm:[1,0,3,2] row_mask:0xf bank_mask:0xf bound_ctrl:1
	v_cndmask_b32_e64 v4, 0, 1, s[0:1]
	v_cmp_lt_i64_e32 vcc, v[1:2], v[6:7]
	s_and_b64 vcc, s[0:1], vcc
	v_mov_b32_dpp v8, v4 quad_perm:[1,0,3,2] row_mask:0xf bank_mask:0xf bound_ctrl:1
	v_and_b32_e32 v8, 1, v8
	v_cndmask_b32_e32 v6, v6, v1, vcc
	v_cndmask_b32_e32 v7, v7, v2, vcc
	v_cmp_eq_u32_e32 vcc, 1, v8
	v_cndmask_b32_e32 v2, v2, v7, vcc
	v_cndmask_b32_e32 v1, v1, v6, vcc
	v_cndmask_b32_e64 v4, v4, 1, vcc
	v_mov_b32_dpp v7, v2 quad_perm:[2,3,0,1] row_mask:0xf bank_mask:0xf bound_ctrl:1
	v_mov_b32_dpp v6, v1 quad_perm:[2,3,0,1] row_mask:0xf bank_mask:0xf bound_ctrl:1
	v_and_b32_e32 v9, 1, v4
	v_cmp_lt_i64_e64 s[0:1], v[1:2], v[6:7]
	v_mov_b32_dpp v8, v4 quad_perm:[2,3,0,1] row_mask:0xf bank_mask:0xf bound_ctrl:1
	v_cmp_eq_u32_e32 vcc, 1, v9
	v_and_b32_e32 v8, 1, v8
	s_and_b64 vcc, vcc, s[0:1]
	v_cmp_eq_u32_e64 s[2:3], 1, v8
	v_cndmask_b32_e32 v6, v6, v1, vcc
	v_cndmask_b32_e32 v7, v7, v2, vcc
	v_cndmask_b32_e64 v1, v1, v6, s[2:3]
	v_cndmask_b32_e64 v2, v2, v7, s[2:3]
	;; [unrolled: 1-line block ×3, first 2 shown]
	v_mov_b32_dpp v6, v1 row_ror:4 row_mask:0xf bank_mask:0xf bound_ctrl:1
	v_mov_b32_dpp v7, v2 row_ror:4 row_mask:0xf bank_mask:0xf bound_ctrl:1
	v_and_b32_e32 v9, 1, v4
	v_cmp_lt_i64_e64 s[2:3], v[1:2], v[6:7]
	v_mov_b32_dpp v8, v4 row_ror:4 row_mask:0xf bank_mask:0xf bound_ctrl:1
	v_cmp_eq_u32_e32 vcc, 1, v9
	v_and_b32_e32 v8, 1, v8
	s_and_b64 vcc, vcc, s[2:3]
	v_cmp_eq_u32_e64 s[0:1], 1, v8
	v_cndmask_b32_e32 v6, v6, v1, vcc
	v_cndmask_b32_e32 v7, v7, v2, vcc
	v_cndmask_b32_e64 v1, v1, v6, s[0:1]
	v_cndmask_b32_e64 v2, v2, v7, s[0:1]
	;; [unrolled: 1-line block ×3, first 2 shown]
	v_mov_b32_dpp v6, v1 row_ror:8 row_mask:0xf bank_mask:0xf bound_ctrl:1
	v_mov_b32_dpp v7, v2 row_ror:8 row_mask:0xf bank_mask:0xf bound_ctrl:1
	v_and_b32_e32 v9, 1, v4
	v_cmp_lt_i64_e64 s[2:3], v[1:2], v[6:7]
	v_mov_b32_dpp v8, v4 row_ror:8 row_mask:0xf bank_mask:0xf bound_ctrl:1
	v_cmp_eq_u32_e64 s[8:9], 1, v9
	v_and_b32_e32 v8, 1, v8
	s_and_b64 s[2:3], s[8:9], s[2:3]
	v_cmp_eq_u32_e64 s[10:11], 1, v8
	v_cndmask_b32_e64 v6, v6, v1, s[2:3]
	v_cndmask_b32_e64 v7, v7, v2, s[2:3]
	;; [unrolled: 1-line block ×5, first 2 shown]
	v_mov_b32_dpp v6, v1 row_bcast:15 row_mask:0xf bank_mask:0xf bound_ctrl:1
	v_mov_b32_dpp v7, v2 row_bcast:15 row_mask:0xf bank_mask:0xf bound_ctrl:1
	v_and_b32_e32 v9, 1, v4
	v_cmp_lt_i64_e64 s[2:3], v[1:2], v[6:7]
	v_mov_b32_dpp v8, v4 row_bcast:15 row_mask:0xf bank_mask:0xf bound_ctrl:1
	v_cmp_eq_u32_e32 vcc, 1, v9
	v_and_b32_e32 v8, 1, v8
	s_and_b64 vcc, vcc, s[2:3]
	v_cmp_eq_u32_e64 s[0:1], 1, v8
	v_cndmask_b32_e32 v6, v6, v1, vcc
	v_cndmask_b32_e32 v7, v7, v2, vcc
	v_cndmask_b32_e64 v4, v4, 1, s[0:1]
	v_cndmask_b32_e64 v1, v1, v6, s[0:1]
	;; [unrolled: 1-line block ×3, first 2 shown]
	v_mov_b32_dpp v8, v4 row_bcast:31 row_mask:0xf bank_mask:0xf bound_ctrl:1
	v_mov_b32_dpp v6, v1 row_bcast:31 row_mask:0xf bank_mask:0xf bound_ctrl:1
	;; [unrolled: 1-line block ×3, first 2 shown]
	v_and_b32_e32 v9, 1, v4
	v_and_b32_e32 v8, 1, v8
	v_cmp_lt_i64_e32 vcc, v[1:2], v[6:7]
	v_cmp_eq_u32_e64 s[12:13], 1, v9
	v_cmp_eq_u32_e64 s[8:9], 1, v8
	v_cndmask_b32_e64 v4, v4, 1, s[8:9]
	s_and_b64 vcc, s[12:13], vcc
	ds_bpermute_b32 v9, v17, v4
	v_cndmask_b32_e32 v4, v6, v1, vcc
	v_cndmask_b32_e32 v6, v7, v2, vcc
	v_cndmask_b32_e64 v1, v1, v4, s[8:9]
	v_cndmask_b32_e64 v2, v2, v6, s[8:9]
	ds_bpermute_b32 v1, v17, v1
	ds_bpermute_b32 v2, v17, v2
	v_cmp_eq_u32_e32 vcc, 0, v3
	s_and_saveexec_b64 s[0:1], vcc
	s_cbranch_execz .LBB481_20
; %bb.19:
	v_lshrrev_b32_e32 v4, 2, v0
	v_and_b32_e32 v4, 16, v4
	s_waitcnt lgkmcnt(2)
	ds_write_b8 v4, v9 offset:64
	s_waitcnt lgkmcnt(1)
	ds_write_b64 v4, v[1:2] offset:72
.LBB481_20:
	s_or_b64 exec, exec, s[0:1]
	v_cmp_gt_u32_e32 vcc, 64, v0
	s_waitcnt lgkmcnt(0)
	s_barrier
	s_and_saveexec_b64 s[0:1], vcc
	s_cbranch_execz .LBB481_26
; %bb.21:
	v_and_b32_e32 v1, 1, v3
	v_lshlrev_b32_e32 v1, 4, v1
	ds_read_u8 v7, v1 offset:64
	ds_read_b64 v[3:4], v1 offset:72
	v_or_b32_e32 v2, 4, v5
	s_waitcnt lgkmcnt(1)
	v_and_b32_e32 v1, 0xff, v7
	ds_bpermute_b32 v8, v2, v1
	s_waitcnt lgkmcnt(1)
	ds_bpermute_b32 v5, v2, v3
	ds_bpermute_b32 v6, v2, v4
	s_waitcnt lgkmcnt(2)
	v_and_b32_e32 v1, v7, v8
	v_and_b32_e32 v1, 1, v1
	v_cmp_eq_u32_e32 vcc, 1, v1
                                        ; implicit-def: $vgpr1_vgpr2
	s_and_saveexec_b64 s[2:3], vcc
	s_xor_b64 s[2:3], exec, s[2:3]
	s_cbranch_execz .LBB481_23
; %bb.22:
	s_waitcnt lgkmcnt(0)
	v_cmp_lt_i64_e32 vcc, v[5:6], v[3:4]
                                        ; implicit-def: $vgpr7
                                        ; implicit-def: $vgpr8
	v_cndmask_b32_e32 v2, v4, v6, vcc
	v_cndmask_b32_e32 v1, v3, v5, vcc
                                        ; implicit-def: $vgpr5_vgpr6
                                        ; implicit-def: $vgpr3_vgpr4
.LBB481_23:
	s_or_saveexec_b64 s[2:3], s[2:3]
	v_mov_b32_e32 v9, 1
	s_xor_b64 exec, exec, s[2:3]
	s_cbranch_execz .LBB481_25
; %bb.24:
	v_and_b32_e32 v1, 1, v7
	v_cmp_eq_u32_e32 vcc, 1, v1
	s_waitcnt lgkmcnt(0)
	v_cndmask_b32_e32 v2, v6, v4, vcc
	v_cndmask_b32_e32 v1, v5, v3, vcc
	v_cndmask_b32_e64 v9, v8, 1, vcc
.LBB481_25:
	s_or_b64 exec, exec, s[2:3]
.LBB481_26:
	s_or_b64 exec, exec, s[0:1]
	s_branch .LBB481_214
.LBB481_27:
                                        ; implicit-def: $vgpr3_vgpr4
                                        ; implicit-def: $vgpr5
                                        ; implicit-def: $vgpr1_vgpr2
	s_branch .LBB481_306
.LBB481_28:
                                        ; implicit-def: $vgpr1_vgpr2
                                        ; implicit-def: $vgpr17
	s_cbranch_execz .LBB481_145
; %bb.29:
	s_sub_i32 s39, s22, s36
	v_mov_b32_e32 v15, 0
	v_mov_b32_e32 v1, 0
	v_cmp_gt_u32_e32 vcc, s39, v0
	v_mov_b32_e32 v24, 0
	v_mov_b32_e32 v16, 0
	;; [unrolled: 1-line block ×4, first 2 shown]
	s_and_saveexec_b64 s[0:1], vcc
	s_cbranch_execz .LBB481_31
; %bb.30:
	v_lshlrev_b32_e32 v1, 2, v0
	global_load_dword v3, v1, s[30:31]
	global_load_dword v4, v1, s[34:35]
	v_mov_b32_e32 v2, s41
	v_add_co_u32_e32 v1, vcc, s40, v0
	v_addc_co_u32_e32 v2, vcc, 0, v2, vcc
	s_waitcnt vmcnt(0)
	v_cmp_ne_u32_e32 vcc, v3, v4
	v_cndmask_b32_e64 v17, 0, 1, vcc
.LBB481_31:
	s_or_b64 exec, exec, s[0:1]
	v_or_b32_e32 v3, 0x80, v0
	v_cmp_gt_u32_e64 s[14:15], s39, v3
	s_and_saveexec_b64 s[0:1], s[14:15]
	s_cbranch_execz .LBB481_33
; %bb.32:
	v_lshlrev_b32_e32 v4, 2, v0
	s_waitcnt lgkmcnt(1)
	global_load_dword v5, v4, s[30:31] offset:512
	s_waitcnt lgkmcnt(0)
	global_load_dword v6, v4, s[34:35] offset:512
	v_mov_b32_e32 v4, s41
	v_add_co_u32_e32 v15, vcc, s40, v3
	v_addc_co_u32_e32 v16, vcc, 0, v4, vcc
	s_waitcnt vmcnt(0)
	v_cmp_ne_u32_e32 vcc, v5, v6
	v_cndmask_b32_e64 v24, 0, 1, vcc
.LBB481_33:
	s_or_b64 exec, exec, s[0:1]
	v_or_b32_e32 v3, 0x100, v0
	v_mov_b32_e32 v11, 0
	v_mov_b32_e32 v13, 0
	v_cmp_gt_u32_e64 s[12:13], s39, v3
	v_mov_b32_e32 v22, 0
	v_mov_b32_e32 v12, 0
	;; [unrolled: 1-line block ×4, first 2 shown]
	s_and_saveexec_b64 s[0:1], s[12:13]
	s_cbranch_execz .LBB481_35
; %bb.34:
	v_lshlrev_b32_e32 v4, 2, v0
	s_waitcnt lgkmcnt(1)
	global_load_dword v5, v4, s[30:31] offset:1024
	s_waitcnt lgkmcnt(0)
	global_load_dword v6, v4, s[34:35] offset:1024
	v_mov_b32_e32 v4, s41
	v_add_co_u32_e32 v13, vcc, s40, v3
	v_addc_co_u32_e32 v14, vcc, 0, v4, vcc
	s_waitcnt vmcnt(0)
	v_cmp_ne_u32_e32 vcc, v5, v6
	v_cndmask_b32_e64 v23, 0, 1, vcc
.LBB481_35:
	s_or_b64 exec, exec, s[0:1]
	v_or_b32_e32 v3, 0x180, v0
	v_cmp_gt_u32_e64 s[10:11], s39, v3
	s_and_saveexec_b64 s[0:1], s[10:11]
	s_cbranch_execz .LBB481_37
; %bb.36:
	v_lshlrev_b32_e32 v4, 2, v0
	s_waitcnt lgkmcnt(1)
	global_load_dword v5, v4, s[30:31] offset:1536
	s_waitcnt lgkmcnt(0)
	global_load_dword v6, v4, s[34:35] offset:1536
	v_mov_b32_e32 v4, s41
	v_add_co_u32_e32 v11, vcc, s40, v3
	v_addc_co_u32_e32 v12, vcc, 0, v4, vcc
	s_waitcnt vmcnt(0)
	v_cmp_ne_u32_e32 vcc, v5, v6
	v_cndmask_b32_e64 v22, 0, 1, vcc
.LBB481_37:
	s_or_b64 exec, exec, s[0:1]
	v_or_b32_e32 v3, 0x200, v0
	v_mov_b32_e32 v7, 0
	v_mov_b32_e32 v9, 0
	v_cmp_gt_u32_e64 s[8:9], s39, v3
	v_mov_b32_e32 v20, 0
	v_mov_b32_e32 v8, 0
	;; [unrolled: 1-line block ×4, first 2 shown]
	s_and_saveexec_b64 s[0:1], s[8:9]
	s_cbranch_execz .LBB481_39
; %bb.38:
	v_lshlrev_b32_e32 v4, 2, v0
	s_waitcnt lgkmcnt(1)
	global_load_dword v5, v4, s[30:31] offset:2048
	s_waitcnt lgkmcnt(0)
	global_load_dword v6, v4, s[34:35] offset:2048
	v_mov_b32_e32 v4, s41
	v_add_co_u32_e32 v9, vcc, s40, v3
	v_addc_co_u32_e32 v10, vcc, 0, v4, vcc
	s_waitcnt vmcnt(0)
	v_cmp_ne_u32_e32 vcc, v5, v6
	v_cndmask_b32_e64 v21, 0, 1, vcc
.LBB481_39:
	s_or_b64 exec, exec, s[0:1]
	v_or_b32_e32 v3, 0x280, v0
	v_cmp_gt_u32_e64 s[2:3], s39, v3
	s_and_saveexec_b64 s[0:1], s[2:3]
	s_cbranch_execz .LBB481_41
; %bb.40:
	v_lshlrev_b32_e32 v4, 2, v0
	s_waitcnt lgkmcnt(1)
	global_load_dword v5, v4, s[30:31] offset:2560
	s_waitcnt lgkmcnt(0)
	global_load_dword v6, v4, s[34:35] offset:2560
	v_mov_b32_e32 v4, s41
	v_add_co_u32_e32 v7, vcc, s40, v3
	v_addc_co_u32_e32 v8, vcc, 0, v4, vcc
	s_waitcnt vmcnt(0)
	v_cmp_ne_u32_e32 vcc, v5, v6
	v_cndmask_b32_e64 v20, 0, 1, vcc
.LBB481_41:
	s_or_b64 exec, exec, s[0:1]
	v_or_b32_e32 v25, 0x300, v0
	v_mov_b32_e32 v3, 0
	s_waitcnt lgkmcnt(0)
	v_mov_b32_e32 v5, 0
	v_cmp_gt_u32_e64 s[0:1], s39, v25
	v_mov_b32_e32 v4, 0
	v_mov_b32_e32 v18, 0
	;; [unrolled: 1-line block ×4, first 2 shown]
	s_and_saveexec_b64 s[16:17], s[0:1]
	s_cbranch_execz .LBB481_43
; %bb.42:
	v_lshlrev_b32_e32 v5, 2, v0
	global_load_dword v19, v5, s[30:31] offset:3072
	global_load_dword v26, v5, s[34:35] offset:3072
	v_mov_b32_e32 v6, s41
	v_add_co_u32_e32 v5, vcc, s40, v25
	v_addc_co_u32_e32 v6, vcc, 0, v6, vcc
	s_waitcnt vmcnt(0)
	v_cmp_ne_u32_e32 vcc, v19, v26
	v_cndmask_b32_e64 v19, 0, 1, vcc
.LBB481_43:
	s_or_b64 exec, exec, s[16:17]
	v_or_b32_e32 v25, 0x380, v0
	v_cmp_gt_u32_e32 vcc, s39, v25
	s_and_saveexec_b64 s[36:37], vcc
	s_cbranch_execnz .LBB481_62
; %bb.44:
	s_or_b64 exec, exec, s[36:37]
	s_and_saveexec_b64 s[30:31], s[14:15]
	s_cbranch_execnz .LBB481_63
.LBB481_45:
	s_or_b64 exec, exec, s[30:31]
	s_and_saveexec_b64 s[16:17], s[12:13]
	s_cbranch_execnz .LBB481_68
.LBB481_46:
	s_or_b64 exec, exec, s[16:17]
	s_and_saveexec_b64 s[14:15], s[10:11]
	s_cbranch_execnz .LBB481_73
.LBB481_47:
	s_or_b64 exec, exec, s[14:15]
	s_and_saveexec_b64 s[12:13], s[8:9]
	s_cbranch_execnz .LBB481_78
.LBB481_48:
	s_or_b64 exec, exec, s[12:13]
	s_and_saveexec_b64 s[10:11], s[2:3]
	s_cbranch_execnz .LBB481_83
.LBB481_49:
	s_or_b64 exec, exec, s[10:11]
	s_and_saveexec_b64 s[8:9], s[0:1]
	s_cbranch_execnz .LBB481_88
.LBB481_50:
	s_or_b64 exec, exec, s[8:9]
	s_and_saveexec_b64 s[2:3], vcc
	s_cbranch_execnz .LBB481_93
	s_branch .LBB481_98
.LBB481_51:
                                        ; implicit-def: $vgpr1_vgpr2
                                        ; implicit-def: $vgpr9
	s_cbranch_execz .LBB481_214
; %bb.52:
	s_sub_i32 s12, s22, s30
	s_waitcnt lgkmcnt(1)
	v_mov_b32_e32 v7, 0
	v_mov_b32_e32 v1, 0
	v_cmp_gt_u32_e32 vcc, s12, v0
	v_mov_b32_e32 v12, 0
	v_mov_b32_e32 v8, 0
	v_mov_b32_e32 v2, 0
	v_mov_b32_e32 v9, 0
	s_and_saveexec_b64 s[0:1], vcc
	s_cbranch_execz .LBB481_54
; %bb.53:
	v_lshlrev_b32_e32 v1, 2, v0
	global_load_dword v3, v1, s[16:17]
	s_waitcnt lgkmcnt(0)
	global_load_dword v4, v1, s[28:29]
	v_mov_b32_e32 v2, s34
	v_add_co_u32_e32 v1, vcc, s31, v0
	v_addc_co_u32_e32 v2, vcc, 0, v2, vcc
	s_waitcnt vmcnt(0)
	v_cmp_ne_u32_e32 vcc, v3, v4
	v_cndmask_b32_e64 v9, 0, 1, vcc
.LBB481_54:
	s_or_b64 exec, exec, s[0:1]
	v_or_b32_e32 v3, 0x80, v0
	v_cmp_gt_u32_e64 s[2:3], s12, v3
	s_and_saveexec_b64 s[0:1], s[2:3]
	s_cbranch_execz .LBB481_56
; %bb.55:
	s_waitcnt lgkmcnt(0)
	v_lshlrev_b32_e32 v4, 2, v0
	global_load_dword v5, v4, s[16:17] offset:512
	global_load_dword v6, v4, s[28:29] offset:512
	v_mov_b32_e32 v4, s34
	v_add_co_u32_e32 v7, vcc, s31, v3
	v_addc_co_u32_e32 v8, vcc, 0, v4, vcc
	s_waitcnt vmcnt(0)
	v_cmp_ne_u32_e32 vcc, v5, v6
	v_cndmask_b32_e64 v12, 0, 1, vcc
.LBB481_56:
	s_or_b64 exec, exec, s[0:1]
	v_or_b32_e32 v13, 0x100, v0
	s_waitcnt lgkmcnt(0)
	v_mov_b32_e32 v3, 0
	v_mov_b32_e32 v5, 0
	v_cmp_gt_u32_e64 s[0:1], s12, v13
	v_mov_b32_e32 v10, 0
	v_mov_b32_e32 v4, 0
	;; [unrolled: 1-line block ×4, first 2 shown]
	s_and_saveexec_b64 s[8:9], s[0:1]
	s_cbranch_execz .LBB481_58
; %bb.57:
	v_lshlrev_b32_e32 v5, 2, v0
	global_load_dword v11, v5, s[16:17] offset:1024
	global_load_dword v14, v5, s[28:29] offset:1024
	v_mov_b32_e32 v6, s34
	v_add_co_u32_e32 v5, vcc, s31, v13
	v_addc_co_u32_e32 v6, vcc, 0, v6, vcc
	s_waitcnt vmcnt(0)
	v_cmp_ne_u32_e32 vcc, v11, v14
	v_cndmask_b32_e64 v11, 0, 1, vcc
.LBB481_58:
	s_or_b64 exec, exec, s[8:9]
	v_or_b32_e32 v13, 0x180, v0
	v_cmp_gt_u32_e32 vcc, s12, v13
	s_and_saveexec_b64 s[10:11], vcc
	s_cbranch_execnz .LBB481_151
; %bb.59:
	s_or_b64 exec, exec, s[10:11]
	s_and_saveexec_b64 s[10:11], s[2:3]
	s_cbranch_execnz .LBB481_152
.LBB481_60:
	s_or_b64 exec, exec, s[10:11]
	s_and_saveexec_b64 s[8:9], s[0:1]
	s_cbranch_execnz .LBB481_157
.LBB481_61:
	s_or_b64 exec, exec, s[8:9]
	s_and_saveexec_b64 s[2:3], vcc
	s_cbranch_execnz .LBB481_162
	s_branch .LBB481_167
.LBB481_62:
	v_lshlrev_b32_e32 v3, 2, v0
	global_load_dword v18, v3, s[30:31] offset:3584
	global_load_dword v26, v3, s[34:35] offset:3584
	v_mov_b32_e32 v4, s41
	v_add_co_u32_e64 v3, s[16:17], s40, v25
	v_addc_co_u32_e64 v4, s[16:17], 0, v4, s[16:17]
	s_waitcnt vmcnt(0)
	v_cmp_ne_u32_e64 s[16:17], v18, v26
	v_cndmask_b32_e64 v18, 0, 1, s[16:17]
	s_or_b64 exec, exec, s[36:37]
	s_and_saveexec_b64 s[30:31], s[14:15]
	s_cbranch_execz .LBB481_45
.LBB481_63:
	v_and_b32_e32 v17, 1, v17
	v_cmp_eq_u32_e64 s[14:15], 1, v17
	v_and_b32_e32 v17, 1, v24
	v_cmp_eq_u32_e64 s[16:17], 1, v17
	s_and_b64 s[16:17], s[14:15], s[16:17]
	s_xor_b64 s[16:17], s[16:17], -1
                                        ; implicit-def: $vgpr17
	s_and_saveexec_b64 s[34:35], s[16:17]
	s_xor_b64 s[16:17], exec, s[34:35]
; %bb.64:
	v_and_b32_e32 v17, 0xffff, v24
	v_cndmask_b32_e64 v17, v17, 1, s[14:15]
	v_cndmask_b32_e64 v2, v16, v2, s[14:15]
	;; [unrolled: 1-line block ×3, first 2 shown]
                                        ; implicit-def: $vgpr15_vgpr16
; %bb.65:
	s_andn2_saveexec_b64 s[16:17], s[16:17]
; %bb.66:
	v_cmp_lt_i64_e64 s[14:15], v[15:16], v[1:2]
	v_mov_b32_e32 v17, 1
	v_cndmask_b32_e64 v2, v2, v16, s[14:15]
	v_cndmask_b32_e64 v1, v1, v15, s[14:15]
; %bb.67:
	s_or_b64 exec, exec, s[16:17]
	s_or_b64 exec, exec, s[30:31]
	s_and_saveexec_b64 s[16:17], s[12:13]
	s_cbranch_execz .LBB481_46
.LBB481_68:
	v_and_b32_e32 v15, 1, v17
	v_cmp_eq_u32_e64 s[12:13], 1, v15
	v_and_b32_e32 v15, 1, v23
	v_cmp_eq_u32_e64 s[14:15], 1, v15
	s_and_b64 s[14:15], s[12:13], s[14:15]
	s_xor_b64 s[14:15], s[14:15], -1
                                        ; implicit-def: $vgpr17
	s_and_saveexec_b64 s[30:31], s[14:15]
	s_xor_b64 s[14:15], exec, s[30:31]
; %bb.69:
	v_and_b32_e32 v15, 0xffff, v23
	v_cndmask_b32_e64 v17, v15, 1, s[12:13]
	v_cndmask_b32_e64 v2, v14, v2, s[12:13]
	;; [unrolled: 1-line block ×3, first 2 shown]
                                        ; implicit-def: $vgpr13_vgpr14
; %bb.70:
	s_andn2_saveexec_b64 s[14:15], s[14:15]
; %bb.71:
	v_cmp_lt_i64_e64 s[12:13], v[13:14], v[1:2]
	v_mov_b32_e32 v17, 1
	v_cndmask_b32_e64 v2, v2, v14, s[12:13]
	v_cndmask_b32_e64 v1, v1, v13, s[12:13]
; %bb.72:
	s_or_b64 exec, exec, s[14:15]
	s_or_b64 exec, exec, s[16:17]
	s_and_saveexec_b64 s[14:15], s[10:11]
	s_cbranch_execz .LBB481_47
.LBB481_73:
	v_and_b32_e32 v13, 1, v17
	v_cmp_eq_u32_e64 s[10:11], 1, v13
	v_and_b32_e32 v13, 1, v22
	v_cmp_eq_u32_e64 s[12:13], 1, v13
	s_and_b64 s[12:13], s[10:11], s[12:13]
	s_xor_b64 s[12:13], s[12:13], -1
                                        ; implicit-def: $vgpr17
	s_and_saveexec_b64 s[16:17], s[12:13]
	s_xor_b64 s[12:13], exec, s[16:17]
; %bb.74:
	v_and_b32_e32 v13, 0xffff, v22
	v_cndmask_b32_e64 v17, v13, 1, s[10:11]
	v_cndmask_b32_e64 v2, v12, v2, s[10:11]
	;; [unrolled: 1-line block ×3, first 2 shown]
                                        ; implicit-def: $vgpr11_vgpr12
; %bb.75:
	s_andn2_saveexec_b64 s[12:13], s[12:13]
; %bb.76:
	v_cmp_lt_i64_e64 s[10:11], v[11:12], v[1:2]
	v_mov_b32_e32 v17, 1
	v_cndmask_b32_e64 v2, v2, v12, s[10:11]
	v_cndmask_b32_e64 v1, v1, v11, s[10:11]
; %bb.77:
	s_or_b64 exec, exec, s[12:13]
	s_or_b64 exec, exec, s[14:15]
	s_and_saveexec_b64 s[12:13], s[8:9]
	s_cbranch_execz .LBB481_48
.LBB481_78:
	v_and_b32_e32 v11, 1, v17
	v_cmp_eq_u32_e64 s[8:9], 1, v11
	v_and_b32_e32 v11, 1, v21
	v_cmp_eq_u32_e64 s[10:11], 1, v11
	s_and_b64 s[10:11], s[8:9], s[10:11]
	s_xor_b64 s[10:11], s[10:11], -1
                                        ; implicit-def: $vgpr17
	s_and_saveexec_b64 s[14:15], s[10:11]
	s_xor_b64 s[10:11], exec, s[14:15]
; %bb.79:
	v_and_b32_e32 v11, 0xffff, v21
	v_cndmask_b32_e64 v17, v11, 1, s[8:9]
	v_cndmask_b32_e64 v2, v10, v2, s[8:9]
	;; [unrolled: 1-line block ×3, first 2 shown]
                                        ; implicit-def: $vgpr9_vgpr10
; %bb.80:
	s_andn2_saveexec_b64 s[10:11], s[10:11]
; %bb.81:
	v_cmp_lt_i64_e64 s[8:9], v[9:10], v[1:2]
	v_mov_b32_e32 v17, 1
	v_cndmask_b32_e64 v2, v2, v10, s[8:9]
	v_cndmask_b32_e64 v1, v1, v9, s[8:9]
; %bb.82:
	s_or_b64 exec, exec, s[10:11]
	s_or_b64 exec, exec, s[12:13]
	s_and_saveexec_b64 s[10:11], s[2:3]
	s_cbranch_execz .LBB481_49
.LBB481_83:
	v_and_b32_e32 v9, 1, v17
	v_cmp_eq_u32_e64 s[2:3], 1, v9
	v_and_b32_e32 v9, 1, v20
	v_cmp_eq_u32_e64 s[8:9], 1, v9
	s_and_b64 s[8:9], s[2:3], s[8:9]
	s_xor_b64 s[8:9], s[8:9], -1
                                        ; implicit-def: $vgpr17
	s_and_saveexec_b64 s[12:13], s[8:9]
	s_xor_b64 s[8:9], exec, s[12:13]
; %bb.84:
	v_and_b32_e32 v9, 0xffff, v20
	v_cndmask_b32_e64 v17, v9, 1, s[2:3]
	v_cndmask_b32_e64 v2, v8, v2, s[2:3]
	;; [unrolled: 1-line block ×3, first 2 shown]
                                        ; implicit-def: $vgpr7_vgpr8
; %bb.85:
	s_andn2_saveexec_b64 s[8:9], s[8:9]
; %bb.86:
	v_cmp_lt_i64_e64 s[2:3], v[7:8], v[1:2]
	v_mov_b32_e32 v17, 1
	v_cndmask_b32_e64 v2, v2, v8, s[2:3]
	v_cndmask_b32_e64 v1, v1, v7, s[2:3]
; %bb.87:
	s_or_b64 exec, exec, s[8:9]
	s_or_b64 exec, exec, s[10:11]
	s_and_saveexec_b64 s[8:9], s[0:1]
	s_cbranch_execz .LBB481_50
.LBB481_88:
	v_and_b32_e32 v7, 1, v17
	v_cmp_eq_u32_e64 s[0:1], 1, v7
	v_and_b32_e32 v7, 1, v19
	v_cmp_eq_u32_e64 s[2:3], 1, v7
	s_and_b64 s[2:3], s[0:1], s[2:3]
	s_xor_b64 s[2:3], s[2:3], -1
                                        ; implicit-def: $vgpr17
	s_and_saveexec_b64 s[10:11], s[2:3]
	s_xor_b64 s[2:3], exec, s[10:11]
; %bb.89:
	v_and_b32_e32 v7, 0xffff, v19
	v_cndmask_b32_e64 v17, v7, 1, s[0:1]
	v_cndmask_b32_e64 v2, v6, v2, s[0:1]
	;; [unrolled: 1-line block ×3, first 2 shown]
                                        ; implicit-def: $vgpr5_vgpr6
; %bb.90:
	s_andn2_saveexec_b64 s[2:3], s[2:3]
; %bb.91:
	v_cmp_lt_i64_e64 s[0:1], v[5:6], v[1:2]
	v_mov_b32_e32 v17, 1
	v_cndmask_b32_e64 v2, v2, v6, s[0:1]
	v_cndmask_b32_e64 v1, v1, v5, s[0:1]
; %bb.92:
	s_or_b64 exec, exec, s[2:3]
	s_or_b64 exec, exec, s[8:9]
	s_and_saveexec_b64 s[2:3], vcc
	s_cbranch_execz .LBB481_98
.LBB481_93:
	v_and_b32_e32 v5, 1, v17
	v_cmp_eq_u32_e32 vcc, 1, v5
	v_and_b32_e32 v5, 1, v18
	v_cmp_eq_u32_e64 s[0:1], 1, v5
	s_and_b64 s[0:1], vcc, s[0:1]
	s_xor_b64 s[0:1], s[0:1], -1
                                        ; implicit-def: $vgpr17
	s_and_saveexec_b64 s[8:9], s[0:1]
	s_xor_b64 s[0:1], exec, s[8:9]
; %bb.94:
	v_and_b32_e32 v5, 0xffff, v18
	v_cndmask_b32_e64 v17, v5, 1, vcc
	v_cndmask_b32_e32 v2, v4, v2, vcc
	v_cndmask_b32_e32 v1, v3, v1, vcc
                                        ; implicit-def: $vgpr3_vgpr4
; %bb.95:
	s_andn2_saveexec_b64 s[0:1], s[0:1]
; %bb.96:
	v_cmp_lt_i64_e32 vcc, v[3:4], v[1:2]
	v_mov_b32_e32 v17, 1
	v_cndmask_b32_e32 v2, v2, v4, vcc
	v_cndmask_b32_e32 v1, v1, v3, vcc
; %bb.97:
	s_or_b64 exec, exec, s[0:1]
.LBB481_98:
	s_or_b64 exec, exec, s[2:3]
	v_mbcnt_lo_u32_b32 v3, -1, 0
	v_mbcnt_hi_u32_b32 v5, -1, v3
	v_and_b32_e32 v6, 63, v5
	v_cmp_ne_u32_e32 vcc, 63, v6
	v_addc_co_u32_e32 v3, vcc, 0, v5, vcc
	v_lshlrev_b32_e32 v4, 2, v3
	ds_bpermute_b32 v8, v4, v17
	ds_bpermute_b32 v3, v4, v1
	;; [unrolled: 1-line block ×3, first 2 shown]
	s_min_u32 s8, s39, 0x80
	v_and_b32_e32 v7, 64, v0
	v_sub_u32_e64 v7, s8, v7 clamp
	v_add_u32_e32 v9, 1, v6
	v_cmp_lt_u32_e32 vcc, v9, v7
	s_and_saveexec_b64 s[0:1], vcc
	s_xor_b64 s[0:1], exec, s[0:1]
	s_cbranch_execz .LBB481_104
; %bb.99:
	s_waitcnt lgkmcnt(2)
	v_and_b32_e32 v9, v8, v17
	v_cmp_ne_u32_e32 vcc, 0, v9
	s_and_saveexec_b64 s[2:3], vcc
	s_xor_b64 s[2:3], exec, s[2:3]
	s_cbranch_execz .LBB481_101
; %bb.100:
	s_waitcnt lgkmcnt(0)
	v_cmp_lt_i64_e32 vcc, v[3:4], v[1:2]
                                        ; implicit-def: $vgpr17
                                        ; implicit-def: $vgpr8
	v_cndmask_b32_e32 v2, v2, v4, vcc
	v_cndmask_b32_e32 v1, v1, v3, vcc
                                        ; implicit-def: $vgpr3_vgpr4
.LBB481_101:
	s_or_saveexec_b64 s[2:3], s[2:3]
	v_mov_b32_e32 v9, 1
	s_xor_b64 exec, exec, s[2:3]
	s_cbranch_execz .LBB481_103
; %bb.102:
	v_and_b32_e32 v9, 1, v17
	v_cmp_eq_u32_e32 vcc, 1, v9
	s_waitcnt lgkmcnt(1)
	v_cndmask_b32_e32 v1, v3, v1, vcc
	v_and_b32_e32 v3, 0xff, v8
	s_waitcnt lgkmcnt(0)
	v_cndmask_b32_e32 v2, v4, v2, vcc
	v_cndmask_b32_e64 v9, v3, 1, vcc
.LBB481_103:
	s_or_b64 exec, exec, s[2:3]
	v_mov_b32_e32 v17, v9
.LBB481_104:
	s_or_b64 exec, exec, s[0:1]
	v_cmp_gt_u32_e32 vcc, 62, v6
	s_waitcnt lgkmcnt(1)
	v_cndmask_b32_e64 v3, 0, 2, vcc
	s_waitcnt lgkmcnt(0)
	v_add_lshl_u32 v4, v3, v5, 2
	ds_bpermute_b32 v8, v4, v17
	ds_bpermute_b32 v3, v4, v1
	ds_bpermute_b32 v4, v4, v2
	v_add_u32_e32 v9, 2, v6
	v_cmp_lt_u32_e32 vcc, v9, v7
	s_and_saveexec_b64 s[0:1], vcc
	s_cbranch_execz .LBB481_110
; %bb.105:
	s_waitcnt lgkmcnt(2)
	v_and_b32_e32 v9, v17, v8
	v_and_b32_e32 v9, 1, v9
	v_cmp_eq_u32_e32 vcc, 1, v9
	s_and_saveexec_b64 s[2:3], vcc
	s_xor_b64 s[2:3], exec, s[2:3]
	s_cbranch_execz .LBB481_107
; %bb.106:
	s_waitcnt lgkmcnt(0)
	v_cmp_lt_i64_e32 vcc, v[3:4], v[1:2]
                                        ; implicit-def: $vgpr17
                                        ; implicit-def: $vgpr8
	v_cndmask_b32_e32 v2, v2, v4, vcc
	v_cndmask_b32_e32 v1, v1, v3, vcc
                                        ; implicit-def: $vgpr3_vgpr4
.LBB481_107:
	s_or_saveexec_b64 s[2:3], s[2:3]
	v_mov_b32_e32 v9, 1
	s_xor_b64 exec, exec, s[2:3]
	s_cbranch_execz .LBB481_109
; %bb.108:
	v_and_b32_e32 v9, 1, v17
	v_cmp_eq_u32_e32 vcc, 1, v9
	s_waitcnt lgkmcnt(1)
	v_cndmask_b32_e32 v1, v3, v1, vcc
	v_and_b32_e32 v3, 0xff, v8
	s_waitcnt lgkmcnt(0)
	v_cndmask_b32_e32 v2, v4, v2, vcc
	v_cndmask_b32_e64 v9, v3, 1, vcc
.LBB481_109:
	s_or_b64 exec, exec, s[2:3]
	v_mov_b32_e32 v17, v9
.LBB481_110:
	s_or_b64 exec, exec, s[0:1]
	v_cmp_gt_u32_e32 vcc, 60, v6
	s_waitcnt lgkmcnt(1)
	v_cndmask_b32_e64 v3, 0, 4, vcc
	s_waitcnt lgkmcnt(0)
	v_add_lshl_u32 v4, v3, v5, 2
	ds_bpermute_b32 v8, v4, v17
	ds_bpermute_b32 v3, v4, v1
	ds_bpermute_b32 v4, v4, v2
	v_add_u32_e32 v9, 4, v6
	v_cmp_lt_u32_e32 vcc, v9, v7
	s_and_saveexec_b64 s[0:1], vcc
	s_cbranch_execz .LBB481_116
; %bb.111:
	s_waitcnt lgkmcnt(2)
	v_and_b32_e32 v9, v17, v8
	v_and_b32_e32 v9, 1, v9
	v_cmp_eq_u32_e32 vcc, 1, v9
	s_and_saveexec_b64 s[2:3], vcc
	s_xor_b64 s[2:3], exec, s[2:3]
	s_cbranch_execz .LBB481_113
; %bb.112:
	s_waitcnt lgkmcnt(0)
	v_cmp_lt_i64_e32 vcc, v[3:4], v[1:2]
                                        ; implicit-def: $vgpr17
                                        ; implicit-def: $vgpr8
	v_cndmask_b32_e32 v2, v2, v4, vcc
	v_cndmask_b32_e32 v1, v1, v3, vcc
                                        ; implicit-def: $vgpr3_vgpr4
.LBB481_113:
	s_or_saveexec_b64 s[2:3], s[2:3]
	v_mov_b32_e32 v9, 1
	s_xor_b64 exec, exec, s[2:3]
	s_cbranch_execz .LBB481_115
; %bb.114:
	v_and_b32_e32 v9, 1, v17
	v_cmp_eq_u32_e32 vcc, 1, v9
	s_waitcnt lgkmcnt(1)
	v_cndmask_b32_e32 v1, v3, v1, vcc
	v_and_b32_e32 v3, 0xff, v8
	s_waitcnt lgkmcnt(0)
	v_cndmask_b32_e32 v2, v4, v2, vcc
	v_cndmask_b32_e64 v9, v3, 1, vcc
.LBB481_115:
	s_or_b64 exec, exec, s[2:3]
	v_mov_b32_e32 v17, v9
.LBB481_116:
	;; [unrolled: 47-line block ×4, first 2 shown]
	s_or_b64 exec, exec, s[0:1]
	s_waitcnt lgkmcnt(2)
	v_lshlrev_b32_e32 v8, 2, v5
	s_waitcnt lgkmcnt(0)
	v_or_b32_e32 v4, 0x80, v8
	ds_bpermute_b32 v9, v4, v17
	ds_bpermute_b32 v3, v4, v1
	;; [unrolled: 1-line block ×3, first 2 shown]
	v_add_u32_e32 v6, 32, v6
	v_cmp_lt_u32_e32 vcc, v6, v7
	v_mov_b32_e32 v6, v17
	s_and_saveexec_b64 s[0:1], vcc
	s_cbranch_execz .LBB481_134
; %bb.129:
	s_waitcnt lgkmcnt(2)
	v_and_b32_e32 v6, v17, v9
	v_and_b32_e32 v6, 1, v6
	v_cmp_eq_u32_e32 vcc, 1, v6
	s_and_saveexec_b64 s[2:3], vcc
	s_xor_b64 s[2:3], exec, s[2:3]
	s_cbranch_execz .LBB481_131
; %bb.130:
	s_waitcnt lgkmcnt(0)
	v_cmp_lt_i64_e32 vcc, v[3:4], v[1:2]
                                        ; implicit-def: $vgpr17
                                        ; implicit-def: $vgpr9
	v_cndmask_b32_e32 v2, v2, v4, vcc
	v_cndmask_b32_e32 v1, v1, v3, vcc
                                        ; implicit-def: $vgpr3_vgpr4
.LBB481_131:
	s_or_saveexec_b64 s[2:3], s[2:3]
	v_mov_b32_e32 v6, 1
	s_xor_b64 exec, exec, s[2:3]
	s_cbranch_execz .LBB481_133
; %bb.132:
	v_and_b32_e32 v6, 1, v17
	v_cmp_eq_u32_e32 vcc, 1, v6
	v_cndmask_b32_e64 v6, v9, 1, vcc
	s_waitcnt lgkmcnt(0)
	v_cndmask_b32_e32 v2, v4, v2, vcc
	v_cndmask_b32_e32 v1, v3, v1, vcc
.LBB481_133:
	s_or_b64 exec, exec, s[2:3]
	v_and_b32_e32 v17, 0xff, v6
.LBB481_134:
	s_or_b64 exec, exec, s[0:1]
	v_cmp_eq_u32_e32 vcc, 0, v5
	s_and_saveexec_b64 s[0:1], vcc
	s_cbranch_execz .LBB481_136
; %bb.135:
	s_waitcnt lgkmcnt(1)
	v_lshrrev_b32_e32 v3, 2, v0
	v_and_b32_e32 v3, 16, v3
	ds_write_b8 v3, v6 offset:128
	ds_write_b64 v3, v[1:2] offset:136
.LBB481_136:
	s_or_b64 exec, exec, s[0:1]
	v_cmp_gt_u32_e32 vcc, 2, v0
	s_waitcnt lgkmcnt(0)
	s_barrier
	s_and_saveexec_b64 s[0:1], vcc
	s_cbranch_execz .LBB481_144
; %bb.137:
	v_lshlrev_b32_e32 v1, 4, v5
	ds_read_u8 v6, v1 offset:128
	ds_read_b64 v[1:2], v1 offset:136
	v_or_b32_e32 v4, 4, v8
	s_add_i32 s8, s8, 63
	v_and_b32_e32 v5, 1, v5
	s_waitcnt lgkmcnt(1)
	v_and_b32_e32 v17, 0xff, v6
	s_waitcnt lgkmcnt(0)
	ds_bpermute_b32 v3, v4, v1
	ds_bpermute_b32 v7, v4, v17
	ds_bpermute_b32 v4, v4, v2
	s_lshr_b32 s2, s8, 6
	v_add_u32_e32 v5, 1, v5
	v_cmp_gt_u32_e32 vcc, s2, v5
	s_and_saveexec_b64 s[2:3], vcc
	s_cbranch_execz .LBB481_143
; %bb.138:
	s_waitcnt lgkmcnt(1)
	v_and_b32_e32 v5, v17, v7
	v_and_b32_e32 v5, 1, v5
	v_cmp_eq_u32_e32 vcc, 1, v5
	s_and_saveexec_b64 s[8:9], vcc
	s_xor_b64 s[8:9], exec, s[8:9]
	s_cbranch_execz .LBB481_140
; %bb.139:
	s_waitcnt lgkmcnt(0)
	v_cmp_lt_i64_e32 vcc, v[3:4], v[1:2]
                                        ; implicit-def: $vgpr6
                                        ; implicit-def: $vgpr7
	v_cndmask_b32_e32 v2, v2, v4, vcc
	v_cndmask_b32_e32 v1, v1, v3, vcc
                                        ; implicit-def: $vgpr3_vgpr4
.LBB481_140:
	s_or_saveexec_b64 s[8:9], s[8:9]
	v_mov_b32_e32 v17, 1
	s_xor_b64 exec, exec, s[8:9]
	s_cbranch_execz .LBB481_142
; %bb.141:
	v_and_b32_e32 v5, 1, v6
	v_cmp_eq_u32_e32 vcc, 1, v5
	s_waitcnt lgkmcnt(0)
	v_cndmask_b32_e32 v2, v4, v2, vcc
	v_cndmask_b32_e32 v1, v3, v1, vcc
	v_cndmask_b32_e64 v17, v7, 1, vcc
.LBB481_142:
	s_or_b64 exec, exec, s[8:9]
.LBB481_143:
	s_or_b64 exec, exec, s[2:3]
.LBB481_144:
	s_or_b64 exec, exec, s[0:1]
.LBB481_145:
	v_cmp_eq_u32_e32 vcc, 0, v0
	s_mov_b64 s[14:15], 0
                                        ; implicit-def: $vgpr3_vgpr4
                                        ; implicit-def: $vgpr5
	s_and_saveexec_b64 s[0:1], vcc
	s_xor_b64 s[8:9], exec, s[0:1]
	s_cbranch_execz .LBB481_149
; %bb.146:
	s_waitcnt lgkmcnt(0)
	v_mov_b32_e32 v3, s18
	s_cmp_eq_u64 s[22:23], 0
	v_mov_b32_e32 v4, s19
	v_mov_b32_e32 v5, s33
	s_cbranch_scc1 .LBB481_148
; %bb.147:
	v_and_b32_e32 v3, 1, v17
	v_cmp_gt_i64_e64 s[0:1], s[18:19], v[1:2]
	s_bitcmp1_b32 s33, 0
	v_cmp_eq_u32_e32 vcc, 1, v3
	s_cselect_b64 s[2:3], -1, 0
	v_mov_b32_e32 v3, s18
	s_and_b64 vcc, vcc, s[0:1]
	v_mov_b32_e32 v4, s19
	v_cndmask_b32_e32 v3, v3, v1, vcc
	v_cndmask_b32_e32 v4, v4, v2, vcc
	v_cndmask_b32_e64 v5, v17, 1, s[2:3]
	v_cndmask_b32_e64 v4, v2, v4, s[2:3]
	;; [unrolled: 1-line block ×3, first 2 shown]
.LBB481_148:
	s_mov_b64 s[14:15], exec
.LBB481_149:
	s_or_b64 exec, exec, s[8:9]
	v_mov_b32_e32 v1, s6
	v_mov_b32_e32 v2, s7
	s_and_b64 vcc, exec, s[28:29]
	s_cbranch_vccnz .LBB481_16
.LBB481_150:
	s_branch .LBB481_306
.LBB481_151:
	v_lshlrev_b32_e32 v3, 2, v0
	global_load_dword v10, v3, s[16:17] offset:1536
	global_load_dword v14, v3, s[28:29] offset:1536
	v_mov_b32_e32 v4, s34
	v_add_co_u32_e64 v3, s[8:9], s31, v13
	v_addc_co_u32_e64 v4, s[8:9], 0, v4, s[8:9]
	s_waitcnt vmcnt(0)
	v_cmp_ne_u32_e64 s[8:9], v10, v14
	v_cndmask_b32_e64 v10, 0, 1, s[8:9]
	s_or_b64 exec, exec, s[10:11]
	s_and_saveexec_b64 s[10:11], s[2:3]
	s_cbranch_execz .LBB481_60
.LBB481_152:
	v_and_b32_e32 v9, 1, v9
	v_cmp_eq_u32_e64 s[2:3], 1, v9
	v_and_b32_e32 v9, 1, v12
	v_cmp_eq_u32_e64 s[8:9], 1, v9
	s_and_b64 s[8:9], s[2:3], s[8:9]
	s_xor_b64 s[8:9], s[8:9], -1
                                        ; implicit-def: $vgpr9
	s_and_saveexec_b64 s[16:17], s[8:9]
	s_xor_b64 s[8:9], exec, s[16:17]
; %bb.153:
	v_and_b32_e32 v9, 0xffff, v12
	v_cndmask_b32_e64 v9, v9, 1, s[2:3]
	v_cndmask_b32_e64 v2, v8, v2, s[2:3]
	;; [unrolled: 1-line block ×3, first 2 shown]
                                        ; implicit-def: $vgpr7_vgpr8
; %bb.154:
	s_andn2_saveexec_b64 s[8:9], s[8:9]
; %bb.155:
	v_cmp_lt_i64_e64 s[2:3], v[7:8], v[1:2]
	v_mov_b32_e32 v9, 1
	v_cndmask_b32_e64 v2, v2, v8, s[2:3]
	v_cndmask_b32_e64 v1, v1, v7, s[2:3]
; %bb.156:
	s_or_b64 exec, exec, s[8:9]
	s_or_b64 exec, exec, s[10:11]
	s_and_saveexec_b64 s[8:9], s[0:1]
	s_cbranch_execz .LBB481_61
.LBB481_157:
	v_and_b32_e32 v7, 1, v9
	v_cmp_eq_u32_e64 s[0:1], 1, v7
	v_and_b32_e32 v7, 1, v11
	v_cmp_eq_u32_e64 s[2:3], 1, v7
	s_and_b64 s[2:3], s[0:1], s[2:3]
	s_xor_b64 s[2:3], s[2:3], -1
                                        ; implicit-def: $vgpr9
	s_and_saveexec_b64 s[10:11], s[2:3]
	s_xor_b64 s[2:3], exec, s[10:11]
; %bb.158:
	v_and_b32_e32 v7, 0xffff, v11
	v_cndmask_b32_e64 v9, v7, 1, s[0:1]
	v_cndmask_b32_e64 v2, v6, v2, s[0:1]
	;; [unrolled: 1-line block ×3, first 2 shown]
                                        ; implicit-def: $vgpr5_vgpr6
; %bb.159:
	s_andn2_saveexec_b64 s[2:3], s[2:3]
; %bb.160:
	v_cmp_lt_i64_e64 s[0:1], v[5:6], v[1:2]
	v_mov_b32_e32 v9, 1
	v_cndmask_b32_e64 v2, v2, v6, s[0:1]
	v_cndmask_b32_e64 v1, v1, v5, s[0:1]
; %bb.161:
	s_or_b64 exec, exec, s[2:3]
	s_or_b64 exec, exec, s[8:9]
	s_and_saveexec_b64 s[2:3], vcc
	s_cbranch_execz .LBB481_167
.LBB481_162:
	v_and_b32_e32 v5, 1, v9
	v_cmp_eq_u32_e32 vcc, 1, v5
	v_and_b32_e32 v5, 1, v10
	v_cmp_eq_u32_e64 s[0:1], 1, v5
	s_and_b64 s[0:1], vcc, s[0:1]
	s_xor_b64 s[0:1], s[0:1], -1
                                        ; implicit-def: $vgpr9
	s_and_saveexec_b64 s[8:9], s[0:1]
	s_xor_b64 s[0:1], exec, s[8:9]
; %bb.163:
	v_and_b32_e32 v5, 0xffff, v10
	v_cndmask_b32_e64 v9, v5, 1, vcc
	v_cndmask_b32_e32 v2, v4, v2, vcc
	v_cndmask_b32_e32 v1, v3, v1, vcc
                                        ; implicit-def: $vgpr3_vgpr4
; %bb.164:
	s_andn2_saveexec_b64 s[0:1], s[0:1]
; %bb.165:
	v_cmp_lt_i64_e32 vcc, v[3:4], v[1:2]
	v_mov_b32_e32 v9, 1
	v_cndmask_b32_e32 v2, v2, v4, vcc
	v_cndmask_b32_e32 v1, v1, v3, vcc
; %bb.166:
	s_or_b64 exec, exec, s[0:1]
.LBB481_167:
	s_or_b64 exec, exec, s[2:3]
	v_mbcnt_lo_u32_b32 v3, -1, 0
	v_mbcnt_hi_u32_b32 v5, -1, v3
	v_and_b32_e32 v6, 63, v5
	v_cmp_ne_u32_e32 vcc, 63, v6
	v_addc_co_u32_e32 v3, vcc, 0, v5, vcc
	v_lshlrev_b32_e32 v4, 2, v3
	ds_bpermute_b32 v8, v4, v9
	ds_bpermute_b32 v3, v4, v1
	;; [unrolled: 1-line block ×3, first 2 shown]
	s_min_u32 s8, s12, 0x80
	v_and_b32_e32 v7, 64, v0
	v_sub_u32_e64 v7, s8, v7 clamp
	v_add_u32_e32 v10, 1, v6
	v_cmp_lt_u32_e32 vcc, v10, v7
	s_and_saveexec_b64 s[0:1], vcc
	s_xor_b64 s[0:1], exec, s[0:1]
	s_cbranch_execz .LBB481_173
; %bb.168:
	s_waitcnt lgkmcnt(2)
	v_and_b32_e32 v10, v8, v9
	v_cmp_ne_u32_e32 vcc, 0, v10
	s_and_saveexec_b64 s[2:3], vcc
	s_xor_b64 s[2:3], exec, s[2:3]
	s_cbranch_execz .LBB481_170
; %bb.169:
	s_waitcnt lgkmcnt(0)
	v_cmp_lt_i64_e32 vcc, v[3:4], v[1:2]
                                        ; implicit-def: $vgpr9
                                        ; implicit-def: $vgpr8
	v_cndmask_b32_e32 v2, v2, v4, vcc
	v_cndmask_b32_e32 v1, v1, v3, vcc
                                        ; implicit-def: $vgpr3_vgpr4
.LBB481_170:
	s_or_saveexec_b64 s[2:3], s[2:3]
	v_mov_b32_e32 v10, 1
	s_xor_b64 exec, exec, s[2:3]
	s_cbranch_execz .LBB481_172
; %bb.171:
	v_and_b32_e32 v9, 1, v9
	v_cmp_eq_u32_e32 vcc, 1, v9
	s_waitcnt lgkmcnt(1)
	v_cndmask_b32_e32 v1, v3, v1, vcc
	v_and_b32_e32 v3, 0xff, v8
	s_waitcnt lgkmcnt(0)
	v_cndmask_b32_e32 v2, v4, v2, vcc
	v_cndmask_b32_e64 v10, v3, 1, vcc
.LBB481_172:
	s_or_b64 exec, exec, s[2:3]
	v_mov_b32_e32 v9, v10
.LBB481_173:
	s_or_b64 exec, exec, s[0:1]
	v_cmp_gt_u32_e32 vcc, 62, v6
	s_waitcnt lgkmcnt(1)
	v_cndmask_b32_e64 v3, 0, 2, vcc
	s_waitcnt lgkmcnt(0)
	v_add_lshl_u32 v4, v3, v5, 2
	ds_bpermute_b32 v8, v4, v9
	ds_bpermute_b32 v3, v4, v1
	ds_bpermute_b32 v4, v4, v2
	v_add_u32_e32 v10, 2, v6
	v_cmp_lt_u32_e32 vcc, v10, v7
	s_and_saveexec_b64 s[0:1], vcc
	s_cbranch_execz .LBB481_179
; %bb.174:
	s_waitcnt lgkmcnt(2)
	v_and_b32_e32 v10, v9, v8
	v_and_b32_e32 v10, 1, v10
	v_cmp_eq_u32_e32 vcc, 1, v10
	s_and_saveexec_b64 s[2:3], vcc
	s_xor_b64 s[2:3], exec, s[2:3]
	s_cbranch_execz .LBB481_176
; %bb.175:
	s_waitcnt lgkmcnt(0)
	v_cmp_lt_i64_e32 vcc, v[3:4], v[1:2]
                                        ; implicit-def: $vgpr9
                                        ; implicit-def: $vgpr8
	v_cndmask_b32_e32 v2, v2, v4, vcc
	v_cndmask_b32_e32 v1, v1, v3, vcc
                                        ; implicit-def: $vgpr3_vgpr4
.LBB481_176:
	s_or_saveexec_b64 s[2:3], s[2:3]
	v_mov_b32_e32 v10, 1
	s_xor_b64 exec, exec, s[2:3]
	s_cbranch_execz .LBB481_178
; %bb.177:
	v_and_b32_e32 v9, 1, v9
	v_cmp_eq_u32_e32 vcc, 1, v9
	s_waitcnt lgkmcnt(1)
	v_cndmask_b32_e32 v1, v3, v1, vcc
	v_and_b32_e32 v3, 0xff, v8
	s_waitcnt lgkmcnt(0)
	v_cndmask_b32_e32 v2, v4, v2, vcc
	v_cndmask_b32_e64 v10, v3, 1, vcc
.LBB481_178:
	s_or_b64 exec, exec, s[2:3]
	v_mov_b32_e32 v9, v10
.LBB481_179:
	s_or_b64 exec, exec, s[0:1]
	v_cmp_gt_u32_e32 vcc, 60, v6
	s_waitcnt lgkmcnt(1)
	v_cndmask_b32_e64 v3, 0, 4, vcc
	s_waitcnt lgkmcnt(0)
	v_add_lshl_u32 v4, v3, v5, 2
	ds_bpermute_b32 v8, v4, v9
	ds_bpermute_b32 v3, v4, v1
	ds_bpermute_b32 v4, v4, v2
	v_add_u32_e32 v10, 4, v6
	v_cmp_lt_u32_e32 vcc, v10, v7
	s_and_saveexec_b64 s[0:1], vcc
	s_cbranch_execz .LBB481_185
; %bb.180:
	s_waitcnt lgkmcnt(2)
	v_and_b32_e32 v10, v9, v8
	v_and_b32_e32 v10, 1, v10
	v_cmp_eq_u32_e32 vcc, 1, v10
	s_and_saveexec_b64 s[2:3], vcc
	s_xor_b64 s[2:3], exec, s[2:3]
	s_cbranch_execz .LBB481_182
; %bb.181:
	s_waitcnt lgkmcnt(0)
	v_cmp_lt_i64_e32 vcc, v[3:4], v[1:2]
                                        ; implicit-def: $vgpr9
                                        ; implicit-def: $vgpr8
	v_cndmask_b32_e32 v2, v2, v4, vcc
	v_cndmask_b32_e32 v1, v1, v3, vcc
                                        ; implicit-def: $vgpr3_vgpr4
.LBB481_182:
	s_or_saveexec_b64 s[2:3], s[2:3]
	v_mov_b32_e32 v10, 1
	s_xor_b64 exec, exec, s[2:3]
	s_cbranch_execz .LBB481_184
; %bb.183:
	v_and_b32_e32 v9, 1, v9
	v_cmp_eq_u32_e32 vcc, 1, v9
	s_waitcnt lgkmcnt(1)
	v_cndmask_b32_e32 v1, v3, v1, vcc
	v_and_b32_e32 v3, 0xff, v8
	s_waitcnt lgkmcnt(0)
	v_cndmask_b32_e32 v2, v4, v2, vcc
	v_cndmask_b32_e64 v10, v3, 1, vcc
.LBB481_184:
	s_or_b64 exec, exec, s[2:3]
	v_mov_b32_e32 v9, v10
.LBB481_185:
	;; [unrolled: 47-line block ×4, first 2 shown]
	s_or_b64 exec, exec, s[0:1]
	s_waitcnt lgkmcnt(2)
	v_lshlrev_b32_e32 v8, 2, v5
	s_waitcnt lgkmcnt(0)
	v_or_b32_e32 v4, 0x80, v8
	ds_bpermute_b32 v10, v4, v9
	ds_bpermute_b32 v3, v4, v1
	;; [unrolled: 1-line block ×3, first 2 shown]
	v_add_u32_e32 v6, 32, v6
	v_cmp_lt_u32_e32 vcc, v6, v7
	v_mov_b32_e32 v6, v9
	s_and_saveexec_b64 s[0:1], vcc
	s_cbranch_execz .LBB481_203
; %bb.198:
	s_waitcnt lgkmcnt(2)
	v_and_b32_e32 v6, v9, v10
	v_and_b32_e32 v6, 1, v6
	v_cmp_eq_u32_e32 vcc, 1, v6
	s_and_saveexec_b64 s[2:3], vcc
	s_xor_b64 s[2:3], exec, s[2:3]
	s_cbranch_execz .LBB481_200
; %bb.199:
	s_waitcnt lgkmcnt(0)
	v_cmp_lt_i64_e32 vcc, v[3:4], v[1:2]
                                        ; implicit-def: $vgpr9
                                        ; implicit-def: $vgpr10
	v_cndmask_b32_e32 v2, v2, v4, vcc
	v_cndmask_b32_e32 v1, v1, v3, vcc
                                        ; implicit-def: $vgpr3_vgpr4
.LBB481_200:
	s_or_saveexec_b64 s[2:3], s[2:3]
	v_mov_b32_e32 v6, 1
	s_xor_b64 exec, exec, s[2:3]
	s_cbranch_execz .LBB481_202
; %bb.201:
	v_and_b32_e32 v6, 1, v9
	v_cmp_eq_u32_e32 vcc, 1, v6
	v_cndmask_b32_e64 v6, v10, 1, vcc
	s_waitcnt lgkmcnt(0)
	v_cndmask_b32_e32 v2, v4, v2, vcc
	v_cndmask_b32_e32 v1, v3, v1, vcc
.LBB481_202:
	s_or_b64 exec, exec, s[2:3]
	v_and_b32_e32 v9, 0xff, v6
.LBB481_203:
	s_or_b64 exec, exec, s[0:1]
	v_cmp_eq_u32_e32 vcc, 0, v5
	s_and_saveexec_b64 s[0:1], vcc
	s_cbranch_execz .LBB481_205
; %bb.204:
	s_waitcnt lgkmcnt(1)
	v_lshrrev_b32_e32 v3, 2, v0
	v_and_b32_e32 v3, 16, v3
	ds_write_b8 v3, v6 offset:128
	ds_write_b64 v3, v[1:2] offset:136
.LBB481_205:
	s_or_b64 exec, exec, s[0:1]
	v_cmp_gt_u32_e32 vcc, 2, v0
	s_waitcnt lgkmcnt(0)
	s_barrier
	s_and_saveexec_b64 s[0:1], vcc
	s_cbranch_execz .LBB481_213
; %bb.206:
	v_lshlrev_b32_e32 v1, 4, v5
	ds_read_u8 v6, v1 offset:128
	ds_read_b64 v[1:2], v1 offset:136
	v_or_b32_e32 v4, 4, v8
	s_add_i32 s8, s8, 63
	v_and_b32_e32 v5, 1, v5
	s_waitcnt lgkmcnt(1)
	v_and_b32_e32 v9, 0xff, v6
	s_waitcnt lgkmcnt(0)
	ds_bpermute_b32 v3, v4, v1
	ds_bpermute_b32 v7, v4, v9
	;; [unrolled: 1-line block ×3, first 2 shown]
	s_lshr_b32 s2, s8, 6
	v_add_u32_e32 v5, 1, v5
	v_cmp_gt_u32_e32 vcc, s2, v5
	s_and_saveexec_b64 s[2:3], vcc
	s_cbranch_execz .LBB481_212
; %bb.207:
	s_waitcnt lgkmcnt(1)
	v_and_b32_e32 v5, v9, v7
	v_and_b32_e32 v5, 1, v5
	v_cmp_eq_u32_e32 vcc, 1, v5
	s_and_saveexec_b64 s[8:9], vcc
	s_xor_b64 s[8:9], exec, s[8:9]
	s_cbranch_execz .LBB481_209
; %bb.208:
	s_waitcnt lgkmcnt(0)
	v_cmp_lt_i64_e32 vcc, v[3:4], v[1:2]
                                        ; implicit-def: $vgpr6
                                        ; implicit-def: $vgpr7
	v_cndmask_b32_e32 v2, v2, v4, vcc
	v_cndmask_b32_e32 v1, v1, v3, vcc
                                        ; implicit-def: $vgpr3_vgpr4
.LBB481_209:
	s_or_saveexec_b64 s[8:9], s[8:9]
	v_mov_b32_e32 v9, 1
	s_xor_b64 exec, exec, s[8:9]
	s_cbranch_execz .LBB481_211
; %bb.210:
	v_and_b32_e32 v5, 1, v6
	v_cmp_eq_u32_e32 vcc, 1, v5
	s_waitcnt lgkmcnt(0)
	v_cndmask_b32_e32 v2, v4, v2, vcc
	v_cndmask_b32_e32 v1, v3, v1, vcc
	v_cndmask_b32_e64 v9, v7, 1, vcc
.LBB481_211:
	s_or_b64 exec, exec, s[8:9]
.LBB481_212:
	s_or_b64 exec, exec, s[2:3]
.LBB481_213:
	s_or_b64 exec, exec, s[0:1]
.LBB481_214:
	v_cmp_eq_u32_e32 vcc, 0, v0
                                        ; implicit-def: $vgpr3_vgpr4
                                        ; implicit-def: $vgpr5
	s_and_saveexec_b64 s[0:1], vcc
	s_xor_b64 s[8:9], exec, s[0:1]
	s_cbranch_execz .LBB481_218
; %bb.215:
	s_waitcnt lgkmcnt(0)
	v_mov_b32_e32 v3, s18
	s_cmp_eq_u64 s[22:23], 0
	v_mov_b32_e32 v4, s19
	v_mov_b32_e32 v5, s33
	s_cbranch_scc1 .LBB481_217
; %bb.216:
	v_and_b32_e32 v3, 1, v9
	v_cmp_gt_i64_e64 s[0:1], s[18:19], v[1:2]
	s_bitcmp1_b32 s33, 0
	v_cmp_eq_u32_e32 vcc, 1, v3
	s_cselect_b64 s[2:3], -1, 0
	v_mov_b32_e32 v3, s18
	s_and_b64 vcc, vcc, s[0:1]
	v_mov_b32_e32 v4, s19
	v_cndmask_b32_e32 v3, v3, v1, vcc
	v_cndmask_b32_e32 v4, v4, v2, vcc
	v_cndmask_b32_e64 v5, v9, 1, s[2:3]
	v_cndmask_b32_e64 v4, v2, v4, s[2:3]
	;; [unrolled: 1-line block ×3, first 2 shown]
.LBB481_217:
	s_or_b64 s[14:15], s[14:15], exec
.LBB481_218:
	s_or_b64 exec, exec, s[8:9]
	v_mov_b32_e32 v1, s6
	v_mov_b32_e32 v2, s7
	s_branch .LBB481_306
.LBB481_219:
	s_cmp_gt_i32 s38, 1
	s_cbranch_scc0 .LBB481_231
; %bb.220:
	s_cmp_eq_u32 s38, 2
	s_cbranch_scc0 .LBB481_232
; %bb.221:
	s_mov_b32 s7, 0
	s_lshl_b32 s30, s6, 8
	s_mov_b32 s31, s7
	s_lshr_b64 s[0:1], s[22:23], 8
	s_lshl_b64 s[2:3], s[30:31], 2
	s_add_u32 s16, s24, s2
	s_addc_u32 s17, s25, s3
	s_add_u32 s28, s26, s2
	s_addc_u32 s29, s27, s3
	;; [unrolled: 2-line block ×3, first 2 shown]
	s_cmp_lg_u64 s[0:1], s[6:7]
	s_cbranch_scc0 .LBB481_233
; %bb.222:
	v_lshlrev_b32_e32 v1, 2, v0
	global_load_dword v2, v1, s[28:29]
	s_waitcnt lgkmcnt(0)
	global_load_dword v4, v1, s[28:29] offset:512
	global_load_dword v6, v1, s[16:17] offset:512
	global_load_dword v7, v1, s[16:17]
	v_mov_b32_e32 v1, s34
	v_add_co_u32_e32 v8, vcc, s31, v0
	v_addc_co_u32_e32 v1, vcc, 0, v1, vcc
	v_add_co_u32_e32 v9, vcc, 0x80, v8
	v_addc_co_u32_e32 v10, vcc, 0, v1, vcc
	v_mbcnt_lo_u32_b32 v3, -1, 0
	v_mbcnt_hi_u32_b32 v3, -1, v3
	v_lshlrev_b32_e32 v5, 2, v3
	v_or_b32_e32 v11, 0xfc, v5
	s_waitcnt vmcnt(1)
	v_cmp_ne_u32_e32 vcc, v6, v4
	s_waitcnt vmcnt(0)
	v_cmp_ne_u32_e64 s[0:1], v7, v2
	v_cndmask_b32_e64 v2, v10, v1, s[0:1]
	v_cndmask_b32_e64 v1, v9, v8, s[0:1]
	s_or_b64 s[0:1], s[0:1], vcc
	v_mov_b32_dpp v7, v2 quad_perm:[1,0,3,2] row_mask:0xf bank_mask:0xf bound_ctrl:1
	v_mov_b32_dpp v6, v1 quad_perm:[1,0,3,2] row_mask:0xf bank_mask:0xf bound_ctrl:1
	v_cndmask_b32_e64 v4, 0, 1, s[0:1]
	v_cmp_lt_i64_e32 vcc, v[1:2], v[6:7]
	s_and_b64 vcc, s[0:1], vcc
	v_mov_b32_dpp v8, v4 quad_perm:[1,0,3,2] row_mask:0xf bank_mask:0xf bound_ctrl:1
	v_and_b32_e32 v8, 1, v8
	v_cndmask_b32_e32 v6, v6, v1, vcc
	v_cndmask_b32_e32 v7, v7, v2, vcc
	v_cmp_eq_u32_e32 vcc, 1, v8
	v_cndmask_b32_e32 v2, v2, v7, vcc
	v_cndmask_b32_e32 v1, v1, v6, vcc
	v_cndmask_b32_e64 v4, v4, 1, vcc
	v_mov_b32_dpp v7, v2 quad_perm:[2,3,0,1] row_mask:0xf bank_mask:0xf bound_ctrl:1
	v_mov_b32_dpp v6, v1 quad_perm:[2,3,0,1] row_mask:0xf bank_mask:0xf bound_ctrl:1
	v_and_b32_e32 v9, 1, v4
	v_cmp_lt_i64_e64 s[0:1], v[1:2], v[6:7]
	v_mov_b32_dpp v8, v4 quad_perm:[2,3,0,1] row_mask:0xf bank_mask:0xf bound_ctrl:1
	v_cmp_eq_u32_e32 vcc, 1, v9
	v_and_b32_e32 v8, 1, v8
	s_and_b64 vcc, vcc, s[0:1]
	v_cmp_eq_u32_e64 s[2:3], 1, v8
	v_cndmask_b32_e32 v6, v6, v1, vcc
	v_cndmask_b32_e32 v7, v7, v2, vcc
	v_cndmask_b32_e64 v1, v1, v6, s[2:3]
	v_cndmask_b32_e64 v2, v2, v7, s[2:3]
	;; [unrolled: 1-line block ×3, first 2 shown]
	v_mov_b32_dpp v6, v1 row_ror:4 row_mask:0xf bank_mask:0xf bound_ctrl:1
	v_mov_b32_dpp v7, v2 row_ror:4 row_mask:0xf bank_mask:0xf bound_ctrl:1
	v_and_b32_e32 v9, 1, v4
	v_cmp_lt_i64_e64 s[2:3], v[1:2], v[6:7]
	v_mov_b32_dpp v8, v4 row_ror:4 row_mask:0xf bank_mask:0xf bound_ctrl:1
	v_cmp_eq_u32_e32 vcc, 1, v9
	v_and_b32_e32 v8, 1, v8
	s_and_b64 vcc, vcc, s[2:3]
	v_cmp_eq_u32_e64 s[0:1], 1, v8
	v_cndmask_b32_e32 v6, v6, v1, vcc
	v_cndmask_b32_e32 v7, v7, v2, vcc
	v_cndmask_b32_e64 v1, v1, v6, s[0:1]
	v_cndmask_b32_e64 v2, v2, v7, s[0:1]
	;; [unrolled: 1-line block ×3, first 2 shown]
	v_mov_b32_dpp v6, v1 row_ror:8 row_mask:0xf bank_mask:0xf bound_ctrl:1
	v_mov_b32_dpp v7, v2 row_ror:8 row_mask:0xf bank_mask:0xf bound_ctrl:1
	v_and_b32_e32 v9, 1, v4
	v_cmp_lt_i64_e64 s[2:3], v[1:2], v[6:7]
	v_mov_b32_dpp v8, v4 row_ror:8 row_mask:0xf bank_mask:0xf bound_ctrl:1
	v_cmp_eq_u32_e64 s[8:9], 1, v9
	v_and_b32_e32 v8, 1, v8
	s_and_b64 s[2:3], s[8:9], s[2:3]
	v_cmp_eq_u32_e64 s[10:11], 1, v8
	v_cndmask_b32_e64 v6, v6, v1, s[2:3]
	v_cndmask_b32_e64 v7, v7, v2, s[2:3]
	;; [unrolled: 1-line block ×5, first 2 shown]
	v_mov_b32_dpp v8, v4 row_bcast:15 row_mask:0xf bank_mask:0xf bound_ctrl:1
	v_mov_b32_dpp v6, v1 row_bcast:15 row_mask:0xf bank_mask:0xf bound_ctrl:1
	v_mov_b32_dpp v7, v2 row_bcast:15 row_mask:0xf bank_mask:0xf bound_ctrl:1
	v_and_b32_e32 v9, 1, v4
	v_and_b32_e32 v8, 1, v8
	v_cmp_lt_i64_e64 s[2:3], v[1:2], v[6:7]
	v_cmp_eq_u32_e32 vcc, 1, v9
	v_cmp_eq_u32_e64 s[0:1], 1, v8
	v_cndmask_b32_e64 v4, v4, 1, s[0:1]
	s_and_b64 vcc, vcc, s[2:3]
	v_cndmask_b32_e32 v6, v6, v1, vcc
	v_mov_b32_dpp v8, v4 row_bcast:31 row_mask:0xf bank_mask:0xf bound_ctrl:1
	v_cndmask_b32_e32 v7, v7, v2, vcc
	v_and_b32_e32 v9, 1, v4
	v_and_b32_e32 v8, 1, v8
	v_cndmask_b32_e64 v1, v1, v6, s[0:1]
	v_cndmask_b32_e64 v2, v2, v7, s[0:1]
	v_cmp_eq_u32_e64 s[12:13], 1, v9
	v_cmp_eq_u32_e64 s[8:9], 1, v8
	v_mov_b32_dpp v8, v1 row_bcast:31 row_mask:0xf bank_mask:0xf bound_ctrl:1
	v_mov_b32_dpp v9, v2 row_bcast:31 row_mask:0xf bank_mask:0xf bound_ctrl:1
	v_cmp_lt_i64_e32 vcc, v[1:2], v[8:9]
	v_cndmask_b32_e64 v4, v4, 1, s[8:9]
	s_and_b64 vcc, s[12:13], vcc
	ds_bpermute_b32 v7, v11, v4
	v_cndmask_b32_e32 v4, v8, v1, vcc
	v_cndmask_b32_e32 v6, v9, v2, vcc
	v_cndmask_b32_e64 v1, v1, v4, s[8:9]
	v_cndmask_b32_e64 v2, v2, v6, s[8:9]
	ds_bpermute_b32 v1, v11, v1
	ds_bpermute_b32 v2, v11, v2
	v_cmp_eq_u32_e32 vcc, 0, v3
	s_and_saveexec_b64 s[0:1], vcc
	s_cbranch_execz .LBB481_224
; %bb.223:
	v_lshrrev_b32_e32 v4, 2, v0
	v_and_b32_e32 v4, 16, v4
	s_waitcnt lgkmcnt(2)
	ds_write_b8 v4, v7 offset:32
	s_waitcnt lgkmcnt(1)
	ds_write_b64 v4, v[1:2] offset:40
.LBB481_224:
	s_or_b64 exec, exec, s[0:1]
	v_cmp_gt_u32_e32 vcc, 64, v0
	s_waitcnt lgkmcnt(0)
	s_barrier
	s_and_saveexec_b64 s[0:1], vcc
	s_cbranch_execz .LBB481_230
; %bb.225:
	v_and_b32_e32 v1, 1, v3
	v_lshlrev_b32_e32 v1, 4, v1
	ds_read_u8 v8, v1 offset:32
	ds_read_b64 v[3:4], v1 offset:40
	v_or_b32_e32 v2, 4, v5
	s_waitcnt lgkmcnt(1)
	v_and_b32_e32 v1, 0xff, v8
	ds_bpermute_b32 v9, v2, v1
	s_waitcnt lgkmcnt(1)
	ds_bpermute_b32 v5, v2, v3
	ds_bpermute_b32 v6, v2, v4
	s_waitcnt lgkmcnt(2)
	v_and_b32_e32 v1, v8, v9
	v_and_b32_e32 v1, 1, v1
	v_cmp_eq_u32_e32 vcc, 1, v1
                                        ; implicit-def: $vgpr1_vgpr2
	s_and_saveexec_b64 s[2:3], vcc
	s_xor_b64 s[2:3], exec, s[2:3]
	s_cbranch_execz .LBB481_227
; %bb.226:
	s_waitcnt lgkmcnt(0)
	v_cmp_lt_i64_e32 vcc, v[5:6], v[3:4]
                                        ; implicit-def: $vgpr8
                                        ; implicit-def: $vgpr9
	v_cndmask_b32_e32 v2, v4, v6, vcc
	v_cndmask_b32_e32 v1, v3, v5, vcc
                                        ; implicit-def: $vgpr5_vgpr6
                                        ; implicit-def: $vgpr3_vgpr4
.LBB481_227:
	s_or_saveexec_b64 s[2:3], s[2:3]
	v_mov_b32_e32 v7, 1
	s_xor_b64 exec, exec, s[2:3]
	s_cbranch_execz .LBB481_229
; %bb.228:
	v_and_b32_e32 v1, 1, v8
	v_cmp_eq_u32_e32 vcc, 1, v1
	s_waitcnt lgkmcnt(0)
	v_cndmask_b32_e32 v2, v6, v4, vcc
	v_cndmask_b32_e32 v1, v5, v3, vcc
	v_cndmask_b32_e64 v7, v9, 1, vcc
.LBB481_229:
	s_or_b64 exec, exec, s[2:3]
.LBB481_230:
	s_or_b64 exec, exec, s[0:1]
	s_branch .LBB481_285
.LBB481_231:
                                        ; implicit-def: $vgpr3_vgpr4
                                        ; implicit-def: $vgpr5
                                        ; implicit-def: $vgpr1_vgpr2
	s_cbranch_execnz .LBB481_290
	s_branch .LBB481_306
.LBB481_232:
                                        ; implicit-def: $vgpr3_vgpr4
                                        ; implicit-def: $vgpr5
                                        ; implicit-def: $vgpr1_vgpr2
	s_branch .LBB481_306
.LBB481_233:
                                        ; implicit-def: $vgpr1_vgpr2
                                        ; implicit-def: $vgpr7
	s_cbranch_execz .LBB481_285
; %bb.234:
	s_sub_i32 s10, s22, s30
	s_waitcnt lgkmcnt(0)
	v_mov_b32_e32 v3, 0
	v_mov_b32_e32 v1, 0
	v_cmp_gt_u32_e32 vcc, s10, v0
	v_mov_b32_e32 v6, 0
	v_mov_b32_e32 v4, 0
	;; [unrolled: 1-line block ×4, first 2 shown]
	s_and_saveexec_b64 s[0:1], vcc
	s_cbranch_execz .LBB481_236
; %bb.235:
	v_lshlrev_b32_e32 v1, 2, v0
	global_load_dword v5, v1, s[16:17]
	global_load_dword v7, v1, s[28:29]
	v_mov_b32_e32 v2, s34
	v_add_co_u32_e32 v1, vcc, s31, v0
	v_addc_co_u32_e32 v2, vcc, 0, v2, vcc
	s_waitcnt vmcnt(0)
	v_cmp_ne_u32_e32 vcc, v5, v7
	v_cndmask_b32_e64 v5, 0, 1, vcc
.LBB481_236:
	s_or_b64 exec, exec, s[0:1]
	v_or_b32_e32 v7, 0x80, v0
	v_cmp_gt_u32_e32 vcc, s10, v7
	s_and_saveexec_b64 s[2:3], vcc
	s_cbranch_execz .LBB481_238
; %bb.237:
	v_lshlrev_b32_e32 v3, 2, v0
	global_load_dword v6, v3, s[16:17] offset:512
	global_load_dword v8, v3, s[28:29] offset:512
	v_mov_b32_e32 v4, s34
	v_add_co_u32_e64 v3, s[0:1], s31, v7
	v_addc_co_u32_e64 v4, s[0:1], 0, v4, s[0:1]
	s_waitcnt vmcnt(0)
	v_cmp_ne_u32_e64 s[0:1], v6, v8
	v_cndmask_b32_e64 v6, 0, 1, s[0:1]
.LBB481_238:
	s_or_b64 exec, exec, s[2:3]
	v_and_b32_e32 v8, 0xffff, v6
	v_and_b32_e32 v6, 1, v6
	v_cmp_lt_i64_e64 s[2:3], v[3:4], v[1:2]
	v_and_b32_e32 v7, 0xffff, v5
	v_cmp_eq_u32_e64 s[0:1], 1, v6
	v_and_b32_e32 v5, 1, v5
	v_cmp_eq_u32_e64 s[8:9], 1, v5
	s_and_b64 s[0:1], s[0:1], s[2:3]
	v_cndmask_b32_e64 v5, v8, 1, s[8:9]
	v_cndmask_b32_e64 v8, v1, v3, s[0:1]
	;; [unrolled: 1-line block ×3, first 2 shown]
	v_cndmask_b32_e32 v1, v1, v3, vcc
	v_mbcnt_lo_u32_b32 v3, -1, 0
	v_cndmask_b32_e64 v6, v2, v4, s[0:1]
	v_cndmask_b32_e32 v7, v7, v5, vcc
	v_mbcnt_hi_u32_b32 v5, -1, v3
	v_cndmask_b32_e64 v4, v4, v6, s[8:9]
	v_and_b32_e32 v6, 63, v5
	v_cndmask_b32_e32 v2, v2, v4, vcc
	v_cmp_ne_u32_e32 vcc, 63, v6
	v_addc_co_u32_e32 v3, vcc, 0, v5, vcc
	v_lshlrev_b32_e32 v4, 2, v3
	ds_bpermute_b32 v9, v4, v7
	ds_bpermute_b32 v3, v4, v1
	;; [unrolled: 1-line block ×3, first 2 shown]
	s_min_u32 s8, s10, 0x80
	v_and_b32_e32 v8, 64, v0
	v_sub_u32_e64 v8, s8, v8 clamp
	v_add_u32_e32 v10, 1, v6
	v_cmp_lt_u32_e32 vcc, v10, v8
	s_and_saveexec_b64 s[0:1], vcc
	s_cbranch_execz .LBB481_244
; %bb.239:
	s_waitcnt lgkmcnt(2)
	v_and_b32_e32 v10, v9, v7
	v_cmp_ne_u32_e32 vcc, 0, v10
	s_and_saveexec_b64 s[2:3], vcc
	s_xor_b64 s[2:3], exec, s[2:3]
	s_cbranch_execz .LBB481_241
; %bb.240:
	s_waitcnt lgkmcnt(0)
	v_cmp_lt_i64_e32 vcc, v[3:4], v[1:2]
                                        ; implicit-def: $vgpr7
                                        ; implicit-def: $vgpr9
	v_cndmask_b32_e32 v2, v2, v4, vcc
	v_cndmask_b32_e32 v1, v1, v3, vcc
                                        ; implicit-def: $vgpr3_vgpr4
.LBB481_241:
	s_or_saveexec_b64 s[2:3], s[2:3]
	v_mov_b32_e32 v10, 1
	s_xor_b64 exec, exec, s[2:3]
	s_cbranch_execz .LBB481_243
; %bb.242:
	v_and_b32_e32 v7, 1, v7
	v_cmp_eq_u32_e32 vcc, 1, v7
	s_waitcnt lgkmcnt(1)
	v_cndmask_b32_e32 v1, v3, v1, vcc
	v_and_b32_e32 v3, 0xff, v9
	s_waitcnt lgkmcnt(0)
	v_cndmask_b32_e32 v2, v4, v2, vcc
	v_cndmask_b32_e64 v10, v3, 1, vcc
.LBB481_243:
	s_or_b64 exec, exec, s[2:3]
	v_mov_b32_e32 v7, v10
.LBB481_244:
	s_or_b64 exec, exec, s[0:1]
	v_cmp_gt_u32_e32 vcc, 62, v6
	s_waitcnt lgkmcnt(1)
	v_cndmask_b32_e64 v3, 0, 2, vcc
	s_waitcnt lgkmcnt(0)
	v_add_lshl_u32 v4, v3, v5, 2
	ds_bpermute_b32 v9, v4, v7
	ds_bpermute_b32 v3, v4, v1
	ds_bpermute_b32 v4, v4, v2
	v_add_u32_e32 v10, 2, v6
	v_cmp_lt_u32_e32 vcc, v10, v8
	s_and_saveexec_b64 s[0:1], vcc
	s_cbranch_execz .LBB481_250
; %bb.245:
	s_waitcnt lgkmcnt(2)
	v_and_b32_e32 v10, v7, v9
	v_and_b32_e32 v10, 1, v10
	v_cmp_eq_u32_e32 vcc, 1, v10
	s_and_saveexec_b64 s[2:3], vcc
	s_xor_b64 s[2:3], exec, s[2:3]
	s_cbranch_execz .LBB481_247
; %bb.246:
	s_waitcnt lgkmcnt(0)
	v_cmp_lt_i64_e32 vcc, v[3:4], v[1:2]
                                        ; implicit-def: $vgpr7
                                        ; implicit-def: $vgpr9
	v_cndmask_b32_e32 v2, v2, v4, vcc
	v_cndmask_b32_e32 v1, v1, v3, vcc
                                        ; implicit-def: $vgpr3_vgpr4
.LBB481_247:
	s_or_saveexec_b64 s[2:3], s[2:3]
	v_mov_b32_e32 v10, 1
	s_xor_b64 exec, exec, s[2:3]
	s_cbranch_execz .LBB481_249
; %bb.248:
	v_and_b32_e32 v7, 1, v7
	v_cmp_eq_u32_e32 vcc, 1, v7
	s_waitcnt lgkmcnt(1)
	v_cndmask_b32_e32 v1, v3, v1, vcc
	v_and_b32_e32 v3, 0xff, v9
	s_waitcnt lgkmcnt(0)
	v_cndmask_b32_e32 v2, v4, v2, vcc
	v_cndmask_b32_e64 v10, v3, 1, vcc
.LBB481_249:
	s_or_b64 exec, exec, s[2:3]
	v_mov_b32_e32 v7, v10
.LBB481_250:
	s_or_b64 exec, exec, s[0:1]
	v_cmp_gt_u32_e32 vcc, 60, v6
	s_waitcnt lgkmcnt(1)
	v_cndmask_b32_e64 v3, 0, 4, vcc
	s_waitcnt lgkmcnt(0)
	v_add_lshl_u32 v4, v3, v5, 2
	ds_bpermute_b32 v9, v4, v7
	ds_bpermute_b32 v3, v4, v1
	ds_bpermute_b32 v4, v4, v2
	v_add_u32_e32 v10, 4, v6
	v_cmp_lt_u32_e32 vcc, v10, v8
	s_and_saveexec_b64 s[0:1], vcc
	s_cbranch_execz .LBB481_256
; %bb.251:
	s_waitcnt lgkmcnt(2)
	v_and_b32_e32 v10, v7, v9
	v_and_b32_e32 v10, 1, v10
	v_cmp_eq_u32_e32 vcc, 1, v10
	s_and_saveexec_b64 s[2:3], vcc
	s_xor_b64 s[2:3], exec, s[2:3]
	s_cbranch_execz .LBB481_253
; %bb.252:
	s_waitcnt lgkmcnt(0)
	v_cmp_lt_i64_e32 vcc, v[3:4], v[1:2]
                                        ; implicit-def: $vgpr7
                                        ; implicit-def: $vgpr9
	v_cndmask_b32_e32 v2, v2, v4, vcc
	v_cndmask_b32_e32 v1, v1, v3, vcc
                                        ; implicit-def: $vgpr3_vgpr4
.LBB481_253:
	s_or_saveexec_b64 s[2:3], s[2:3]
	v_mov_b32_e32 v10, 1
	s_xor_b64 exec, exec, s[2:3]
	s_cbranch_execz .LBB481_255
; %bb.254:
	v_and_b32_e32 v7, 1, v7
	v_cmp_eq_u32_e32 vcc, 1, v7
	s_waitcnt lgkmcnt(1)
	v_cndmask_b32_e32 v1, v3, v1, vcc
	v_and_b32_e32 v3, 0xff, v9
	s_waitcnt lgkmcnt(0)
	v_cndmask_b32_e32 v2, v4, v2, vcc
	v_cndmask_b32_e64 v10, v3, 1, vcc
.LBB481_255:
	s_or_b64 exec, exec, s[2:3]
	v_mov_b32_e32 v7, v10
.LBB481_256:
	;; [unrolled: 47-line block ×4, first 2 shown]
	s_or_b64 exec, exec, s[0:1]
	s_waitcnt lgkmcnt(2)
	v_lshlrev_b32_e32 v9, 2, v5
	s_waitcnt lgkmcnt(0)
	v_or_b32_e32 v4, 0x80, v9
	ds_bpermute_b32 v10, v4, v7
	ds_bpermute_b32 v3, v4, v1
	;; [unrolled: 1-line block ×3, first 2 shown]
	v_add_u32_e32 v6, 32, v6
	v_cmp_lt_u32_e32 vcc, v6, v8
	v_mov_b32_e32 v6, v7
	s_and_saveexec_b64 s[0:1], vcc
	s_cbranch_execz .LBB481_274
; %bb.269:
	s_waitcnt lgkmcnt(2)
	v_and_b32_e32 v6, v7, v10
	v_and_b32_e32 v6, 1, v6
	v_cmp_eq_u32_e32 vcc, 1, v6
	s_and_saveexec_b64 s[2:3], vcc
	s_xor_b64 s[2:3], exec, s[2:3]
	s_cbranch_execz .LBB481_271
; %bb.270:
	s_waitcnt lgkmcnt(0)
	v_cmp_lt_i64_e32 vcc, v[3:4], v[1:2]
                                        ; implicit-def: $vgpr7
                                        ; implicit-def: $vgpr10
	v_cndmask_b32_e32 v2, v2, v4, vcc
	v_cndmask_b32_e32 v1, v1, v3, vcc
                                        ; implicit-def: $vgpr3_vgpr4
.LBB481_271:
	s_or_saveexec_b64 s[2:3], s[2:3]
	v_mov_b32_e32 v6, 1
	s_xor_b64 exec, exec, s[2:3]
	s_cbranch_execz .LBB481_273
; %bb.272:
	v_and_b32_e32 v6, 1, v7
	v_cmp_eq_u32_e32 vcc, 1, v6
	v_cndmask_b32_e64 v6, v10, 1, vcc
	s_waitcnt lgkmcnt(0)
	v_cndmask_b32_e32 v2, v4, v2, vcc
	v_cndmask_b32_e32 v1, v3, v1, vcc
.LBB481_273:
	s_or_b64 exec, exec, s[2:3]
	v_and_b32_e32 v7, 0xff, v6
.LBB481_274:
	s_or_b64 exec, exec, s[0:1]
	v_cmp_eq_u32_e32 vcc, 0, v5
	s_and_saveexec_b64 s[0:1], vcc
	s_cbranch_execz .LBB481_276
; %bb.275:
	s_waitcnt lgkmcnt(1)
	v_lshrrev_b32_e32 v3, 2, v0
	v_and_b32_e32 v3, 16, v3
	ds_write_b8 v3, v6 offset:128
	ds_write_b64 v3, v[1:2] offset:136
.LBB481_276:
	s_or_b64 exec, exec, s[0:1]
	v_cmp_gt_u32_e32 vcc, 2, v0
	s_waitcnt lgkmcnt(0)
	s_barrier
	s_and_saveexec_b64 s[0:1], vcc
	s_cbranch_execz .LBB481_284
; %bb.277:
	v_lshlrev_b32_e32 v1, 4, v5
	ds_read_u8 v6, v1 offset:128
	ds_read_b64 v[1:2], v1 offset:136
	v_or_b32_e32 v4, 4, v9
	s_add_i32 s8, s8, 63
	v_and_b32_e32 v5, 1, v5
	s_waitcnt lgkmcnt(1)
	v_and_b32_e32 v7, 0xff, v6
	s_waitcnt lgkmcnt(0)
	ds_bpermute_b32 v3, v4, v1
	ds_bpermute_b32 v8, v4, v7
	;; [unrolled: 1-line block ×3, first 2 shown]
	s_lshr_b32 s2, s8, 6
	v_add_u32_e32 v5, 1, v5
	v_cmp_gt_u32_e32 vcc, s2, v5
	s_and_saveexec_b64 s[2:3], vcc
	s_cbranch_execz .LBB481_283
; %bb.278:
	s_waitcnt lgkmcnt(1)
	v_and_b32_e32 v5, v7, v8
	v_and_b32_e32 v5, 1, v5
	v_cmp_eq_u32_e32 vcc, 1, v5
	s_and_saveexec_b64 s[8:9], vcc
	s_xor_b64 s[8:9], exec, s[8:9]
	s_cbranch_execz .LBB481_280
; %bb.279:
	s_waitcnt lgkmcnt(0)
	v_cmp_lt_i64_e32 vcc, v[3:4], v[1:2]
                                        ; implicit-def: $vgpr6
                                        ; implicit-def: $vgpr8
	v_cndmask_b32_e32 v2, v2, v4, vcc
	v_cndmask_b32_e32 v1, v1, v3, vcc
                                        ; implicit-def: $vgpr3_vgpr4
.LBB481_280:
	s_or_saveexec_b64 s[8:9], s[8:9]
	v_mov_b32_e32 v7, 1
	s_xor_b64 exec, exec, s[8:9]
	s_cbranch_execz .LBB481_282
; %bb.281:
	v_and_b32_e32 v5, 1, v6
	v_cmp_eq_u32_e32 vcc, 1, v5
	s_waitcnt lgkmcnt(0)
	v_cndmask_b32_e32 v2, v4, v2, vcc
	v_cndmask_b32_e32 v1, v3, v1, vcc
	v_cndmask_b32_e64 v7, v8, 1, vcc
.LBB481_282:
	s_or_b64 exec, exec, s[8:9]
.LBB481_283:
	s_or_b64 exec, exec, s[2:3]
.LBB481_284:
	s_or_b64 exec, exec, s[0:1]
.LBB481_285:
	v_cmp_eq_u32_e32 vcc, 0, v0
                                        ; implicit-def: $vgpr3_vgpr4
                                        ; implicit-def: $vgpr5
	s_and_saveexec_b64 s[0:1], vcc
	s_xor_b64 s[8:9], exec, s[0:1]
	s_cbranch_execz .LBB481_289
; %bb.286:
	s_waitcnt lgkmcnt(0)
	v_mov_b32_e32 v3, s18
	s_cmp_eq_u64 s[22:23], 0
	v_mov_b32_e32 v4, s19
	v_mov_b32_e32 v5, s33
	s_cbranch_scc1 .LBB481_288
; %bb.287:
	v_and_b32_e32 v3, 1, v7
	v_cmp_gt_i64_e64 s[0:1], s[18:19], v[1:2]
	s_bitcmp1_b32 s33, 0
	v_cmp_eq_u32_e32 vcc, 1, v3
	s_cselect_b64 s[2:3], -1, 0
	v_mov_b32_e32 v3, s18
	s_and_b64 vcc, vcc, s[0:1]
	v_mov_b32_e32 v4, s19
	v_cndmask_b32_e32 v3, v3, v1, vcc
	v_cndmask_b32_e32 v4, v4, v2, vcc
	v_cndmask_b32_e64 v5, v7, 1, s[2:3]
	v_cndmask_b32_e64 v4, v2, v4, s[2:3]
	;; [unrolled: 1-line block ×3, first 2 shown]
.LBB481_288:
	s_or_b64 s[14:15], s[14:15], exec
.LBB481_289:
	s_or_b64 exec, exec, s[8:9]
	v_mov_b32_e32 v1, s6
	v_mov_b32_e32 v2, s7
	s_branch .LBB481_306
.LBB481_290:
	s_cmp_eq_u32 s38, 1
	s_cbranch_scc0 .LBB481_305
; %bb.291:
	s_mov_b32 s9, 0
	s_lshl_b32 s8, s6, 7
	s_mov_b32 s7, s9
	s_lshr_b64 s[0:1], s[22:23], 7
	s_cmp_lg_u64 s[0:1], s[6:7]
	s_cbranch_scc0 .LBB481_309
; %bb.292:
	s_lshl_b64 s[0:1], s[8:9], 2
	s_add_u32 s2, s24, s0
	s_addc_u32 s3, s25, s1
	s_add_u32 s0, s26, s0
	v_lshlrev_b32_e32 v1, 2, v0
	s_addc_u32 s1, s27, s1
	s_waitcnt lgkmcnt(1)
	global_load_dword v5, v1, s[2:3]
	s_waitcnt lgkmcnt(0)
	global_load_dword v6, v1, s[0:1]
	s_add_u32 s0, s20, s8
	s_addc_u32 s1, s21, 0
	v_mov_b32_e32 v2, s1
	v_add_co_u32_e32 v1, vcc, s0, v0
	v_addc_co_u32_e32 v2, vcc, 0, v2, vcc
	s_nop 0
	v_mov_b32_dpp v3, v1 quad_perm:[1,0,3,2] row_mask:0xf bank_mask:0xf bound_ctrl:1
	v_mov_b32_dpp v4, v2 quad_perm:[1,0,3,2] row_mask:0xf bank_mask:0xf bound_ctrl:1
	v_cmp_lt_i64_e32 vcc, v[1:2], v[3:4]
                                        ; implicit-def: $vgpr7
	s_waitcnt vmcnt(0)
	v_cmp_ne_u32_e64 s[0:1], v5, v6
	v_cndmask_b32_e64 v5, 0, 1, s[0:1]
	s_and_b64 vcc, s[0:1], vcc
	v_cndmask_b32_e32 v3, v3, v1, vcc
	v_mov_b32_dpp v5, v5 quad_perm:[1,0,3,2] row_mask:0xf bank_mask:0xf bound_ctrl:1
	v_and_b32_e32 v5, 1, v5
	v_cndmask_b32_e32 v4, v4, v2, vcc
	v_cmp_eq_u32_e32 vcc, 1, v5
	s_or_b64 s[0:1], vcc, s[0:1]
	v_cndmask_b32_e32 v3, v1, v3, vcc
	v_cndmask_b32_e64 v1, 0, 1, s[0:1]
	v_cndmask_b32_e32 v4, v2, v4, vcc
	v_mov_b32_dpp v5, v3 quad_perm:[2,3,0,1] row_mask:0xf bank_mask:0xf bound_ctrl:1
	v_mov_b32_dpp v1, v1 quad_perm:[2,3,0,1] row_mask:0xf bank_mask:0xf bound_ctrl:1
	v_and_b32_e32 v1, 1, v1
	v_cmp_eq_u32_e32 vcc, 1, v1
	s_and_b64 s[2:3], vcc, s[0:1]
	v_mov_b32_dpp v6, v4 quad_perm:[2,3,0,1] row_mask:0xf bank_mask:0xf bound_ctrl:1
	s_xor_b64 s[2:3], s[2:3], -1
                                        ; implicit-def: $vgpr1_vgpr2
	s_and_saveexec_b64 s[10:11], s[2:3]
	s_xor_b64 s[2:3], exec, s[10:11]
; %bb.293:
	s_or_b64 s[0:1], vcc, s[0:1]
	v_cndmask_b32_e32 v2, v4, v6, vcc
	v_cndmask_b32_e32 v1, v3, v5, vcc
	v_cndmask_b32_e64 v7, 0, 1, s[0:1]
                                        ; implicit-def: $vgpr3_vgpr4
                                        ; implicit-def: $vgpr5_vgpr6
; %bb.294:
	s_andn2_saveexec_b64 s[0:1], s[2:3]
; %bb.295:
	v_cmp_lt_i64_e32 vcc, v[3:4], v[5:6]
	v_mov_b32_e32 v7, 1
	v_cndmask_b32_e32 v2, v6, v4, vcc
	v_cndmask_b32_e32 v1, v5, v3, vcc
; %bb.296:
	s_or_b64 exec, exec, s[0:1]
	s_nop 0
	v_mov_b32_dpp v4, v1 row_ror:4 row_mask:0xf bank_mask:0xf bound_ctrl:1
	v_mov_b32_dpp v5, v2 row_ror:4 row_mask:0xf bank_mask:0xf bound_ctrl:1
	v_and_b32_e32 v8, 1, v7
	v_cmp_lt_i64_e64 s[0:1], v[1:2], v[4:5]
	v_mov_b32_dpp v6, v7 row_ror:4 row_mask:0xf bank_mask:0xf bound_ctrl:1
	v_cmp_eq_u32_e32 vcc, 1, v8
	v_and_b32_e32 v6, 1, v6
	s_and_b64 vcc, vcc, s[0:1]
	v_cmp_eq_u32_e64 s[2:3], 1, v6
	v_cndmask_b32_e32 v4, v4, v1, vcc
	v_cndmask_b32_e32 v5, v5, v2, vcc
	v_cndmask_b32_e64 v2, v2, v5, s[2:3]
	v_cndmask_b32_e64 v1, v1, v4, s[2:3]
	;; [unrolled: 1-line block ×3, first 2 shown]
	v_mov_b32_dpp v5, v2 row_ror:8 row_mask:0xf bank_mask:0xf bound_ctrl:1
	v_mov_b32_dpp v4, v1 row_ror:8 row_mask:0xf bank_mask:0xf bound_ctrl:1
	v_and_b32_e32 v8, 1, v6
	v_cmp_lt_i64_e64 s[0:1], v[1:2], v[4:5]
	v_mov_b32_dpp v7, v6 row_ror:8 row_mask:0xf bank_mask:0xf bound_ctrl:1
	v_cmp_eq_u32_e32 vcc, 1, v8
	v_and_b32_e32 v7, 1, v7
	s_and_b64 vcc, vcc, s[0:1]
	v_cmp_eq_u32_e64 s[2:3], 1, v7
	v_cndmask_b32_e32 v4, v4, v1, vcc
	v_cndmask_b32_e32 v5, v5, v2, vcc
	v_cndmask_b32_e64 v2, v2, v5, s[2:3]
	v_cndmask_b32_e64 v1, v1, v4, s[2:3]
	;; [unrolled: 1-line block ×3, first 2 shown]
	v_mov_b32_dpp v5, v2 row_bcast:15 row_mask:0xf bank_mask:0xf bound_ctrl:1
	v_mov_b32_dpp v4, v1 row_bcast:15 row_mask:0xf bank_mask:0xf bound_ctrl:1
	v_and_b32_e32 v8, 1, v6
	v_cmp_lt_i64_e64 s[0:1], v[1:2], v[4:5]
	v_mov_b32_dpp v7, v6 row_bcast:15 row_mask:0xf bank_mask:0xf bound_ctrl:1
	v_cmp_eq_u32_e32 vcc, 1, v8
	v_and_b32_e32 v7, 1, v7
	s_and_b64 vcc, vcc, s[0:1]
	v_cmp_eq_u32_e64 s[2:3], 1, v7
	v_cndmask_b32_e32 v4, v4, v1, vcc
	v_cndmask_b32_e32 v5, v5, v2, vcc
	v_cndmask_b32_e64 v2, v2, v5, s[2:3]
	v_cndmask_b32_e64 v1, v1, v4, s[2:3]
	;; [unrolled: 1-line block ×3, first 2 shown]
	v_mov_b32_dpp v5, v2 row_bcast:31 row_mask:0xf bank_mask:0xf bound_ctrl:1
	v_mov_b32_dpp v4, v1 row_bcast:31 row_mask:0xf bank_mask:0xf bound_ctrl:1
	v_and_b32_e32 v8, 1, v6
	v_cmp_lt_i64_e64 s[0:1], v[1:2], v[4:5]
	v_mov_b32_dpp v7, v6 row_bcast:31 row_mask:0xf bank_mask:0xf bound_ctrl:1
	v_cmp_eq_u32_e32 vcc, 1, v8
	v_mbcnt_lo_u32_b32 v3, -1, 0
	v_and_b32_e32 v7, 1, v7
	s_and_b64 vcc, vcc, s[0:1]
	v_mbcnt_hi_u32_b32 v3, -1, v3
	v_cmp_eq_u32_e64 s[2:3], 1, v7
	v_cndmask_b32_e32 v5, v5, v2, vcc
	v_cndmask_b32_e32 v4, v4, v1, vcc
	v_cndmask_b32_e64 v2, v2, v5, s[2:3]
	v_lshlrev_b32_e32 v5, 2, v3
	v_cndmask_b32_e64 v6, v6, 1, s[2:3]
	v_cndmask_b32_e64 v1, v1, v4, s[2:3]
	v_or_b32_e32 v4, 0xfc, v5
	ds_bpermute_b32 v7, v4, v6
	ds_bpermute_b32 v1, v4, v1
	;; [unrolled: 1-line block ×3, first 2 shown]
	v_cmp_eq_u32_e32 vcc, 0, v3
	s_and_saveexec_b64 s[0:1], vcc
	s_cbranch_execz .LBB481_298
; %bb.297:
	v_lshrrev_b32_e32 v4, 2, v0
	v_and_b32_e32 v4, 16, v4
	s_waitcnt lgkmcnt(2)
	ds_write_b8 v4, v7
	s_waitcnt lgkmcnt(1)
	ds_write_b64 v4, v[1:2] offset:8
.LBB481_298:
	s_or_b64 exec, exec, s[0:1]
	v_cmp_gt_u32_e32 vcc, 64, v0
	s_waitcnt lgkmcnt(0)
	s_barrier
	s_and_saveexec_b64 s[0:1], vcc
	s_cbranch_execz .LBB481_304
; %bb.299:
	v_and_b32_e32 v1, 1, v3
	v_lshlrev_b32_e32 v1, 4, v1
	ds_read_u8 v8, v1
	ds_read_b64 v[3:4], v1 offset:8
	v_or_b32_e32 v2, 4, v5
	s_waitcnt lgkmcnt(1)
	v_and_b32_e32 v1, 0xff, v8
	ds_bpermute_b32 v9, v2, v1
	s_waitcnt lgkmcnt(1)
	ds_bpermute_b32 v5, v2, v3
	ds_bpermute_b32 v6, v2, v4
	s_waitcnt lgkmcnt(2)
	v_and_b32_e32 v1, v8, v9
	v_and_b32_e32 v1, 1, v1
	v_cmp_eq_u32_e32 vcc, 1, v1
                                        ; implicit-def: $vgpr1_vgpr2
	s_and_saveexec_b64 s[2:3], vcc
	s_xor_b64 s[2:3], exec, s[2:3]
	s_cbranch_execz .LBB481_301
; %bb.300:
	s_waitcnt lgkmcnt(0)
	v_cmp_lt_i64_e32 vcc, v[5:6], v[3:4]
                                        ; implicit-def: $vgpr8
                                        ; implicit-def: $vgpr9
	v_cndmask_b32_e32 v2, v4, v6, vcc
	v_cndmask_b32_e32 v1, v3, v5, vcc
                                        ; implicit-def: $vgpr5_vgpr6
                                        ; implicit-def: $vgpr3_vgpr4
.LBB481_301:
	s_or_saveexec_b64 s[2:3], s[2:3]
	v_mov_b32_e32 v7, 1
	s_xor_b64 exec, exec, s[2:3]
	s_cbranch_execz .LBB481_303
; %bb.302:
	v_and_b32_e32 v1, 1, v8
	v_cmp_eq_u32_e32 vcc, 1, v1
	s_waitcnt lgkmcnt(0)
	v_cndmask_b32_e32 v2, v6, v4, vcc
	v_cndmask_b32_e32 v1, v5, v3, vcc
	v_cndmask_b32_e64 v7, v9, 1, vcc
.LBB481_303:
	s_or_b64 exec, exec, s[2:3]
.LBB481_304:
	s_or_b64 exec, exec, s[0:1]
	s_branch .LBB481_359
.LBB481_305:
                                        ; implicit-def: $vgpr3_vgpr4
                                        ; implicit-def: $vgpr5
                                        ; implicit-def: $vgpr1_vgpr2
.LBB481_306:
	s_and_saveexec_b64 s[0:1], s[14:15]
	s_cbranch_execz .LBB481_308
.LBB481_307:
	s_load_dwordx2 s[0:1], s[4:5], 0x38
	v_lshlrev_b64 v[0:1], 4, v[1:2]
	s_waitcnt lgkmcnt(0)
	v_mov_b32_e32 v2, s1
	v_add_co_u32_e32 v0, vcc, s0, v0
	v_addc_co_u32_e32 v1, vcc, v2, v1, vcc
	global_store_byte v[0:1], v5, off
	global_store_dwordx2 v[0:1], v[3:4], off offset:8
.LBB481_308:
	s_endpgm
.LBB481_309:
                                        ; implicit-def: $vgpr1_vgpr2
                                        ; implicit-def: $vgpr7
	s_cbranch_execz .LBB481_359
; %bb.310:
	s_sub_i32 s2, s22, s8
	v_mov_b32_e32 v1, 0
	v_cmp_gt_u32_e32 vcc, s2, v0
	v_mov_b32_e32 v2, 0
	v_mov_b32_e32 v9, 0
	s_and_saveexec_b64 s[0:1], vcc
	s_cbranch_execz .LBB481_312
; %bb.311:
	s_lshl_b64 s[10:11], s[8:9], 2
	s_add_u32 s12, s26, s10
	s_addc_u32 s13, s27, s11
	s_add_u32 s10, s24, s10
	s_addc_u32 s11, s25, s11
	v_lshlrev_b32_e32 v1, 2, v0
	s_waitcnt lgkmcnt(2)
	global_load_dword v3, v1, s[10:11]
	s_waitcnt lgkmcnt(0)
	global_load_dword v4, v1, s[12:13]
	s_add_u32 s3, s20, s8
	s_addc_u32 s8, s21, 0
	v_mov_b32_e32 v2, s8
	v_add_co_u32_e32 v1, vcc, s3, v0
	v_addc_co_u32_e32 v2, vcc, 0, v2, vcc
	s_waitcnt vmcnt(0)
	v_cmp_ne_u32_e32 vcc, v3, v4
	v_cndmask_b32_e64 v9, 0, 1, vcc
.LBB481_312:
	s_or_b64 exec, exec, s[0:1]
	s_waitcnt lgkmcnt(2)
	v_mbcnt_lo_u32_b32 v3, -1, 0
	s_waitcnt lgkmcnt(1)
	v_mbcnt_hi_u32_b32 v5, -1, v3
	s_waitcnt lgkmcnt(0)
	v_and_b32_e32 v6, 63, v5
	v_cmp_ne_u32_e32 vcc, 63, v6
	v_addc_co_u32_e32 v3, vcc, 0, v5, vcc
	v_and_b32_e32 v7, 0xffff, v9
	v_lshlrev_b32_e32 v4, 2, v3
	ds_bpermute_b32 v10, v4, v7
	ds_bpermute_b32 v3, v4, v1
	;; [unrolled: 1-line block ×3, first 2 shown]
	s_min_u32 s8, s2, 0x80
	v_and_b32_e32 v8, 64, v0
	v_sub_u32_e64 v8, s8, v8 clamp
	v_add_u32_e32 v11, 1, v6
	v_cmp_lt_u32_e32 vcc, v11, v8
	s_and_saveexec_b64 s[0:1], vcc
	s_cbranch_execz .LBB481_318
; %bb.313:
	s_waitcnt lgkmcnt(2)
	v_and_b32_e32 v7, v10, v7
	v_and_b32_e32 v7, 1, v7
	v_cmp_eq_u32_e32 vcc, 1, v7
	s_and_saveexec_b64 s[2:3], vcc
	s_xor_b64 s[2:3], exec, s[2:3]
	s_cbranch_execz .LBB481_315
; %bb.314:
	s_waitcnt lgkmcnt(0)
	v_cmp_lt_i64_e32 vcc, v[3:4], v[1:2]
                                        ; implicit-def: $vgpr9
                                        ; implicit-def: $vgpr10
	v_cndmask_b32_e32 v2, v2, v4, vcc
	v_cndmask_b32_e32 v1, v1, v3, vcc
                                        ; implicit-def: $vgpr3_vgpr4
.LBB481_315:
	s_or_saveexec_b64 s[2:3], s[2:3]
	v_mov_b32_e32 v7, 1
	s_xor_b64 exec, exec, s[2:3]
	s_cbranch_execz .LBB481_317
; %bb.316:
	v_and_b32_e32 v7, 1, v9
	v_cmp_eq_u32_e32 vcc, 1, v7
	s_waitcnt lgkmcnt(1)
	v_cndmask_b32_e32 v1, v3, v1, vcc
	v_and_b32_e32 v3, 0xff, v10
	s_waitcnt lgkmcnt(0)
	v_cndmask_b32_e32 v2, v4, v2, vcc
	v_cndmask_b32_e64 v7, v3, 1, vcc
.LBB481_317:
	s_or_b64 exec, exec, s[2:3]
.LBB481_318:
	s_or_b64 exec, exec, s[0:1]
	v_cmp_gt_u32_e32 vcc, 62, v6
	s_waitcnt lgkmcnt(1)
	v_cndmask_b32_e64 v3, 0, 2, vcc
	s_waitcnt lgkmcnt(0)
	v_add_lshl_u32 v4, v3, v5, 2
	ds_bpermute_b32 v9, v4, v7
	ds_bpermute_b32 v3, v4, v1
	ds_bpermute_b32 v4, v4, v2
	v_add_u32_e32 v10, 2, v6
	v_cmp_lt_u32_e32 vcc, v10, v8
	s_and_saveexec_b64 s[0:1], vcc
	s_cbranch_execz .LBB481_324
; %bb.319:
	s_waitcnt lgkmcnt(2)
	v_and_b32_e32 v10, v7, v9
	v_and_b32_e32 v10, 1, v10
	v_cmp_eq_u32_e32 vcc, 1, v10
	s_and_saveexec_b64 s[2:3], vcc
	s_xor_b64 s[2:3], exec, s[2:3]
	s_cbranch_execz .LBB481_321
; %bb.320:
	s_waitcnt lgkmcnt(0)
	v_cmp_lt_i64_e32 vcc, v[3:4], v[1:2]
                                        ; implicit-def: $vgpr7
                                        ; implicit-def: $vgpr9
	v_cndmask_b32_e32 v2, v2, v4, vcc
	v_cndmask_b32_e32 v1, v1, v3, vcc
                                        ; implicit-def: $vgpr3_vgpr4
.LBB481_321:
	s_or_saveexec_b64 s[2:3], s[2:3]
	v_mov_b32_e32 v10, 1
	s_xor_b64 exec, exec, s[2:3]
	s_cbranch_execz .LBB481_323
; %bb.322:
	v_and_b32_e32 v7, 1, v7
	v_cmp_eq_u32_e32 vcc, 1, v7
	s_waitcnt lgkmcnt(1)
	v_cndmask_b32_e32 v1, v3, v1, vcc
	v_and_b32_e32 v3, 0xff, v9
	s_waitcnt lgkmcnt(0)
	v_cndmask_b32_e32 v2, v4, v2, vcc
	v_cndmask_b32_e64 v10, v3, 1, vcc
.LBB481_323:
	s_or_b64 exec, exec, s[2:3]
	v_mov_b32_e32 v7, v10
.LBB481_324:
	s_or_b64 exec, exec, s[0:1]
	v_cmp_gt_u32_e32 vcc, 60, v6
	s_waitcnt lgkmcnt(1)
	v_cndmask_b32_e64 v3, 0, 4, vcc
	s_waitcnt lgkmcnt(0)
	v_add_lshl_u32 v4, v3, v5, 2
	ds_bpermute_b32 v9, v4, v7
	ds_bpermute_b32 v3, v4, v1
	ds_bpermute_b32 v4, v4, v2
	v_add_u32_e32 v10, 4, v6
	v_cmp_lt_u32_e32 vcc, v10, v8
	s_and_saveexec_b64 s[0:1], vcc
	s_cbranch_execz .LBB481_330
; %bb.325:
	s_waitcnt lgkmcnt(2)
	v_and_b32_e32 v10, v7, v9
	v_and_b32_e32 v10, 1, v10
	v_cmp_eq_u32_e32 vcc, 1, v10
	s_and_saveexec_b64 s[2:3], vcc
	s_xor_b64 s[2:3], exec, s[2:3]
	s_cbranch_execz .LBB481_327
; %bb.326:
	s_waitcnt lgkmcnt(0)
	v_cmp_lt_i64_e32 vcc, v[3:4], v[1:2]
                                        ; implicit-def: $vgpr7
                                        ; implicit-def: $vgpr9
	v_cndmask_b32_e32 v2, v2, v4, vcc
	v_cndmask_b32_e32 v1, v1, v3, vcc
                                        ; implicit-def: $vgpr3_vgpr4
.LBB481_327:
	s_or_saveexec_b64 s[2:3], s[2:3]
	v_mov_b32_e32 v10, 1
	s_xor_b64 exec, exec, s[2:3]
	s_cbranch_execz .LBB481_329
; %bb.328:
	v_and_b32_e32 v7, 1, v7
	v_cmp_eq_u32_e32 vcc, 1, v7
	s_waitcnt lgkmcnt(1)
	v_cndmask_b32_e32 v1, v3, v1, vcc
	v_and_b32_e32 v3, 0xff, v9
	s_waitcnt lgkmcnt(0)
	v_cndmask_b32_e32 v2, v4, v2, vcc
	v_cndmask_b32_e64 v10, v3, 1, vcc
.LBB481_329:
	s_or_b64 exec, exec, s[2:3]
	v_mov_b32_e32 v7, v10
.LBB481_330:
	;; [unrolled: 47-line block ×4, first 2 shown]
	s_or_b64 exec, exec, s[0:1]
	s_waitcnt lgkmcnt(2)
	v_lshlrev_b32_e32 v9, 2, v5
	s_waitcnt lgkmcnt(0)
	v_or_b32_e32 v4, 0x80, v9
	ds_bpermute_b32 v10, v4, v7
	ds_bpermute_b32 v3, v4, v1
	;; [unrolled: 1-line block ×3, first 2 shown]
	v_add_u32_e32 v6, 32, v6
	v_cmp_lt_u32_e32 vcc, v6, v8
	v_mov_b32_e32 v6, v7
	s_and_saveexec_b64 s[0:1], vcc
	s_cbranch_execz .LBB481_348
; %bb.343:
	s_waitcnt lgkmcnt(2)
	v_and_b32_e32 v6, v7, v10
	v_and_b32_e32 v6, 1, v6
	v_cmp_eq_u32_e32 vcc, 1, v6
	s_and_saveexec_b64 s[2:3], vcc
	s_xor_b64 s[2:3], exec, s[2:3]
	s_cbranch_execz .LBB481_345
; %bb.344:
	s_waitcnt lgkmcnt(0)
	v_cmp_lt_i64_e32 vcc, v[3:4], v[1:2]
                                        ; implicit-def: $vgpr7
                                        ; implicit-def: $vgpr10
	v_cndmask_b32_e32 v2, v2, v4, vcc
	v_cndmask_b32_e32 v1, v1, v3, vcc
                                        ; implicit-def: $vgpr3_vgpr4
.LBB481_345:
	s_or_saveexec_b64 s[2:3], s[2:3]
	v_mov_b32_e32 v6, 1
	s_xor_b64 exec, exec, s[2:3]
	s_cbranch_execz .LBB481_347
; %bb.346:
	v_and_b32_e32 v6, 1, v7
	v_cmp_eq_u32_e32 vcc, 1, v6
	v_cndmask_b32_e64 v6, v10, 1, vcc
	s_waitcnt lgkmcnt(0)
	v_cndmask_b32_e32 v2, v4, v2, vcc
	v_cndmask_b32_e32 v1, v3, v1, vcc
.LBB481_347:
	s_or_b64 exec, exec, s[2:3]
	v_and_b32_e32 v7, 0xff, v6
.LBB481_348:
	s_or_b64 exec, exec, s[0:1]
	v_cmp_eq_u32_e32 vcc, 0, v5
	s_and_saveexec_b64 s[0:1], vcc
	s_cbranch_execz .LBB481_350
; %bb.349:
	s_waitcnt lgkmcnt(1)
	v_lshrrev_b32_e32 v3, 2, v0
	v_and_b32_e32 v3, 16, v3
	ds_write_b8 v3, v6 offset:128
	ds_write_b64 v3, v[1:2] offset:136
.LBB481_350:
	s_or_b64 exec, exec, s[0:1]
	v_cmp_gt_u32_e32 vcc, 2, v0
	s_waitcnt lgkmcnt(0)
	s_barrier
	s_and_saveexec_b64 s[0:1], vcc
	s_cbranch_execz .LBB481_358
; %bb.351:
	v_lshlrev_b32_e32 v1, 4, v5
	ds_read_u8 v6, v1 offset:128
	ds_read_b64 v[1:2], v1 offset:136
	v_or_b32_e32 v4, 4, v9
	s_add_i32 s8, s8, 63
	v_and_b32_e32 v5, 1, v5
	s_waitcnt lgkmcnt(1)
	v_and_b32_e32 v7, 0xff, v6
	s_waitcnt lgkmcnt(0)
	ds_bpermute_b32 v3, v4, v1
	ds_bpermute_b32 v8, v4, v7
	;; [unrolled: 1-line block ×3, first 2 shown]
	s_lshr_b32 s2, s8, 6
	v_add_u32_e32 v5, 1, v5
	v_cmp_gt_u32_e32 vcc, s2, v5
	s_and_saveexec_b64 s[2:3], vcc
	s_cbranch_execz .LBB481_357
; %bb.352:
	s_waitcnt lgkmcnt(1)
	v_and_b32_e32 v5, v7, v8
	v_and_b32_e32 v5, 1, v5
	v_cmp_eq_u32_e32 vcc, 1, v5
	s_and_saveexec_b64 s[8:9], vcc
	s_xor_b64 s[8:9], exec, s[8:9]
	s_cbranch_execz .LBB481_354
; %bb.353:
	s_waitcnt lgkmcnt(0)
	v_cmp_lt_i64_e32 vcc, v[3:4], v[1:2]
                                        ; implicit-def: $vgpr6
                                        ; implicit-def: $vgpr8
	v_cndmask_b32_e32 v2, v2, v4, vcc
	v_cndmask_b32_e32 v1, v1, v3, vcc
                                        ; implicit-def: $vgpr3_vgpr4
.LBB481_354:
	s_or_saveexec_b64 s[8:9], s[8:9]
	v_mov_b32_e32 v7, 1
	s_xor_b64 exec, exec, s[8:9]
	s_cbranch_execz .LBB481_356
; %bb.355:
	v_and_b32_e32 v5, 1, v6
	v_cmp_eq_u32_e32 vcc, 1, v5
	s_waitcnt lgkmcnt(0)
	v_cndmask_b32_e32 v2, v4, v2, vcc
	v_cndmask_b32_e32 v1, v3, v1, vcc
	v_cndmask_b32_e64 v7, v8, 1, vcc
.LBB481_356:
	s_or_b64 exec, exec, s[8:9]
.LBB481_357:
	s_or_b64 exec, exec, s[2:3]
.LBB481_358:
	s_or_b64 exec, exec, s[0:1]
.LBB481_359:
	v_cmp_eq_u32_e32 vcc, 0, v0
                                        ; implicit-def: $vgpr3_vgpr4
                                        ; implicit-def: $vgpr5
	s_and_saveexec_b64 s[8:9], vcc
	s_cbranch_execz .LBB481_363
; %bb.360:
	s_waitcnt lgkmcnt(0)
	v_mov_b32_e32 v3, s18
	s_cmp_eq_u64 s[22:23], 0
	v_mov_b32_e32 v4, s19
	v_mov_b32_e32 v5, s33
	s_cbranch_scc1 .LBB481_362
; %bb.361:
	v_and_b32_e32 v0, 1, v7
	v_cmp_gt_i64_e64 s[0:1], s[18:19], v[1:2]
	s_bitcmp1_b32 s33, 0
	v_cmp_eq_u32_e32 vcc, 1, v0
	s_cselect_b64 s[2:3], -1, 0
	v_mov_b32_e32 v0, s18
	s_and_b64 vcc, vcc, s[0:1]
	v_mov_b32_e32 v3, s19
	v_cndmask_b32_e32 v0, v0, v1, vcc
	v_cndmask_b32_e32 v3, v3, v2, vcc
	v_cndmask_b32_e64 v5, v7, 1, s[2:3]
	v_cndmask_b32_e64 v4, v2, v3, s[2:3]
	;; [unrolled: 1-line block ×3, first 2 shown]
.LBB481_362:
	s_or_b64 s[14:15], s[14:15], exec
.LBB481_363:
	s_or_b64 exec, exec, s[8:9]
	v_mov_b32_e32 v1, s6
	v_mov_b32_e32 v2, s7
	s_and_saveexec_b64 s[0:1], s[14:15]
	s_cbranch_execnz .LBB481_307
	s_branch .LBB481_308
	.section	.rodata,"a",@progbits
	.p2align	6, 0x0
	.amdhsa_kernel _ZN7rocprim17ROCPRIM_400000_NS6detail17trampoline_kernelINS0_14default_configENS1_22reduce_config_selectorIN6thrust23THRUST_200600_302600_NS5tupleIblNS6_9null_typeES8_S8_S8_S8_S8_S8_S8_EEEEZNS1_11reduce_implILb1ES3_NS6_12zip_iteratorINS7_INS6_11hip_rocprim26transform_input_iterator_tIbNSD_35transform_pair_of_input_iterators_tIbNS6_6detail15normal_iteratorINS6_10device_ptrIKiEEEESL_NS6_8equal_toIiEEEENSG_9not_fun_tINSD_8identityEEEEENSD_19counting_iterator_tIlEES8_S8_S8_S8_S8_S8_S8_S8_EEEEPS9_S9_NSD_9__find_if7functorIS9_EEEE10hipError_tPvRmT1_T2_T3_mT4_P12ihipStream_tbEUlT_E1_NS1_11comp_targetILNS1_3genE2ELNS1_11target_archE906ELNS1_3gpuE6ELNS1_3repE0EEENS1_30default_config_static_selectorELNS0_4arch9wavefront6targetE1EEEvS14_
		.amdhsa_group_segment_fixed_size 160
		.amdhsa_private_segment_fixed_size 0
		.amdhsa_kernarg_size 88
		.amdhsa_user_sgpr_count 6
		.amdhsa_user_sgpr_private_segment_buffer 1
		.amdhsa_user_sgpr_dispatch_ptr 0
		.amdhsa_user_sgpr_queue_ptr 0
		.amdhsa_user_sgpr_kernarg_segment_ptr 1
		.amdhsa_user_sgpr_dispatch_id 0
		.amdhsa_user_sgpr_flat_scratch_init 0
		.amdhsa_user_sgpr_private_segment_size 0
		.amdhsa_uses_dynamic_stack 0
		.amdhsa_system_sgpr_private_segment_wavefront_offset 0
		.amdhsa_system_sgpr_workgroup_id_x 1
		.amdhsa_system_sgpr_workgroup_id_y 0
		.amdhsa_system_sgpr_workgroup_id_z 0
		.amdhsa_system_sgpr_workgroup_info 0
		.amdhsa_system_vgpr_workitem_id 0
		.amdhsa_next_free_vgpr 27
		.amdhsa_next_free_sgpr 42
		.amdhsa_reserve_vcc 1
		.amdhsa_reserve_flat_scratch 0
		.amdhsa_float_round_mode_32 0
		.amdhsa_float_round_mode_16_64 0
		.amdhsa_float_denorm_mode_32 3
		.amdhsa_float_denorm_mode_16_64 3
		.amdhsa_dx10_clamp 1
		.amdhsa_ieee_mode 1
		.amdhsa_fp16_overflow 0
		.amdhsa_exception_fp_ieee_invalid_op 0
		.amdhsa_exception_fp_denorm_src 0
		.amdhsa_exception_fp_ieee_div_zero 0
		.amdhsa_exception_fp_ieee_overflow 0
		.amdhsa_exception_fp_ieee_underflow 0
		.amdhsa_exception_fp_ieee_inexact 0
		.amdhsa_exception_int_div_zero 0
	.end_amdhsa_kernel
	.section	.text._ZN7rocprim17ROCPRIM_400000_NS6detail17trampoline_kernelINS0_14default_configENS1_22reduce_config_selectorIN6thrust23THRUST_200600_302600_NS5tupleIblNS6_9null_typeES8_S8_S8_S8_S8_S8_S8_EEEEZNS1_11reduce_implILb1ES3_NS6_12zip_iteratorINS7_INS6_11hip_rocprim26transform_input_iterator_tIbNSD_35transform_pair_of_input_iterators_tIbNS6_6detail15normal_iteratorINS6_10device_ptrIKiEEEESL_NS6_8equal_toIiEEEENSG_9not_fun_tINSD_8identityEEEEENSD_19counting_iterator_tIlEES8_S8_S8_S8_S8_S8_S8_S8_EEEEPS9_S9_NSD_9__find_if7functorIS9_EEEE10hipError_tPvRmT1_T2_T3_mT4_P12ihipStream_tbEUlT_E1_NS1_11comp_targetILNS1_3genE2ELNS1_11target_archE906ELNS1_3gpuE6ELNS1_3repE0EEENS1_30default_config_static_selectorELNS0_4arch9wavefront6targetE1EEEvS14_,"axG",@progbits,_ZN7rocprim17ROCPRIM_400000_NS6detail17trampoline_kernelINS0_14default_configENS1_22reduce_config_selectorIN6thrust23THRUST_200600_302600_NS5tupleIblNS6_9null_typeES8_S8_S8_S8_S8_S8_S8_EEEEZNS1_11reduce_implILb1ES3_NS6_12zip_iteratorINS7_INS6_11hip_rocprim26transform_input_iterator_tIbNSD_35transform_pair_of_input_iterators_tIbNS6_6detail15normal_iteratorINS6_10device_ptrIKiEEEESL_NS6_8equal_toIiEEEENSG_9not_fun_tINSD_8identityEEEEENSD_19counting_iterator_tIlEES8_S8_S8_S8_S8_S8_S8_S8_EEEEPS9_S9_NSD_9__find_if7functorIS9_EEEE10hipError_tPvRmT1_T2_T3_mT4_P12ihipStream_tbEUlT_E1_NS1_11comp_targetILNS1_3genE2ELNS1_11target_archE906ELNS1_3gpuE6ELNS1_3repE0EEENS1_30default_config_static_selectorELNS0_4arch9wavefront6targetE1EEEvS14_,comdat
.Lfunc_end481:
	.size	_ZN7rocprim17ROCPRIM_400000_NS6detail17trampoline_kernelINS0_14default_configENS1_22reduce_config_selectorIN6thrust23THRUST_200600_302600_NS5tupleIblNS6_9null_typeES8_S8_S8_S8_S8_S8_S8_EEEEZNS1_11reduce_implILb1ES3_NS6_12zip_iteratorINS7_INS6_11hip_rocprim26transform_input_iterator_tIbNSD_35transform_pair_of_input_iterators_tIbNS6_6detail15normal_iteratorINS6_10device_ptrIKiEEEESL_NS6_8equal_toIiEEEENSG_9not_fun_tINSD_8identityEEEEENSD_19counting_iterator_tIlEES8_S8_S8_S8_S8_S8_S8_S8_EEEEPS9_S9_NSD_9__find_if7functorIS9_EEEE10hipError_tPvRmT1_T2_T3_mT4_P12ihipStream_tbEUlT_E1_NS1_11comp_targetILNS1_3genE2ELNS1_11target_archE906ELNS1_3gpuE6ELNS1_3repE0EEENS1_30default_config_static_selectorELNS0_4arch9wavefront6targetE1EEEvS14_, .Lfunc_end481-_ZN7rocprim17ROCPRIM_400000_NS6detail17trampoline_kernelINS0_14default_configENS1_22reduce_config_selectorIN6thrust23THRUST_200600_302600_NS5tupleIblNS6_9null_typeES8_S8_S8_S8_S8_S8_S8_EEEEZNS1_11reduce_implILb1ES3_NS6_12zip_iteratorINS7_INS6_11hip_rocprim26transform_input_iterator_tIbNSD_35transform_pair_of_input_iterators_tIbNS6_6detail15normal_iteratorINS6_10device_ptrIKiEEEESL_NS6_8equal_toIiEEEENSG_9not_fun_tINSD_8identityEEEEENSD_19counting_iterator_tIlEES8_S8_S8_S8_S8_S8_S8_S8_EEEEPS9_S9_NSD_9__find_if7functorIS9_EEEE10hipError_tPvRmT1_T2_T3_mT4_P12ihipStream_tbEUlT_E1_NS1_11comp_targetILNS1_3genE2ELNS1_11target_archE906ELNS1_3gpuE6ELNS1_3repE0EEENS1_30default_config_static_selectorELNS0_4arch9wavefront6targetE1EEEvS14_
                                        ; -- End function
	.set _ZN7rocprim17ROCPRIM_400000_NS6detail17trampoline_kernelINS0_14default_configENS1_22reduce_config_selectorIN6thrust23THRUST_200600_302600_NS5tupleIblNS6_9null_typeES8_S8_S8_S8_S8_S8_S8_EEEEZNS1_11reduce_implILb1ES3_NS6_12zip_iteratorINS7_INS6_11hip_rocprim26transform_input_iterator_tIbNSD_35transform_pair_of_input_iterators_tIbNS6_6detail15normal_iteratorINS6_10device_ptrIKiEEEESL_NS6_8equal_toIiEEEENSG_9not_fun_tINSD_8identityEEEEENSD_19counting_iterator_tIlEES8_S8_S8_S8_S8_S8_S8_S8_EEEEPS9_S9_NSD_9__find_if7functorIS9_EEEE10hipError_tPvRmT1_T2_T3_mT4_P12ihipStream_tbEUlT_E1_NS1_11comp_targetILNS1_3genE2ELNS1_11target_archE906ELNS1_3gpuE6ELNS1_3repE0EEENS1_30default_config_static_selectorELNS0_4arch9wavefront6targetE1EEEvS14_.num_vgpr, 27
	.set _ZN7rocprim17ROCPRIM_400000_NS6detail17trampoline_kernelINS0_14default_configENS1_22reduce_config_selectorIN6thrust23THRUST_200600_302600_NS5tupleIblNS6_9null_typeES8_S8_S8_S8_S8_S8_S8_EEEEZNS1_11reduce_implILb1ES3_NS6_12zip_iteratorINS7_INS6_11hip_rocprim26transform_input_iterator_tIbNSD_35transform_pair_of_input_iterators_tIbNS6_6detail15normal_iteratorINS6_10device_ptrIKiEEEESL_NS6_8equal_toIiEEEENSG_9not_fun_tINSD_8identityEEEEENSD_19counting_iterator_tIlEES8_S8_S8_S8_S8_S8_S8_S8_EEEEPS9_S9_NSD_9__find_if7functorIS9_EEEE10hipError_tPvRmT1_T2_T3_mT4_P12ihipStream_tbEUlT_E1_NS1_11comp_targetILNS1_3genE2ELNS1_11target_archE906ELNS1_3gpuE6ELNS1_3repE0EEENS1_30default_config_static_selectorELNS0_4arch9wavefront6targetE1EEEvS14_.num_agpr, 0
	.set _ZN7rocprim17ROCPRIM_400000_NS6detail17trampoline_kernelINS0_14default_configENS1_22reduce_config_selectorIN6thrust23THRUST_200600_302600_NS5tupleIblNS6_9null_typeES8_S8_S8_S8_S8_S8_S8_EEEEZNS1_11reduce_implILb1ES3_NS6_12zip_iteratorINS7_INS6_11hip_rocprim26transform_input_iterator_tIbNSD_35transform_pair_of_input_iterators_tIbNS6_6detail15normal_iteratorINS6_10device_ptrIKiEEEESL_NS6_8equal_toIiEEEENSG_9not_fun_tINSD_8identityEEEEENSD_19counting_iterator_tIlEES8_S8_S8_S8_S8_S8_S8_S8_EEEEPS9_S9_NSD_9__find_if7functorIS9_EEEE10hipError_tPvRmT1_T2_T3_mT4_P12ihipStream_tbEUlT_E1_NS1_11comp_targetILNS1_3genE2ELNS1_11target_archE906ELNS1_3gpuE6ELNS1_3repE0EEENS1_30default_config_static_selectorELNS0_4arch9wavefront6targetE1EEEvS14_.numbered_sgpr, 42
	.set _ZN7rocprim17ROCPRIM_400000_NS6detail17trampoline_kernelINS0_14default_configENS1_22reduce_config_selectorIN6thrust23THRUST_200600_302600_NS5tupleIblNS6_9null_typeES8_S8_S8_S8_S8_S8_S8_EEEEZNS1_11reduce_implILb1ES3_NS6_12zip_iteratorINS7_INS6_11hip_rocprim26transform_input_iterator_tIbNSD_35transform_pair_of_input_iterators_tIbNS6_6detail15normal_iteratorINS6_10device_ptrIKiEEEESL_NS6_8equal_toIiEEEENSG_9not_fun_tINSD_8identityEEEEENSD_19counting_iterator_tIlEES8_S8_S8_S8_S8_S8_S8_S8_EEEEPS9_S9_NSD_9__find_if7functorIS9_EEEE10hipError_tPvRmT1_T2_T3_mT4_P12ihipStream_tbEUlT_E1_NS1_11comp_targetILNS1_3genE2ELNS1_11target_archE906ELNS1_3gpuE6ELNS1_3repE0EEENS1_30default_config_static_selectorELNS0_4arch9wavefront6targetE1EEEvS14_.num_named_barrier, 0
	.set _ZN7rocprim17ROCPRIM_400000_NS6detail17trampoline_kernelINS0_14default_configENS1_22reduce_config_selectorIN6thrust23THRUST_200600_302600_NS5tupleIblNS6_9null_typeES8_S8_S8_S8_S8_S8_S8_EEEEZNS1_11reduce_implILb1ES3_NS6_12zip_iteratorINS7_INS6_11hip_rocprim26transform_input_iterator_tIbNSD_35transform_pair_of_input_iterators_tIbNS6_6detail15normal_iteratorINS6_10device_ptrIKiEEEESL_NS6_8equal_toIiEEEENSG_9not_fun_tINSD_8identityEEEEENSD_19counting_iterator_tIlEES8_S8_S8_S8_S8_S8_S8_S8_EEEEPS9_S9_NSD_9__find_if7functorIS9_EEEE10hipError_tPvRmT1_T2_T3_mT4_P12ihipStream_tbEUlT_E1_NS1_11comp_targetILNS1_3genE2ELNS1_11target_archE906ELNS1_3gpuE6ELNS1_3repE0EEENS1_30default_config_static_selectorELNS0_4arch9wavefront6targetE1EEEvS14_.private_seg_size, 0
	.set _ZN7rocprim17ROCPRIM_400000_NS6detail17trampoline_kernelINS0_14default_configENS1_22reduce_config_selectorIN6thrust23THRUST_200600_302600_NS5tupleIblNS6_9null_typeES8_S8_S8_S8_S8_S8_S8_EEEEZNS1_11reduce_implILb1ES3_NS6_12zip_iteratorINS7_INS6_11hip_rocprim26transform_input_iterator_tIbNSD_35transform_pair_of_input_iterators_tIbNS6_6detail15normal_iteratorINS6_10device_ptrIKiEEEESL_NS6_8equal_toIiEEEENSG_9not_fun_tINSD_8identityEEEEENSD_19counting_iterator_tIlEES8_S8_S8_S8_S8_S8_S8_S8_EEEEPS9_S9_NSD_9__find_if7functorIS9_EEEE10hipError_tPvRmT1_T2_T3_mT4_P12ihipStream_tbEUlT_E1_NS1_11comp_targetILNS1_3genE2ELNS1_11target_archE906ELNS1_3gpuE6ELNS1_3repE0EEENS1_30default_config_static_selectorELNS0_4arch9wavefront6targetE1EEEvS14_.uses_vcc, 1
	.set _ZN7rocprim17ROCPRIM_400000_NS6detail17trampoline_kernelINS0_14default_configENS1_22reduce_config_selectorIN6thrust23THRUST_200600_302600_NS5tupleIblNS6_9null_typeES8_S8_S8_S8_S8_S8_S8_EEEEZNS1_11reduce_implILb1ES3_NS6_12zip_iteratorINS7_INS6_11hip_rocprim26transform_input_iterator_tIbNSD_35transform_pair_of_input_iterators_tIbNS6_6detail15normal_iteratorINS6_10device_ptrIKiEEEESL_NS6_8equal_toIiEEEENSG_9not_fun_tINSD_8identityEEEEENSD_19counting_iterator_tIlEES8_S8_S8_S8_S8_S8_S8_S8_EEEEPS9_S9_NSD_9__find_if7functorIS9_EEEE10hipError_tPvRmT1_T2_T3_mT4_P12ihipStream_tbEUlT_E1_NS1_11comp_targetILNS1_3genE2ELNS1_11target_archE906ELNS1_3gpuE6ELNS1_3repE0EEENS1_30default_config_static_selectorELNS0_4arch9wavefront6targetE1EEEvS14_.uses_flat_scratch, 0
	.set _ZN7rocprim17ROCPRIM_400000_NS6detail17trampoline_kernelINS0_14default_configENS1_22reduce_config_selectorIN6thrust23THRUST_200600_302600_NS5tupleIblNS6_9null_typeES8_S8_S8_S8_S8_S8_S8_EEEEZNS1_11reduce_implILb1ES3_NS6_12zip_iteratorINS7_INS6_11hip_rocprim26transform_input_iterator_tIbNSD_35transform_pair_of_input_iterators_tIbNS6_6detail15normal_iteratorINS6_10device_ptrIKiEEEESL_NS6_8equal_toIiEEEENSG_9not_fun_tINSD_8identityEEEEENSD_19counting_iterator_tIlEES8_S8_S8_S8_S8_S8_S8_S8_EEEEPS9_S9_NSD_9__find_if7functorIS9_EEEE10hipError_tPvRmT1_T2_T3_mT4_P12ihipStream_tbEUlT_E1_NS1_11comp_targetILNS1_3genE2ELNS1_11target_archE906ELNS1_3gpuE6ELNS1_3repE0EEENS1_30default_config_static_selectorELNS0_4arch9wavefront6targetE1EEEvS14_.has_dyn_sized_stack, 0
	.set _ZN7rocprim17ROCPRIM_400000_NS6detail17trampoline_kernelINS0_14default_configENS1_22reduce_config_selectorIN6thrust23THRUST_200600_302600_NS5tupleIblNS6_9null_typeES8_S8_S8_S8_S8_S8_S8_EEEEZNS1_11reduce_implILb1ES3_NS6_12zip_iteratorINS7_INS6_11hip_rocprim26transform_input_iterator_tIbNSD_35transform_pair_of_input_iterators_tIbNS6_6detail15normal_iteratorINS6_10device_ptrIKiEEEESL_NS6_8equal_toIiEEEENSG_9not_fun_tINSD_8identityEEEEENSD_19counting_iterator_tIlEES8_S8_S8_S8_S8_S8_S8_S8_EEEEPS9_S9_NSD_9__find_if7functorIS9_EEEE10hipError_tPvRmT1_T2_T3_mT4_P12ihipStream_tbEUlT_E1_NS1_11comp_targetILNS1_3genE2ELNS1_11target_archE906ELNS1_3gpuE6ELNS1_3repE0EEENS1_30default_config_static_selectorELNS0_4arch9wavefront6targetE1EEEvS14_.has_recursion, 0
	.set _ZN7rocprim17ROCPRIM_400000_NS6detail17trampoline_kernelINS0_14default_configENS1_22reduce_config_selectorIN6thrust23THRUST_200600_302600_NS5tupleIblNS6_9null_typeES8_S8_S8_S8_S8_S8_S8_EEEEZNS1_11reduce_implILb1ES3_NS6_12zip_iteratorINS7_INS6_11hip_rocprim26transform_input_iterator_tIbNSD_35transform_pair_of_input_iterators_tIbNS6_6detail15normal_iteratorINS6_10device_ptrIKiEEEESL_NS6_8equal_toIiEEEENSG_9not_fun_tINSD_8identityEEEEENSD_19counting_iterator_tIlEES8_S8_S8_S8_S8_S8_S8_S8_EEEEPS9_S9_NSD_9__find_if7functorIS9_EEEE10hipError_tPvRmT1_T2_T3_mT4_P12ihipStream_tbEUlT_E1_NS1_11comp_targetILNS1_3genE2ELNS1_11target_archE906ELNS1_3gpuE6ELNS1_3repE0EEENS1_30default_config_static_selectorELNS0_4arch9wavefront6targetE1EEEvS14_.has_indirect_call, 0
	.section	.AMDGPU.csdata,"",@progbits
; Kernel info:
; codeLenInByte = 13144
; TotalNumSgprs: 46
; NumVgprs: 27
; ScratchSize: 0
; MemoryBound: 0
; FloatMode: 240
; IeeeMode: 1
; LDSByteSize: 160 bytes/workgroup (compile time only)
; SGPRBlocks: 5
; VGPRBlocks: 6
; NumSGPRsForWavesPerEU: 46
; NumVGPRsForWavesPerEU: 27
; Occupancy: 9
; WaveLimiterHint : 0
; COMPUTE_PGM_RSRC2:SCRATCH_EN: 0
; COMPUTE_PGM_RSRC2:USER_SGPR: 6
; COMPUTE_PGM_RSRC2:TRAP_HANDLER: 0
; COMPUTE_PGM_RSRC2:TGID_X_EN: 1
; COMPUTE_PGM_RSRC2:TGID_Y_EN: 0
; COMPUTE_PGM_RSRC2:TGID_Z_EN: 0
; COMPUTE_PGM_RSRC2:TIDIG_COMP_CNT: 0
	.section	.text._ZN7rocprim17ROCPRIM_400000_NS6detail17trampoline_kernelINS0_14default_configENS1_22reduce_config_selectorIN6thrust23THRUST_200600_302600_NS5tupleIblNS6_9null_typeES8_S8_S8_S8_S8_S8_S8_EEEEZNS1_11reduce_implILb1ES3_NS6_12zip_iteratorINS7_INS6_11hip_rocprim26transform_input_iterator_tIbNSD_35transform_pair_of_input_iterators_tIbNS6_6detail15normal_iteratorINS6_10device_ptrIKiEEEESL_NS6_8equal_toIiEEEENSG_9not_fun_tINSD_8identityEEEEENSD_19counting_iterator_tIlEES8_S8_S8_S8_S8_S8_S8_S8_EEEEPS9_S9_NSD_9__find_if7functorIS9_EEEE10hipError_tPvRmT1_T2_T3_mT4_P12ihipStream_tbEUlT_E1_NS1_11comp_targetILNS1_3genE10ELNS1_11target_archE1201ELNS1_3gpuE5ELNS1_3repE0EEENS1_30default_config_static_selectorELNS0_4arch9wavefront6targetE1EEEvS14_,"axG",@progbits,_ZN7rocprim17ROCPRIM_400000_NS6detail17trampoline_kernelINS0_14default_configENS1_22reduce_config_selectorIN6thrust23THRUST_200600_302600_NS5tupleIblNS6_9null_typeES8_S8_S8_S8_S8_S8_S8_EEEEZNS1_11reduce_implILb1ES3_NS6_12zip_iteratorINS7_INS6_11hip_rocprim26transform_input_iterator_tIbNSD_35transform_pair_of_input_iterators_tIbNS6_6detail15normal_iteratorINS6_10device_ptrIKiEEEESL_NS6_8equal_toIiEEEENSG_9not_fun_tINSD_8identityEEEEENSD_19counting_iterator_tIlEES8_S8_S8_S8_S8_S8_S8_S8_EEEEPS9_S9_NSD_9__find_if7functorIS9_EEEE10hipError_tPvRmT1_T2_T3_mT4_P12ihipStream_tbEUlT_E1_NS1_11comp_targetILNS1_3genE10ELNS1_11target_archE1201ELNS1_3gpuE5ELNS1_3repE0EEENS1_30default_config_static_selectorELNS0_4arch9wavefront6targetE1EEEvS14_,comdat
	.protected	_ZN7rocprim17ROCPRIM_400000_NS6detail17trampoline_kernelINS0_14default_configENS1_22reduce_config_selectorIN6thrust23THRUST_200600_302600_NS5tupleIblNS6_9null_typeES8_S8_S8_S8_S8_S8_S8_EEEEZNS1_11reduce_implILb1ES3_NS6_12zip_iteratorINS7_INS6_11hip_rocprim26transform_input_iterator_tIbNSD_35transform_pair_of_input_iterators_tIbNS6_6detail15normal_iteratorINS6_10device_ptrIKiEEEESL_NS6_8equal_toIiEEEENSG_9not_fun_tINSD_8identityEEEEENSD_19counting_iterator_tIlEES8_S8_S8_S8_S8_S8_S8_S8_EEEEPS9_S9_NSD_9__find_if7functorIS9_EEEE10hipError_tPvRmT1_T2_T3_mT4_P12ihipStream_tbEUlT_E1_NS1_11comp_targetILNS1_3genE10ELNS1_11target_archE1201ELNS1_3gpuE5ELNS1_3repE0EEENS1_30default_config_static_selectorELNS0_4arch9wavefront6targetE1EEEvS14_ ; -- Begin function _ZN7rocprim17ROCPRIM_400000_NS6detail17trampoline_kernelINS0_14default_configENS1_22reduce_config_selectorIN6thrust23THRUST_200600_302600_NS5tupleIblNS6_9null_typeES8_S8_S8_S8_S8_S8_S8_EEEEZNS1_11reduce_implILb1ES3_NS6_12zip_iteratorINS7_INS6_11hip_rocprim26transform_input_iterator_tIbNSD_35transform_pair_of_input_iterators_tIbNS6_6detail15normal_iteratorINS6_10device_ptrIKiEEEESL_NS6_8equal_toIiEEEENSG_9not_fun_tINSD_8identityEEEEENSD_19counting_iterator_tIlEES8_S8_S8_S8_S8_S8_S8_S8_EEEEPS9_S9_NSD_9__find_if7functorIS9_EEEE10hipError_tPvRmT1_T2_T3_mT4_P12ihipStream_tbEUlT_E1_NS1_11comp_targetILNS1_3genE10ELNS1_11target_archE1201ELNS1_3gpuE5ELNS1_3repE0EEENS1_30default_config_static_selectorELNS0_4arch9wavefront6targetE1EEEvS14_
	.globl	_ZN7rocprim17ROCPRIM_400000_NS6detail17trampoline_kernelINS0_14default_configENS1_22reduce_config_selectorIN6thrust23THRUST_200600_302600_NS5tupleIblNS6_9null_typeES8_S8_S8_S8_S8_S8_S8_EEEEZNS1_11reduce_implILb1ES3_NS6_12zip_iteratorINS7_INS6_11hip_rocprim26transform_input_iterator_tIbNSD_35transform_pair_of_input_iterators_tIbNS6_6detail15normal_iteratorINS6_10device_ptrIKiEEEESL_NS6_8equal_toIiEEEENSG_9not_fun_tINSD_8identityEEEEENSD_19counting_iterator_tIlEES8_S8_S8_S8_S8_S8_S8_S8_EEEEPS9_S9_NSD_9__find_if7functorIS9_EEEE10hipError_tPvRmT1_T2_T3_mT4_P12ihipStream_tbEUlT_E1_NS1_11comp_targetILNS1_3genE10ELNS1_11target_archE1201ELNS1_3gpuE5ELNS1_3repE0EEENS1_30default_config_static_selectorELNS0_4arch9wavefront6targetE1EEEvS14_
	.p2align	8
	.type	_ZN7rocprim17ROCPRIM_400000_NS6detail17trampoline_kernelINS0_14default_configENS1_22reduce_config_selectorIN6thrust23THRUST_200600_302600_NS5tupleIblNS6_9null_typeES8_S8_S8_S8_S8_S8_S8_EEEEZNS1_11reduce_implILb1ES3_NS6_12zip_iteratorINS7_INS6_11hip_rocprim26transform_input_iterator_tIbNSD_35transform_pair_of_input_iterators_tIbNS6_6detail15normal_iteratorINS6_10device_ptrIKiEEEESL_NS6_8equal_toIiEEEENSG_9not_fun_tINSD_8identityEEEEENSD_19counting_iterator_tIlEES8_S8_S8_S8_S8_S8_S8_S8_EEEEPS9_S9_NSD_9__find_if7functorIS9_EEEE10hipError_tPvRmT1_T2_T3_mT4_P12ihipStream_tbEUlT_E1_NS1_11comp_targetILNS1_3genE10ELNS1_11target_archE1201ELNS1_3gpuE5ELNS1_3repE0EEENS1_30default_config_static_selectorELNS0_4arch9wavefront6targetE1EEEvS14_,@function
_ZN7rocprim17ROCPRIM_400000_NS6detail17trampoline_kernelINS0_14default_configENS1_22reduce_config_selectorIN6thrust23THRUST_200600_302600_NS5tupleIblNS6_9null_typeES8_S8_S8_S8_S8_S8_S8_EEEEZNS1_11reduce_implILb1ES3_NS6_12zip_iteratorINS7_INS6_11hip_rocprim26transform_input_iterator_tIbNSD_35transform_pair_of_input_iterators_tIbNS6_6detail15normal_iteratorINS6_10device_ptrIKiEEEESL_NS6_8equal_toIiEEEENSG_9not_fun_tINSD_8identityEEEEENSD_19counting_iterator_tIlEES8_S8_S8_S8_S8_S8_S8_S8_EEEEPS9_S9_NSD_9__find_if7functorIS9_EEEE10hipError_tPvRmT1_T2_T3_mT4_P12ihipStream_tbEUlT_E1_NS1_11comp_targetILNS1_3genE10ELNS1_11target_archE1201ELNS1_3gpuE5ELNS1_3repE0EEENS1_30default_config_static_selectorELNS0_4arch9wavefront6targetE1EEEvS14_: ; @_ZN7rocprim17ROCPRIM_400000_NS6detail17trampoline_kernelINS0_14default_configENS1_22reduce_config_selectorIN6thrust23THRUST_200600_302600_NS5tupleIblNS6_9null_typeES8_S8_S8_S8_S8_S8_S8_EEEEZNS1_11reduce_implILb1ES3_NS6_12zip_iteratorINS7_INS6_11hip_rocprim26transform_input_iterator_tIbNSD_35transform_pair_of_input_iterators_tIbNS6_6detail15normal_iteratorINS6_10device_ptrIKiEEEESL_NS6_8equal_toIiEEEENSG_9not_fun_tINSD_8identityEEEEENSD_19counting_iterator_tIlEES8_S8_S8_S8_S8_S8_S8_S8_EEEEPS9_S9_NSD_9__find_if7functorIS9_EEEE10hipError_tPvRmT1_T2_T3_mT4_P12ihipStream_tbEUlT_E1_NS1_11comp_targetILNS1_3genE10ELNS1_11target_archE1201ELNS1_3gpuE5ELNS1_3repE0EEENS1_30default_config_static_selectorELNS0_4arch9wavefront6targetE1EEEvS14_
; %bb.0:
	.section	.rodata,"a",@progbits
	.p2align	6, 0x0
	.amdhsa_kernel _ZN7rocprim17ROCPRIM_400000_NS6detail17trampoline_kernelINS0_14default_configENS1_22reduce_config_selectorIN6thrust23THRUST_200600_302600_NS5tupleIblNS6_9null_typeES8_S8_S8_S8_S8_S8_S8_EEEEZNS1_11reduce_implILb1ES3_NS6_12zip_iteratorINS7_INS6_11hip_rocprim26transform_input_iterator_tIbNSD_35transform_pair_of_input_iterators_tIbNS6_6detail15normal_iteratorINS6_10device_ptrIKiEEEESL_NS6_8equal_toIiEEEENSG_9not_fun_tINSD_8identityEEEEENSD_19counting_iterator_tIlEES8_S8_S8_S8_S8_S8_S8_S8_EEEEPS9_S9_NSD_9__find_if7functorIS9_EEEE10hipError_tPvRmT1_T2_T3_mT4_P12ihipStream_tbEUlT_E1_NS1_11comp_targetILNS1_3genE10ELNS1_11target_archE1201ELNS1_3gpuE5ELNS1_3repE0EEENS1_30default_config_static_selectorELNS0_4arch9wavefront6targetE1EEEvS14_
		.amdhsa_group_segment_fixed_size 0
		.amdhsa_private_segment_fixed_size 0
		.amdhsa_kernarg_size 88
		.amdhsa_user_sgpr_count 6
		.amdhsa_user_sgpr_private_segment_buffer 1
		.amdhsa_user_sgpr_dispatch_ptr 0
		.amdhsa_user_sgpr_queue_ptr 0
		.amdhsa_user_sgpr_kernarg_segment_ptr 1
		.amdhsa_user_sgpr_dispatch_id 0
		.amdhsa_user_sgpr_flat_scratch_init 0
		.amdhsa_user_sgpr_private_segment_size 0
		.amdhsa_uses_dynamic_stack 0
		.amdhsa_system_sgpr_private_segment_wavefront_offset 0
		.amdhsa_system_sgpr_workgroup_id_x 1
		.amdhsa_system_sgpr_workgroup_id_y 0
		.amdhsa_system_sgpr_workgroup_id_z 0
		.amdhsa_system_sgpr_workgroup_info 0
		.amdhsa_system_vgpr_workitem_id 0
		.amdhsa_next_free_vgpr 1
		.amdhsa_next_free_sgpr 0
		.amdhsa_reserve_vcc 0
		.amdhsa_reserve_flat_scratch 0
		.amdhsa_float_round_mode_32 0
		.amdhsa_float_round_mode_16_64 0
		.amdhsa_float_denorm_mode_32 3
		.amdhsa_float_denorm_mode_16_64 3
		.amdhsa_dx10_clamp 1
		.amdhsa_ieee_mode 1
		.amdhsa_fp16_overflow 0
		.amdhsa_exception_fp_ieee_invalid_op 0
		.amdhsa_exception_fp_denorm_src 0
		.amdhsa_exception_fp_ieee_div_zero 0
		.amdhsa_exception_fp_ieee_overflow 0
		.amdhsa_exception_fp_ieee_underflow 0
		.amdhsa_exception_fp_ieee_inexact 0
		.amdhsa_exception_int_div_zero 0
	.end_amdhsa_kernel
	.section	.text._ZN7rocprim17ROCPRIM_400000_NS6detail17trampoline_kernelINS0_14default_configENS1_22reduce_config_selectorIN6thrust23THRUST_200600_302600_NS5tupleIblNS6_9null_typeES8_S8_S8_S8_S8_S8_S8_EEEEZNS1_11reduce_implILb1ES3_NS6_12zip_iteratorINS7_INS6_11hip_rocprim26transform_input_iterator_tIbNSD_35transform_pair_of_input_iterators_tIbNS6_6detail15normal_iteratorINS6_10device_ptrIKiEEEESL_NS6_8equal_toIiEEEENSG_9not_fun_tINSD_8identityEEEEENSD_19counting_iterator_tIlEES8_S8_S8_S8_S8_S8_S8_S8_EEEEPS9_S9_NSD_9__find_if7functorIS9_EEEE10hipError_tPvRmT1_T2_T3_mT4_P12ihipStream_tbEUlT_E1_NS1_11comp_targetILNS1_3genE10ELNS1_11target_archE1201ELNS1_3gpuE5ELNS1_3repE0EEENS1_30default_config_static_selectorELNS0_4arch9wavefront6targetE1EEEvS14_,"axG",@progbits,_ZN7rocprim17ROCPRIM_400000_NS6detail17trampoline_kernelINS0_14default_configENS1_22reduce_config_selectorIN6thrust23THRUST_200600_302600_NS5tupleIblNS6_9null_typeES8_S8_S8_S8_S8_S8_S8_EEEEZNS1_11reduce_implILb1ES3_NS6_12zip_iteratorINS7_INS6_11hip_rocprim26transform_input_iterator_tIbNSD_35transform_pair_of_input_iterators_tIbNS6_6detail15normal_iteratorINS6_10device_ptrIKiEEEESL_NS6_8equal_toIiEEEENSG_9not_fun_tINSD_8identityEEEEENSD_19counting_iterator_tIlEES8_S8_S8_S8_S8_S8_S8_S8_EEEEPS9_S9_NSD_9__find_if7functorIS9_EEEE10hipError_tPvRmT1_T2_T3_mT4_P12ihipStream_tbEUlT_E1_NS1_11comp_targetILNS1_3genE10ELNS1_11target_archE1201ELNS1_3gpuE5ELNS1_3repE0EEENS1_30default_config_static_selectorELNS0_4arch9wavefront6targetE1EEEvS14_,comdat
.Lfunc_end482:
	.size	_ZN7rocprim17ROCPRIM_400000_NS6detail17trampoline_kernelINS0_14default_configENS1_22reduce_config_selectorIN6thrust23THRUST_200600_302600_NS5tupleIblNS6_9null_typeES8_S8_S8_S8_S8_S8_S8_EEEEZNS1_11reduce_implILb1ES3_NS6_12zip_iteratorINS7_INS6_11hip_rocprim26transform_input_iterator_tIbNSD_35transform_pair_of_input_iterators_tIbNS6_6detail15normal_iteratorINS6_10device_ptrIKiEEEESL_NS6_8equal_toIiEEEENSG_9not_fun_tINSD_8identityEEEEENSD_19counting_iterator_tIlEES8_S8_S8_S8_S8_S8_S8_S8_EEEEPS9_S9_NSD_9__find_if7functorIS9_EEEE10hipError_tPvRmT1_T2_T3_mT4_P12ihipStream_tbEUlT_E1_NS1_11comp_targetILNS1_3genE10ELNS1_11target_archE1201ELNS1_3gpuE5ELNS1_3repE0EEENS1_30default_config_static_selectorELNS0_4arch9wavefront6targetE1EEEvS14_, .Lfunc_end482-_ZN7rocprim17ROCPRIM_400000_NS6detail17trampoline_kernelINS0_14default_configENS1_22reduce_config_selectorIN6thrust23THRUST_200600_302600_NS5tupleIblNS6_9null_typeES8_S8_S8_S8_S8_S8_S8_EEEEZNS1_11reduce_implILb1ES3_NS6_12zip_iteratorINS7_INS6_11hip_rocprim26transform_input_iterator_tIbNSD_35transform_pair_of_input_iterators_tIbNS6_6detail15normal_iteratorINS6_10device_ptrIKiEEEESL_NS6_8equal_toIiEEEENSG_9not_fun_tINSD_8identityEEEEENSD_19counting_iterator_tIlEES8_S8_S8_S8_S8_S8_S8_S8_EEEEPS9_S9_NSD_9__find_if7functorIS9_EEEE10hipError_tPvRmT1_T2_T3_mT4_P12ihipStream_tbEUlT_E1_NS1_11comp_targetILNS1_3genE10ELNS1_11target_archE1201ELNS1_3gpuE5ELNS1_3repE0EEENS1_30default_config_static_selectorELNS0_4arch9wavefront6targetE1EEEvS14_
                                        ; -- End function
	.set _ZN7rocprim17ROCPRIM_400000_NS6detail17trampoline_kernelINS0_14default_configENS1_22reduce_config_selectorIN6thrust23THRUST_200600_302600_NS5tupleIblNS6_9null_typeES8_S8_S8_S8_S8_S8_S8_EEEEZNS1_11reduce_implILb1ES3_NS6_12zip_iteratorINS7_INS6_11hip_rocprim26transform_input_iterator_tIbNSD_35transform_pair_of_input_iterators_tIbNS6_6detail15normal_iteratorINS6_10device_ptrIKiEEEESL_NS6_8equal_toIiEEEENSG_9not_fun_tINSD_8identityEEEEENSD_19counting_iterator_tIlEES8_S8_S8_S8_S8_S8_S8_S8_EEEEPS9_S9_NSD_9__find_if7functorIS9_EEEE10hipError_tPvRmT1_T2_T3_mT4_P12ihipStream_tbEUlT_E1_NS1_11comp_targetILNS1_3genE10ELNS1_11target_archE1201ELNS1_3gpuE5ELNS1_3repE0EEENS1_30default_config_static_selectorELNS0_4arch9wavefront6targetE1EEEvS14_.num_vgpr, 0
	.set _ZN7rocprim17ROCPRIM_400000_NS6detail17trampoline_kernelINS0_14default_configENS1_22reduce_config_selectorIN6thrust23THRUST_200600_302600_NS5tupleIblNS6_9null_typeES8_S8_S8_S8_S8_S8_S8_EEEEZNS1_11reduce_implILb1ES3_NS6_12zip_iteratorINS7_INS6_11hip_rocprim26transform_input_iterator_tIbNSD_35transform_pair_of_input_iterators_tIbNS6_6detail15normal_iteratorINS6_10device_ptrIKiEEEESL_NS6_8equal_toIiEEEENSG_9not_fun_tINSD_8identityEEEEENSD_19counting_iterator_tIlEES8_S8_S8_S8_S8_S8_S8_S8_EEEEPS9_S9_NSD_9__find_if7functorIS9_EEEE10hipError_tPvRmT1_T2_T3_mT4_P12ihipStream_tbEUlT_E1_NS1_11comp_targetILNS1_3genE10ELNS1_11target_archE1201ELNS1_3gpuE5ELNS1_3repE0EEENS1_30default_config_static_selectorELNS0_4arch9wavefront6targetE1EEEvS14_.num_agpr, 0
	.set _ZN7rocprim17ROCPRIM_400000_NS6detail17trampoline_kernelINS0_14default_configENS1_22reduce_config_selectorIN6thrust23THRUST_200600_302600_NS5tupleIblNS6_9null_typeES8_S8_S8_S8_S8_S8_S8_EEEEZNS1_11reduce_implILb1ES3_NS6_12zip_iteratorINS7_INS6_11hip_rocprim26transform_input_iterator_tIbNSD_35transform_pair_of_input_iterators_tIbNS6_6detail15normal_iteratorINS6_10device_ptrIKiEEEESL_NS6_8equal_toIiEEEENSG_9not_fun_tINSD_8identityEEEEENSD_19counting_iterator_tIlEES8_S8_S8_S8_S8_S8_S8_S8_EEEEPS9_S9_NSD_9__find_if7functorIS9_EEEE10hipError_tPvRmT1_T2_T3_mT4_P12ihipStream_tbEUlT_E1_NS1_11comp_targetILNS1_3genE10ELNS1_11target_archE1201ELNS1_3gpuE5ELNS1_3repE0EEENS1_30default_config_static_selectorELNS0_4arch9wavefront6targetE1EEEvS14_.numbered_sgpr, 0
	.set _ZN7rocprim17ROCPRIM_400000_NS6detail17trampoline_kernelINS0_14default_configENS1_22reduce_config_selectorIN6thrust23THRUST_200600_302600_NS5tupleIblNS6_9null_typeES8_S8_S8_S8_S8_S8_S8_EEEEZNS1_11reduce_implILb1ES3_NS6_12zip_iteratorINS7_INS6_11hip_rocprim26transform_input_iterator_tIbNSD_35transform_pair_of_input_iterators_tIbNS6_6detail15normal_iteratorINS6_10device_ptrIKiEEEESL_NS6_8equal_toIiEEEENSG_9not_fun_tINSD_8identityEEEEENSD_19counting_iterator_tIlEES8_S8_S8_S8_S8_S8_S8_S8_EEEEPS9_S9_NSD_9__find_if7functorIS9_EEEE10hipError_tPvRmT1_T2_T3_mT4_P12ihipStream_tbEUlT_E1_NS1_11comp_targetILNS1_3genE10ELNS1_11target_archE1201ELNS1_3gpuE5ELNS1_3repE0EEENS1_30default_config_static_selectorELNS0_4arch9wavefront6targetE1EEEvS14_.num_named_barrier, 0
	.set _ZN7rocprim17ROCPRIM_400000_NS6detail17trampoline_kernelINS0_14default_configENS1_22reduce_config_selectorIN6thrust23THRUST_200600_302600_NS5tupleIblNS6_9null_typeES8_S8_S8_S8_S8_S8_S8_EEEEZNS1_11reduce_implILb1ES3_NS6_12zip_iteratorINS7_INS6_11hip_rocprim26transform_input_iterator_tIbNSD_35transform_pair_of_input_iterators_tIbNS6_6detail15normal_iteratorINS6_10device_ptrIKiEEEESL_NS6_8equal_toIiEEEENSG_9not_fun_tINSD_8identityEEEEENSD_19counting_iterator_tIlEES8_S8_S8_S8_S8_S8_S8_S8_EEEEPS9_S9_NSD_9__find_if7functorIS9_EEEE10hipError_tPvRmT1_T2_T3_mT4_P12ihipStream_tbEUlT_E1_NS1_11comp_targetILNS1_3genE10ELNS1_11target_archE1201ELNS1_3gpuE5ELNS1_3repE0EEENS1_30default_config_static_selectorELNS0_4arch9wavefront6targetE1EEEvS14_.private_seg_size, 0
	.set _ZN7rocprim17ROCPRIM_400000_NS6detail17trampoline_kernelINS0_14default_configENS1_22reduce_config_selectorIN6thrust23THRUST_200600_302600_NS5tupleIblNS6_9null_typeES8_S8_S8_S8_S8_S8_S8_EEEEZNS1_11reduce_implILb1ES3_NS6_12zip_iteratorINS7_INS6_11hip_rocprim26transform_input_iterator_tIbNSD_35transform_pair_of_input_iterators_tIbNS6_6detail15normal_iteratorINS6_10device_ptrIKiEEEESL_NS6_8equal_toIiEEEENSG_9not_fun_tINSD_8identityEEEEENSD_19counting_iterator_tIlEES8_S8_S8_S8_S8_S8_S8_S8_EEEEPS9_S9_NSD_9__find_if7functorIS9_EEEE10hipError_tPvRmT1_T2_T3_mT4_P12ihipStream_tbEUlT_E1_NS1_11comp_targetILNS1_3genE10ELNS1_11target_archE1201ELNS1_3gpuE5ELNS1_3repE0EEENS1_30default_config_static_selectorELNS0_4arch9wavefront6targetE1EEEvS14_.uses_vcc, 0
	.set _ZN7rocprim17ROCPRIM_400000_NS6detail17trampoline_kernelINS0_14default_configENS1_22reduce_config_selectorIN6thrust23THRUST_200600_302600_NS5tupleIblNS6_9null_typeES8_S8_S8_S8_S8_S8_S8_EEEEZNS1_11reduce_implILb1ES3_NS6_12zip_iteratorINS7_INS6_11hip_rocprim26transform_input_iterator_tIbNSD_35transform_pair_of_input_iterators_tIbNS6_6detail15normal_iteratorINS6_10device_ptrIKiEEEESL_NS6_8equal_toIiEEEENSG_9not_fun_tINSD_8identityEEEEENSD_19counting_iterator_tIlEES8_S8_S8_S8_S8_S8_S8_S8_EEEEPS9_S9_NSD_9__find_if7functorIS9_EEEE10hipError_tPvRmT1_T2_T3_mT4_P12ihipStream_tbEUlT_E1_NS1_11comp_targetILNS1_3genE10ELNS1_11target_archE1201ELNS1_3gpuE5ELNS1_3repE0EEENS1_30default_config_static_selectorELNS0_4arch9wavefront6targetE1EEEvS14_.uses_flat_scratch, 0
	.set _ZN7rocprim17ROCPRIM_400000_NS6detail17trampoline_kernelINS0_14default_configENS1_22reduce_config_selectorIN6thrust23THRUST_200600_302600_NS5tupleIblNS6_9null_typeES8_S8_S8_S8_S8_S8_S8_EEEEZNS1_11reduce_implILb1ES3_NS6_12zip_iteratorINS7_INS6_11hip_rocprim26transform_input_iterator_tIbNSD_35transform_pair_of_input_iterators_tIbNS6_6detail15normal_iteratorINS6_10device_ptrIKiEEEESL_NS6_8equal_toIiEEEENSG_9not_fun_tINSD_8identityEEEEENSD_19counting_iterator_tIlEES8_S8_S8_S8_S8_S8_S8_S8_EEEEPS9_S9_NSD_9__find_if7functorIS9_EEEE10hipError_tPvRmT1_T2_T3_mT4_P12ihipStream_tbEUlT_E1_NS1_11comp_targetILNS1_3genE10ELNS1_11target_archE1201ELNS1_3gpuE5ELNS1_3repE0EEENS1_30default_config_static_selectorELNS0_4arch9wavefront6targetE1EEEvS14_.has_dyn_sized_stack, 0
	.set _ZN7rocprim17ROCPRIM_400000_NS6detail17trampoline_kernelINS0_14default_configENS1_22reduce_config_selectorIN6thrust23THRUST_200600_302600_NS5tupleIblNS6_9null_typeES8_S8_S8_S8_S8_S8_S8_EEEEZNS1_11reduce_implILb1ES3_NS6_12zip_iteratorINS7_INS6_11hip_rocprim26transform_input_iterator_tIbNSD_35transform_pair_of_input_iterators_tIbNS6_6detail15normal_iteratorINS6_10device_ptrIKiEEEESL_NS6_8equal_toIiEEEENSG_9not_fun_tINSD_8identityEEEEENSD_19counting_iterator_tIlEES8_S8_S8_S8_S8_S8_S8_S8_EEEEPS9_S9_NSD_9__find_if7functorIS9_EEEE10hipError_tPvRmT1_T2_T3_mT4_P12ihipStream_tbEUlT_E1_NS1_11comp_targetILNS1_3genE10ELNS1_11target_archE1201ELNS1_3gpuE5ELNS1_3repE0EEENS1_30default_config_static_selectorELNS0_4arch9wavefront6targetE1EEEvS14_.has_recursion, 0
	.set _ZN7rocprim17ROCPRIM_400000_NS6detail17trampoline_kernelINS0_14default_configENS1_22reduce_config_selectorIN6thrust23THRUST_200600_302600_NS5tupleIblNS6_9null_typeES8_S8_S8_S8_S8_S8_S8_EEEEZNS1_11reduce_implILb1ES3_NS6_12zip_iteratorINS7_INS6_11hip_rocprim26transform_input_iterator_tIbNSD_35transform_pair_of_input_iterators_tIbNS6_6detail15normal_iteratorINS6_10device_ptrIKiEEEESL_NS6_8equal_toIiEEEENSG_9not_fun_tINSD_8identityEEEEENSD_19counting_iterator_tIlEES8_S8_S8_S8_S8_S8_S8_S8_EEEEPS9_S9_NSD_9__find_if7functorIS9_EEEE10hipError_tPvRmT1_T2_T3_mT4_P12ihipStream_tbEUlT_E1_NS1_11comp_targetILNS1_3genE10ELNS1_11target_archE1201ELNS1_3gpuE5ELNS1_3repE0EEENS1_30default_config_static_selectorELNS0_4arch9wavefront6targetE1EEEvS14_.has_indirect_call, 0
	.section	.AMDGPU.csdata,"",@progbits
; Kernel info:
; codeLenInByte = 0
; TotalNumSgprs: 4
; NumVgprs: 0
; ScratchSize: 0
; MemoryBound: 0
; FloatMode: 240
; IeeeMode: 1
; LDSByteSize: 0 bytes/workgroup (compile time only)
; SGPRBlocks: 0
; VGPRBlocks: 0
; NumSGPRsForWavesPerEU: 4
; NumVGPRsForWavesPerEU: 1
; Occupancy: 10
; WaveLimiterHint : 0
; COMPUTE_PGM_RSRC2:SCRATCH_EN: 0
; COMPUTE_PGM_RSRC2:USER_SGPR: 6
; COMPUTE_PGM_RSRC2:TRAP_HANDLER: 0
; COMPUTE_PGM_RSRC2:TGID_X_EN: 1
; COMPUTE_PGM_RSRC2:TGID_Y_EN: 0
; COMPUTE_PGM_RSRC2:TGID_Z_EN: 0
; COMPUTE_PGM_RSRC2:TIDIG_COMP_CNT: 0
	.section	.text._ZN7rocprim17ROCPRIM_400000_NS6detail17trampoline_kernelINS0_14default_configENS1_22reduce_config_selectorIN6thrust23THRUST_200600_302600_NS5tupleIblNS6_9null_typeES8_S8_S8_S8_S8_S8_S8_EEEEZNS1_11reduce_implILb1ES3_NS6_12zip_iteratorINS7_INS6_11hip_rocprim26transform_input_iterator_tIbNSD_35transform_pair_of_input_iterators_tIbNS6_6detail15normal_iteratorINS6_10device_ptrIKiEEEESL_NS6_8equal_toIiEEEENSG_9not_fun_tINSD_8identityEEEEENSD_19counting_iterator_tIlEES8_S8_S8_S8_S8_S8_S8_S8_EEEEPS9_S9_NSD_9__find_if7functorIS9_EEEE10hipError_tPvRmT1_T2_T3_mT4_P12ihipStream_tbEUlT_E1_NS1_11comp_targetILNS1_3genE10ELNS1_11target_archE1200ELNS1_3gpuE4ELNS1_3repE0EEENS1_30default_config_static_selectorELNS0_4arch9wavefront6targetE1EEEvS14_,"axG",@progbits,_ZN7rocprim17ROCPRIM_400000_NS6detail17trampoline_kernelINS0_14default_configENS1_22reduce_config_selectorIN6thrust23THRUST_200600_302600_NS5tupleIblNS6_9null_typeES8_S8_S8_S8_S8_S8_S8_EEEEZNS1_11reduce_implILb1ES3_NS6_12zip_iteratorINS7_INS6_11hip_rocprim26transform_input_iterator_tIbNSD_35transform_pair_of_input_iterators_tIbNS6_6detail15normal_iteratorINS6_10device_ptrIKiEEEESL_NS6_8equal_toIiEEEENSG_9not_fun_tINSD_8identityEEEEENSD_19counting_iterator_tIlEES8_S8_S8_S8_S8_S8_S8_S8_EEEEPS9_S9_NSD_9__find_if7functorIS9_EEEE10hipError_tPvRmT1_T2_T3_mT4_P12ihipStream_tbEUlT_E1_NS1_11comp_targetILNS1_3genE10ELNS1_11target_archE1200ELNS1_3gpuE4ELNS1_3repE0EEENS1_30default_config_static_selectorELNS0_4arch9wavefront6targetE1EEEvS14_,comdat
	.protected	_ZN7rocprim17ROCPRIM_400000_NS6detail17trampoline_kernelINS0_14default_configENS1_22reduce_config_selectorIN6thrust23THRUST_200600_302600_NS5tupleIblNS6_9null_typeES8_S8_S8_S8_S8_S8_S8_EEEEZNS1_11reduce_implILb1ES3_NS6_12zip_iteratorINS7_INS6_11hip_rocprim26transform_input_iterator_tIbNSD_35transform_pair_of_input_iterators_tIbNS6_6detail15normal_iteratorINS6_10device_ptrIKiEEEESL_NS6_8equal_toIiEEEENSG_9not_fun_tINSD_8identityEEEEENSD_19counting_iterator_tIlEES8_S8_S8_S8_S8_S8_S8_S8_EEEEPS9_S9_NSD_9__find_if7functorIS9_EEEE10hipError_tPvRmT1_T2_T3_mT4_P12ihipStream_tbEUlT_E1_NS1_11comp_targetILNS1_3genE10ELNS1_11target_archE1200ELNS1_3gpuE4ELNS1_3repE0EEENS1_30default_config_static_selectorELNS0_4arch9wavefront6targetE1EEEvS14_ ; -- Begin function _ZN7rocprim17ROCPRIM_400000_NS6detail17trampoline_kernelINS0_14default_configENS1_22reduce_config_selectorIN6thrust23THRUST_200600_302600_NS5tupleIblNS6_9null_typeES8_S8_S8_S8_S8_S8_S8_EEEEZNS1_11reduce_implILb1ES3_NS6_12zip_iteratorINS7_INS6_11hip_rocprim26transform_input_iterator_tIbNSD_35transform_pair_of_input_iterators_tIbNS6_6detail15normal_iteratorINS6_10device_ptrIKiEEEESL_NS6_8equal_toIiEEEENSG_9not_fun_tINSD_8identityEEEEENSD_19counting_iterator_tIlEES8_S8_S8_S8_S8_S8_S8_S8_EEEEPS9_S9_NSD_9__find_if7functorIS9_EEEE10hipError_tPvRmT1_T2_T3_mT4_P12ihipStream_tbEUlT_E1_NS1_11comp_targetILNS1_3genE10ELNS1_11target_archE1200ELNS1_3gpuE4ELNS1_3repE0EEENS1_30default_config_static_selectorELNS0_4arch9wavefront6targetE1EEEvS14_
	.globl	_ZN7rocprim17ROCPRIM_400000_NS6detail17trampoline_kernelINS0_14default_configENS1_22reduce_config_selectorIN6thrust23THRUST_200600_302600_NS5tupleIblNS6_9null_typeES8_S8_S8_S8_S8_S8_S8_EEEEZNS1_11reduce_implILb1ES3_NS6_12zip_iteratorINS7_INS6_11hip_rocprim26transform_input_iterator_tIbNSD_35transform_pair_of_input_iterators_tIbNS6_6detail15normal_iteratorINS6_10device_ptrIKiEEEESL_NS6_8equal_toIiEEEENSG_9not_fun_tINSD_8identityEEEEENSD_19counting_iterator_tIlEES8_S8_S8_S8_S8_S8_S8_S8_EEEEPS9_S9_NSD_9__find_if7functorIS9_EEEE10hipError_tPvRmT1_T2_T3_mT4_P12ihipStream_tbEUlT_E1_NS1_11comp_targetILNS1_3genE10ELNS1_11target_archE1200ELNS1_3gpuE4ELNS1_3repE0EEENS1_30default_config_static_selectorELNS0_4arch9wavefront6targetE1EEEvS14_
	.p2align	8
	.type	_ZN7rocprim17ROCPRIM_400000_NS6detail17trampoline_kernelINS0_14default_configENS1_22reduce_config_selectorIN6thrust23THRUST_200600_302600_NS5tupleIblNS6_9null_typeES8_S8_S8_S8_S8_S8_S8_EEEEZNS1_11reduce_implILb1ES3_NS6_12zip_iteratorINS7_INS6_11hip_rocprim26transform_input_iterator_tIbNSD_35transform_pair_of_input_iterators_tIbNS6_6detail15normal_iteratorINS6_10device_ptrIKiEEEESL_NS6_8equal_toIiEEEENSG_9not_fun_tINSD_8identityEEEEENSD_19counting_iterator_tIlEES8_S8_S8_S8_S8_S8_S8_S8_EEEEPS9_S9_NSD_9__find_if7functorIS9_EEEE10hipError_tPvRmT1_T2_T3_mT4_P12ihipStream_tbEUlT_E1_NS1_11comp_targetILNS1_3genE10ELNS1_11target_archE1200ELNS1_3gpuE4ELNS1_3repE0EEENS1_30default_config_static_selectorELNS0_4arch9wavefront6targetE1EEEvS14_,@function
_ZN7rocprim17ROCPRIM_400000_NS6detail17trampoline_kernelINS0_14default_configENS1_22reduce_config_selectorIN6thrust23THRUST_200600_302600_NS5tupleIblNS6_9null_typeES8_S8_S8_S8_S8_S8_S8_EEEEZNS1_11reduce_implILb1ES3_NS6_12zip_iteratorINS7_INS6_11hip_rocprim26transform_input_iterator_tIbNSD_35transform_pair_of_input_iterators_tIbNS6_6detail15normal_iteratorINS6_10device_ptrIKiEEEESL_NS6_8equal_toIiEEEENSG_9not_fun_tINSD_8identityEEEEENSD_19counting_iterator_tIlEES8_S8_S8_S8_S8_S8_S8_S8_EEEEPS9_S9_NSD_9__find_if7functorIS9_EEEE10hipError_tPvRmT1_T2_T3_mT4_P12ihipStream_tbEUlT_E1_NS1_11comp_targetILNS1_3genE10ELNS1_11target_archE1200ELNS1_3gpuE4ELNS1_3repE0EEENS1_30default_config_static_selectorELNS0_4arch9wavefront6targetE1EEEvS14_: ; @_ZN7rocprim17ROCPRIM_400000_NS6detail17trampoline_kernelINS0_14default_configENS1_22reduce_config_selectorIN6thrust23THRUST_200600_302600_NS5tupleIblNS6_9null_typeES8_S8_S8_S8_S8_S8_S8_EEEEZNS1_11reduce_implILb1ES3_NS6_12zip_iteratorINS7_INS6_11hip_rocprim26transform_input_iterator_tIbNSD_35transform_pair_of_input_iterators_tIbNS6_6detail15normal_iteratorINS6_10device_ptrIKiEEEESL_NS6_8equal_toIiEEEENSG_9not_fun_tINSD_8identityEEEEENSD_19counting_iterator_tIlEES8_S8_S8_S8_S8_S8_S8_S8_EEEEPS9_S9_NSD_9__find_if7functorIS9_EEEE10hipError_tPvRmT1_T2_T3_mT4_P12ihipStream_tbEUlT_E1_NS1_11comp_targetILNS1_3genE10ELNS1_11target_archE1200ELNS1_3gpuE4ELNS1_3repE0EEENS1_30default_config_static_selectorELNS0_4arch9wavefront6targetE1EEEvS14_
; %bb.0:
	.section	.rodata,"a",@progbits
	.p2align	6, 0x0
	.amdhsa_kernel _ZN7rocprim17ROCPRIM_400000_NS6detail17trampoline_kernelINS0_14default_configENS1_22reduce_config_selectorIN6thrust23THRUST_200600_302600_NS5tupleIblNS6_9null_typeES8_S8_S8_S8_S8_S8_S8_EEEEZNS1_11reduce_implILb1ES3_NS6_12zip_iteratorINS7_INS6_11hip_rocprim26transform_input_iterator_tIbNSD_35transform_pair_of_input_iterators_tIbNS6_6detail15normal_iteratorINS6_10device_ptrIKiEEEESL_NS6_8equal_toIiEEEENSG_9not_fun_tINSD_8identityEEEEENSD_19counting_iterator_tIlEES8_S8_S8_S8_S8_S8_S8_S8_EEEEPS9_S9_NSD_9__find_if7functorIS9_EEEE10hipError_tPvRmT1_T2_T3_mT4_P12ihipStream_tbEUlT_E1_NS1_11comp_targetILNS1_3genE10ELNS1_11target_archE1200ELNS1_3gpuE4ELNS1_3repE0EEENS1_30default_config_static_selectorELNS0_4arch9wavefront6targetE1EEEvS14_
		.amdhsa_group_segment_fixed_size 0
		.amdhsa_private_segment_fixed_size 0
		.amdhsa_kernarg_size 88
		.amdhsa_user_sgpr_count 6
		.amdhsa_user_sgpr_private_segment_buffer 1
		.amdhsa_user_sgpr_dispatch_ptr 0
		.amdhsa_user_sgpr_queue_ptr 0
		.amdhsa_user_sgpr_kernarg_segment_ptr 1
		.amdhsa_user_sgpr_dispatch_id 0
		.amdhsa_user_sgpr_flat_scratch_init 0
		.amdhsa_user_sgpr_private_segment_size 0
		.amdhsa_uses_dynamic_stack 0
		.amdhsa_system_sgpr_private_segment_wavefront_offset 0
		.amdhsa_system_sgpr_workgroup_id_x 1
		.amdhsa_system_sgpr_workgroup_id_y 0
		.amdhsa_system_sgpr_workgroup_id_z 0
		.amdhsa_system_sgpr_workgroup_info 0
		.amdhsa_system_vgpr_workitem_id 0
		.amdhsa_next_free_vgpr 1
		.amdhsa_next_free_sgpr 0
		.amdhsa_reserve_vcc 0
		.amdhsa_reserve_flat_scratch 0
		.amdhsa_float_round_mode_32 0
		.amdhsa_float_round_mode_16_64 0
		.amdhsa_float_denorm_mode_32 3
		.amdhsa_float_denorm_mode_16_64 3
		.amdhsa_dx10_clamp 1
		.amdhsa_ieee_mode 1
		.amdhsa_fp16_overflow 0
		.amdhsa_exception_fp_ieee_invalid_op 0
		.amdhsa_exception_fp_denorm_src 0
		.amdhsa_exception_fp_ieee_div_zero 0
		.amdhsa_exception_fp_ieee_overflow 0
		.amdhsa_exception_fp_ieee_underflow 0
		.amdhsa_exception_fp_ieee_inexact 0
		.amdhsa_exception_int_div_zero 0
	.end_amdhsa_kernel
	.section	.text._ZN7rocprim17ROCPRIM_400000_NS6detail17trampoline_kernelINS0_14default_configENS1_22reduce_config_selectorIN6thrust23THRUST_200600_302600_NS5tupleIblNS6_9null_typeES8_S8_S8_S8_S8_S8_S8_EEEEZNS1_11reduce_implILb1ES3_NS6_12zip_iteratorINS7_INS6_11hip_rocprim26transform_input_iterator_tIbNSD_35transform_pair_of_input_iterators_tIbNS6_6detail15normal_iteratorINS6_10device_ptrIKiEEEESL_NS6_8equal_toIiEEEENSG_9not_fun_tINSD_8identityEEEEENSD_19counting_iterator_tIlEES8_S8_S8_S8_S8_S8_S8_S8_EEEEPS9_S9_NSD_9__find_if7functorIS9_EEEE10hipError_tPvRmT1_T2_T3_mT4_P12ihipStream_tbEUlT_E1_NS1_11comp_targetILNS1_3genE10ELNS1_11target_archE1200ELNS1_3gpuE4ELNS1_3repE0EEENS1_30default_config_static_selectorELNS0_4arch9wavefront6targetE1EEEvS14_,"axG",@progbits,_ZN7rocprim17ROCPRIM_400000_NS6detail17trampoline_kernelINS0_14default_configENS1_22reduce_config_selectorIN6thrust23THRUST_200600_302600_NS5tupleIblNS6_9null_typeES8_S8_S8_S8_S8_S8_S8_EEEEZNS1_11reduce_implILb1ES3_NS6_12zip_iteratorINS7_INS6_11hip_rocprim26transform_input_iterator_tIbNSD_35transform_pair_of_input_iterators_tIbNS6_6detail15normal_iteratorINS6_10device_ptrIKiEEEESL_NS6_8equal_toIiEEEENSG_9not_fun_tINSD_8identityEEEEENSD_19counting_iterator_tIlEES8_S8_S8_S8_S8_S8_S8_S8_EEEEPS9_S9_NSD_9__find_if7functorIS9_EEEE10hipError_tPvRmT1_T2_T3_mT4_P12ihipStream_tbEUlT_E1_NS1_11comp_targetILNS1_3genE10ELNS1_11target_archE1200ELNS1_3gpuE4ELNS1_3repE0EEENS1_30default_config_static_selectorELNS0_4arch9wavefront6targetE1EEEvS14_,comdat
.Lfunc_end483:
	.size	_ZN7rocprim17ROCPRIM_400000_NS6detail17trampoline_kernelINS0_14default_configENS1_22reduce_config_selectorIN6thrust23THRUST_200600_302600_NS5tupleIblNS6_9null_typeES8_S8_S8_S8_S8_S8_S8_EEEEZNS1_11reduce_implILb1ES3_NS6_12zip_iteratorINS7_INS6_11hip_rocprim26transform_input_iterator_tIbNSD_35transform_pair_of_input_iterators_tIbNS6_6detail15normal_iteratorINS6_10device_ptrIKiEEEESL_NS6_8equal_toIiEEEENSG_9not_fun_tINSD_8identityEEEEENSD_19counting_iterator_tIlEES8_S8_S8_S8_S8_S8_S8_S8_EEEEPS9_S9_NSD_9__find_if7functorIS9_EEEE10hipError_tPvRmT1_T2_T3_mT4_P12ihipStream_tbEUlT_E1_NS1_11comp_targetILNS1_3genE10ELNS1_11target_archE1200ELNS1_3gpuE4ELNS1_3repE0EEENS1_30default_config_static_selectorELNS0_4arch9wavefront6targetE1EEEvS14_, .Lfunc_end483-_ZN7rocprim17ROCPRIM_400000_NS6detail17trampoline_kernelINS0_14default_configENS1_22reduce_config_selectorIN6thrust23THRUST_200600_302600_NS5tupleIblNS6_9null_typeES8_S8_S8_S8_S8_S8_S8_EEEEZNS1_11reduce_implILb1ES3_NS6_12zip_iteratorINS7_INS6_11hip_rocprim26transform_input_iterator_tIbNSD_35transform_pair_of_input_iterators_tIbNS6_6detail15normal_iteratorINS6_10device_ptrIKiEEEESL_NS6_8equal_toIiEEEENSG_9not_fun_tINSD_8identityEEEEENSD_19counting_iterator_tIlEES8_S8_S8_S8_S8_S8_S8_S8_EEEEPS9_S9_NSD_9__find_if7functorIS9_EEEE10hipError_tPvRmT1_T2_T3_mT4_P12ihipStream_tbEUlT_E1_NS1_11comp_targetILNS1_3genE10ELNS1_11target_archE1200ELNS1_3gpuE4ELNS1_3repE0EEENS1_30default_config_static_selectorELNS0_4arch9wavefront6targetE1EEEvS14_
                                        ; -- End function
	.set _ZN7rocprim17ROCPRIM_400000_NS6detail17trampoline_kernelINS0_14default_configENS1_22reduce_config_selectorIN6thrust23THRUST_200600_302600_NS5tupleIblNS6_9null_typeES8_S8_S8_S8_S8_S8_S8_EEEEZNS1_11reduce_implILb1ES3_NS6_12zip_iteratorINS7_INS6_11hip_rocprim26transform_input_iterator_tIbNSD_35transform_pair_of_input_iterators_tIbNS6_6detail15normal_iteratorINS6_10device_ptrIKiEEEESL_NS6_8equal_toIiEEEENSG_9not_fun_tINSD_8identityEEEEENSD_19counting_iterator_tIlEES8_S8_S8_S8_S8_S8_S8_S8_EEEEPS9_S9_NSD_9__find_if7functorIS9_EEEE10hipError_tPvRmT1_T2_T3_mT4_P12ihipStream_tbEUlT_E1_NS1_11comp_targetILNS1_3genE10ELNS1_11target_archE1200ELNS1_3gpuE4ELNS1_3repE0EEENS1_30default_config_static_selectorELNS0_4arch9wavefront6targetE1EEEvS14_.num_vgpr, 0
	.set _ZN7rocprim17ROCPRIM_400000_NS6detail17trampoline_kernelINS0_14default_configENS1_22reduce_config_selectorIN6thrust23THRUST_200600_302600_NS5tupleIblNS6_9null_typeES8_S8_S8_S8_S8_S8_S8_EEEEZNS1_11reduce_implILb1ES3_NS6_12zip_iteratorINS7_INS6_11hip_rocprim26transform_input_iterator_tIbNSD_35transform_pair_of_input_iterators_tIbNS6_6detail15normal_iteratorINS6_10device_ptrIKiEEEESL_NS6_8equal_toIiEEEENSG_9not_fun_tINSD_8identityEEEEENSD_19counting_iterator_tIlEES8_S8_S8_S8_S8_S8_S8_S8_EEEEPS9_S9_NSD_9__find_if7functorIS9_EEEE10hipError_tPvRmT1_T2_T3_mT4_P12ihipStream_tbEUlT_E1_NS1_11comp_targetILNS1_3genE10ELNS1_11target_archE1200ELNS1_3gpuE4ELNS1_3repE0EEENS1_30default_config_static_selectorELNS0_4arch9wavefront6targetE1EEEvS14_.num_agpr, 0
	.set _ZN7rocprim17ROCPRIM_400000_NS6detail17trampoline_kernelINS0_14default_configENS1_22reduce_config_selectorIN6thrust23THRUST_200600_302600_NS5tupleIblNS6_9null_typeES8_S8_S8_S8_S8_S8_S8_EEEEZNS1_11reduce_implILb1ES3_NS6_12zip_iteratorINS7_INS6_11hip_rocprim26transform_input_iterator_tIbNSD_35transform_pair_of_input_iterators_tIbNS6_6detail15normal_iteratorINS6_10device_ptrIKiEEEESL_NS6_8equal_toIiEEEENSG_9not_fun_tINSD_8identityEEEEENSD_19counting_iterator_tIlEES8_S8_S8_S8_S8_S8_S8_S8_EEEEPS9_S9_NSD_9__find_if7functorIS9_EEEE10hipError_tPvRmT1_T2_T3_mT4_P12ihipStream_tbEUlT_E1_NS1_11comp_targetILNS1_3genE10ELNS1_11target_archE1200ELNS1_3gpuE4ELNS1_3repE0EEENS1_30default_config_static_selectorELNS0_4arch9wavefront6targetE1EEEvS14_.numbered_sgpr, 0
	.set _ZN7rocprim17ROCPRIM_400000_NS6detail17trampoline_kernelINS0_14default_configENS1_22reduce_config_selectorIN6thrust23THRUST_200600_302600_NS5tupleIblNS6_9null_typeES8_S8_S8_S8_S8_S8_S8_EEEEZNS1_11reduce_implILb1ES3_NS6_12zip_iteratorINS7_INS6_11hip_rocprim26transform_input_iterator_tIbNSD_35transform_pair_of_input_iterators_tIbNS6_6detail15normal_iteratorINS6_10device_ptrIKiEEEESL_NS6_8equal_toIiEEEENSG_9not_fun_tINSD_8identityEEEEENSD_19counting_iterator_tIlEES8_S8_S8_S8_S8_S8_S8_S8_EEEEPS9_S9_NSD_9__find_if7functorIS9_EEEE10hipError_tPvRmT1_T2_T3_mT4_P12ihipStream_tbEUlT_E1_NS1_11comp_targetILNS1_3genE10ELNS1_11target_archE1200ELNS1_3gpuE4ELNS1_3repE0EEENS1_30default_config_static_selectorELNS0_4arch9wavefront6targetE1EEEvS14_.num_named_barrier, 0
	.set _ZN7rocprim17ROCPRIM_400000_NS6detail17trampoline_kernelINS0_14default_configENS1_22reduce_config_selectorIN6thrust23THRUST_200600_302600_NS5tupleIblNS6_9null_typeES8_S8_S8_S8_S8_S8_S8_EEEEZNS1_11reduce_implILb1ES3_NS6_12zip_iteratorINS7_INS6_11hip_rocprim26transform_input_iterator_tIbNSD_35transform_pair_of_input_iterators_tIbNS6_6detail15normal_iteratorINS6_10device_ptrIKiEEEESL_NS6_8equal_toIiEEEENSG_9not_fun_tINSD_8identityEEEEENSD_19counting_iterator_tIlEES8_S8_S8_S8_S8_S8_S8_S8_EEEEPS9_S9_NSD_9__find_if7functorIS9_EEEE10hipError_tPvRmT1_T2_T3_mT4_P12ihipStream_tbEUlT_E1_NS1_11comp_targetILNS1_3genE10ELNS1_11target_archE1200ELNS1_3gpuE4ELNS1_3repE0EEENS1_30default_config_static_selectorELNS0_4arch9wavefront6targetE1EEEvS14_.private_seg_size, 0
	.set _ZN7rocprim17ROCPRIM_400000_NS6detail17trampoline_kernelINS0_14default_configENS1_22reduce_config_selectorIN6thrust23THRUST_200600_302600_NS5tupleIblNS6_9null_typeES8_S8_S8_S8_S8_S8_S8_EEEEZNS1_11reduce_implILb1ES3_NS6_12zip_iteratorINS7_INS6_11hip_rocprim26transform_input_iterator_tIbNSD_35transform_pair_of_input_iterators_tIbNS6_6detail15normal_iteratorINS6_10device_ptrIKiEEEESL_NS6_8equal_toIiEEEENSG_9not_fun_tINSD_8identityEEEEENSD_19counting_iterator_tIlEES8_S8_S8_S8_S8_S8_S8_S8_EEEEPS9_S9_NSD_9__find_if7functorIS9_EEEE10hipError_tPvRmT1_T2_T3_mT4_P12ihipStream_tbEUlT_E1_NS1_11comp_targetILNS1_3genE10ELNS1_11target_archE1200ELNS1_3gpuE4ELNS1_3repE0EEENS1_30default_config_static_selectorELNS0_4arch9wavefront6targetE1EEEvS14_.uses_vcc, 0
	.set _ZN7rocprim17ROCPRIM_400000_NS6detail17trampoline_kernelINS0_14default_configENS1_22reduce_config_selectorIN6thrust23THRUST_200600_302600_NS5tupleIblNS6_9null_typeES8_S8_S8_S8_S8_S8_S8_EEEEZNS1_11reduce_implILb1ES3_NS6_12zip_iteratorINS7_INS6_11hip_rocprim26transform_input_iterator_tIbNSD_35transform_pair_of_input_iterators_tIbNS6_6detail15normal_iteratorINS6_10device_ptrIKiEEEESL_NS6_8equal_toIiEEEENSG_9not_fun_tINSD_8identityEEEEENSD_19counting_iterator_tIlEES8_S8_S8_S8_S8_S8_S8_S8_EEEEPS9_S9_NSD_9__find_if7functorIS9_EEEE10hipError_tPvRmT1_T2_T3_mT4_P12ihipStream_tbEUlT_E1_NS1_11comp_targetILNS1_3genE10ELNS1_11target_archE1200ELNS1_3gpuE4ELNS1_3repE0EEENS1_30default_config_static_selectorELNS0_4arch9wavefront6targetE1EEEvS14_.uses_flat_scratch, 0
	.set _ZN7rocprim17ROCPRIM_400000_NS6detail17trampoline_kernelINS0_14default_configENS1_22reduce_config_selectorIN6thrust23THRUST_200600_302600_NS5tupleIblNS6_9null_typeES8_S8_S8_S8_S8_S8_S8_EEEEZNS1_11reduce_implILb1ES3_NS6_12zip_iteratorINS7_INS6_11hip_rocprim26transform_input_iterator_tIbNSD_35transform_pair_of_input_iterators_tIbNS6_6detail15normal_iteratorINS6_10device_ptrIKiEEEESL_NS6_8equal_toIiEEEENSG_9not_fun_tINSD_8identityEEEEENSD_19counting_iterator_tIlEES8_S8_S8_S8_S8_S8_S8_S8_EEEEPS9_S9_NSD_9__find_if7functorIS9_EEEE10hipError_tPvRmT1_T2_T3_mT4_P12ihipStream_tbEUlT_E1_NS1_11comp_targetILNS1_3genE10ELNS1_11target_archE1200ELNS1_3gpuE4ELNS1_3repE0EEENS1_30default_config_static_selectorELNS0_4arch9wavefront6targetE1EEEvS14_.has_dyn_sized_stack, 0
	.set _ZN7rocprim17ROCPRIM_400000_NS6detail17trampoline_kernelINS0_14default_configENS1_22reduce_config_selectorIN6thrust23THRUST_200600_302600_NS5tupleIblNS6_9null_typeES8_S8_S8_S8_S8_S8_S8_EEEEZNS1_11reduce_implILb1ES3_NS6_12zip_iteratorINS7_INS6_11hip_rocprim26transform_input_iterator_tIbNSD_35transform_pair_of_input_iterators_tIbNS6_6detail15normal_iteratorINS6_10device_ptrIKiEEEESL_NS6_8equal_toIiEEEENSG_9not_fun_tINSD_8identityEEEEENSD_19counting_iterator_tIlEES8_S8_S8_S8_S8_S8_S8_S8_EEEEPS9_S9_NSD_9__find_if7functorIS9_EEEE10hipError_tPvRmT1_T2_T3_mT4_P12ihipStream_tbEUlT_E1_NS1_11comp_targetILNS1_3genE10ELNS1_11target_archE1200ELNS1_3gpuE4ELNS1_3repE0EEENS1_30default_config_static_selectorELNS0_4arch9wavefront6targetE1EEEvS14_.has_recursion, 0
	.set _ZN7rocprim17ROCPRIM_400000_NS6detail17trampoline_kernelINS0_14default_configENS1_22reduce_config_selectorIN6thrust23THRUST_200600_302600_NS5tupleIblNS6_9null_typeES8_S8_S8_S8_S8_S8_S8_EEEEZNS1_11reduce_implILb1ES3_NS6_12zip_iteratorINS7_INS6_11hip_rocprim26transform_input_iterator_tIbNSD_35transform_pair_of_input_iterators_tIbNS6_6detail15normal_iteratorINS6_10device_ptrIKiEEEESL_NS6_8equal_toIiEEEENSG_9not_fun_tINSD_8identityEEEEENSD_19counting_iterator_tIlEES8_S8_S8_S8_S8_S8_S8_S8_EEEEPS9_S9_NSD_9__find_if7functorIS9_EEEE10hipError_tPvRmT1_T2_T3_mT4_P12ihipStream_tbEUlT_E1_NS1_11comp_targetILNS1_3genE10ELNS1_11target_archE1200ELNS1_3gpuE4ELNS1_3repE0EEENS1_30default_config_static_selectorELNS0_4arch9wavefront6targetE1EEEvS14_.has_indirect_call, 0
	.section	.AMDGPU.csdata,"",@progbits
; Kernel info:
; codeLenInByte = 0
; TotalNumSgprs: 4
; NumVgprs: 0
; ScratchSize: 0
; MemoryBound: 0
; FloatMode: 240
; IeeeMode: 1
; LDSByteSize: 0 bytes/workgroup (compile time only)
; SGPRBlocks: 0
; VGPRBlocks: 0
; NumSGPRsForWavesPerEU: 4
; NumVGPRsForWavesPerEU: 1
; Occupancy: 10
; WaveLimiterHint : 0
; COMPUTE_PGM_RSRC2:SCRATCH_EN: 0
; COMPUTE_PGM_RSRC2:USER_SGPR: 6
; COMPUTE_PGM_RSRC2:TRAP_HANDLER: 0
; COMPUTE_PGM_RSRC2:TGID_X_EN: 1
; COMPUTE_PGM_RSRC2:TGID_Y_EN: 0
; COMPUTE_PGM_RSRC2:TGID_Z_EN: 0
; COMPUTE_PGM_RSRC2:TIDIG_COMP_CNT: 0
	.section	.text._ZN7rocprim17ROCPRIM_400000_NS6detail17trampoline_kernelINS0_14default_configENS1_22reduce_config_selectorIN6thrust23THRUST_200600_302600_NS5tupleIblNS6_9null_typeES8_S8_S8_S8_S8_S8_S8_EEEEZNS1_11reduce_implILb1ES3_NS6_12zip_iteratorINS7_INS6_11hip_rocprim26transform_input_iterator_tIbNSD_35transform_pair_of_input_iterators_tIbNS6_6detail15normal_iteratorINS6_10device_ptrIKiEEEESL_NS6_8equal_toIiEEEENSG_9not_fun_tINSD_8identityEEEEENSD_19counting_iterator_tIlEES8_S8_S8_S8_S8_S8_S8_S8_EEEEPS9_S9_NSD_9__find_if7functorIS9_EEEE10hipError_tPvRmT1_T2_T3_mT4_P12ihipStream_tbEUlT_E1_NS1_11comp_targetILNS1_3genE9ELNS1_11target_archE1100ELNS1_3gpuE3ELNS1_3repE0EEENS1_30default_config_static_selectorELNS0_4arch9wavefront6targetE1EEEvS14_,"axG",@progbits,_ZN7rocprim17ROCPRIM_400000_NS6detail17trampoline_kernelINS0_14default_configENS1_22reduce_config_selectorIN6thrust23THRUST_200600_302600_NS5tupleIblNS6_9null_typeES8_S8_S8_S8_S8_S8_S8_EEEEZNS1_11reduce_implILb1ES3_NS6_12zip_iteratorINS7_INS6_11hip_rocprim26transform_input_iterator_tIbNSD_35transform_pair_of_input_iterators_tIbNS6_6detail15normal_iteratorINS6_10device_ptrIKiEEEESL_NS6_8equal_toIiEEEENSG_9not_fun_tINSD_8identityEEEEENSD_19counting_iterator_tIlEES8_S8_S8_S8_S8_S8_S8_S8_EEEEPS9_S9_NSD_9__find_if7functorIS9_EEEE10hipError_tPvRmT1_T2_T3_mT4_P12ihipStream_tbEUlT_E1_NS1_11comp_targetILNS1_3genE9ELNS1_11target_archE1100ELNS1_3gpuE3ELNS1_3repE0EEENS1_30default_config_static_selectorELNS0_4arch9wavefront6targetE1EEEvS14_,comdat
	.protected	_ZN7rocprim17ROCPRIM_400000_NS6detail17trampoline_kernelINS0_14default_configENS1_22reduce_config_selectorIN6thrust23THRUST_200600_302600_NS5tupleIblNS6_9null_typeES8_S8_S8_S8_S8_S8_S8_EEEEZNS1_11reduce_implILb1ES3_NS6_12zip_iteratorINS7_INS6_11hip_rocprim26transform_input_iterator_tIbNSD_35transform_pair_of_input_iterators_tIbNS6_6detail15normal_iteratorINS6_10device_ptrIKiEEEESL_NS6_8equal_toIiEEEENSG_9not_fun_tINSD_8identityEEEEENSD_19counting_iterator_tIlEES8_S8_S8_S8_S8_S8_S8_S8_EEEEPS9_S9_NSD_9__find_if7functorIS9_EEEE10hipError_tPvRmT1_T2_T3_mT4_P12ihipStream_tbEUlT_E1_NS1_11comp_targetILNS1_3genE9ELNS1_11target_archE1100ELNS1_3gpuE3ELNS1_3repE0EEENS1_30default_config_static_selectorELNS0_4arch9wavefront6targetE1EEEvS14_ ; -- Begin function _ZN7rocprim17ROCPRIM_400000_NS6detail17trampoline_kernelINS0_14default_configENS1_22reduce_config_selectorIN6thrust23THRUST_200600_302600_NS5tupleIblNS6_9null_typeES8_S8_S8_S8_S8_S8_S8_EEEEZNS1_11reduce_implILb1ES3_NS6_12zip_iteratorINS7_INS6_11hip_rocprim26transform_input_iterator_tIbNSD_35transform_pair_of_input_iterators_tIbNS6_6detail15normal_iteratorINS6_10device_ptrIKiEEEESL_NS6_8equal_toIiEEEENSG_9not_fun_tINSD_8identityEEEEENSD_19counting_iterator_tIlEES8_S8_S8_S8_S8_S8_S8_S8_EEEEPS9_S9_NSD_9__find_if7functorIS9_EEEE10hipError_tPvRmT1_T2_T3_mT4_P12ihipStream_tbEUlT_E1_NS1_11comp_targetILNS1_3genE9ELNS1_11target_archE1100ELNS1_3gpuE3ELNS1_3repE0EEENS1_30default_config_static_selectorELNS0_4arch9wavefront6targetE1EEEvS14_
	.globl	_ZN7rocprim17ROCPRIM_400000_NS6detail17trampoline_kernelINS0_14default_configENS1_22reduce_config_selectorIN6thrust23THRUST_200600_302600_NS5tupleIblNS6_9null_typeES8_S8_S8_S8_S8_S8_S8_EEEEZNS1_11reduce_implILb1ES3_NS6_12zip_iteratorINS7_INS6_11hip_rocprim26transform_input_iterator_tIbNSD_35transform_pair_of_input_iterators_tIbNS6_6detail15normal_iteratorINS6_10device_ptrIKiEEEESL_NS6_8equal_toIiEEEENSG_9not_fun_tINSD_8identityEEEEENSD_19counting_iterator_tIlEES8_S8_S8_S8_S8_S8_S8_S8_EEEEPS9_S9_NSD_9__find_if7functorIS9_EEEE10hipError_tPvRmT1_T2_T3_mT4_P12ihipStream_tbEUlT_E1_NS1_11comp_targetILNS1_3genE9ELNS1_11target_archE1100ELNS1_3gpuE3ELNS1_3repE0EEENS1_30default_config_static_selectorELNS0_4arch9wavefront6targetE1EEEvS14_
	.p2align	8
	.type	_ZN7rocprim17ROCPRIM_400000_NS6detail17trampoline_kernelINS0_14default_configENS1_22reduce_config_selectorIN6thrust23THRUST_200600_302600_NS5tupleIblNS6_9null_typeES8_S8_S8_S8_S8_S8_S8_EEEEZNS1_11reduce_implILb1ES3_NS6_12zip_iteratorINS7_INS6_11hip_rocprim26transform_input_iterator_tIbNSD_35transform_pair_of_input_iterators_tIbNS6_6detail15normal_iteratorINS6_10device_ptrIKiEEEESL_NS6_8equal_toIiEEEENSG_9not_fun_tINSD_8identityEEEEENSD_19counting_iterator_tIlEES8_S8_S8_S8_S8_S8_S8_S8_EEEEPS9_S9_NSD_9__find_if7functorIS9_EEEE10hipError_tPvRmT1_T2_T3_mT4_P12ihipStream_tbEUlT_E1_NS1_11comp_targetILNS1_3genE9ELNS1_11target_archE1100ELNS1_3gpuE3ELNS1_3repE0EEENS1_30default_config_static_selectorELNS0_4arch9wavefront6targetE1EEEvS14_,@function
_ZN7rocprim17ROCPRIM_400000_NS6detail17trampoline_kernelINS0_14default_configENS1_22reduce_config_selectorIN6thrust23THRUST_200600_302600_NS5tupleIblNS6_9null_typeES8_S8_S8_S8_S8_S8_S8_EEEEZNS1_11reduce_implILb1ES3_NS6_12zip_iteratorINS7_INS6_11hip_rocprim26transform_input_iterator_tIbNSD_35transform_pair_of_input_iterators_tIbNS6_6detail15normal_iteratorINS6_10device_ptrIKiEEEESL_NS6_8equal_toIiEEEENSG_9not_fun_tINSD_8identityEEEEENSD_19counting_iterator_tIlEES8_S8_S8_S8_S8_S8_S8_S8_EEEEPS9_S9_NSD_9__find_if7functorIS9_EEEE10hipError_tPvRmT1_T2_T3_mT4_P12ihipStream_tbEUlT_E1_NS1_11comp_targetILNS1_3genE9ELNS1_11target_archE1100ELNS1_3gpuE3ELNS1_3repE0EEENS1_30default_config_static_selectorELNS0_4arch9wavefront6targetE1EEEvS14_: ; @_ZN7rocprim17ROCPRIM_400000_NS6detail17trampoline_kernelINS0_14default_configENS1_22reduce_config_selectorIN6thrust23THRUST_200600_302600_NS5tupleIblNS6_9null_typeES8_S8_S8_S8_S8_S8_S8_EEEEZNS1_11reduce_implILb1ES3_NS6_12zip_iteratorINS7_INS6_11hip_rocprim26transform_input_iterator_tIbNSD_35transform_pair_of_input_iterators_tIbNS6_6detail15normal_iteratorINS6_10device_ptrIKiEEEESL_NS6_8equal_toIiEEEENSG_9not_fun_tINSD_8identityEEEEENSD_19counting_iterator_tIlEES8_S8_S8_S8_S8_S8_S8_S8_EEEEPS9_S9_NSD_9__find_if7functorIS9_EEEE10hipError_tPvRmT1_T2_T3_mT4_P12ihipStream_tbEUlT_E1_NS1_11comp_targetILNS1_3genE9ELNS1_11target_archE1100ELNS1_3gpuE3ELNS1_3repE0EEENS1_30default_config_static_selectorELNS0_4arch9wavefront6targetE1EEEvS14_
; %bb.0:
	.section	.rodata,"a",@progbits
	.p2align	6, 0x0
	.amdhsa_kernel _ZN7rocprim17ROCPRIM_400000_NS6detail17trampoline_kernelINS0_14default_configENS1_22reduce_config_selectorIN6thrust23THRUST_200600_302600_NS5tupleIblNS6_9null_typeES8_S8_S8_S8_S8_S8_S8_EEEEZNS1_11reduce_implILb1ES3_NS6_12zip_iteratorINS7_INS6_11hip_rocprim26transform_input_iterator_tIbNSD_35transform_pair_of_input_iterators_tIbNS6_6detail15normal_iteratorINS6_10device_ptrIKiEEEESL_NS6_8equal_toIiEEEENSG_9not_fun_tINSD_8identityEEEEENSD_19counting_iterator_tIlEES8_S8_S8_S8_S8_S8_S8_S8_EEEEPS9_S9_NSD_9__find_if7functorIS9_EEEE10hipError_tPvRmT1_T2_T3_mT4_P12ihipStream_tbEUlT_E1_NS1_11comp_targetILNS1_3genE9ELNS1_11target_archE1100ELNS1_3gpuE3ELNS1_3repE0EEENS1_30default_config_static_selectorELNS0_4arch9wavefront6targetE1EEEvS14_
		.amdhsa_group_segment_fixed_size 0
		.amdhsa_private_segment_fixed_size 0
		.amdhsa_kernarg_size 88
		.amdhsa_user_sgpr_count 6
		.amdhsa_user_sgpr_private_segment_buffer 1
		.amdhsa_user_sgpr_dispatch_ptr 0
		.amdhsa_user_sgpr_queue_ptr 0
		.amdhsa_user_sgpr_kernarg_segment_ptr 1
		.amdhsa_user_sgpr_dispatch_id 0
		.amdhsa_user_sgpr_flat_scratch_init 0
		.amdhsa_user_sgpr_private_segment_size 0
		.amdhsa_uses_dynamic_stack 0
		.amdhsa_system_sgpr_private_segment_wavefront_offset 0
		.amdhsa_system_sgpr_workgroup_id_x 1
		.amdhsa_system_sgpr_workgroup_id_y 0
		.amdhsa_system_sgpr_workgroup_id_z 0
		.amdhsa_system_sgpr_workgroup_info 0
		.amdhsa_system_vgpr_workitem_id 0
		.amdhsa_next_free_vgpr 1
		.amdhsa_next_free_sgpr 0
		.amdhsa_reserve_vcc 0
		.amdhsa_reserve_flat_scratch 0
		.amdhsa_float_round_mode_32 0
		.amdhsa_float_round_mode_16_64 0
		.amdhsa_float_denorm_mode_32 3
		.amdhsa_float_denorm_mode_16_64 3
		.amdhsa_dx10_clamp 1
		.amdhsa_ieee_mode 1
		.amdhsa_fp16_overflow 0
		.amdhsa_exception_fp_ieee_invalid_op 0
		.amdhsa_exception_fp_denorm_src 0
		.amdhsa_exception_fp_ieee_div_zero 0
		.amdhsa_exception_fp_ieee_overflow 0
		.amdhsa_exception_fp_ieee_underflow 0
		.amdhsa_exception_fp_ieee_inexact 0
		.amdhsa_exception_int_div_zero 0
	.end_amdhsa_kernel
	.section	.text._ZN7rocprim17ROCPRIM_400000_NS6detail17trampoline_kernelINS0_14default_configENS1_22reduce_config_selectorIN6thrust23THRUST_200600_302600_NS5tupleIblNS6_9null_typeES8_S8_S8_S8_S8_S8_S8_EEEEZNS1_11reduce_implILb1ES3_NS6_12zip_iteratorINS7_INS6_11hip_rocprim26transform_input_iterator_tIbNSD_35transform_pair_of_input_iterators_tIbNS6_6detail15normal_iteratorINS6_10device_ptrIKiEEEESL_NS6_8equal_toIiEEEENSG_9not_fun_tINSD_8identityEEEEENSD_19counting_iterator_tIlEES8_S8_S8_S8_S8_S8_S8_S8_EEEEPS9_S9_NSD_9__find_if7functorIS9_EEEE10hipError_tPvRmT1_T2_T3_mT4_P12ihipStream_tbEUlT_E1_NS1_11comp_targetILNS1_3genE9ELNS1_11target_archE1100ELNS1_3gpuE3ELNS1_3repE0EEENS1_30default_config_static_selectorELNS0_4arch9wavefront6targetE1EEEvS14_,"axG",@progbits,_ZN7rocprim17ROCPRIM_400000_NS6detail17trampoline_kernelINS0_14default_configENS1_22reduce_config_selectorIN6thrust23THRUST_200600_302600_NS5tupleIblNS6_9null_typeES8_S8_S8_S8_S8_S8_S8_EEEEZNS1_11reduce_implILb1ES3_NS6_12zip_iteratorINS7_INS6_11hip_rocprim26transform_input_iterator_tIbNSD_35transform_pair_of_input_iterators_tIbNS6_6detail15normal_iteratorINS6_10device_ptrIKiEEEESL_NS6_8equal_toIiEEEENSG_9not_fun_tINSD_8identityEEEEENSD_19counting_iterator_tIlEES8_S8_S8_S8_S8_S8_S8_S8_EEEEPS9_S9_NSD_9__find_if7functorIS9_EEEE10hipError_tPvRmT1_T2_T3_mT4_P12ihipStream_tbEUlT_E1_NS1_11comp_targetILNS1_3genE9ELNS1_11target_archE1100ELNS1_3gpuE3ELNS1_3repE0EEENS1_30default_config_static_selectorELNS0_4arch9wavefront6targetE1EEEvS14_,comdat
.Lfunc_end484:
	.size	_ZN7rocprim17ROCPRIM_400000_NS6detail17trampoline_kernelINS0_14default_configENS1_22reduce_config_selectorIN6thrust23THRUST_200600_302600_NS5tupleIblNS6_9null_typeES8_S8_S8_S8_S8_S8_S8_EEEEZNS1_11reduce_implILb1ES3_NS6_12zip_iteratorINS7_INS6_11hip_rocprim26transform_input_iterator_tIbNSD_35transform_pair_of_input_iterators_tIbNS6_6detail15normal_iteratorINS6_10device_ptrIKiEEEESL_NS6_8equal_toIiEEEENSG_9not_fun_tINSD_8identityEEEEENSD_19counting_iterator_tIlEES8_S8_S8_S8_S8_S8_S8_S8_EEEEPS9_S9_NSD_9__find_if7functorIS9_EEEE10hipError_tPvRmT1_T2_T3_mT4_P12ihipStream_tbEUlT_E1_NS1_11comp_targetILNS1_3genE9ELNS1_11target_archE1100ELNS1_3gpuE3ELNS1_3repE0EEENS1_30default_config_static_selectorELNS0_4arch9wavefront6targetE1EEEvS14_, .Lfunc_end484-_ZN7rocprim17ROCPRIM_400000_NS6detail17trampoline_kernelINS0_14default_configENS1_22reduce_config_selectorIN6thrust23THRUST_200600_302600_NS5tupleIblNS6_9null_typeES8_S8_S8_S8_S8_S8_S8_EEEEZNS1_11reduce_implILb1ES3_NS6_12zip_iteratorINS7_INS6_11hip_rocprim26transform_input_iterator_tIbNSD_35transform_pair_of_input_iterators_tIbNS6_6detail15normal_iteratorINS6_10device_ptrIKiEEEESL_NS6_8equal_toIiEEEENSG_9not_fun_tINSD_8identityEEEEENSD_19counting_iterator_tIlEES8_S8_S8_S8_S8_S8_S8_S8_EEEEPS9_S9_NSD_9__find_if7functorIS9_EEEE10hipError_tPvRmT1_T2_T3_mT4_P12ihipStream_tbEUlT_E1_NS1_11comp_targetILNS1_3genE9ELNS1_11target_archE1100ELNS1_3gpuE3ELNS1_3repE0EEENS1_30default_config_static_selectorELNS0_4arch9wavefront6targetE1EEEvS14_
                                        ; -- End function
	.set _ZN7rocprim17ROCPRIM_400000_NS6detail17trampoline_kernelINS0_14default_configENS1_22reduce_config_selectorIN6thrust23THRUST_200600_302600_NS5tupleIblNS6_9null_typeES8_S8_S8_S8_S8_S8_S8_EEEEZNS1_11reduce_implILb1ES3_NS6_12zip_iteratorINS7_INS6_11hip_rocprim26transform_input_iterator_tIbNSD_35transform_pair_of_input_iterators_tIbNS6_6detail15normal_iteratorINS6_10device_ptrIKiEEEESL_NS6_8equal_toIiEEEENSG_9not_fun_tINSD_8identityEEEEENSD_19counting_iterator_tIlEES8_S8_S8_S8_S8_S8_S8_S8_EEEEPS9_S9_NSD_9__find_if7functorIS9_EEEE10hipError_tPvRmT1_T2_T3_mT4_P12ihipStream_tbEUlT_E1_NS1_11comp_targetILNS1_3genE9ELNS1_11target_archE1100ELNS1_3gpuE3ELNS1_3repE0EEENS1_30default_config_static_selectorELNS0_4arch9wavefront6targetE1EEEvS14_.num_vgpr, 0
	.set _ZN7rocprim17ROCPRIM_400000_NS6detail17trampoline_kernelINS0_14default_configENS1_22reduce_config_selectorIN6thrust23THRUST_200600_302600_NS5tupleIblNS6_9null_typeES8_S8_S8_S8_S8_S8_S8_EEEEZNS1_11reduce_implILb1ES3_NS6_12zip_iteratorINS7_INS6_11hip_rocprim26transform_input_iterator_tIbNSD_35transform_pair_of_input_iterators_tIbNS6_6detail15normal_iteratorINS6_10device_ptrIKiEEEESL_NS6_8equal_toIiEEEENSG_9not_fun_tINSD_8identityEEEEENSD_19counting_iterator_tIlEES8_S8_S8_S8_S8_S8_S8_S8_EEEEPS9_S9_NSD_9__find_if7functorIS9_EEEE10hipError_tPvRmT1_T2_T3_mT4_P12ihipStream_tbEUlT_E1_NS1_11comp_targetILNS1_3genE9ELNS1_11target_archE1100ELNS1_3gpuE3ELNS1_3repE0EEENS1_30default_config_static_selectorELNS0_4arch9wavefront6targetE1EEEvS14_.num_agpr, 0
	.set _ZN7rocprim17ROCPRIM_400000_NS6detail17trampoline_kernelINS0_14default_configENS1_22reduce_config_selectorIN6thrust23THRUST_200600_302600_NS5tupleIblNS6_9null_typeES8_S8_S8_S8_S8_S8_S8_EEEEZNS1_11reduce_implILb1ES3_NS6_12zip_iteratorINS7_INS6_11hip_rocprim26transform_input_iterator_tIbNSD_35transform_pair_of_input_iterators_tIbNS6_6detail15normal_iteratorINS6_10device_ptrIKiEEEESL_NS6_8equal_toIiEEEENSG_9not_fun_tINSD_8identityEEEEENSD_19counting_iterator_tIlEES8_S8_S8_S8_S8_S8_S8_S8_EEEEPS9_S9_NSD_9__find_if7functorIS9_EEEE10hipError_tPvRmT1_T2_T3_mT4_P12ihipStream_tbEUlT_E1_NS1_11comp_targetILNS1_3genE9ELNS1_11target_archE1100ELNS1_3gpuE3ELNS1_3repE0EEENS1_30default_config_static_selectorELNS0_4arch9wavefront6targetE1EEEvS14_.numbered_sgpr, 0
	.set _ZN7rocprim17ROCPRIM_400000_NS6detail17trampoline_kernelINS0_14default_configENS1_22reduce_config_selectorIN6thrust23THRUST_200600_302600_NS5tupleIblNS6_9null_typeES8_S8_S8_S8_S8_S8_S8_EEEEZNS1_11reduce_implILb1ES3_NS6_12zip_iteratorINS7_INS6_11hip_rocprim26transform_input_iterator_tIbNSD_35transform_pair_of_input_iterators_tIbNS6_6detail15normal_iteratorINS6_10device_ptrIKiEEEESL_NS6_8equal_toIiEEEENSG_9not_fun_tINSD_8identityEEEEENSD_19counting_iterator_tIlEES8_S8_S8_S8_S8_S8_S8_S8_EEEEPS9_S9_NSD_9__find_if7functorIS9_EEEE10hipError_tPvRmT1_T2_T3_mT4_P12ihipStream_tbEUlT_E1_NS1_11comp_targetILNS1_3genE9ELNS1_11target_archE1100ELNS1_3gpuE3ELNS1_3repE0EEENS1_30default_config_static_selectorELNS0_4arch9wavefront6targetE1EEEvS14_.num_named_barrier, 0
	.set _ZN7rocprim17ROCPRIM_400000_NS6detail17trampoline_kernelINS0_14default_configENS1_22reduce_config_selectorIN6thrust23THRUST_200600_302600_NS5tupleIblNS6_9null_typeES8_S8_S8_S8_S8_S8_S8_EEEEZNS1_11reduce_implILb1ES3_NS6_12zip_iteratorINS7_INS6_11hip_rocprim26transform_input_iterator_tIbNSD_35transform_pair_of_input_iterators_tIbNS6_6detail15normal_iteratorINS6_10device_ptrIKiEEEESL_NS6_8equal_toIiEEEENSG_9not_fun_tINSD_8identityEEEEENSD_19counting_iterator_tIlEES8_S8_S8_S8_S8_S8_S8_S8_EEEEPS9_S9_NSD_9__find_if7functorIS9_EEEE10hipError_tPvRmT1_T2_T3_mT4_P12ihipStream_tbEUlT_E1_NS1_11comp_targetILNS1_3genE9ELNS1_11target_archE1100ELNS1_3gpuE3ELNS1_3repE0EEENS1_30default_config_static_selectorELNS0_4arch9wavefront6targetE1EEEvS14_.private_seg_size, 0
	.set _ZN7rocprim17ROCPRIM_400000_NS6detail17trampoline_kernelINS0_14default_configENS1_22reduce_config_selectorIN6thrust23THRUST_200600_302600_NS5tupleIblNS6_9null_typeES8_S8_S8_S8_S8_S8_S8_EEEEZNS1_11reduce_implILb1ES3_NS6_12zip_iteratorINS7_INS6_11hip_rocprim26transform_input_iterator_tIbNSD_35transform_pair_of_input_iterators_tIbNS6_6detail15normal_iteratorINS6_10device_ptrIKiEEEESL_NS6_8equal_toIiEEEENSG_9not_fun_tINSD_8identityEEEEENSD_19counting_iterator_tIlEES8_S8_S8_S8_S8_S8_S8_S8_EEEEPS9_S9_NSD_9__find_if7functorIS9_EEEE10hipError_tPvRmT1_T2_T3_mT4_P12ihipStream_tbEUlT_E1_NS1_11comp_targetILNS1_3genE9ELNS1_11target_archE1100ELNS1_3gpuE3ELNS1_3repE0EEENS1_30default_config_static_selectorELNS0_4arch9wavefront6targetE1EEEvS14_.uses_vcc, 0
	.set _ZN7rocprim17ROCPRIM_400000_NS6detail17trampoline_kernelINS0_14default_configENS1_22reduce_config_selectorIN6thrust23THRUST_200600_302600_NS5tupleIblNS6_9null_typeES8_S8_S8_S8_S8_S8_S8_EEEEZNS1_11reduce_implILb1ES3_NS6_12zip_iteratorINS7_INS6_11hip_rocprim26transform_input_iterator_tIbNSD_35transform_pair_of_input_iterators_tIbNS6_6detail15normal_iteratorINS6_10device_ptrIKiEEEESL_NS6_8equal_toIiEEEENSG_9not_fun_tINSD_8identityEEEEENSD_19counting_iterator_tIlEES8_S8_S8_S8_S8_S8_S8_S8_EEEEPS9_S9_NSD_9__find_if7functorIS9_EEEE10hipError_tPvRmT1_T2_T3_mT4_P12ihipStream_tbEUlT_E1_NS1_11comp_targetILNS1_3genE9ELNS1_11target_archE1100ELNS1_3gpuE3ELNS1_3repE0EEENS1_30default_config_static_selectorELNS0_4arch9wavefront6targetE1EEEvS14_.uses_flat_scratch, 0
	.set _ZN7rocprim17ROCPRIM_400000_NS6detail17trampoline_kernelINS0_14default_configENS1_22reduce_config_selectorIN6thrust23THRUST_200600_302600_NS5tupleIblNS6_9null_typeES8_S8_S8_S8_S8_S8_S8_EEEEZNS1_11reduce_implILb1ES3_NS6_12zip_iteratorINS7_INS6_11hip_rocprim26transform_input_iterator_tIbNSD_35transform_pair_of_input_iterators_tIbNS6_6detail15normal_iteratorINS6_10device_ptrIKiEEEESL_NS6_8equal_toIiEEEENSG_9not_fun_tINSD_8identityEEEEENSD_19counting_iterator_tIlEES8_S8_S8_S8_S8_S8_S8_S8_EEEEPS9_S9_NSD_9__find_if7functorIS9_EEEE10hipError_tPvRmT1_T2_T3_mT4_P12ihipStream_tbEUlT_E1_NS1_11comp_targetILNS1_3genE9ELNS1_11target_archE1100ELNS1_3gpuE3ELNS1_3repE0EEENS1_30default_config_static_selectorELNS0_4arch9wavefront6targetE1EEEvS14_.has_dyn_sized_stack, 0
	.set _ZN7rocprim17ROCPRIM_400000_NS6detail17trampoline_kernelINS0_14default_configENS1_22reduce_config_selectorIN6thrust23THRUST_200600_302600_NS5tupleIblNS6_9null_typeES8_S8_S8_S8_S8_S8_S8_EEEEZNS1_11reduce_implILb1ES3_NS6_12zip_iteratorINS7_INS6_11hip_rocprim26transform_input_iterator_tIbNSD_35transform_pair_of_input_iterators_tIbNS6_6detail15normal_iteratorINS6_10device_ptrIKiEEEESL_NS6_8equal_toIiEEEENSG_9not_fun_tINSD_8identityEEEEENSD_19counting_iterator_tIlEES8_S8_S8_S8_S8_S8_S8_S8_EEEEPS9_S9_NSD_9__find_if7functorIS9_EEEE10hipError_tPvRmT1_T2_T3_mT4_P12ihipStream_tbEUlT_E1_NS1_11comp_targetILNS1_3genE9ELNS1_11target_archE1100ELNS1_3gpuE3ELNS1_3repE0EEENS1_30default_config_static_selectorELNS0_4arch9wavefront6targetE1EEEvS14_.has_recursion, 0
	.set _ZN7rocprim17ROCPRIM_400000_NS6detail17trampoline_kernelINS0_14default_configENS1_22reduce_config_selectorIN6thrust23THRUST_200600_302600_NS5tupleIblNS6_9null_typeES8_S8_S8_S8_S8_S8_S8_EEEEZNS1_11reduce_implILb1ES3_NS6_12zip_iteratorINS7_INS6_11hip_rocprim26transform_input_iterator_tIbNSD_35transform_pair_of_input_iterators_tIbNS6_6detail15normal_iteratorINS6_10device_ptrIKiEEEESL_NS6_8equal_toIiEEEENSG_9not_fun_tINSD_8identityEEEEENSD_19counting_iterator_tIlEES8_S8_S8_S8_S8_S8_S8_S8_EEEEPS9_S9_NSD_9__find_if7functorIS9_EEEE10hipError_tPvRmT1_T2_T3_mT4_P12ihipStream_tbEUlT_E1_NS1_11comp_targetILNS1_3genE9ELNS1_11target_archE1100ELNS1_3gpuE3ELNS1_3repE0EEENS1_30default_config_static_selectorELNS0_4arch9wavefront6targetE1EEEvS14_.has_indirect_call, 0
	.section	.AMDGPU.csdata,"",@progbits
; Kernel info:
; codeLenInByte = 0
; TotalNumSgprs: 4
; NumVgprs: 0
; ScratchSize: 0
; MemoryBound: 0
; FloatMode: 240
; IeeeMode: 1
; LDSByteSize: 0 bytes/workgroup (compile time only)
; SGPRBlocks: 0
; VGPRBlocks: 0
; NumSGPRsForWavesPerEU: 4
; NumVGPRsForWavesPerEU: 1
; Occupancy: 10
; WaveLimiterHint : 0
; COMPUTE_PGM_RSRC2:SCRATCH_EN: 0
; COMPUTE_PGM_RSRC2:USER_SGPR: 6
; COMPUTE_PGM_RSRC2:TRAP_HANDLER: 0
; COMPUTE_PGM_RSRC2:TGID_X_EN: 1
; COMPUTE_PGM_RSRC2:TGID_Y_EN: 0
; COMPUTE_PGM_RSRC2:TGID_Z_EN: 0
; COMPUTE_PGM_RSRC2:TIDIG_COMP_CNT: 0
	.section	.text._ZN7rocprim17ROCPRIM_400000_NS6detail17trampoline_kernelINS0_14default_configENS1_22reduce_config_selectorIN6thrust23THRUST_200600_302600_NS5tupleIblNS6_9null_typeES8_S8_S8_S8_S8_S8_S8_EEEEZNS1_11reduce_implILb1ES3_NS6_12zip_iteratorINS7_INS6_11hip_rocprim26transform_input_iterator_tIbNSD_35transform_pair_of_input_iterators_tIbNS6_6detail15normal_iteratorINS6_10device_ptrIKiEEEESL_NS6_8equal_toIiEEEENSG_9not_fun_tINSD_8identityEEEEENSD_19counting_iterator_tIlEES8_S8_S8_S8_S8_S8_S8_S8_EEEEPS9_S9_NSD_9__find_if7functorIS9_EEEE10hipError_tPvRmT1_T2_T3_mT4_P12ihipStream_tbEUlT_E1_NS1_11comp_targetILNS1_3genE8ELNS1_11target_archE1030ELNS1_3gpuE2ELNS1_3repE0EEENS1_30default_config_static_selectorELNS0_4arch9wavefront6targetE1EEEvS14_,"axG",@progbits,_ZN7rocprim17ROCPRIM_400000_NS6detail17trampoline_kernelINS0_14default_configENS1_22reduce_config_selectorIN6thrust23THRUST_200600_302600_NS5tupleIblNS6_9null_typeES8_S8_S8_S8_S8_S8_S8_EEEEZNS1_11reduce_implILb1ES3_NS6_12zip_iteratorINS7_INS6_11hip_rocprim26transform_input_iterator_tIbNSD_35transform_pair_of_input_iterators_tIbNS6_6detail15normal_iteratorINS6_10device_ptrIKiEEEESL_NS6_8equal_toIiEEEENSG_9not_fun_tINSD_8identityEEEEENSD_19counting_iterator_tIlEES8_S8_S8_S8_S8_S8_S8_S8_EEEEPS9_S9_NSD_9__find_if7functorIS9_EEEE10hipError_tPvRmT1_T2_T3_mT4_P12ihipStream_tbEUlT_E1_NS1_11comp_targetILNS1_3genE8ELNS1_11target_archE1030ELNS1_3gpuE2ELNS1_3repE0EEENS1_30default_config_static_selectorELNS0_4arch9wavefront6targetE1EEEvS14_,comdat
	.protected	_ZN7rocprim17ROCPRIM_400000_NS6detail17trampoline_kernelINS0_14default_configENS1_22reduce_config_selectorIN6thrust23THRUST_200600_302600_NS5tupleIblNS6_9null_typeES8_S8_S8_S8_S8_S8_S8_EEEEZNS1_11reduce_implILb1ES3_NS6_12zip_iteratorINS7_INS6_11hip_rocprim26transform_input_iterator_tIbNSD_35transform_pair_of_input_iterators_tIbNS6_6detail15normal_iteratorINS6_10device_ptrIKiEEEESL_NS6_8equal_toIiEEEENSG_9not_fun_tINSD_8identityEEEEENSD_19counting_iterator_tIlEES8_S8_S8_S8_S8_S8_S8_S8_EEEEPS9_S9_NSD_9__find_if7functorIS9_EEEE10hipError_tPvRmT1_T2_T3_mT4_P12ihipStream_tbEUlT_E1_NS1_11comp_targetILNS1_3genE8ELNS1_11target_archE1030ELNS1_3gpuE2ELNS1_3repE0EEENS1_30default_config_static_selectorELNS0_4arch9wavefront6targetE1EEEvS14_ ; -- Begin function _ZN7rocprim17ROCPRIM_400000_NS6detail17trampoline_kernelINS0_14default_configENS1_22reduce_config_selectorIN6thrust23THRUST_200600_302600_NS5tupleIblNS6_9null_typeES8_S8_S8_S8_S8_S8_S8_EEEEZNS1_11reduce_implILb1ES3_NS6_12zip_iteratorINS7_INS6_11hip_rocprim26transform_input_iterator_tIbNSD_35transform_pair_of_input_iterators_tIbNS6_6detail15normal_iteratorINS6_10device_ptrIKiEEEESL_NS6_8equal_toIiEEEENSG_9not_fun_tINSD_8identityEEEEENSD_19counting_iterator_tIlEES8_S8_S8_S8_S8_S8_S8_S8_EEEEPS9_S9_NSD_9__find_if7functorIS9_EEEE10hipError_tPvRmT1_T2_T3_mT4_P12ihipStream_tbEUlT_E1_NS1_11comp_targetILNS1_3genE8ELNS1_11target_archE1030ELNS1_3gpuE2ELNS1_3repE0EEENS1_30default_config_static_selectorELNS0_4arch9wavefront6targetE1EEEvS14_
	.globl	_ZN7rocprim17ROCPRIM_400000_NS6detail17trampoline_kernelINS0_14default_configENS1_22reduce_config_selectorIN6thrust23THRUST_200600_302600_NS5tupleIblNS6_9null_typeES8_S8_S8_S8_S8_S8_S8_EEEEZNS1_11reduce_implILb1ES3_NS6_12zip_iteratorINS7_INS6_11hip_rocprim26transform_input_iterator_tIbNSD_35transform_pair_of_input_iterators_tIbNS6_6detail15normal_iteratorINS6_10device_ptrIKiEEEESL_NS6_8equal_toIiEEEENSG_9not_fun_tINSD_8identityEEEEENSD_19counting_iterator_tIlEES8_S8_S8_S8_S8_S8_S8_S8_EEEEPS9_S9_NSD_9__find_if7functorIS9_EEEE10hipError_tPvRmT1_T2_T3_mT4_P12ihipStream_tbEUlT_E1_NS1_11comp_targetILNS1_3genE8ELNS1_11target_archE1030ELNS1_3gpuE2ELNS1_3repE0EEENS1_30default_config_static_selectorELNS0_4arch9wavefront6targetE1EEEvS14_
	.p2align	8
	.type	_ZN7rocprim17ROCPRIM_400000_NS6detail17trampoline_kernelINS0_14default_configENS1_22reduce_config_selectorIN6thrust23THRUST_200600_302600_NS5tupleIblNS6_9null_typeES8_S8_S8_S8_S8_S8_S8_EEEEZNS1_11reduce_implILb1ES3_NS6_12zip_iteratorINS7_INS6_11hip_rocprim26transform_input_iterator_tIbNSD_35transform_pair_of_input_iterators_tIbNS6_6detail15normal_iteratorINS6_10device_ptrIKiEEEESL_NS6_8equal_toIiEEEENSG_9not_fun_tINSD_8identityEEEEENSD_19counting_iterator_tIlEES8_S8_S8_S8_S8_S8_S8_S8_EEEEPS9_S9_NSD_9__find_if7functorIS9_EEEE10hipError_tPvRmT1_T2_T3_mT4_P12ihipStream_tbEUlT_E1_NS1_11comp_targetILNS1_3genE8ELNS1_11target_archE1030ELNS1_3gpuE2ELNS1_3repE0EEENS1_30default_config_static_selectorELNS0_4arch9wavefront6targetE1EEEvS14_,@function
_ZN7rocprim17ROCPRIM_400000_NS6detail17trampoline_kernelINS0_14default_configENS1_22reduce_config_selectorIN6thrust23THRUST_200600_302600_NS5tupleIblNS6_9null_typeES8_S8_S8_S8_S8_S8_S8_EEEEZNS1_11reduce_implILb1ES3_NS6_12zip_iteratorINS7_INS6_11hip_rocprim26transform_input_iterator_tIbNSD_35transform_pair_of_input_iterators_tIbNS6_6detail15normal_iteratorINS6_10device_ptrIKiEEEESL_NS6_8equal_toIiEEEENSG_9not_fun_tINSD_8identityEEEEENSD_19counting_iterator_tIlEES8_S8_S8_S8_S8_S8_S8_S8_EEEEPS9_S9_NSD_9__find_if7functorIS9_EEEE10hipError_tPvRmT1_T2_T3_mT4_P12ihipStream_tbEUlT_E1_NS1_11comp_targetILNS1_3genE8ELNS1_11target_archE1030ELNS1_3gpuE2ELNS1_3repE0EEENS1_30default_config_static_selectorELNS0_4arch9wavefront6targetE1EEEvS14_: ; @_ZN7rocprim17ROCPRIM_400000_NS6detail17trampoline_kernelINS0_14default_configENS1_22reduce_config_selectorIN6thrust23THRUST_200600_302600_NS5tupleIblNS6_9null_typeES8_S8_S8_S8_S8_S8_S8_EEEEZNS1_11reduce_implILb1ES3_NS6_12zip_iteratorINS7_INS6_11hip_rocprim26transform_input_iterator_tIbNSD_35transform_pair_of_input_iterators_tIbNS6_6detail15normal_iteratorINS6_10device_ptrIKiEEEESL_NS6_8equal_toIiEEEENSG_9not_fun_tINSD_8identityEEEEENSD_19counting_iterator_tIlEES8_S8_S8_S8_S8_S8_S8_S8_EEEEPS9_S9_NSD_9__find_if7functorIS9_EEEE10hipError_tPvRmT1_T2_T3_mT4_P12ihipStream_tbEUlT_E1_NS1_11comp_targetILNS1_3genE8ELNS1_11target_archE1030ELNS1_3gpuE2ELNS1_3repE0EEENS1_30default_config_static_selectorELNS0_4arch9wavefront6targetE1EEEvS14_
; %bb.0:
	.section	.rodata,"a",@progbits
	.p2align	6, 0x0
	.amdhsa_kernel _ZN7rocprim17ROCPRIM_400000_NS6detail17trampoline_kernelINS0_14default_configENS1_22reduce_config_selectorIN6thrust23THRUST_200600_302600_NS5tupleIblNS6_9null_typeES8_S8_S8_S8_S8_S8_S8_EEEEZNS1_11reduce_implILb1ES3_NS6_12zip_iteratorINS7_INS6_11hip_rocprim26transform_input_iterator_tIbNSD_35transform_pair_of_input_iterators_tIbNS6_6detail15normal_iteratorINS6_10device_ptrIKiEEEESL_NS6_8equal_toIiEEEENSG_9not_fun_tINSD_8identityEEEEENSD_19counting_iterator_tIlEES8_S8_S8_S8_S8_S8_S8_S8_EEEEPS9_S9_NSD_9__find_if7functorIS9_EEEE10hipError_tPvRmT1_T2_T3_mT4_P12ihipStream_tbEUlT_E1_NS1_11comp_targetILNS1_3genE8ELNS1_11target_archE1030ELNS1_3gpuE2ELNS1_3repE0EEENS1_30default_config_static_selectorELNS0_4arch9wavefront6targetE1EEEvS14_
		.amdhsa_group_segment_fixed_size 0
		.amdhsa_private_segment_fixed_size 0
		.amdhsa_kernarg_size 88
		.amdhsa_user_sgpr_count 6
		.amdhsa_user_sgpr_private_segment_buffer 1
		.amdhsa_user_sgpr_dispatch_ptr 0
		.amdhsa_user_sgpr_queue_ptr 0
		.amdhsa_user_sgpr_kernarg_segment_ptr 1
		.amdhsa_user_sgpr_dispatch_id 0
		.amdhsa_user_sgpr_flat_scratch_init 0
		.amdhsa_user_sgpr_private_segment_size 0
		.amdhsa_uses_dynamic_stack 0
		.amdhsa_system_sgpr_private_segment_wavefront_offset 0
		.amdhsa_system_sgpr_workgroup_id_x 1
		.amdhsa_system_sgpr_workgroup_id_y 0
		.amdhsa_system_sgpr_workgroup_id_z 0
		.amdhsa_system_sgpr_workgroup_info 0
		.amdhsa_system_vgpr_workitem_id 0
		.amdhsa_next_free_vgpr 1
		.amdhsa_next_free_sgpr 0
		.amdhsa_reserve_vcc 0
		.amdhsa_reserve_flat_scratch 0
		.amdhsa_float_round_mode_32 0
		.amdhsa_float_round_mode_16_64 0
		.amdhsa_float_denorm_mode_32 3
		.amdhsa_float_denorm_mode_16_64 3
		.amdhsa_dx10_clamp 1
		.amdhsa_ieee_mode 1
		.amdhsa_fp16_overflow 0
		.amdhsa_exception_fp_ieee_invalid_op 0
		.amdhsa_exception_fp_denorm_src 0
		.amdhsa_exception_fp_ieee_div_zero 0
		.amdhsa_exception_fp_ieee_overflow 0
		.amdhsa_exception_fp_ieee_underflow 0
		.amdhsa_exception_fp_ieee_inexact 0
		.amdhsa_exception_int_div_zero 0
	.end_amdhsa_kernel
	.section	.text._ZN7rocprim17ROCPRIM_400000_NS6detail17trampoline_kernelINS0_14default_configENS1_22reduce_config_selectorIN6thrust23THRUST_200600_302600_NS5tupleIblNS6_9null_typeES8_S8_S8_S8_S8_S8_S8_EEEEZNS1_11reduce_implILb1ES3_NS6_12zip_iteratorINS7_INS6_11hip_rocprim26transform_input_iterator_tIbNSD_35transform_pair_of_input_iterators_tIbNS6_6detail15normal_iteratorINS6_10device_ptrIKiEEEESL_NS6_8equal_toIiEEEENSG_9not_fun_tINSD_8identityEEEEENSD_19counting_iterator_tIlEES8_S8_S8_S8_S8_S8_S8_S8_EEEEPS9_S9_NSD_9__find_if7functorIS9_EEEE10hipError_tPvRmT1_T2_T3_mT4_P12ihipStream_tbEUlT_E1_NS1_11comp_targetILNS1_3genE8ELNS1_11target_archE1030ELNS1_3gpuE2ELNS1_3repE0EEENS1_30default_config_static_selectorELNS0_4arch9wavefront6targetE1EEEvS14_,"axG",@progbits,_ZN7rocprim17ROCPRIM_400000_NS6detail17trampoline_kernelINS0_14default_configENS1_22reduce_config_selectorIN6thrust23THRUST_200600_302600_NS5tupleIblNS6_9null_typeES8_S8_S8_S8_S8_S8_S8_EEEEZNS1_11reduce_implILb1ES3_NS6_12zip_iteratorINS7_INS6_11hip_rocprim26transform_input_iterator_tIbNSD_35transform_pair_of_input_iterators_tIbNS6_6detail15normal_iteratorINS6_10device_ptrIKiEEEESL_NS6_8equal_toIiEEEENSG_9not_fun_tINSD_8identityEEEEENSD_19counting_iterator_tIlEES8_S8_S8_S8_S8_S8_S8_S8_EEEEPS9_S9_NSD_9__find_if7functorIS9_EEEE10hipError_tPvRmT1_T2_T3_mT4_P12ihipStream_tbEUlT_E1_NS1_11comp_targetILNS1_3genE8ELNS1_11target_archE1030ELNS1_3gpuE2ELNS1_3repE0EEENS1_30default_config_static_selectorELNS0_4arch9wavefront6targetE1EEEvS14_,comdat
.Lfunc_end485:
	.size	_ZN7rocprim17ROCPRIM_400000_NS6detail17trampoline_kernelINS0_14default_configENS1_22reduce_config_selectorIN6thrust23THRUST_200600_302600_NS5tupleIblNS6_9null_typeES8_S8_S8_S8_S8_S8_S8_EEEEZNS1_11reduce_implILb1ES3_NS6_12zip_iteratorINS7_INS6_11hip_rocprim26transform_input_iterator_tIbNSD_35transform_pair_of_input_iterators_tIbNS6_6detail15normal_iteratorINS6_10device_ptrIKiEEEESL_NS6_8equal_toIiEEEENSG_9not_fun_tINSD_8identityEEEEENSD_19counting_iterator_tIlEES8_S8_S8_S8_S8_S8_S8_S8_EEEEPS9_S9_NSD_9__find_if7functorIS9_EEEE10hipError_tPvRmT1_T2_T3_mT4_P12ihipStream_tbEUlT_E1_NS1_11comp_targetILNS1_3genE8ELNS1_11target_archE1030ELNS1_3gpuE2ELNS1_3repE0EEENS1_30default_config_static_selectorELNS0_4arch9wavefront6targetE1EEEvS14_, .Lfunc_end485-_ZN7rocprim17ROCPRIM_400000_NS6detail17trampoline_kernelINS0_14default_configENS1_22reduce_config_selectorIN6thrust23THRUST_200600_302600_NS5tupleIblNS6_9null_typeES8_S8_S8_S8_S8_S8_S8_EEEEZNS1_11reduce_implILb1ES3_NS6_12zip_iteratorINS7_INS6_11hip_rocprim26transform_input_iterator_tIbNSD_35transform_pair_of_input_iterators_tIbNS6_6detail15normal_iteratorINS6_10device_ptrIKiEEEESL_NS6_8equal_toIiEEEENSG_9not_fun_tINSD_8identityEEEEENSD_19counting_iterator_tIlEES8_S8_S8_S8_S8_S8_S8_S8_EEEEPS9_S9_NSD_9__find_if7functorIS9_EEEE10hipError_tPvRmT1_T2_T3_mT4_P12ihipStream_tbEUlT_E1_NS1_11comp_targetILNS1_3genE8ELNS1_11target_archE1030ELNS1_3gpuE2ELNS1_3repE0EEENS1_30default_config_static_selectorELNS0_4arch9wavefront6targetE1EEEvS14_
                                        ; -- End function
	.set _ZN7rocprim17ROCPRIM_400000_NS6detail17trampoline_kernelINS0_14default_configENS1_22reduce_config_selectorIN6thrust23THRUST_200600_302600_NS5tupleIblNS6_9null_typeES8_S8_S8_S8_S8_S8_S8_EEEEZNS1_11reduce_implILb1ES3_NS6_12zip_iteratorINS7_INS6_11hip_rocprim26transform_input_iterator_tIbNSD_35transform_pair_of_input_iterators_tIbNS6_6detail15normal_iteratorINS6_10device_ptrIKiEEEESL_NS6_8equal_toIiEEEENSG_9not_fun_tINSD_8identityEEEEENSD_19counting_iterator_tIlEES8_S8_S8_S8_S8_S8_S8_S8_EEEEPS9_S9_NSD_9__find_if7functorIS9_EEEE10hipError_tPvRmT1_T2_T3_mT4_P12ihipStream_tbEUlT_E1_NS1_11comp_targetILNS1_3genE8ELNS1_11target_archE1030ELNS1_3gpuE2ELNS1_3repE0EEENS1_30default_config_static_selectorELNS0_4arch9wavefront6targetE1EEEvS14_.num_vgpr, 0
	.set _ZN7rocprim17ROCPRIM_400000_NS6detail17trampoline_kernelINS0_14default_configENS1_22reduce_config_selectorIN6thrust23THRUST_200600_302600_NS5tupleIblNS6_9null_typeES8_S8_S8_S8_S8_S8_S8_EEEEZNS1_11reduce_implILb1ES3_NS6_12zip_iteratorINS7_INS6_11hip_rocprim26transform_input_iterator_tIbNSD_35transform_pair_of_input_iterators_tIbNS6_6detail15normal_iteratorINS6_10device_ptrIKiEEEESL_NS6_8equal_toIiEEEENSG_9not_fun_tINSD_8identityEEEEENSD_19counting_iterator_tIlEES8_S8_S8_S8_S8_S8_S8_S8_EEEEPS9_S9_NSD_9__find_if7functorIS9_EEEE10hipError_tPvRmT1_T2_T3_mT4_P12ihipStream_tbEUlT_E1_NS1_11comp_targetILNS1_3genE8ELNS1_11target_archE1030ELNS1_3gpuE2ELNS1_3repE0EEENS1_30default_config_static_selectorELNS0_4arch9wavefront6targetE1EEEvS14_.num_agpr, 0
	.set _ZN7rocprim17ROCPRIM_400000_NS6detail17trampoline_kernelINS0_14default_configENS1_22reduce_config_selectorIN6thrust23THRUST_200600_302600_NS5tupleIblNS6_9null_typeES8_S8_S8_S8_S8_S8_S8_EEEEZNS1_11reduce_implILb1ES3_NS6_12zip_iteratorINS7_INS6_11hip_rocprim26transform_input_iterator_tIbNSD_35transform_pair_of_input_iterators_tIbNS6_6detail15normal_iteratorINS6_10device_ptrIKiEEEESL_NS6_8equal_toIiEEEENSG_9not_fun_tINSD_8identityEEEEENSD_19counting_iterator_tIlEES8_S8_S8_S8_S8_S8_S8_S8_EEEEPS9_S9_NSD_9__find_if7functorIS9_EEEE10hipError_tPvRmT1_T2_T3_mT4_P12ihipStream_tbEUlT_E1_NS1_11comp_targetILNS1_3genE8ELNS1_11target_archE1030ELNS1_3gpuE2ELNS1_3repE0EEENS1_30default_config_static_selectorELNS0_4arch9wavefront6targetE1EEEvS14_.numbered_sgpr, 0
	.set _ZN7rocprim17ROCPRIM_400000_NS6detail17trampoline_kernelINS0_14default_configENS1_22reduce_config_selectorIN6thrust23THRUST_200600_302600_NS5tupleIblNS6_9null_typeES8_S8_S8_S8_S8_S8_S8_EEEEZNS1_11reduce_implILb1ES3_NS6_12zip_iteratorINS7_INS6_11hip_rocprim26transform_input_iterator_tIbNSD_35transform_pair_of_input_iterators_tIbNS6_6detail15normal_iteratorINS6_10device_ptrIKiEEEESL_NS6_8equal_toIiEEEENSG_9not_fun_tINSD_8identityEEEEENSD_19counting_iterator_tIlEES8_S8_S8_S8_S8_S8_S8_S8_EEEEPS9_S9_NSD_9__find_if7functorIS9_EEEE10hipError_tPvRmT1_T2_T3_mT4_P12ihipStream_tbEUlT_E1_NS1_11comp_targetILNS1_3genE8ELNS1_11target_archE1030ELNS1_3gpuE2ELNS1_3repE0EEENS1_30default_config_static_selectorELNS0_4arch9wavefront6targetE1EEEvS14_.num_named_barrier, 0
	.set _ZN7rocprim17ROCPRIM_400000_NS6detail17trampoline_kernelINS0_14default_configENS1_22reduce_config_selectorIN6thrust23THRUST_200600_302600_NS5tupleIblNS6_9null_typeES8_S8_S8_S8_S8_S8_S8_EEEEZNS1_11reduce_implILb1ES3_NS6_12zip_iteratorINS7_INS6_11hip_rocprim26transform_input_iterator_tIbNSD_35transform_pair_of_input_iterators_tIbNS6_6detail15normal_iteratorINS6_10device_ptrIKiEEEESL_NS6_8equal_toIiEEEENSG_9not_fun_tINSD_8identityEEEEENSD_19counting_iterator_tIlEES8_S8_S8_S8_S8_S8_S8_S8_EEEEPS9_S9_NSD_9__find_if7functorIS9_EEEE10hipError_tPvRmT1_T2_T3_mT4_P12ihipStream_tbEUlT_E1_NS1_11comp_targetILNS1_3genE8ELNS1_11target_archE1030ELNS1_3gpuE2ELNS1_3repE0EEENS1_30default_config_static_selectorELNS0_4arch9wavefront6targetE1EEEvS14_.private_seg_size, 0
	.set _ZN7rocprim17ROCPRIM_400000_NS6detail17trampoline_kernelINS0_14default_configENS1_22reduce_config_selectorIN6thrust23THRUST_200600_302600_NS5tupleIblNS6_9null_typeES8_S8_S8_S8_S8_S8_S8_EEEEZNS1_11reduce_implILb1ES3_NS6_12zip_iteratorINS7_INS6_11hip_rocprim26transform_input_iterator_tIbNSD_35transform_pair_of_input_iterators_tIbNS6_6detail15normal_iteratorINS6_10device_ptrIKiEEEESL_NS6_8equal_toIiEEEENSG_9not_fun_tINSD_8identityEEEEENSD_19counting_iterator_tIlEES8_S8_S8_S8_S8_S8_S8_S8_EEEEPS9_S9_NSD_9__find_if7functorIS9_EEEE10hipError_tPvRmT1_T2_T3_mT4_P12ihipStream_tbEUlT_E1_NS1_11comp_targetILNS1_3genE8ELNS1_11target_archE1030ELNS1_3gpuE2ELNS1_3repE0EEENS1_30default_config_static_selectorELNS0_4arch9wavefront6targetE1EEEvS14_.uses_vcc, 0
	.set _ZN7rocprim17ROCPRIM_400000_NS6detail17trampoline_kernelINS0_14default_configENS1_22reduce_config_selectorIN6thrust23THRUST_200600_302600_NS5tupleIblNS6_9null_typeES8_S8_S8_S8_S8_S8_S8_EEEEZNS1_11reduce_implILb1ES3_NS6_12zip_iteratorINS7_INS6_11hip_rocprim26transform_input_iterator_tIbNSD_35transform_pair_of_input_iterators_tIbNS6_6detail15normal_iteratorINS6_10device_ptrIKiEEEESL_NS6_8equal_toIiEEEENSG_9not_fun_tINSD_8identityEEEEENSD_19counting_iterator_tIlEES8_S8_S8_S8_S8_S8_S8_S8_EEEEPS9_S9_NSD_9__find_if7functorIS9_EEEE10hipError_tPvRmT1_T2_T3_mT4_P12ihipStream_tbEUlT_E1_NS1_11comp_targetILNS1_3genE8ELNS1_11target_archE1030ELNS1_3gpuE2ELNS1_3repE0EEENS1_30default_config_static_selectorELNS0_4arch9wavefront6targetE1EEEvS14_.uses_flat_scratch, 0
	.set _ZN7rocprim17ROCPRIM_400000_NS6detail17trampoline_kernelINS0_14default_configENS1_22reduce_config_selectorIN6thrust23THRUST_200600_302600_NS5tupleIblNS6_9null_typeES8_S8_S8_S8_S8_S8_S8_EEEEZNS1_11reduce_implILb1ES3_NS6_12zip_iteratorINS7_INS6_11hip_rocprim26transform_input_iterator_tIbNSD_35transform_pair_of_input_iterators_tIbNS6_6detail15normal_iteratorINS6_10device_ptrIKiEEEESL_NS6_8equal_toIiEEEENSG_9not_fun_tINSD_8identityEEEEENSD_19counting_iterator_tIlEES8_S8_S8_S8_S8_S8_S8_S8_EEEEPS9_S9_NSD_9__find_if7functorIS9_EEEE10hipError_tPvRmT1_T2_T3_mT4_P12ihipStream_tbEUlT_E1_NS1_11comp_targetILNS1_3genE8ELNS1_11target_archE1030ELNS1_3gpuE2ELNS1_3repE0EEENS1_30default_config_static_selectorELNS0_4arch9wavefront6targetE1EEEvS14_.has_dyn_sized_stack, 0
	.set _ZN7rocprim17ROCPRIM_400000_NS6detail17trampoline_kernelINS0_14default_configENS1_22reduce_config_selectorIN6thrust23THRUST_200600_302600_NS5tupleIblNS6_9null_typeES8_S8_S8_S8_S8_S8_S8_EEEEZNS1_11reduce_implILb1ES3_NS6_12zip_iteratorINS7_INS6_11hip_rocprim26transform_input_iterator_tIbNSD_35transform_pair_of_input_iterators_tIbNS6_6detail15normal_iteratorINS6_10device_ptrIKiEEEESL_NS6_8equal_toIiEEEENSG_9not_fun_tINSD_8identityEEEEENSD_19counting_iterator_tIlEES8_S8_S8_S8_S8_S8_S8_S8_EEEEPS9_S9_NSD_9__find_if7functorIS9_EEEE10hipError_tPvRmT1_T2_T3_mT4_P12ihipStream_tbEUlT_E1_NS1_11comp_targetILNS1_3genE8ELNS1_11target_archE1030ELNS1_3gpuE2ELNS1_3repE0EEENS1_30default_config_static_selectorELNS0_4arch9wavefront6targetE1EEEvS14_.has_recursion, 0
	.set _ZN7rocprim17ROCPRIM_400000_NS6detail17trampoline_kernelINS0_14default_configENS1_22reduce_config_selectorIN6thrust23THRUST_200600_302600_NS5tupleIblNS6_9null_typeES8_S8_S8_S8_S8_S8_S8_EEEEZNS1_11reduce_implILb1ES3_NS6_12zip_iteratorINS7_INS6_11hip_rocprim26transform_input_iterator_tIbNSD_35transform_pair_of_input_iterators_tIbNS6_6detail15normal_iteratorINS6_10device_ptrIKiEEEESL_NS6_8equal_toIiEEEENSG_9not_fun_tINSD_8identityEEEEENSD_19counting_iterator_tIlEES8_S8_S8_S8_S8_S8_S8_S8_EEEEPS9_S9_NSD_9__find_if7functorIS9_EEEE10hipError_tPvRmT1_T2_T3_mT4_P12ihipStream_tbEUlT_E1_NS1_11comp_targetILNS1_3genE8ELNS1_11target_archE1030ELNS1_3gpuE2ELNS1_3repE0EEENS1_30default_config_static_selectorELNS0_4arch9wavefront6targetE1EEEvS14_.has_indirect_call, 0
	.section	.AMDGPU.csdata,"",@progbits
; Kernel info:
; codeLenInByte = 0
; TotalNumSgprs: 4
; NumVgprs: 0
; ScratchSize: 0
; MemoryBound: 0
; FloatMode: 240
; IeeeMode: 1
; LDSByteSize: 0 bytes/workgroup (compile time only)
; SGPRBlocks: 0
; VGPRBlocks: 0
; NumSGPRsForWavesPerEU: 4
; NumVGPRsForWavesPerEU: 1
; Occupancy: 10
; WaveLimiterHint : 0
; COMPUTE_PGM_RSRC2:SCRATCH_EN: 0
; COMPUTE_PGM_RSRC2:USER_SGPR: 6
; COMPUTE_PGM_RSRC2:TRAP_HANDLER: 0
; COMPUTE_PGM_RSRC2:TGID_X_EN: 1
; COMPUTE_PGM_RSRC2:TGID_Y_EN: 0
; COMPUTE_PGM_RSRC2:TGID_Z_EN: 0
; COMPUTE_PGM_RSRC2:TIDIG_COMP_CNT: 0
	.section	.text._ZN6thrust23THRUST_200600_302600_NS11hip_rocprim14__parallel_for6kernelILj256ENS1_10for_each_fINS0_7pointerINS0_5tupleIblNS0_9null_typeES7_S7_S7_S7_S7_S7_S7_EENS1_3tagENS0_11use_defaultESA_EENS0_6detail16wrapped_functionINSC_23allocator_traits_detail24construct1_via_allocatorINSC_18no_throw_allocatorINSC_19temporary_allocatorIS8_S9_EEEEEEvEEEEmLj1EEEvT0_T1_SO_,"axG",@progbits,_ZN6thrust23THRUST_200600_302600_NS11hip_rocprim14__parallel_for6kernelILj256ENS1_10for_each_fINS0_7pointerINS0_5tupleIblNS0_9null_typeES7_S7_S7_S7_S7_S7_S7_EENS1_3tagENS0_11use_defaultESA_EENS0_6detail16wrapped_functionINSC_23allocator_traits_detail24construct1_via_allocatorINSC_18no_throw_allocatorINSC_19temporary_allocatorIS8_S9_EEEEEEvEEEEmLj1EEEvT0_T1_SO_,comdat
	.protected	_ZN6thrust23THRUST_200600_302600_NS11hip_rocprim14__parallel_for6kernelILj256ENS1_10for_each_fINS0_7pointerINS0_5tupleIblNS0_9null_typeES7_S7_S7_S7_S7_S7_S7_EENS1_3tagENS0_11use_defaultESA_EENS0_6detail16wrapped_functionINSC_23allocator_traits_detail24construct1_via_allocatorINSC_18no_throw_allocatorINSC_19temporary_allocatorIS8_S9_EEEEEEvEEEEmLj1EEEvT0_T1_SO_ ; -- Begin function _ZN6thrust23THRUST_200600_302600_NS11hip_rocprim14__parallel_for6kernelILj256ENS1_10for_each_fINS0_7pointerINS0_5tupleIblNS0_9null_typeES7_S7_S7_S7_S7_S7_S7_EENS1_3tagENS0_11use_defaultESA_EENS0_6detail16wrapped_functionINSC_23allocator_traits_detail24construct1_via_allocatorINSC_18no_throw_allocatorINSC_19temporary_allocatorIS8_S9_EEEEEEvEEEEmLj1EEEvT0_T1_SO_
	.globl	_ZN6thrust23THRUST_200600_302600_NS11hip_rocprim14__parallel_for6kernelILj256ENS1_10for_each_fINS0_7pointerINS0_5tupleIblNS0_9null_typeES7_S7_S7_S7_S7_S7_S7_EENS1_3tagENS0_11use_defaultESA_EENS0_6detail16wrapped_functionINSC_23allocator_traits_detail24construct1_via_allocatorINSC_18no_throw_allocatorINSC_19temporary_allocatorIS8_S9_EEEEEEvEEEEmLj1EEEvT0_T1_SO_
	.p2align	8
	.type	_ZN6thrust23THRUST_200600_302600_NS11hip_rocprim14__parallel_for6kernelILj256ENS1_10for_each_fINS0_7pointerINS0_5tupleIblNS0_9null_typeES7_S7_S7_S7_S7_S7_S7_EENS1_3tagENS0_11use_defaultESA_EENS0_6detail16wrapped_functionINSC_23allocator_traits_detail24construct1_via_allocatorINSC_18no_throw_allocatorINSC_19temporary_allocatorIS8_S9_EEEEEEvEEEEmLj1EEEvT0_T1_SO_,@function
_ZN6thrust23THRUST_200600_302600_NS11hip_rocprim14__parallel_for6kernelILj256ENS1_10for_each_fINS0_7pointerINS0_5tupleIblNS0_9null_typeES7_S7_S7_S7_S7_S7_S7_EENS1_3tagENS0_11use_defaultESA_EENS0_6detail16wrapped_functionINSC_23allocator_traits_detail24construct1_via_allocatorINSC_18no_throw_allocatorINSC_19temporary_allocatorIS8_S9_EEEEEEvEEEEmLj1EEEvT0_T1_SO_: ; @_ZN6thrust23THRUST_200600_302600_NS11hip_rocprim14__parallel_for6kernelILj256ENS1_10for_each_fINS0_7pointerINS0_5tupleIblNS0_9null_typeES7_S7_S7_S7_S7_S7_S7_EENS1_3tagENS0_11use_defaultESA_EENS0_6detail16wrapped_functionINSC_23allocator_traits_detail24construct1_via_allocatorINSC_18no_throw_allocatorINSC_19temporary_allocatorIS8_S9_EEEEEEvEEEEmLj1EEEvT0_T1_SO_
; %bb.0:
	s_load_dwordx4 s[8:11], s[4:5], 0x10
	s_load_dwordx2 s[0:1], s[4:5], 0x0
	s_lshl_b32 s2, s6, 8
	v_mov_b32_e32 v1, 0xff
	v_mov_b32_e32 v2, 0
	s_waitcnt lgkmcnt(0)
	s_add_u32 s2, s10, s2
	s_addc_u32 s3, s11, 0
	s_sub_u32 s4, s8, s2
	s_subb_u32 s5, s9, s3
	v_cmp_gt_u64_e32 vcc, s[4:5], v[1:2]
	s_mov_b64 s[6:7], -1
	s_cbranch_vccz .LBB486_3
; %bb.1:
	s_andn2_b64 vcc, exec, s[6:7]
	s_cbranch_vccz .LBB486_6
.LBB486_2:
	s_endpgm
.LBB486_3:
	v_cmp_gt_u32_e32 vcc, s4, v0
	s_and_saveexec_b64 s[4:5], vcc
	s_cbranch_execz .LBB486_5
; %bb.4:
	s_lshl_b64 s[6:7], s[2:3], 4
	s_add_u32 s6, s0, s6
	s_addc_u32 s7, s1, s7
	v_lshlrev_b32_e32 v2, 4, v0
	v_mov_b32_e32 v1, 0
	v_mov_b32_e32 v4, s7
	v_add_co_u32_e32 v3, vcc, s6, v2
	v_addc_co_u32_e32 v4, vcc, 0, v4, vcc
	v_mov_b32_e32 v2, v1
	flat_store_byte v[3:4], v1
	flat_store_dwordx2 v[3:4], v[1:2] offset:8
.LBB486_5:
	s_or_b64 exec, exec, s[4:5]
	s_cbranch_execnz .LBB486_2
.LBB486_6:
	s_lshl_b64 s[2:3], s[2:3], 4
	s_add_u32 s0, s0, s2
	s_addc_u32 s1, s1, s3
	v_lshlrev_b32_e32 v1, 4, v0
	v_mov_b32_e32 v0, 0
	v_mov_b32_e32 v3, s1
	v_add_co_u32_e32 v2, vcc, s0, v1
	v_addc_co_u32_e32 v3, vcc, 0, v3, vcc
	v_mov_b32_e32 v1, v0
	flat_store_byte v[2:3], v0
	flat_store_dwordx2 v[2:3], v[0:1] offset:8
	s_endpgm
	.section	.rodata,"a",@progbits
	.p2align	6, 0x0
	.amdhsa_kernel _ZN6thrust23THRUST_200600_302600_NS11hip_rocprim14__parallel_for6kernelILj256ENS1_10for_each_fINS0_7pointerINS0_5tupleIblNS0_9null_typeES7_S7_S7_S7_S7_S7_S7_EENS1_3tagENS0_11use_defaultESA_EENS0_6detail16wrapped_functionINSC_23allocator_traits_detail24construct1_via_allocatorINSC_18no_throw_allocatorINSC_19temporary_allocatorIS8_S9_EEEEEEvEEEEmLj1EEEvT0_T1_SO_
		.amdhsa_group_segment_fixed_size 0
		.amdhsa_private_segment_fixed_size 0
		.amdhsa_kernarg_size 32
		.amdhsa_user_sgpr_count 6
		.amdhsa_user_sgpr_private_segment_buffer 1
		.amdhsa_user_sgpr_dispatch_ptr 0
		.amdhsa_user_sgpr_queue_ptr 0
		.amdhsa_user_sgpr_kernarg_segment_ptr 1
		.amdhsa_user_sgpr_dispatch_id 0
		.amdhsa_user_sgpr_flat_scratch_init 0
		.amdhsa_user_sgpr_private_segment_size 0
		.amdhsa_uses_dynamic_stack 0
		.amdhsa_system_sgpr_private_segment_wavefront_offset 0
		.amdhsa_system_sgpr_workgroup_id_x 1
		.amdhsa_system_sgpr_workgroup_id_y 0
		.amdhsa_system_sgpr_workgroup_id_z 0
		.amdhsa_system_sgpr_workgroup_info 0
		.amdhsa_system_vgpr_workitem_id 0
		.amdhsa_next_free_vgpr 5
		.amdhsa_next_free_sgpr 12
		.amdhsa_reserve_vcc 1
		.amdhsa_reserve_flat_scratch 0
		.amdhsa_float_round_mode_32 0
		.amdhsa_float_round_mode_16_64 0
		.amdhsa_float_denorm_mode_32 3
		.amdhsa_float_denorm_mode_16_64 3
		.amdhsa_dx10_clamp 1
		.amdhsa_ieee_mode 1
		.amdhsa_fp16_overflow 0
		.amdhsa_exception_fp_ieee_invalid_op 0
		.amdhsa_exception_fp_denorm_src 0
		.amdhsa_exception_fp_ieee_div_zero 0
		.amdhsa_exception_fp_ieee_overflow 0
		.amdhsa_exception_fp_ieee_underflow 0
		.amdhsa_exception_fp_ieee_inexact 0
		.amdhsa_exception_int_div_zero 0
	.end_amdhsa_kernel
	.section	.text._ZN6thrust23THRUST_200600_302600_NS11hip_rocprim14__parallel_for6kernelILj256ENS1_10for_each_fINS0_7pointerINS0_5tupleIblNS0_9null_typeES7_S7_S7_S7_S7_S7_S7_EENS1_3tagENS0_11use_defaultESA_EENS0_6detail16wrapped_functionINSC_23allocator_traits_detail24construct1_via_allocatorINSC_18no_throw_allocatorINSC_19temporary_allocatorIS8_S9_EEEEEEvEEEEmLj1EEEvT0_T1_SO_,"axG",@progbits,_ZN6thrust23THRUST_200600_302600_NS11hip_rocprim14__parallel_for6kernelILj256ENS1_10for_each_fINS0_7pointerINS0_5tupleIblNS0_9null_typeES7_S7_S7_S7_S7_S7_S7_EENS1_3tagENS0_11use_defaultESA_EENS0_6detail16wrapped_functionINSC_23allocator_traits_detail24construct1_via_allocatorINSC_18no_throw_allocatorINSC_19temporary_allocatorIS8_S9_EEEEEEvEEEEmLj1EEEvT0_T1_SO_,comdat
.Lfunc_end486:
	.size	_ZN6thrust23THRUST_200600_302600_NS11hip_rocprim14__parallel_for6kernelILj256ENS1_10for_each_fINS0_7pointerINS0_5tupleIblNS0_9null_typeES7_S7_S7_S7_S7_S7_S7_EENS1_3tagENS0_11use_defaultESA_EENS0_6detail16wrapped_functionINSC_23allocator_traits_detail24construct1_via_allocatorINSC_18no_throw_allocatorINSC_19temporary_allocatorIS8_S9_EEEEEEvEEEEmLj1EEEvT0_T1_SO_, .Lfunc_end486-_ZN6thrust23THRUST_200600_302600_NS11hip_rocprim14__parallel_for6kernelILj256ENS1_10for_each_fINS0_7pointerINS0_5tupleIblNS0_9null_typeES7_S7_S7_S7_S7_S7_S7_EENS1_3tagENS0_11use_defaultESA_EENS0_6detail16wrapped_functionINSC_23allocator_traits_detail24construct1_via_allocatorINSC_18no_throw_allocatorINSC_19temporary_allocatorIS8_S9_EEEEEEvEEEEmLj1EEEvT0_T1_SO_
                                        ; -- End function
	.set _ZN6thrust23THRUST_200600_302600_NS11hip_rocprim14__parallel_for6kernelILj256ENS1_10for_each_fINS0_7pointerINS0_5tupleIblNS0_9null_typeES7_S7_S7_S7_S7_S7_S7_EENS1_3tagENS0_11use_defaultESA_EENS0_6detail16wrapped_functionINSC_23allocator_traits_detail24construct1_via_allocatorINSC_18no_throw_allocatorINSC_19temporary_allocatorIS8_S9_EEEEEEvEEEEmLj1EEEvT0_T1_SO_.num_vgpr, 5
	.set _ZN6thrust23THRUST_200600_302600_NS11hip_rocprim14__parallel_for6kernelILj256ENS1_10for_each_fINS0_7pointerINS0_5tupleIblNS0_9null_typeES7_S7_S7_S7_S7_S7_S7_EENS1_3tagENS0_11use_defaultESA_EENS0_6detail16wrapped_functionINSC_23allocator_traits_detail24construct1_via_allocatorINSC_18no_throw_allocatorINSC_19temporary_allocatorIS8_S9_EEEEEEvEEEEmLj1EEEvT0_T1_SO_.num_agpr, 0
	.set _ZN6thrust23THRUST_200600_302600_NS11hip_rocprim14__parallel_for6kernelILj256ENS1_10for_each_fINS0_7pointerINS0_5tupleIblNS0_9null_typeES7_S7_S7_S7_S7_S7_S7_EENS1_3tagENS0_11use_defaultESA_EENS0_6detail16wrapped_functionINSC_23allocator_traits_detail24construct1_via_allocatorINSC_18no_throw_allocatorINSC_19temporary_allocatorIS8_S9_EEEEEEvEEEEmLj1EEEvT0_T1_SO_.numbered_sgpr, 12
	.set _ZN6thrust23THRUST_200600_302600_NS11hip_rocprim14__parallel_for6kernelILj256ENS1_10for_each_fINS0_7pointerINS0_5tupleIblNS0_9null_typeES7_S7_S7_S7_S7_S7_S7_EENS1_3tagENS0_11use_defaultESA_EENS0_6detail16wrapped_functionINSC_23allocator_traits_detail24construct1_via_allocatorINSC_18no_throw_allocatorINSC_19temporary_allocatorIS8_S9_EEEEEEvEEEEmLj1EEEvT0_T1_SO_.num_named_barrier, 0
	.set _ZN6thrust23THRUST_200600_302600_NS11hip_rocprim14__parallel_for6kernelILj256ENS1_10for_each_fINS0_7pointerINS0_5tupleIblNS0_9null_typeES7_S7_S7_S7_S7_S7_S7_EENS1_3tagENS0_11use_defaultESA_EENS0_6detail16wrapped_functionINSC_23allocator_traits_detail24construct1_via_allocatorINSC_18no_throw_allocatorINSC_19temporary_allocatorIS8_S9_EEEEEEvEEEEmLj1EEEvT0_T1_SO_.private_seg_size, 0
	.set _ZN6thrust23THRUST_200600_302600_NS11hip_rocprim14__parallel_for6kernelILj256ENS1_10for_each_fINS0_7pointerINS0_5tupleIblNS0_9null_typeES7_S7_S7_S7_S7_S7_S7_EENS1_3tagENS0_11use_defaultESA_EENS0_6detail16wrapped_functionINSC_23allocator_traits_detail24construct1_via_allocatorINSC_18no_throw_allocatorINSC_19temporary_allocatorIS8_S9_EEEEEEvEEEEmLj1EEEvT0_T1_SO_.uses_vcc, 1
	.set _ZN6thrust23THRUST_200600_302600_NS11hip_rocprim14__parallel_for6kernelILj256ENS1_10for_each_fINS0_7pointerINS0_5tupleIblNS0_9null_typeES7_S7_S7_S7_S7_S7_S7_EENS1_3tagENS0_11use_defaultESA_EENS0_6detail16wrapped_functionINSC_23allocator_traits_detail24construct1_via_allocatorINSC_18no_throw_allocatorINSC_19temporary_allocatorIS8_S9_EEEEEEvEEEEmLj1EEEvT0_T1_SO_.uses_flat_scratch, 0
	.set _ZN6thrust23THRUST_200600_302600_NS11hip_rocprim14__parallel_for6kernelILj256ENS1_10for_each_fINS0_7pointerINS0_5tupleIblNS0_9null_typeES7_S7_S7_S7_S7_S7_S7_EENS1_3tagENS0_11use_defaultESA_EENS0_6detail16wrapped_functionINSC_23allocator_traits_detail24construct1_via_allocatorINSC_18no_throw_allocatorINSC_19temporary_allocatorIS8_S9_EEEEEEvEEEEmLj1EEEvT0_T1_SO_.has_dyn_sized_stack, 0
	.set _ZN6thrust23THRUST_200600_302600_NS11hip_rocprim14__parallel_for6kernelILj256ENS1_10for_each_fINS0_7pointerINS0_5tupleIblNS0_9null_typeES7_S7_S7_S7_S7_S7_S7_EENS1_3tagENS0_11use_defaultESA_EENS0_6detail16wrapped_functionINSC_23allocator_traits_detail24construct1_via_allocatorINSC_18no_throw_allocatorINSC_19temporary_allocatorIS8_S9_EEEEEEvEEEEmLj1EEEvT0_T1_SO_.has_recursion, 0
	.set _ZN6thrust23THRUST_200600_302600_NS11hip_rocprim14__parallel_for6kernelILj256ENS1_10for_each_fINS0_7pointerINS0_5tupleIblNS0_9null_typeES7_S7_S7_S7_S7_S7_S7_EENS1_3tagENS0_11use_defaultESA_EENS0_6detail16wrapped_functionINSC_23allocator_traits_detail24construct1_via_allocatorINSC_18no_throw_allocatorINSC_19temporary_allocatorIS8_S9_EEEEEEvEEEEmLj1EEEvT0_T1_SO_.has_indirect_call, 0
	.section	.AMDGPU.csdata,"",@progbits
; Kernel info:
; codeLenInByte = 204
; TotalNumSgprs: 16
; NumVgprs: 5
; ScratchSize: 0
; MemoryBound: 0
; FloatMode: 240
; IeeeMode: 1
; LDSByteSize: 0 bytes/workgroup (compile time only)
; SGPRBlocks: 1
; VGPRBlocks: 1
; NumSGPRsForWavesPerEU: 16
; NumVGPRsForWavesPerEU: 5
; Occupancy: 10
; WaveLimiterHint : 0
; COMPUTE_PGM_RSRC2:SCRATCH_EN: 0
; COMPUTE_PGM_RSRC2:USER_SGPR: 6
; COMPUTE_PGM_RSRC2:TRAP_HANDLER: 0
; COMPUTE_PGM_RSRC2:TGID_X_EN: 1
; COMPUTE_PGM_RSRC2:TGID_Y_EN: 0
; COMPUTE_PGM_RSRC2:TGID_Z_EN: 0
; COMPUTE_PGM_RSRC2:TIDIG_COMP_CNT: 0
	.section	.text._ZN6thrust23THRUST_200600_302600_NS11hip_rocprim14__parallel_for6kernelILj256ENS1_10for_each_fINS0_7pointerINS0_5tupleIblNS0_9null_typeES7_S7_S7_S7_S7_S7_S7_EENS1_3tagENS0_11use_defaultESA_EENS0_6detail16wrapped_functionINSC_23allocator_traits_detail5gozerEvEEEElLj1EEEvT0_T1_SJ_,"axG",@progbits,_ZN6thrust23THRUST_200600_302600_NS11hip_rocprim14__parallel_for6kernelILj256ENS1_10for_each_fINS0_7pointerINS0_5tupleIblNS0_9null_typeES7_S7_S7_S7_S7_S7_S7_EENS1_3tagENS0_11use_defaultESA_EENS0_6detail16wrapped_functionINSC_23allocator_traits_detail5gozerEvEEEElLj1EEEvT0_T1_SJ_,comdat
	.protected	_ZN6thrust23THRUST_200600_302600_NS11hip_rocprim14__parallel_for6kernelILj256ENS1_10for_each_fINS0_7pointerINS0_5tupleIblNS0_9null_typeES7_S7_S7_S7_S7_S7_S7_EENS1_3tagENS0_11use_defaultESA_EENS0_6detail16wrapped_functionINSC_23allocator_traits_detail5gozerEvEEEElLj1EEEvT0_T1_SJ_ ; -- Begin function _ZN6thrust23THRUST_200600_302600_NS11hip_rocprim14__parallel_for6kernelILj256ENS1_10for_each_fINS0_7pointerINS0_5tupleIblNS0_9null_typeES7_S7_S7_S7_S7_S7_S7_EENS1_3tagENS0_11use_defaultESA_EENS0_6detail16wrapped_functionINSC_23allocator_traits_detail5gozerEvEEEElLj1EEEvT0_T1_SJ_
	.globl	_ZN6thrust23THRUST_200600_302600_NS11hip_rocprim14__parallel_for6kernelILj256ENS1_10for_each_fINS0_7pointerINS0_5tupleIblNS0_9null_typeES7_S7_S7_S7_S7_S7_S7_EENS1_3tagENS0_11use_defaultESA_EENS0_6detail16wrapped_functionINSC_23allocator_traits_detail5gozerEvEEEElLj1EEEvT0_T1_SJ_
	.p2align	8
	.type	_ZN6thrust23THRUST_200600_302600_NS11hip_rocprim14__parallel_for6kernelILj256ENS1_10for_each_fINS0_7pointerINS0_5tupleIblNS0_9null_typeES7_S7_S7_S7_S7_S7_S7_EENS1_3tagENS0_11use_defaultESA_EENS0_6detail16wrapped_functionINSC_23allocator_traits_detail5gozerEvEEEElLj1EEEvT0_T1_SJ_,@function
_ZN6thrust23THRUST_200600_302600_NS11hip_rocprim14__parallel_for6kernelILj256ENS1_10for_each_fINS0_7pointerINS0_5tupleIblNS0_9null_typeES7_S7_S7_S7_S7_S7_S7_EENS1_3tagENS0_11use_defaultESA_EENS0_6detail16wrapped_functionINSC_23allocator_traits_detail5gozerEvEEEElLj1EEEvT0_T1_SJ_: ; @_ZN6thrust23THRUST_200600_302600_NS11hip_rocprim14__parallel_for6kernelILj256ENS1_10for_each_fINS0_7pointerINS0_5tupleIblNS0_9null_typeES7_S7_S7_S7_S7_S7_S7_EENS1_3tagENS0_11use_defaultESA_EENS0_6detail16wrapped_functionINSC_23allocator_traits_detail5gozerEvEEEElLj1EEEvT0_T1_SJ_
; %bb.0:
	s_endpgm
	.section	.rodata,"a",@progbits
	.p2align	6, 0x0
	.amdhsa_kernel _ZN6thrust23THRUST_200600_302600_NS11hip_rocprim14__parallel_for6kernelILj256ENS1_10for_each_fINS0_7pointerINS0_5tupleIblNS0_9null_typeES7_S7_S7_S7_S7_S7_S7_EENS1_3tagENS0_11use_defaultESA_EENS0_6detail16wrapped_functionINSC_23allocator_traits_detail5gozerEvEEEElLj1EEEvT0_T1_SJ_
		.amdhsa_group_segment_fixed_size 0
		.amdhsa_private_segment_fixed_size 0
		.amdhsa_kernarg_size 32
		.amdhsa_user_sgpr_count 6
		.amdhsa_user_sgpr_private_segment_buffer 1
		.amdhsa_user_sgpr_dispatch_ptr 0
		.amdhsa_user_sgpr_queue_ptr 0
		.amdhsa_user_sgpr_kernarg_segment_ptr 1
		.amdhsa_user_sgpr_dispatch_id 0
		.amdhsa_user_sgpr_flat_scratch_init 0
		.amdhsa_user_sgpr_private_segment_size 0
		.amdhsa_uses_dynamic_stack 0
		.amdhsa_system_sgpr_private_segment_wavefront_offset 0
		.amdhsa_system_sgpr_workgroup_id_x 1
		.amdhsa_system_sgpr_workgroup_id_y 0
		.amdhsa_system_sgpr_workgroup_id_z 0
		.amdhsa_system_sgpr_workgroup_info 0
		.amdhsa_system_vgpr_workitem_id 0
		.amdhsa_next_free_vgpr 1
		.amdhsa_next_free_sgpr 0
		.amdhsa_reserve_vcc 0
		.amdhsa_reserve_flat_scratch 0
		.amdhsa_float_round_mode_32 0
		.amdhsa_float_round_mode_16_64 0
		.amdhsa_float_denorm_mode_32 3
		.amdhsa_float_denorm_mode_16_64 3
		.amdhsa_dx10_clamp 1
		.amdhsa_ieee_mode 1
		.amdhsa_fp16_overflow 0
		.amdhsa_exception_fp_ieee_invalid_op 0
		.amdhsa_exception_fp_denorm_src 0
		.amdhsa_exception_fp_ieee_div_zero 0
		.amdhsa_exception_fp_ieee_overflow 0
		.amdhsa_exception_fp_ieee_underflow 0
		.amdhsa_exception_fp_ieee_inexact 0
		.amdhsa_exception_int_div_zero 0
	.end_amdhsa_kernel
	.section	.text._ZN6thrust23THRUST_200600_302600_NS11hip_rocprim14__parallel_for6kernelILj256ENS1_10for_each_fINS0_7pointerINS0_5tupleIblNS0_9null_typeES7_S7_S7_S7_S7_S7_S7_EENS1_3tagENS0_11use_defaultESA_EENS0_6detail16wrapped_functionINSC_23allocator_traits_detail5gozerEvEEEElLj1EEEvT0_T1_SJ_,"axG",@progbits,_ZN6thrust23THRUST_200600_302600_NS11hip_rocprim14__parallel_for6kernelILj256ENS1_10for_each_fINS0_7pointerINS0_5tupleIblNS0_9null_typeES7_S7_S7_S7_S7_S7_S7_EENS1_3tagENS0_11use_defaultESA_EENS0_6detail16wrapped_functionINSC_23allocator_traits_detail5gozerEvEEEElLj1EEEvT0_T1_SJ_,comdat
.Lfunc_end487:
	.size	_ZN6thrust23THRUST_200600_302600_NS11hip_rocprim14__parallel_for6kernelILj256ENS1_10for_each_fINS0_7pointerINS0_5tupleIblNS0_9null_typeES7_S7_S7_S7_S7_S7_S7_EENS1_3tagENS0_11use_defaultESA_EENS0_6detail16wrapped_functionINSC_23allocator_traits_detail5gozerEvEEEElLj1EEEvT0_T1_SJ_, .Lfunc_end487-_ZN6thrust23THRUST_200600_302600_NS11hip_rocprim14__parallel_for6kernelILj256ENS1_10for_each_fINS0_7pointerINS0_5tupleIblNS0_9null_typeES7_S7_S7_S7_S7_S7_S7_EENS1_3tagENS0_11use_defaultESA_EENS0_6detail16wrapped_functionINSC_23allocator_traits_detail5gozerEvEEEElLj1EEEvT0_T1_SJ_
                                        ; -- End function
	.set _ZN6thrust23THRUST_200600_302600_NS11hip_rocprim14__parallel_for6kernelILj256ENS1_10for_each_fINS0_7pointerINS0_5tupleIblNS0_9null_typeES7_S7_S7_S7_S7_S7_S7_EENS1_3tagENS0_11use_defaultESA_EENS0_6detail16wrapped_functionINSC_23allocator_traits_detail5gozerEvEEEElLj1EEEvT0_T1_SJ_.num_vgpr, 0
	.set _ZN6thrust23THRUST_200600_302600_NS11hip_rocprim14__parallel_for6kernelILj256ENS1_10for_each_fINS0_7pointerINS0_5tupleIblNS0_9null_typeES7_S7_S7_S7_S7_S7_S7_EENS1_3tagENS0_11use_defaultESA_EENS0_6detail16wrapped_functionINSC_23allocator_traits_detail5gozerEvEEEElLj1EEEvT0_T1_SJ_.num_agpr, 0
	.set _ZN6thrust23THRUST_200600_302600_NS11hip_rocprim14__parallel_for6kernelILj256ENS1_10for_each_fINS0_7pointerINS0_5tupleIblNS0_9null_typeES7_S7_S7_S7_S7_S7_S7_EENS1_3tagENS0_11use_defaultESA_EENS0_6detail16wrapped_functionINSC_23allocator_traits_detail5gozerEvEEEElLj1EEEvT0_T1_SJ_.numbered_sgpr, 0
	.set _ZN6thrust23THRUST_200600_302600_NS11hip_rocprim14__parallel_for6kernelILj256ENS1_10for_each_fINS0_7pointerINS0_5tupleIblNS0_9null_typeES7_S7_S7_S7_S7_S7_S7_EENS1_3tagENS0_11use_defaultESA_EENS0_6detail16wrapped_functionINSC_23allocator_traits_detail5gozerEvEEEElLj1EEEvT0_T1_SJ_.num_named_barrier, 0
	.set _ZN6thrust23THRUST_200600_302600_NS11hip_rocprim14__parallel_for6kernelILj256ENS1_10for_each_fINS0_7pointerINS0_5tupleIblNS0_9null_typeES7_S7_S7_S7_S7_S7_S7_EENS1_3tagENS0_11use_defaultESA_EENS0_6detail16wrapped_functionINSC_23allocator_traits_detail5gozerEvEEEElLj1EEEvT0_T1_SJ_.private_seg_size, 0
	.set _ZN6thrust23THRUST_200600_302600_NS11hip_rocprim14__parallel_for6kernelILj256ENS1_10for_each_fINS0_7pointerINS0_5tupleIblNS0_9null_typeES7_S7_S7_S7_S7_S7_S7_EENS1_3tagENS0_11use_defaultESA_EENS0_6detail16wrapped_functionINSC_23allocator_traits_detail5gozerEvEEEElLj1EEEvT0_T1_SJ_.uses_vcc, 0
	.set _ZN6thrust23THRUST_200600_302600_NS11hip_rocprim14__parallel_for6kernelILj256ENS1_10for_each_fINS0_7pointerINS0_5tupleIblNS0_9null_typeES7_S7_S7_S7_S7_S7_S7_EENS1_3tagENS0_11use_defaultESA_EENS0_6detail16wrapped_functionINSC_23allocator_traits_detail5gozerEvEEEElLj1EEEvT0_T1_SJ_.uses_flat_scratch, 0
	.set _ZN6thrust23THRUST_200600_302600_NS11hip_rocprim14__parallel_for6kernelILj256ENS1_10for_each_fINS0_7pointerINS0_5tupleIblNS0_9null_typeES7_S7_S7_S7_S7_S7_S7_EENS1_3tagENS0_11use_defaultESA_EENS0_6detail16wrapped_functionINSC_23allocator_traits_detail5gozerEvEEEElLj1EEEvT0_T1_SJ_.has_dyn_sized_stack, 0
	.set _ZN6thrust23THRUST_200600_302600_NS11hip_rocprim14__parallel_for6kernelILj256ENS1_10for_each_fINS0_7pointerINS0_5tupleIblNS0_9null_typeES7_S7_S7_S7_S7_S7_S7_EENS1_3tagENS0_11use_defaultESA_EENS0_6detail16wrapped_functionINSC_23allocator_traits_detail5gozerEvEEEElLj1EEEvT0_T1_SJ_.has_recursion, 0
	.set _ZN6thrust23THRUST_200600_302600_NS11hip_rocprim14__parallel_for6kernelILj256ENS1_10for_each_fINS0_7pointerINS0_5tupleIblNS0_9null_typeES7_S7_S7_S7_S7_S7_S7_EENS1_3tagENS0_11use_defaultESA_EENS0_6detail16wrapped_functionINSC_23allocator_traits_detail5gozerEvEEEElLj1EEEvT0_T1_SJ_.has_indirect_call, 0
	.section	.AMDGPU.csdata,"",@progbits
; Kernel info:
; codeLenInByte = 4
; TotalNumSgprs: 4
; NumVgprs: 0
; ScratchSize: 0
; MemoryBound: 0
; FloatMode: 240
; IeeeMode: 1
; LDSByteSize: 0 bytes/workgroup (compile time only)
; SGPRBlocks: 0
; VGPRBlocks: 0
; NumSGPRsForWavesPerEU: 4
; NumVGPRsForWavesPerEU: 1
; Occupancy: 10
; WaveLimiterHint : 0
; COMPUTE_PGM_RSRC2:SCRATCH_EN: 0
; COMPUTE_PGM_RSRC2:USER_SGPR: 6
; COMPUTE_PGM_RSRC2:TRAP_HANDLER: 0
; COMPUTE_PGM_RSRC2:TGID_X_EN: 1
; COMPUTE_PGM_RSRC2:TGID_Y_EN: 0
; COMPUTE_PGM_RSRC2:TGID_Z_EN: 0
; COMPUTE_PGM_RSRC2:TIDIG_COMP_CNT: 0
	.section	.text._ZN6thrust23THRUST_200600_302600_NS11hip_rocprim14__parallel_for6kernelILj256ENS1_20__uninitialized_copy7functorIPNS0_5tupleIblNS0_9null_typeES7_S7_S7_S7_S7_S7_S7_EENS0_7pointerIS8_NS1_3tagENS0_11use_defaultESC_EEEEmLj1EEEvT0_T1_SG_,"axG",@progbits,_ZN6thrust23THRUST_200600_302600_NS11hip_rocprim14__parallel_for6kernelILj256ENS1_20__uninitialized_copy7functorIPNS0_5tupleIblNS0_9null_typeES7_S7_S7_S7_S7_S7_S7_EENS0_7pointerIS8_NS1_3tagENS0_11use_defaultESC_EEEEmLj1EEEvT0_T1_SG_,comdat
	.protected	_ZN6thrust23THRUST_200600_302600_NS11hip_rocprim14__parallel_for6kernelILj256ENS1_20__uninitialized_copy7functorIPNS0_5tupleIblNS0_9null_typeES7_S7_S7_S7_S7_S7_S7_EENS0_7pointerIS8_NS1_3tagENS0_11use_defaultESC_EEEEmLj1EEEvT0_T1_SG_ ; -- Begin function _ZN6thrust23THRUST_200600_302600_NS11hip_rocprim14__parallel_for6kernelILj256ENS1_20__uninitialized_copy7functorIPNS0_5tupleIblNS0_9null_typeES7_S7_S7_S7_S7_S7_S7_EENS0_7pointerIS8_NS1_3tagENS0_11use_defaultESC_EEEEmLj1EEEvT0_T1_SG_
	.globl	_ZN6thrust23THRUST_200600_302600_NS11hip_rocprim14__parallel_for6kernelILj256ENS1_20__uninitialized_copy7functorIPNS0_5tupleIblNS0_9null_typeES7_S7_S7_S7_S7_S7_S7_EENS0_7pointerIS8_NS1_3tagENS0_11use_defaultESC_EEEEmLj1EEEvT0_T1_SG_
	.p2align	8
	.type	_ZN6thrust23THRUST_200600_302600_NS11hip_rocprim14__parallel_for6kernelILj256ENS1_20__uninitialized_copy7functorIPNS0_5tupleIblNS0_9null_typeES7_S7_S7_S7_S7_S7_S7_EENS0_7pointerIS8_NS1_3tagENS0_11use_defaultESC_EEEEmLj1EEEvT0_T1_SG_,@function
_ZN6thrust23THRUST_200600_302600_NS11hip_rocprim14__parallel_for6kernelILj256ENS1_20__uninitialized_copy7functorIPNS0_5tupleIblNS0_9null_typeES7_S7_S7_S7_S7_S7_S7_EENS0_7pointerIS8_NS1_3tagENS0_11use_defaultESC_EEEEmLj1EEEvT0_T1_SG_: ; @_ZN6thrust23THRUST_200600_302600_NS11hip_rocprim14__parallel_for6kernelILj256ENS1_20__uninitialized_copy7functorIPNS0_5tupleIblNS0_9null_typeES7_S7_S7_S7_S7_S7_S7_EENS0_7pointerIS8_NS1_3tagENS0_11use_defaultESC_EEEEmLj1EEEvT0_T1_SG_
; %bb.0:
	s_load_dwordx8 s[8:15], s[4:5], 0x0
	s_lshl_b32 s0, s6, 8
	v_mov_b32_e32 v1, 0xff
	v_mov_b32_e32 v2, 0
	s_waitcnt lgkmcnt(0)
	s_add_u32 s4, s14, s0
	s_addc_u32 s5, s15, 0
	s_sub_u32 s0, s12, s4
	s_subb_u32 s1, s13, s5
	v_cmp_gt_u64_e32 vcc, s[0:1], v[1:2]
	s_cbranch_vccnz .LBB488_2
; %bb.1:
	v_cmp_gt_u32_e32 vcc, s0, v0
	s_and_b64 s[0:1], vcc, exec
	s_cbranch_execz .LBB488_3
	s_branch .LBB488_4
.LBB488_2:
	s_mov_b64 s[0:1], 0
.LBB488_3:
	s_or_b64 s[0:1], s[0:1], exec
.LBB488_4:
	s_and_saveexec_b64 s[2:3], s[0:1]
	s_cbranch_execnz .LBB488_6
; %bb.5:
	s_endpgm
.LBB488_6:
	v_mov_b32_e32 v1, s5
	v_add_co_u32_e32 v0, vcc, s4, v0
	v_addc_co_u32_e32 v1, vcc, 0, v1, vcc
	v_lshlrev_b64 v[4:5], 4, v[0:1]
	v_mov_b32_e32 v1, s9
	v_add_co_u32_e32 v0, vcc, s8, v4
	v_addc_co_u32_e32 v1, vcc, v1, v5, vcc
	global_load_dwordx4 v[0:3], v[0:1], off
	v_mov_b32_e32 v6, s11
	v_add_co_u32_e32 v4, vcc, s10, v4
	v_addc_co_u32_e32 v5, vcc, v6, v5, vcc
	s_waitcnt vmcnt(0)
	flat_store_dwordx4 v[4:5], v[0:3]
	s_endpgm
	.section	.rodata,"a",@progbits
	.p2align	6, 0x0
	.amdhsa_kernel _ZN6thrust23THRUST_200600_302600_NS11hip_rocprim14__parallel_for6kernelILj256ENS1_20__uninitialized_copy7functorIPNS0_5tupleIblNS0_9null_typeES7_S7_S7_S7_S7_S7_S7_EENS0_7pointerIS8_NS1_3tagENS0_11use_defaultESC_EEEEmLj1EEEvT0_T1_SG_
		.amdhsa_group_segment_fixed_size 0
		.amdhsa_private_segment_fixed_size 0
		.amdhsa_kernarg_size 32
		.amdhsa_user_sgpr_count 6
		.amdhsa_user_sgpr_private_segment_buffer 1
		.amdhsa_user_sgpr_dispatch_ptr 0
		.amdhsa_user_sgpr_queue_ptr 0
		.amdhsa_user_sgpr_kernarg_segment_ptr 1
		.amdhsa_user_sgpr_dispatch_id 0
		.amdhsa_user_sgpr_flat_scratch_init 0
		.amdhsa_user_sgpr_private_segment_size 0
		.amdhsa_uses_dynamic_stack 0
		.amdhsa_system_sgpr_private_segment_wavefront_offset 0
		.amdhsa_system_sgpr_workgroup_id_x 1
		.amdhsa_system_sgpr_workgroup_id_y 0
		.amdhsa_system_sgpr_workgroup_id_z 0
		.amdhsa_system_sgpr_workgroup_info 0
		.amdhsa_system_vgpr_workitem_id 0
		.amdhsa_next_free_vgpr 7
		.amdhsa_next_free_sgpr 16
		.amdhsa_reserve_vcc 1
		.amdhsa_reserve_flat_scratch 0
		.amdhsa_float_round_mode_32 0
		.amdhsa_float_round_mode_16_64 0
		.amdhsa_float_denorm_mode_32 3
		.amdhsa_float_denorm_mode_16_64 3
		.amdhsa_dx10_clamp 1
		.amdhsa_ieee_mode 1
		.amdhsa_fp16_overflow 0
		.amdhsa_exception_fp_ieee_invalid_op 0
		.amdhsa_exception_fp_denorm_src 0
		.amdhsa_exception_fp_ieee_div_zero 0
		.amdhsa_exception_fp_ieee_overflow 0
		.amdhsa_exception_fp_ieee_underflow 0
		.amdhsa_exception_fp_ieee_inexact 0
		.amdhsa_exception_int_div_zero 0
	.end_amdhsa_kernel
	.section	.text._ZN6thrust23THRUST_200600_302600_NS11hip_rocprim14__parallel_for6kernelILj256ENS1_20__uninitialized_copy7functorIPNS0_5tupleIblNS0_9null_typeES7_S7_S7_S7_S7_S7_S7_EENS0_7pointerIS8_NS1_3tagENS0_11use_defaultESC_EEEEmLj1EEEvT0_T1_SG_,"axG",@progbits,_ZN6thrust23THRUST_200600_302600_NS11hip_rocprim14__parallel_for6kernelILj256ENS1_20__uninitialized_copy7functorIPNS0_5tupleIblNS0_9null_typeES7_S7_S7_S7_S7_S7_S7_EENS0_7pointerIS8_NS1_3tagENS0_11use_defaultESC_EEEEmLj1EEEvT0_T1_SG_,comdat
.Lfunc_end488:
	.size	_ZN6thrust23THRUST_200600_302600_NS11hip_rocprim14__parallel_for6kernelILj256ENS1_20__uninitialized_copy7functorIPNS0_5tupleIblNS0_9null_typeES7_S7_S7_S7_S7_S7_S7_EENS0_7pointerIS8_NS1_3tagENS0_11use_defaultESC_EEEEmLj1EEEvT0_T1_SG_, .Lfunc_end488-_ZN6thrust23THRUST_200600_302600_NS11hip_rocprim14__parallel_for6kernelILj256ENS1_20__uninitialized_copy7functorIPNS0_5tupleIblNS0_9null_typeES7_S7_S7_S7_S7_S7_S7_EENS0_7pointerIS8_NS1_3tagENS0_11use_defaultESC_EEEEmLj1EEEvT0_T1_SG_
                                        ; -- End function
	.set _ZN6thrust23THRUST_200600_302600_NS11hip_rocprim14__parallel_for6kernelILj256ENS1_20__uninitialized_copy7functorIPNS0_5tupleIblNS0_9null_typeES7_S7_S7_S7_S7_S7_S7_EENS0_7pointerIS8_NS1_3tagENS0_11use_defaultESC_EEEEmLj1EEEvT0_T1_SG_.num_vgpr, 7
	.set _ZN6thrust23THRUST_200600_302600_NS11hip_rocprim14__parallel_for6kernelILj256ENS1_20__uninitialized_copy7functorIPNS0_5tupleIblNS0_9null_typeES7_S7_S7_S7_S7_S7_S7_EENS0_7pointerIS8_NS1_3tagENS0_11use_defaultESC_EEEEmLj1EEEvT0_T1_SG_.num_agpr, 0
	.set _ZN6thrust23THRUST_200600_302600_NS11hip_rocprim14__parallel_for6kernelILj256ENS1_20__uninitialized_copy7functorIPNS0_5tupleIblNS0_9null_typeES7_S7_S7_S7_S7_S7_S7_EENS0_7pointerIS8_NS1_3tagENS0_11use_defaultESC_EEEEmLj1EEEvT0_T1_SG_.numbered_sgpr, 16
	.set _ZN6thrust23THRUST_200600_302600_NS11hip_rocprim14__parallel_for6kernelILj256ENS1_20__uninitialized_copy7functorIPNS0_5tupleIblNS0_9null_typeES7_S7_S7_S7_S7_S7_S7_EENS0_7pointerIS8_NS1_3tagENS0_11use_defaultESC_EEEEmLj1EEEvT0_T1_SG_.num_named_barrier, 0
	.set _ZN6thrust23THRUST_200600_302600_NS11hip_rocprim14__parallel_for6kernelILj256ENS1_20__uninitialized_copy7functorIPNS0_5tupleIblNS0_9null_typeES7_S7_S7_S7_S7_S7_S7_EENS0_7pointerIS8_NS1_3tagENS0_11use_defaultESC_EEEEmLj1EEEvT0_T1_SG_.private_seg_size, 0
	.set _ZN6thrust23THRUST_200600_302600_NS11hip_rocprim14__parallel_for6kernelILj256ENS1_20__uninitialized_copy7functorIPNS0_5tupleIblNS0_9null_typeES7_S7_S7_S7_S7_S7_S7_EENS0_7pointerIS8_NS1_3tagENS0_11use_defaultESC_EEEEmLj1EEEvT0_T1_SG_.uses_vcc, 1
	.set _ZN6thrust23THRUST_200600_302600_NS11hip_rocprim14__parallel_for6kernelILj256ENS1_20__uninitialized_copy7functorIPNS0_5tupleIblNS0_9null_typeES7_S7_S7_S7_S7_S7_S7_EENS0_7pointerIS8_NS1_3tagENS0_11use_defaultESC_EEEEmLj1EEEvT0_T1_SG_.uses_flat_scratch, 0
	.set _ZN6thrust23THRUST_200600_302600_NS11hip_rocprim14__parallel_for6kernelILj256ENS1_20__uninitialized_copy7functorIPNS0_5tupleIblNS0_9null_typeES7_S7_S7_S7_S7_S7_S7_EENS0_7pointerIS8_NS1_3tagENS0_11use_defaultESC_EEEEmLj1EEEvT0_T1_SG_.has_dyn_sized_stack, 0
	.set _ZN6thrust23THRUST_200600_302600_NS11hip_rocprim14__parallel_for6kernelILj256ENS1_20__uninitialized_copy7functorIPNS0_5tupleIblNS0_9null_typeES7_S7_S7_S7_S7_S7_S7_EENS0_7pointerIS8_NS1_3tagENS0_11use_defaultESC_EEEEmLj1EEEvT0_T1_SG_.has_recursion, 0
	.set _ZN6thrust23THRUST_200600_302600_NS11hip_rocprim14__parallel_for6kernelILj256ENS1_20__uninitialized_copy7functorIPNS0_5tupleIblNS0_9null_typeES7_S7_S7_S7_S7_S7_S7_EENS0_7pointerIS8_NS1_3tagENS0_11use_defaultESC_EEEEmLj1EEEvT0_T1_SG_.has_indirect_call, 0
	.section	.AMDGPU.csdata,"",@progbits
; Kernel info:
; codeLenInByte = 156
; TotalNumSgprs: 20
; NumVgprs: 7
; ScratchSize: 0
; MemoryBound: 0
; FloatMode: 240
; IeeeMode: 1
; LDSByteSize: 0 bytes/workgroup (compile time only)
; SGPRBlocks: 2
; VGPRBlocks: 1
; NumSGPRsForWavesPerEU: 20
; NumVGPRsForWavesPerEU: 7
; Occupancy: 10
; WaveLimiterHint : 0
; COMPUTE_PGM_RSRC2:SCRATCH_EN: 0
; COMPUTE_PGM_RSRC2:USER_SGPR: 6
; COMPUTE_PGM_RSRC2:TRAP_HANDLER: 0
; COMPUTE_PGM_RSRC2:TGID_X_EN: 1
; COMPUTE_PGM_RSRC2:TGID_Y_EN: 0
; COMPUTE_PGM_RSRC2:TGID_Z_EN: 0
; COMPUTE_PGM_RSRC2:TIDIG_COMP_CNT: 0
	.section	.text._ZN7rocprim17ROCPRIM_400000_NS6detail17trampoline_kernelINS0_14default_configENS1_27lower_bound_config_selectorIN6thrust23THRUST_200600_302600_NS5tupleIiiNS6_9null_typeES8_S8_S8_S8_S8_S8_S8_EEiEEZNS1_14transform_implILb0ES3_SA_NS6_6detail15normal_iteratorINS6_10device_ptrIS9_EEEENSD_INSE_IiEEEEZNS1_13binary_searchIS3_SA_SG_SG_SI_NS1_21lower_bound_search_opENSC_16wrapped_functionINS0_4lessIvEEbEEEE10hipError_tPvRmT1_T2_T3_mmT4_T5_P12ihipStream_tbEUlRKS9_E_EESP_ST_SU_mSV_SY_bEUlT_E_NS1_11comp_targetILNS1_3genE0ELNS1_11target_archE4294967295ELNS1_3gpuE0ELNS1_3repE0EEENS1_30default_config_static_selectorELNS0_4arch9wavefront6targetE1EEEvSS_,"axG",@progbits,_ZN7rocprim17ROCPRIM_400000_NS6detail17trampoline_kernelINS0_14default_configENS1_27lower_bound_config_selectorIN6thrust23THRUST_200600_302600_NS5tupleIiiNS6_9null_typeES8_S8_S8_S8_S8_S8_S8_EEiEEZNS1_14transform_implILb0ES3_SA_NS6_6detail15normal_iteratorINS6_10device_ptrIS9_EEEENSD_INSE_IiEEEEZNS1_13binary_searchIS3_SA_SG_SG_SI_NS1_21lower_bound_search_opENSC_16wrapped_functionINS0_4lessIvEEbEEEE10hipError_tPvRmT1_T2_T3_mmT4_T5_P12ihipStream_tbEUlRKS9_E_EESP_ST_SU_mSV_SY_bEUlT_E_NS1_11comp_targetILNS1_3genE0ELNS1_11target_archE4294967295ELNS1_3gpuE0ELNS1_3repE0EEENS1_30default_config_static_selectorELNS0_4arch9wavefront6targetE1EEEvSS_,comdat
	.protected	_ZN7rocprim17ROCPRIM_400000_NS6detail17trampoline_kernelINS0_14default_configENS1_27lower_bound_config_selectorIN6thrust23THRUST_200600_302600_NS5tupleIiiNS6_9null_typeES8_S8_S8_S8_S8_S8_S8_EEiEEZNS1_14transform_implILb0ES3_SA_NS6_6detail15normal_iteratorINS6_10device_ptrIS9_EEEENSD_INSE_IiEEEEZNS1_13binary_searchIS3_SA_SG_SG_SI_NS1_21lower_bound_search_opENSC_16wrapped_functionINS0_4lessIvEEbEEEE10hipError_tPvRmT1_T2_T3_mmT4_T5_P12ihipStream_tbEUlRKS9_E_EESP_ST_SU_mSV_SY_bEUlT_E_NS1_11comp_targetILNS1_3genE0ELNS1_11target_archE4294967295ELNS1_3gpuE0ELNS1_3repE0EEENS1_30default_config_static_selectorELNS0_4arch9wavefront6targetE1EEEvSS_ ; -- Begin function _ZN7rocprim17ROCPRIM_400000_NS6detail17trampoline_kernelINS0_14default_configENS1_27lower_bound_config_selectorIN6thrust23THRUST_200600_302600_NS5tupleIiiNS6_9null_typeES8_S8_S8_S8_S8_S8_S8_EEiEEZNS1_14transform_implILb0ES3_SA_NS6_6detail15normal_iteratorINS6_10device_ptrIS9_EEEENSD_INSE_IiEEEEZNS1_13binary_searchIS3_SA_SG_SG_SI_NS1_21lower_bound_search_opENSC_16wrapped_functionINS0_4lessIvEEbEEEE10hipError_tPvRmT1_T2_T3_mmT4_T5_P12ihipStream_tbEUlRKS9_E_EESP_ST_SU_mSV_SY_bEUlT_E_NS1_11comp_targetILNS1_3genE0ELNS1_11target_archE4294967295ELNS1_3gpuE0ELNS1_3repE0EEENS1_30default_config_static_selectorELNS0_4arch9wavefront6targetE1EEEvSS_
	.globl	_ZN7rocprim17ROCPRIM_400000_NS6detail17trampoline_kernelINS0_14default_configENS1_27lower_bound_config_selectorIN6thrust23THRUST_200600_302600_NS5tupleIiiNS6_9null_typeES8_S8_S8_S8_S8_S8_S8_EEiEEZNS1_14transform_implILb0ES3_SA_NS6_6detail15normal_iteratorINS6_10device_ptrIS9_EEEENSD_INSE_IiEEEEZNS1_13binary_searchIS3_SA_SG_SG_SI_NS1_21lower_bound_search_opENSC_16wrapped_functionINS0_4lessIvEEbEEEE10hipError_tPvRmT1_T2_T3_mmT4_T5_P12ihipStream_tbEUlRKS9_E_EESP_ST_SU_mSV_SY_bEUlT_E_NS1_11comp_targetILNS1_3genE0ELNS1_11target_archE4294967295ELNS1_3gpuE0ELNS1_3repE0EEENS1_30default_config_static_selectorELNS0_4arch9wavefront6targetE1EEEvSS_
	.p2align	8
	.type	_ZN7rocprim17ROCPRIM_400000_NS6detail17trampoline_kernelINS0_14default_configENS1_27lower_bound_config_selectorIN6thrust23THRUST_200600_302600_NS5tupleIiiNS6_9null_typeES8_S8_S8_S8_S8_S8_S8_EEiEEZNS1_14transform_implILb0ES3_SA_NS6_6detail15normal_iteratorINS6_10device_ptrIS9_EEEENSD_INSE_IiEEEEZNS1_13binary_searchIS3_SA_SG_SG_SI_NS1_21lower_bound_search_opENSC_16wrapped_functionINS0_4lessIvEEbEEEE10hipError_tPvRmT1_T2_T3_mmT4_T5_P12ihipStream_tbEUlRKS9_E_EESP_ST_SU_mSV_SY_bEUlT_E_NS1_11comp_targetILNS1_3genE0ELNS1_11target_archE4294967295ELNS1_3gpuE0ELNS1_3repE0EEENS1_30default_config_static_selectorELNS0_4arch9wavefront6targetE1EEEvSS_,@function
_ZN7rocprim17ROCPRIM_400000_NS6detail17trampoline_kernelINS0_14default_configENS1_27lower_bound_config_selectorIN6thrust23THRUST_200600_302600_NS5tupleIiiNS6_9null_typeES8_S8_S8_S8_S8_S8_S8_EEiEEZNS1_14transform_implILb0ES3_SA_NS6_6detail15normal_iteratorINS6_10device_ptrIS9_EEEENSD_INSE_IiEEEEZNS1_13binary_searchIS3_SA_SG_SG_SI_NS1_21lower_bound_search_opENSC_16wrapped_functionINS0_4lessIvEEbEEEE10hipError_tPvRmT1_T2_T3_mmT4_T5_P12ihipStream_tbEUlRKS9_E_EESP_ST_SU_mSV_SY_bEUlT_E_NS1_11comp_targetILNS1_3genE0ELNS1_11target_archE4294967295ELNS1_3gpuE0ELNS1_3repE0EEENS1_30default_config_static_selectorELNS0_4arch9wavefront6targetE1EEEvSS_: ; @_ZN7rocprim17ROCPRIM_400000_NS6detail17trampoline_kernelINS0_14default_configENS1_27lower_bound_config_selectorIN6thrust23THRUST_200600_302600_NS5tupleIiiNS6_9null_typeES8_S8_S8_S8_S8_S8_S8_EEiEEZNS1_14transform_implILb0ES3_SA_NS6_6detail15normal_iteratorINS6_10device_ptrIS9_EEEENSD_INSE_IiEEEEZNS1_13binary_searchIS3_SA_SG_SG_SI_NS1_21lower_bound_search_opENSC_16wrapped_functionINS0_4lessIvEEbEEEE10hipError_tPvRmT1_T2_T3_mmT4_T5_P12ihipStream_tbEUlRKS9_E_EESP_ST_SU_mSV_SY_bEUlT_E_NS1_11comp_targetILNS1_3genE0ELNS1_11target_archE4294967295ELNS1_3gpuE0ELNS1_3repE0EEENS1_30default_config_static_selectorELNS0_4arch9wavefront6targetE1EEEvSS_
; %bb.0:
	.section	.rodata,"a",@progbits
	.p2align	6, 0x0
	.amdhsa_kernel _ZN7rocprim17ROCPRIM_400000_NS6detail17trampoline_kernelINS0_14default_configENS1_27lower_bound_config_selectorIN6thrust23THRUST_200600_302600_NS5tupleIiiNS6_9null_typeES8_S8_S8_S8_S8_S8_S8_EEiEEZNS1_14transform_implILb0ES3_SA_NS6_6detail15normal_iteratorINS6_10device_ptrIS9_EEEENSD_INSE_IiEEEEZNS1_13binary_searchIS3_SA_SG_SG_SI_NS1_21lower_bound_search_opENSC_16wrapped_functionINS0_4lessIvEEbEEEE10hipError_tPvRmT1_T2_T3_mmT4_T5_P12ihipStream_tbEUlRKS9_E_EESP_ST_SU_mSV_SY_bEUlT_E_NS1_11comp_targetILNS1_3genE0ELNS1_11target_archE4294967295ELNS1_3gpuE0ELNS1_3repE0EEENS1_30default_config_static_selectorELNS0_4arch9wavefront6targetE1EEEvSS_
		.amdhsa_group_segment_fixed_size 0
		.amdhsa_private_segment_fixed_size 0
		.amdhsa_kernarg_size 56
		.amdhsa_user_sgpr_count 6
		.amdhsa_user_sgpr_private_segment_buffer 1
		.amdhsa_user_sgpr_dispatch_ptr 0
		.amdhsa_user_sgpr_queue_ptr 0
		.amdhsa_user_sgpr_kernarg_segment_ptr 1
		.amdhsa_user_sgpr_dispatch_id 0
		.amdhsa_user_sgpr_flat_scratch_init 0
		.amdhsa_user_sgpr_private_segment_size 0
		.amdhsa_uses_dynamic_stack 0
		.amdhsa_system_sgpr_private_segment_wavefront_offset 0
		.amdhsa_system_sgpr_workgroup_id_x 1
		.amdhsa_system_sgpr_workgroup_id_y 0
		.amdhsa_system_sgpr_workgroup_id_z 0
		.amdhsa_system_sgpr_workgroup_info 0
		.amdhsa_system_vgpr_workitem_id 0
		.amdhsa_next_free_vgpr 1
		.amdhsa_next_free_sgpr 0
		.amdhsa_reserve_vcc 0
		.amdhsa_reserve_flat_scratch 0
		.amdhsa_float_round_mode_32 0
		.amdhsa_float_round_mode_16_64 0
		.amdhsa_float_denorm_mode_32 3
		.amdhsa_float_denorm_mode_16_64 3
		.amdhsa_dx10_clamp 1
		.amdhsa_ieee_mode 1
		.amdhsa_fp16_overflow 0
		.amdhsa_exception_fp_ieee_invalid_op 0
		.amdhsa_exception_fp_denorm_src 0
		.amdhsa_exception_fp_ieee_div_zero 0
		.amdhsa_exception_fp_ieee_overflow 0
		.amdhsa_exception_fp_ieee_underflow 0
		.amdhsa_exception_fp_ieee_inexact 0
		.amdhsa_exception_int_div_zero 0
	.end_amdhsa_kernel
	.section	.text._ZN7rocprim17ROCPRIM_400000_NS6detail17trampoline_kernelINS0_14default_configENS1_27lower_bound_config_selectorIN6thrust23THRUST_200600_302600_NS5tupleIiiNS6_9null_typeES8_S8_S8_S8_S8_S8_S8_EEiEEZNS1_14transform_implILb0ES3_SA_NS6_6detail15normal_iteratorINS6_10device_ptrIS9_EEEENSD_INSE_IiEEEEZNS1_13binary_searchIS3_SA_SG_SG_SI_NS1_21lower_bound_search_opENSC_16wrapped_functionINS0_4lessIvEEbEEEE10hipError_tPvRmT1_T2_T3_mmT4_T5_P12ihipStream_tbEUlRKS9_E_EESP_ST_SU_mSV_SY_bEUlT_E_NS1_11comp_targetILNS1_3genE0ELNS1_11target_archE4294967295ELNS1_3gpuE0ELNS1_3repE0EEENS1_30default_config_static_selectorELNS0_4arch9wavefront6targetE1EEEvSS_,"axG",@progbits,_ZN7rocprim17ROCPRIM_400000_NS6detail17trampoline_kernelINS0_14default_configENS1_27lower_bound_config_selectorIN6thrust23THRUST_200600_302600_NS5tupleIiiNS6_9null_typeES8_S8_S8_S8_S8_S8_S8_EEiEEZNS1_14transform_implILb0ES3_SA_NS6_6detail15normal_iteratorINS6_10device_ptrIS9_EEEENSD_INSE_IiEEEEZNS1_13binary_searchIS3_SA_SG_SG_SI_NS1_21lower_bound_search_opENSC_16wrapped_functionINS0_4lessIvEEbEEEE10hipError_tPvRmT1_T2_T3_mmT4_T5_P12ihipStream_tbEUlRKS9_E_EESP_ST_SU_mSV_SY_bEUlT_E_NS1_11comp_targetILNS1_3genE0ELNS1_11target_archE4294967295ELNS1_3gpuE0ELNS1_3repE0EEENS1_30default_config_static_selectorELNS0_4arch9wavefront6targetE1EEEvSS_,comdat
.Lfunc_end489:
	.size	_ZN7rocprim17ROCPRIM_400000_NS6detail17trampoline_kernelINS0_14default_configENS1_27lower_bound_config_selectorIN6thrust23THRUST_200600_302600_NS5tupleIiiNS6_9null_typeES8_S8_S8_S8_S8_S8_S8_EEiEEZNS1_14transform_implILb0ES3_SA_NS6_6detail15normal_iteratorINS6_10device_ptrIS9_EEEENSD_INSE_IiEEEEZNS1_13binary_searchIS3_SA_SG_SG_SI_NS1_21lower_bound_search_opENSC_16wrapped_functionINS0_4lessIvEEbEEEE10hipError_tPvRmT1_T2_T3_mmT4_T5_P12ihipStream_tbEUlRKS9_E_EESP_ST_SU_mSV_SY_bEUlT_E_NS1_11comp_targetILNS1_3genE0ELNS1_11target_archE4294967295ELNS1_3gpuE0ELNS1_3repE0EEENS1_30default_config_static_selectorELNS0_4arch9wavefront6targetE1EEEvSS_, .Lfunc_end489-_ZN7rocprim17ROCPRIM_400000_NS6detail17trampoline_kernelINS0_14default_configENS1_27lower_bound_config_selectorIN6thrust23THRUST_200600_302600_NS5tupleIiiNS6_9null_typeES8_S8_S8_S8_S8_S8_S8_EEiEEZNS1_14transform_implILb0ES3_SA_NS6_6detail15normal_iteratorINS6_10device_ptrIS9_EEEENSD_INSE_IiEEEEZNS1_13binary_searchIS3_SA_SG_SG_SI_NS1_21lower_bound_search_opENSC_16wrapped_functionINS0_4lessIvEEbEEEE10hipError_tPvRmT1_T2_T3_mmT4_T5_P12ihipStream_tbEUlRKS9_E_EESP_ST_SU_mSV_SY_bEUlT_E_NS1_11comp_targetILNS1_3genE0ELNS1_11target_archE4294967295ELNS1_3gpuE0ELNS1_3repE0EEENS1_30default_config_static_selectorELNS0_4arch9wavefront6targetE1EEEvSS_
                                        ; -- End function
	.set _ZN7rocprim17ROCPRIM_400000_NS6detail17trampoline_kernelINS0_14default_configENS1_27lower_bound_config_selectorIN6thrust23THRUST_200600_302600_NS5tupleIiiNS6_9null_typeES8_S8_S8_S8_S8_S8_S8_EEiEEZNS1_14transform_implILb0ES3_SA_NS6_6detail15normal_iteratorINS6_10device_ptrIS9_EEEENSD_INSE_IiEEEEZNS1_13binary_searchIS3_SA_SG_SG_SI_NS1_21lower_bound_search_opENSC_16wrapped_functionINS0_4lessIvEEbEEEE10hipError_tPvRmT1_T2_T3_mmT4_T5_P12ihipStream_tbEUlRKS9_E_EESP_ST_SU_mSV_SY_bEUlT_E_NS1_11comp_targetILNS1_3genE0ELNS1_11target_archE4294967295ELNS1_3gpuE0ELNS1_3repE0EEENS1_30default_config_static_selectorELNS0_4arch9wavefront6targetE1EEEvSS_.num_vgpr, 0
	.set _ZN7rocprim17ROCPRIM_400000_NS6detail17trampoline_kernelINS0_14default_configENS1_27lower_bound_config_selectorIN6thrust23THRUST_200600_302600_NS5tupleIiiNS6_9null_typeES8_S8_S8_S8_S8_S8_S8_EEiEEZNS1_14transform_implILb0ES3_SA_NS6_6detail15normal_iteratorINS6_10device_ptrIS9_EEEENSD_INSE_IiEEEEZNS1_13binary_searchIS3_SA_SG_SG_SI_NS1_21lower_bound_search_opENSC_16wrapped_functionINS0_4lessIvEEbEEEE10hipError_tPvRmT1_T2_T3_mmT4_T5_P12ihipStream_tbEUlRKS9_E_EESP_ST_SU_mSV_SY_bEUlT_E_NS1_11comp_targetILNS1_3genE0ELNS1_11target_archE4294967295ELNS1_3gpuE0ELNS1_3repE0EEENS1_30default_config_static_selectorELNS0_4arch9wavefront6targetE1EEEvSS_.num_agpr, 0
	.set _ZN7rocprim17ROCPRIM_400000_NS6detail17trampoline_kernelINS0_14default_configENS1_27lower_bound_config_selectorIN6thrust23THRUST_200600_302600_NS5tupleIiiNS6_9null_typeES8_S8_S8_S8_S8_S8_S8_EEiEEZNS1_14transform_implILb0ES3_SA_NS6_6detail15normal_iteratorINS6_10device_ptrIS9_EEEENSD_INSE_IiEEEEZNS1_13binary_searchIS3_SA_SG_SG_SI_NS1_21lower_bound_search_opENSC_16wrapped_functionINS0_4lessIvEEbEEEE10hipError_tPvRmT1_T2_T3_mmT4_T5_P12ihipStream_tbEUlRKS9_E_EESP_ST_SU_mSV_SY_bEUlT_E_NS1_11comp_targetILNS1_3genE0ELNS1_11target_archE4294967295ELNS1_3gpuE0ELNS1_3repE0EEENS1_30default_config_static_selectorELNS0_4arch9wavefront6targetE1EEEvSS_.numbered_sgpr, 0
	.set _ZN7rocprim17ROCPRIM_400000_NS6detail17trampoline_kernelINS0_14default_configENS1_27lower_bound_config_selectorIN6thrust23THRUST_200600_302600_NS5tupleIiiNS6_9null_typeES8_S8_S8_S8_S8_S8_S8_EEiEEZNS1_14transform_implILb0ES3_SA_NS6_6detail15normal_iteratorINS6_10device_ptrIS9_EEEENSD_INSE_IiEEEEZNS1_13binary_searchIS3_SA_SG_SG_SI_NS1_21lower_bound_search_opENSC_16wrapped_functionINS0_4lessIvEEbEEEE10hipError_tPvRmT1_T2_T3_mmT4_T5_P12ihipStream_tbEUlRKS9_E_EESP_ST_SU_mSV_SY_bEUlT_E_NS1_11comp_targetILNS1_3genE0ELNS1_11target_archE4294967295ELNS1_3gpuE0ELNS1_3repE0EEENS1_30default_config_static_selectorELNS0_4arch9wavefront6targetE1EEEvSS_.num_named_barrier, 0
	.set _ZN7rocprim17ROCPRIM_400000_NS6detail17trampoline_kernelINS0_14default_configENS1_27lower_bound_config_selectorIN6thrust23THRUST_200600_302600_NS5tupleIiiNS6_9null_typeES8_S8_S8_S8_S8_S8_S8_EEiEEZNS1_14transform_implILb0ES3_SA_NS6_6detail15normal_iteratorINS6_10device_ptrIS9_EEEENSD_INSE_IiEEEEZNS1_13binary_searchIS3_SA_SG_SG_SI_NS1_21lower_bound_search_opENSC_16wrapped_functionINS0_4lessIvEEbEEEE10hipError_tPvRmT1_T2_T3_mmT4_T5_P12ihipStream_tbEUlRKS9_E_EESP_ST_SU_mSV_SY_bEUlT_E_NS1_11comp_targetILNS1_3genE0ELNS1_11target_archE4294967295ELNS1_3gpuE0ELNS1_3repE0EEENS1_30default_config_static_selectorELNS0_4arch9wavefront6targetE1EEEvSS_.private_seg_size, 0
	.set _ZN7rocprim17ROCPRIM_400000_NS6detail17trampoline_kernelINS0_14default_configENS1_27lower_bound_config_selectorIN6thrust23THRUST_200600_302600_NS5tupleIiiNS6_9null_typeES8_S8_S8_S8_S8_S8_S8_EEiEEZNS1_14transform_implILb0ES3_SA_NS6_6detail15normal_iteratorINS6_10device_ptrIS9_EEEENSD_INSE_IiEEEEZNS1_13binary_searchIS3_SA_SG_SG_SI_NS1_21lower_bound_search_opENSC_16wrapped_functionINS0_4lessIvEEbEEEE10hipError_tPvRmT1_T2_T3_mmT4_T5_P12ihipStream_tbEUlRKS9_E_EESP_ST_SU_mSV_SY_bEUlT_E_NS1_11comp_targetILNS1_3genE0ELNS1_11target_archE4294967295ELNS1_3gpuE0ELNS1_3repE0EEENS1_30default_config_static_selectorELNS0_4arch9wavefront6targetE1EEEvSS_.uses_vcc, 0
	.set _ZN7rocprim17ROCPRIM_400000_NS6detail17trampoline_kernelINS0_14default_configENS1_27lower_bound_config_selectorIN6thrust23THRUST_200600_302600_NS5tupleIiiNS6_9null_typeES8_S8_S8_S8_S8_S8_S8_EEiEEZNS1_14transform_implILb0ES3_SA_NS6_6detail15normal_iteratorINS6_10device_ptrIS9_EEEENSD_INSE_IiEEEEZNS1_13binary_searchIS3_SA_SG_SG_SI_NS1_21lower_bound_search_opENSC_16wrapped_functionINS0_4lessIvEEbEEEE10hipError_tPvRmT1_T2_T3_mmT4_T5_P12ihipStream_tbEUlRKS9_E_EESP_ST_SU_mSV_SY_bEUlT_E_NS1_11comp_targetILNS1_3genE0ELNS1_11target_archE4294967295ELNS1_3gpuE0ELNS1_3repE0EEENS1_30default_config_static_selectorELNS0_4arch9wavefront6targetE1EEEvSS_.uses_flat_scratch, 0
	.set _ZN7rocprim17ROCPRIM_400000_NS6detail17trampoline_kernelINS0_14default_configENS1_27lower_bound_config_selectorIN6thrust23THRUST_200600_302600_NS5tupleIiiNS6_9null_typeES8_S8_S8_S8_S8_S8_S8_EEiEEZNS1_14transform_implILb0ES3_SA_NS6_6detail15normal_iteratorINS6_10device_ptrIS9_EEEENSD_INSE_IiEEEEZNS1_13binary_searchIS3_SA_SG_SG_SI_NS1_21lower_bound_search_opENSC_16wrapped_functionINS0_4lessIvEEbEEEE10hipError_tPvRmT1_T2_T3_mmT4_T5_P12ihipStream_tbEUlRKS9_E_EESP_ST_SU_mSV_SY_bEUlT_E_NS1_11comp_targetILNS1_3genE0ELNS1_11target_archE4294967295ELNS1_3gpuE0ELNS1_3repE0EEENS1_30default_config_static_selectorELNS0_4arch9wavefront6targetE1EEEvSS_.has_dyn_sized_stack, 0
	.set _ZN7rocprim17ROCPRIM_400000_NS6detail17trampoline_kernelINS0_14default_configENS1_27lower_bound_config_selectorIN6thrust23THRUST_200600_302600_NS5tupleIiiNS6_9null_typeES8_S8_S8_S8_S8_S8_S8_EEiEEZNS1_14transform_implILb0ES3_SA_NS6_6detail15normal_iteratorINS6_10device_ptrIS9_EEEENSD_INSE_IiEEEEZNS1_13binary_searchIS3_SA_SG_SG_SI_NS1_21lower_bound_search_opENSC_16wrapped_functionINS0_4lessIvEEbEEEE10hipError_tPvRmT1_T2_T3_mmT4_T5_P12ihipStream_tbEUlRKS9_E_EESP_ST_SU_mSV_SY_bEUlT_E_NS1_11comp_targetILNS1_3genE0ELNS1_11target_archE4294967295ELNS1_3gpuE0ELNS1_3repE0EEENS1_30default_config_static_selectorELNS0_4arch9wavefront6targetE1EEEvSS_.has_recursion, 0
	.set _ZN7rocprim17ROCPRIM_400000_NS6detail17trampoline_kernelINS0_14default_configENS1_27lower_bound_config_selectorIN6thrust23THRUST_200600_302600_NS5tupleIiiNS6_9null_typeES8_S8_S8_S8_S8_S8_S8_EEiEEZNS1_14transform_implILb0ES3_SA_NS6_6detail15normal_iteratorINS6_10device_ptrIS9_EEEENSD_INSE_IiEEEEZNS1_13binary_searchIS3_SA_SG_SG_SI_NS1_21lower_bound_search_opENSC_16wrapped_functionINS0_4lessIvEEbEEEE10hipError_tPvRmT1_T2_T3_mmT4_T5_P12ihipStream_tbEUlRKS9_E_EESP_ST_SU_mSV_SY_bEUlT_E_NS1_11comp_targetILNS1_3genE0ELNS1_11target_archE4294967295ELNS1_3gpuE0ELNS1_3repE0EEENS1_30default_config_static_selectorELNS0_4arch9wavefront6targetE1EEEvSS_.has_indirect_call, 0
	.section	.AMDGPU.csdata,"",@progbits
; Kernel info:
; codeLenInByte = 0
; TotalNumSgprs: 4
; NumVgprs: 0
; ScratchSize: 0
; MemoryBound: 0
; FloatMode: 240
; IeeeMode: 1
; LDSByteSize: 0 bytes/workgroup (compile time only)
; SGPRBlocks: 0
; VGPRBlocks: 0
; NumSGPRsForWavesPerEU: 4
; NumVGPRsForWavesPerEU: 1
; Occupancy: 10
; WaveLimiterHint : 0
; COMPUTE_PGM_RSRC2:SCRATCH_EN: 0
; COMPUTE_PGM_RSRC2:USER_SGPR: 6
; COMPUTE_PGM_RSRC2:TRAP_HANDLER: 0
; COMPUTE_PGM_RSRC2:TGID_X_EN: 1
; COMPUTE_PGM_RSRC2:TGID_Y_EN: 0
; COMPUTE_PGM_RSRC2:TGID_Z_EN: 0
; COMPUTE_PGM_RSRC2:TIDIG_COMP_CNT: 0
	.section	.text._ZN7rocprim17ROCPRIM_400000_NS6detail17trampoline_kernelINS0_14default_configENS1_27lower_bound_config_selectorIN6thrust23THRUST_200600_302600_NS5tupleIiiNS6_9null_typeES8_S8_S8_S8_S8_S8_S8_EEiEEZNS1_14transform_implILb0ES3_SA_NS6_6detail15normal_iteratorINS6_10device_ptrIS9_EEEENSD_INSE_IiEEEEZNS1_13binary_searchIS3_SA_SG_SG_SI_NS1_21lower_bound_search_opENSC_16wrapped_functionINS0_4lessIvEEbEEEE10hipError_tPvRmT1_T2_T3_mmT4_T5_P12ihipStream_tbEUlRKS9_E_EESP_ST_SU_mSV_SY_bEUlT_E_NS1_11comp_targetILNS1_3genE5ELNS1_11target_archE942ELNS1_3gpuE9ELNS1_3repE0EEENS1_30default_config_static_selectorELNS0_4arch9wavefront6targetE1EEEvSS_,"axG",@progbits,_ZN7rocprim17ROCPRIM_400000_NS6detail17trampoline_kernelINS0_14default_configENS1_27lower_bound_config_selectorIN6thrust23THRUST_200600_302600_NS5tupleIiiNS6_9null_typeES8_S8_S8_S8_S8_S8_S8_EEiEEZNS1_14transform_implILb0ES3_SA_NS6_6detail15normal_iteratorINS6_10device_ptrIS9_EEEENSD_INSE_IiEEEEZNS1_13binary_searchIS3_SA_SG_SG_SI_NS1_21lower_bound_search_opENSC_16wrapped_functionINS0_4lessIvEEbEEEE10hipError_tPvRmT1_T2_T3_mmT4_T5_P12ihipStream_tbEUlRKS9_E_EESP_ST_SU_mSV_SY_bEUlT_E_NS1_11comp_targetILNS1_3genE5ELNS1_11target_archE942ELNS1_3gpuE9ELNS1_3repE0EEENS1_30default_config_static_selectorELNS0_4arch9wavefront6targetE1EEEvSS_,comdat
	.protected	_ZN7rocprim17ROCPRIM_400000_NS6detail17trampoline_kernelINS0_14default_configENS1_27lower_bound_config_selectorIN6thrust23THRUST_200600_302600_NS5tupleIiiNS6_9null_typeES8_S8_S8_S8_S8_S8_S8_EEiEEZNS1_14transform_implILb0ES3_SA_NS6_6detail15normal_iteratorINS6_10device_ptrIS9_EEEENSD_INSE_IiEEEEZNS1_13binary_searchIS3_SA_SG_SG_SI_NS1_21lower_bound_search_opENSC_16wrapped_functionINS0_4lessIvEEbEEEE10hipError_tPvRmT1_T2_T3_mmT4_T5_P12ihipStream_tbEUlRKS9_E_EESP_ST_SU_mSV_SY_bEUlT_E_NS1_11comp_targetILNS1_3genE5ELNS1_11target_archE942ELNS1_3gpuE9ELNS1_3repE0EEENS1_30default_config_static_selectorELNS0_4arch9wavefront6targetE1EEEvSS_ ; -- Begin function _ZN7rocprim17ROCPRIM_400000_NS6detail17trampoline_kernelINS0_14default_configENS1_27lower_bound_config_selectorIN6thrust23THRUST_200600_302600_NS5tupleIiiNS6_9null_typeES8_S8_S8_S8_S8_S8_S8_EEiEEZNS1_14transform_implILb0ES3_SA_NS6_6detail15normal_iteratorINS6_10device_ptrIS9_EEEENSD_INSE_IiEEEEZNS1_13binary_searchIS3_SA_SG_SG_SI_NS1_21lower_bound_search_opENSC_16wrapped_functionINS0_4lessIvEEbEEEE10hipError_tPvRmT1_T2_T3_mmT4_T5_P12ihipStream_tbEUlRKS9_E_EESP_ST_SU_mSV_SY_bEUlT_E_NS1_11comp_targetILNS1_3genE5ELNS1_11target_archE942ELNS1_3gpuE9ELNS1_3repE0EEENS1_30default_config_static_selectorELNS0_4arch9wavefront6targetE1EEEvSS_
	.globl	_ZN7rocprim17ROCPRIM_400000_NS6detail17trampoline_kernelINS0_14default_configENS1_27lower_bound_config_selectorIN6thrust23THRUST_200600_302600_NS5tupleIiiNS6_9null_typeES8_S8_S8_S8_S8_S8_S8_EEiEEZNS1_14transform_implILb0ES3_SA_NS6_6detail15normal_iteratorINS6_10device_ptrIS9_EEEENSD_INSE_IiEEEEZNS1_13binary_searchIS3_SA_SG_SG_SI_NS1_21lower_bound_search_opENSC_16wrapped_functionINS0_4lessIvEEbEEEE10hipError_tPvRmT1_T2_T3_mmT4_T5_P12ihipStream_tbEUlRKS9_E_EESP_ST_SU_mSV_SY_bEUlT_E_NS1_11comp_targetILNS1_3genE5ELNS1_11target_archE942ELNS1_3gpuE9ELNS1_3repE0EEENS1_30default_config_static_selectorELNS0_4arch9wavefront6targetE1EEEvSS_
	.p2align	8
	.type	_ZN7rocprim17ROCPRIM_400000_NS6detail17trampoline_kernelINS0_14default_configENS1_27lower_bound_config_selectorIN6thrust23THRUST_200600_302600_NS5tupleIiiNS6_9null_typeES8_S8_S8_S8_S8_S8_S8_EEiEEZNS1_14transform_implILb0ES3_SA_NS6_6detail15normal_iteratorINS6_10device_ptrIS9_EEEENSD_INSE_IiEEEEZNS1_13binary_searchIS3_SA_SG_SG_SI_NS1_21lower_bound_search_opENSC_16wrapped_functionINS0_4lessIvEEbEEEE10hipError_tPvRmT1_T2_T3_mmT4_T5_P12ihipStream_tbEUlRKS9_E_EESP_ST_SU_mSV_SY_bEUlT_E_NS1_11comp_targetILNS1_3genE5ELNS1_11target_archE942ELNS1_3gpuE9ELNS1_3repE0EEENS1_30default_config_static_selectorELNS0_4arch9wavefront6targetE1EEEvSS_,@function
_ZN7rocprim17ROCPRIM_400000_NS6detail17trampoline_kernelINS0_14default_configENS1_27lower_bound_config_selectorIN6thrust23THRUST_200600_302600_NS5tupleIiiNS6_9null_typeES8_S8_S8_S8_S8_S8_S8_EEiEEZNS1_14transform_implILb0ES3_SA_NS6_6detail15normal_iteratorINS6_10device_ptrIS9_EEEENSD_INSE_IiEEEEZNS1_13binary_searchIS3_SA_SG_SG_SI_NS1_21lower_bound_search_opENSC_16wrapped_functionINS0_4lessIvEEbEEEE10hipError_tPvRmT1_T2_T3_mmT4_T5_P12ihipStream_tbEUlRKS9_E_EESP_ST_SU_mSV_SY_bEUlT_E_NS1_11comp_targetILNS1_3genE5ELNS1_11target_archE942ELNS1_3gpuE9ELNS1_3repE0EEENS1_30default_config_static_selectorELNS0_4arch9wavefront6targetE1EEEvSS_: ; @_ZN7rocprim17ROCPRIM_400000_NS6detail17trampoline_kernelINS0_14default_configENS1_27lower_bound_config_selectorIN6thrust23THRUST_200600_302600_NS5tupleIiiNS6_9null_typeES8_S8_S8_S8_S8_S8_S8_EEiEEZNS1_14transform_implILb0ES3_SA_NS6_6detail15normal_iteratorINS6_10device_ptrIS9_EEEENSD_INSE_IiEEEEZNS1_13binary_searchIS3_SA_SG_SG_SI_NS1_21lower_bound_search_opENSC_16wrapped_functionINS0_4lessIvEEbEEEE10hipError_tPvRmT1_T2_T3_mmT4_T5_P12ihipStream_tbEUlRKS9_E_EESP_ST_SU_mSV_SY_bEUlT_E_NS1_11comp_targetILNS1_3genE5ELNS1_11target_archE942ELNS1_3gpuE9ELNS1_3repE0EEENS1_30default_config_static_selectorELNS0_4arch9wavefront6targetE1EEEvSS_
; %bb.0:
	.section	.rodata,"a",@progbits
	.p2align	6, 0x0
	.amdhsa_kernel _ZN7rocprim17ROCPRIM_400000_NS6detail17trampoline_kernelINS0_14default_configENS1_27lower_bound_config_selectorIN6thrust23THRUST_200600_302600_NS5tupleIiiNS6_9null_typeES8_S8_S8_S8_S8_S8_S8_EEiEEZNS1_14transform_implILb0ES3_SA_NS6_6detail15normal_iteratorINS6_10device_ptrIS9_EEEENSD_INSE_IiEEEEZNS1_13binary_searchIS3_SA_SG_SG_SI_NS1_21lower_bound_search_opENSC_16wrapped_functionINS0_4lessIvEEbEEEE10hipError_tPvRmT1_T2_T3_mmT4_T5_P12ihipStream_tbEUlRKS9_E_EESP_ST_SU_mSV_SY_bEUlT_E_NS1_11comp_targetILNS1_3genE5ELNS1_11target_archE942ELNS1_3gpuE9ELNS1_3repE0EEENS1_30default_config_static_selectorELNS0_4arch9wavefront6targetE1EEEvSS_
		.amdhsa_group_segment_fixed_size 0
		.amdhsa_private_segment_fixed_size 0
		.amdhsa_kernarg_size 56
		.amdhsa_user_sgpr_count 6
		.amdhsa_user_sgpr_private_segment_buffer 1
		.amdhsa_user_sgpr_dispatch_ptr 0
		.amdhsa_user_sgpr_queue_ptr 0
		.amdhsa_user_sgpr_kernarg_segment_ptr 1
		.amdhsa_user_sgpr_dispatch_id 0
		.amdhsa_user_sgpr_flat_scratch_init 0
		.amdhsa_user_sgpr_private_segment_size 0
		.amdhsa_uses_dynamic_stack 0
		.amdhsa_system_sgpr_private_segment_wavefront_offset 0
		.amdhsa_system_sgpr_workgroup_id_x 1
		.amdhsa_system_sgpr_workgroup_id_y 0
		.amdhsa_system_sgpr_workgroup_id_z 0
		.amdhsa_system_sgpr_workgroup_info 0
		.amdhsa_system_vgpr_workitem_id 0
		.amdhsa_next_free_vgpr 1
		.amdhsa_next_free_sgpr 0
		.amdhsa_reserve_vcc 0
		.amdhsa_reserve_flat_scratch 0
		.amdhsa_float_round_mode_32 0
		.amdhsa_float_round_mode_16_64 0
		.amdhsa_float_denorm_mode_32 3
		.amdhsa_float_denorm_mode_16_64 3
		.amdhsa_dx10_clamp 1
		.amdhsa_ieee_mode 1
		.amdhsa_fp16_overflow 0
		.amdhsa_exception_fp_ieee_invalid_op 0
		.amdhsa_exception_fp_denorm_src 0
		.amdhsa_exception_fp_ieee_div_zero 0
		.amdhsa_exception_fp_ieee_overflow 0
		.amdhsa_exception_fp_ieee_underflow 0
		.amdhsa_exception_fp_ieee_inexact 0
		.amdhsa_exception_int_div_zero 0
	.end_amdhsa_kernel
	.section	.text._ZN7rocprim17ROCPRIM_400000_NS6detail17trampoline_kernelINS0_14default_configENS1_27lower_bound_config_selectorIN6thrust23THRUST_200600_302600_NS5tupleIiiNS6_9null_typeES8_S8_S8_S8_S8_S8_S8_EEiEEZNS1_14transform_implILb0ES3_SA_NS6_6detail15normal_iteratorINS6_10device_ptrIS9_EEEENSD_INSE_IiEEEEZNS1_13binary_searchIS3_SA_SG_SG_SI_NS1_21lower_bound_search_opENSC_16wrapped_functionINS0_4lessIvEEbEEEE10hipError_tPvRmT1_T2_T3_mmT4_T5_P12ihipStream_tbEUlRKS9_E_EESP_ST_SU_mSV_SY_bEUlT_E_NS1_11comp_targetILNS1_3genE5ELNS1_11target_archE942ELNS1_3gpuE9ELNS1_3repE0EEENS1_30default_config_static_selectorELNS0_4arch9wavefront6targetE1EEEvSS_,"axG",@progbits,_ZN7rocprim17ROCPRIM_400000_NS6detail17trampoline_kernelINS0_14default_configENS1_27lower_bound_config_selectorIN6thrust23THRUST_200600_302600_NS5tupleIiiNS6_9null_typeES8_S8_S8_S8_S8_S8_S8_EEiEEZNS1_14transform_implILb0ES3_SA_NS6_6detail15normal_iteratorINS6_10device_ptrIS9_EEEENSD_INSE_IiEEEEZNS1_13binary_searchIS3_SA_SG_SG_SI_NS1_21lower_bound_search_opENSC_16wrapped_functionINS0_4lessIvEEbEEEE10hipError_tPvRmT1_T2_T3_mmT4_T5_P12ihipStream_tbEUlRKS9_E_EESP_ST_SU_mSV_SY_bEUlT_E_NS1_11comp_targetILNS1_3genE5ELNS1_11target_archE942ELNS1_3gpuE9ELNS1_3repE0EEENS1_30default_config_static_selectorELNS0_4arch9wavefront6targetE1EEEvSS_,comdat
.Lfunc_end490:
	.size	_ZN7rocprim17ROCPRIM_400000_NS6detail17trampoline_kernelINS0_14default_configENS1_27lower_bound_config_selectorIN6thrust23THRUST_200600_302600_NS5tupleIiiNS6_9null_typeES8_S8_S8_S8_S8_S8_S8_EEiEEZNS1_14transform_implILb0ES3_SA_NS6_6detail15normal_iteratorINS6_10device_ptrIS9_EEEENSD_INSE_IiEEEEZNS1_13binary_searchIS3_SA_SG_SG_SI_NS1_21lower_bound_search_opENSC_16wrapped_functionINS0_4lessIvEEbEEEE10hipError_tPvRmT1_T2_T3_mmT4_T5_P12ihipStream_tbEUlRKS9_E_EESP_ST_SU_mSV_SY_bEUlT_E_NS1_11comp_targetILNS1_3genE5ELNS1_11target_archE942ELNS1_3gpuE9ELNS1_3repE0EEENS1_30default_config_static_selectorELNS0_4arch9wavefront6targetE1EEEvSS_, .Lfunc_end490-_ZN7rocprim17ROCPRIM_400000_NS6detail17trampoline_kernelINS0_14default_configENS1_27lower_bound_config_selectorIN6thrust23THRUST_200600_302600_NS5tupleIiiNS6_9null_typeES8_S8_S8_S8_S8_S8_S8_EEiEEZNS1_14transform_implILb0ES3_SA_NS6_6detail15normal_iteratorINS6_10device_ptrIS9_EEEENSD_INSE_IiEEEEZNS1_13binary_searchIS3_SA_SG_SG_SI_NS1_21lower_bound_search_opENSC_16wrapped_functionINS0_4lessIvEEbEEEE10hipError_tPvRmT1_T2_T3_mmT4_T5_P12ihipStream_tbEUlRKS9_E_EESP_ST_SU_mSV_SY_bEUlT_E_NS1_11comp_targetILNS1_3genE5ELNS1_11target_archE942ELNS1_3gpuE9ELNS1_3repE0EEENS1_30default_config_static_selectorELNS0_4arch9wavefront6targetE1EEEvSS_
                                        ; -- End function
	.set _ZN7rocprim17ROCPRIM_400000_NS6detail17trampoline_kernelINS0_14default_configENS1_27lower_bound_config_selectorIN6thrust23THRUST_200600_302600_NS5tupleIiiNS6_9null_typeES8_S8_S8_S8_S8_S8_S8_EEiEEZNS1_14transform_implILb0ES3_SA_NS6_6detail15normal_iteratorINS6_10device_ptrIS9_EEEENSD_INSE_IiEEEEZNS1_13binary_searchIS3_SA_SG_SG_SI_NS1_21lower_bound_search_opENSC_16wrapped_functionINS0_4lessIvEEbEEEE10hipError_tPvRmT1_T2_T3_mmT4_T5_P12ihipStream_tbEUlRKS9_E_EESP_ST_SU_mSV_SY_bEUlT_E_NS1_11comp_targetILNS1_3genE5ELNS1_11target_archE942ELNS1_3gpuE9ELNS1_3repE0EEENS1_30default_config_static_selectorELNS0_4arch9wavefront6targetE1EEEvSS_.num_vgpr, 0
	.set _ZN7rocprim17ROCPRIM_400000_NS6detail17trampoline_kernelINS0_14default_configENS1_27lower_bound_config_selectorIN6thrust23THRUST_200600_302600_NS5tupleIiiNS6_9null_typeES8_S8_S8_S8_S8_S8_S8_EEiEEZNS1_14transform_implILb0ES3_SA_NS6_6detail15normal_iteratorINS6_10device_ptrIS9_EEEENSD_INSE_IiEEEEZNS1_13binary_searchIS3_SA_SG_SG_SI_NS1_21lower_bound_search_opENSC_16wrapped_functionINS0_4lessIvEEbEEEE10hipError_tPvRmT1_T2_T3_mmT4_T5_P12ihipStream_tbEUlRKS9_E_EESP_ST_SU_mSV_SY_bEUlT_E_NS1_11comp_targetILNS1_3genE5ELNS1_11target_archE942ELNS1_3gpuE9ELNS1_3repE0EEENS1_30default_config_static_selectorELNS0_4arch9wavefront6targetE1EEEvSS_.num_agpr, 0
	.set _ZN7rocprim17ROCPRIM_400000_NS6detail17trampoline_kernelINS0_14default_configENS1_27lower_bound_config_selectorIN6thrust23THRUST_200600_302600_NS5tupleIiiNS6_9null_typeES8_S8_S8_S8_S8_S8_S8_EEiEEZNS1_14transform_implILb0ES3_SA_NS6_6detail15normal_iteratorINS6_10device_ptrIS9_EEEENSD_INSE_IiEEEEZNS1_13binary_searchIS3_SA_SG_SG_SI_NS1_21lower_bound_search_opENSC_16wrapped_functionINS0_4lessIvEEbEEEE10hipError_tPvRmT1_T2_T3_mmT4_T5_P12ihipStream_tbEUlRKS9_E_EESP_ST_SU_mSV_SY_bEUlT_E_NS1_11comp_targetILNS1_3genE5ELNS1_11target_archE942ELNS1_3gpuE9ELNS1_3repE0EEENS1_30default_config_static_selectorELNS0_4arch9wavefront6targetE1EEEvSS_.numbered_sgpr, 0
	.set _ZN7rocprim17ROCPRIM_400000_NS6detail17trampoline_kernelINS0_14default_configENS1_27lower_bound_config_selectorIN6thrust23THRUST_200600_302600_NS5tupleIiiNS6_9null_typeES8_S8_S8_S8_S8_S8_S8_EEiEEZNS1_14transform_implILb0ES3_SA_NS6_6detail15normal_iteratorINS6_10device_ptrIS9_EEEENSD_INSE_IiEEEEZNS1_13binary_searchIS3_SA_SG_SG_SI_NS1_21lower_bound_search_opENSC_16wrapped_functionINS0_4lessIvEEbEEEE10hipError_tPvRmT1_T2_T3_mmT4_T5_P12ihipStream_tbEUlRKS9_E_EESP_ST_SU_mSV_SY_bEUlT_E_NS1_11comp_targetILNS1_3genE5ELNS1_11target_archE942ELNS1_3gpuE9ELNS1_3repE0EEENS1_30default_config_static_selectorELNS0_4arch9wavefront6targetE1EEEvSS_.num_named_barrier, 0
	.set _ZN7rocprim17ROCPRIM_400000_NS6detail17trampoline_kernelINS0_14default_configENS1_27lower_bound_config_selectorIN6thrust23THRUST_200600_302600_NS5tupleIiiNS6_9null_typeES8_S8_S8_S8_S8_S8_S8_EEiEEZNS1_14transform_implILb0ES3_SA_NS6_6detail15normal_iteratorINS6_10device_ptrIS9_EEEENSD_INSE_IiEEEEZNS1_13binary_searchIS3_SA_SG_SG_SI_NS1_21lower_bound_search_opENSC_16wrapped_functionINS0_4lessIvEEbEEEE10hipError_tPvRmT1_T2_T3_mmT4_T5_P12ihipStream_tbEUlRKS9_E_EESP_ST_SU_mSV_SY_bEUlT_E_NS1_11comp_targetILNS1_3genE5ELNS1_11target_archE942ELNS1_3gpuE9ELNS1_3repE0EEENS1_30default_config_static_selectorELNS0_4arch9wavefront6targetE1EEEvSS_.private_seg_size, 0
	.set _ZN7rocprim17ROCPRIM_400000_NS6detail17trampoline_kernelINS0_14default_configENS1_27lower_bound_config_selectorIN6thrust23THRUST_200600_302600_NS5tupleIiiNS6_9null_typeES8_S8_S8_S8_S8_S8_S8_EEiEEZNS1_14transform_implILb0ES3_SA_NS6_6detail15normal_iteratorINS6_10device_ptrIS9_EEEENSD_INSE_IiEEEEZNS1_13binary_searchIS3_SA_SG_SG_SI_NS1_21lower_bound_search_opENSC_16wrapped_functionINS0_4lessIvEEbEEEE10hipError_tPvRmT1_T2_T3_mmT4_T5_P12ihipStream_tbEUlRKS9_E_EESP_ST_SU_mSV_SY_bEUlT_E_NS1_11comp_targetILNS1_3genE5ELNS1_11target_archE942ELNS1_3gpuE9ELNS1_3repE0EEENS1_30default_config_static_selectorELNS0_4arch9wavefront6targetE1EEEvSS_.uses_vcc, 0
	.set _ZN7rocprim17ROCPRIM_400000_NS6detail17trampoline_kernelINS0_14default_configENS1_27lower_bound_config_selectorIN6thrust23THRUST_200600_302600_NS5tupleIiiNS6_9null_typeES8_S8_S8_S8_S8_S8_S8_EEiEEZNS1_14transform_implILb0ES3_SA_NS6_6detail15normal_iteratorINS6_10device_ptrIS9_EEEENSD_INSE_IiEEEEZNS1_13binary_searchIS3_SA_SG_SG_SI_NS1_21lower_bound_search_opENSC_16wrapped_functionINS0_4lessIvEEbEEEE10hipError_tPvRmT1_T2_T3_mmT4_T5_P12ihipStream_tbEUlRKS9_E_EESP_ST_SU_mSV_SY_bEUlT_E_NS1_11comp_targetILNS1_3genE5ELNS1_11target_archE942ELNS1_3gpuE9ELNS1_3repE0EEENS1_30default_config_static_selectorELNS0_4arch9wavefront6targetE1EEEvSS_.uses_flat_scratch, 0
	.set _ZN7rocprim17ROCPRIM_400000_NS6detail17trampoline_kernelINS0_14default_configENS1_27lower_bound_config_selectorIN6thrust23THRUST_200600_302600_NS5tupleIiiNS6_9null_typeES8_S8_S8_S8_S8_S8_S8_EEiEEZNS1_14transform_implILb0ES3_SA_NS6_6detail15normal_iteratorINS6_10device_ptrIS9_EEEENSD_INSE_IiEEEEZNS1_13binary_searchIS3_SA_SG_SG_SI_NS1_21lower_bound_search_opENSC_16wrapped_functionINS0_4lessIvEEbEEEE10hipError_tPvRmT1_T2_T3_mmT4_T5_P12ihipStream_tbEUlRKS9_E_EESP_ST_SU_mSV_SY_bEUlT_E_NS1_11comp_targetILNS1_3genE5ELNS1_11target_archE942ELNS1_3gpuE9ELNS1_3repE0EEENS1_30default_config_static_selectorELNS0_4arch9wavefront6targetE1EEEvSS_.has_dyn_sized_stack, 0
	.set _ZN7rocprim17ROCPRIM_400000_NS6detail17trampoline_kernelINS0_14default_configENS1_27lower_bound_config_selectorIN6thrust23THRUST_200600_302600_NS5tupleIiiNS6_9null_typeES8_S8_S8_S8_S8_S8_S8_EEiEEZNS1_14transform_implILb0ES3_SA_NS6_6detail15normal_iteratorINS6_10device_ptrIS9_EEEENSD_INSE_IiEEEEZNS1_13binary_searchIS3_SA_SG_SG_SI_NS1_21lower_bound_search_opENSC_16wrapped_functionINS0_4lessIvEEbEEEE10hipError_tPvRmT1_T2_T3_mmT4_T5_P12ihipStream_tbEUlRKS9_E_EESP_ST_SU_mSV_SY_bEUlT_E_NS1_11comp_targetILNS1_3genE5ELNS1_11target_archE942ELNS1_3gpuE9ELNS1_3repE0EEENS1_30default_config_static_selectorELNS0_4arch9wavefront6targetE1EEEvSS_.has_recursion, 0
	.set _ZN7rocprim17ROCPRIM_400000_NS6detail17trampoline_kernelINS0_14default_configENS1_27lower_bound_config_selectorIN6thrust23THRUST_200600_302600_NS5tupleIiiNS6_9null_typeES8_S8_S8_S8_S8_S8_S8_EEiEEZNS1_14transform_implILb0ES3_SA_NS6_6detail15normal_iteratorINS6_10device_ptrIS9_EEEENSD_INSE_IiEEEEZNS1_13binary_searchIS3_SA_SG_SG_SI_NS1_21lower_bound_search_opENSC_16wrapped_functionINS0_4lessIvEEbEEEE10hipError_tPvRmT1_T2_T3_mmT4_T5_P12ihipStream_tbEUlRKS9_E_EESP_ST_SU_mSV_SY_bEUlT_E_NS1_11comp_targetILNS1_3genE5ELNS1_11target_archE942ELNS1_3gpuE9ELNS1_3repE0EEENS1_30default_config_static_selectorELNS0_4arch9wavefront6targetE1EEEvSS_.has_indirect_call, 0
	.section	.AMDGPU.csdata,"",@progbits
; Kernel info:
; codeLenInByte = 0
; TotalNumSgprs: 4
; NumVgprs: 0
; ScratchSize: 0
; MemoryBound: 0
; FloatMode: 240
; IeeeMode: 1
; LDSByteSize: 0 bytes/workgroup (compile time only)
; SGPRBlocks: 0
; VGPRBlocks: 0
; NumSGPRsForWavesPerEU: 4
; NumVGPRsForWavesPerEU: 1
; Occupancy: 10
; WaveLimiterHint : 0
; COMPUTE_PGM_RSRC2:SCRATCH_EN: 0
; COMPUTE_PGM_RSRC2:USER_SGPR: 6
; COMPUTE_PGM_RSRC2:TRAP_HANDLER: 0
; COMPUTE_PGM_RSRC2:TGID_X_EN: 1
; COMPUTE_PGM_RSRC2:TGID_Y_EN: 0
; COMPUTE_PGM_RSRC2:TGID_Z_EN: 0
; COMPUTE_PGM_RSRC2:TIDIG_COMP_CNT: 0
	.section	.text._ZN7rocprim17ROCPRIM_400000_NS6detail17trampoline_kernelINS0_14default_configENS1_27lower_bound_config_selectorIN6thrust23THRUST_200600_302600_NS5tupleIiiNS6_9null_typeES8_S8_S8_S8_S8_S8_S8_EEiEEZNS1_14transform_implILb0ES3_SA_NS6_6detail15normal_iteratorINS6_10device_ptrIS9_EEEENSD_INSE_IiEEEEZNS1_13binary_searchIS3_SA_SG_SG_SI_NS1_21lower_bound_search_opENSC_16wrapped_functionINS0_4lessIvEEbEEEE10hipError_tPvRmT1_T2_T3_mmT4_T5_P12ihipStream_tbEUlRKS9_E_EESP_ST_SU_mSV_SY_bEUlT_E_NS1_11comp_targetILNS1_3genE4ELNS1_11target_archE910ELNS1_3gpuE8ELNS1_3repE0EEENS1_30default_config_static_selectorELNS0_4arch9wavefront6targetE1EEEvSS_,"axG",@progbits,_ZN7rocprim17ROCPRIM_400000_NS6detail17trampoline_kernelINS0_14default_configENS1_27lower_bound_config_selectorIN6thrust23THRUST_200600_302600_NS5tupleIiiNS6_9null_typeES8_S8_S8_S8_S8_S8_S8_EEiEEZNS1_14transform_implILb0ES3_SA_NS6_6detail15normal_iteratorINS6_10device_ptrIS9_EEEENSD_INSE_IiEEEEZNS1_13binary_searchIS3_SA_SG_SG_SI_NS1_21lower_bound_search_opENSC_16wrapped_functionINS0_4lessIvEEbEEEE10hipError_tPvRmT1_T2_T3_mmT4_T5_P12ihipStream_tbEUlRKS9_E_EESP_ST_SU_mSV_SY_bEUlT_E_NS1_11comp_targetILNS1_3genE4ELNS1_11target_archE910ELNS1_3gpuE8ELNS1_3repE0EEENS1_30default_config_static_selectorELNS0_4arch9wavefront6targetE1EEEvSS_,comdat
	.protected	_ZN7rocprim17ROCPRIM_400000_NS6detail17trampoline_kernelINS0_14default_configENS1_27lower_bound_config_selectorIN6thrust23THRUST_200600_302600_NS5tupleIiiNS6_9null_typeES8_S8_S8_S8_S8_S8_S8_EEiEEZNS1_14transform_implILb0ES3_SA_NS6_6detail15normal_iteratorINS6_10device_ptrIS9_EEEENSD_INSE_IiEEEEZNS1_13binary_searchIS3_SA_SG_SG_SI_NS1_21lower_bound_search_opENSC_16wrapped_functionINS0_4lessIvEEbEEEE10hipError_tPvRmT1_T2_T3_mmT4_T5_P12ihipStream_tbEUlRKS9_E_EESP_ST_SU_mSV_SY_bEUlT_E_NS1_11comp_targetILNS1_3genE4ELNS1_11target_archE910ELNS1_3gpuE8ELNS1_3repE0EEENS1_30default_config_static_selectorELNS0_4arch9wavefront6targetE1EEEvSS_ ; -- Begin function _ZN7rocprim17ROCPRIM_400000_NS6detail17trampoline_kernelINS0_14default_configENS1_27lower_bound_config_selectorIN6thrust23THRUST_200600_302600_NS5tupleIiiNS6_9null_typeES8_S8_S8_S8_S8_S8_S8_EEiEEZNS1_14transform_implILb0ES3_SA_NS6_6detail15normal_iteratorINS6_10device_ptrIS9_EEEENSD_INSE_IiEEEEZNS1_13binary_searchIS3_SA_SG_SG_SI_NS1_21lower_bound_search_opENSC_16wrapped_functionINS0_4lessIvEEbEEEE10hipError_tPvRmT1_T2_T3_mmT4_T5_P12ihipStream_tbEUlRKS9_E_EESP_ST_SU_mSV_SY_bEUlT_E_NS1_11comp_targetILNS1_3genE4ELNS1_11target_archE910ELNS1_3gpuE8ELNS1_3repE0EEENS1_30default_config_static_selectorELNS0_4arch9wavefront6targetE1EEEvSS_
	.globl	_ZN7rocprim17ROCPRIM_400000_NS6detail17trampoline_kernelINS0_14default_configENS1_27lower_bound_config_selectorIN6thrust23THRUST_200600_302600_NS5tupleIiiNS6_9null_typeES8_S8_S8_S8_S8_S8_S8_EEiEEZNS1_14transform_implILb0ES3_SA_NS6_6detail15normal_iteratorINS6_10device_ptrIS9_EEEENSD_INSE_IiEEEEZNS1_13binary_searchIS3_SA_SG_SG_SI_NS1_21lower_bound_search_opENSC_16wrapped_functionINS0_4lessIvEEbEEEE10hipError_tPvRmT1_T2_T3_mmT4_T5_P12ihipStream_tbEUlRKS9_E_EESP_ST_SU_mSV_SY_bEUlT_E_NS1_11comp_targetILNS1_3genE4ELNS1_11target_archE910ELNS1_3gpuE8ELNS1_3repE0EEENS1_30default_config_static_selectorELNS0_4arch9wavefront6targetE1EEEvSS_
	.p2align	8
	.type	_ZN7rocprim17ROCPRIM_400000_NS6detail17trampoline_kernelINS0_14default_configENS1_27lower_bound_config_selectorIN6thrust23THRUST_200600_302600_NS5tupleIiiNS6_9null_typeES8_S8_S8_S8_S8_S8_S8_EEiEEZNS1_14transform_implILb0ES3_SA_NS6_6detail15normal_iteratorINS6_10device_ptrIS9_EEEENSD_INSE_IiEEEEZNS1_13binary_searchIS3_SA_SG_SG_SI_NS1_21lower_bound_search_opENSC_16wrapped_functionINS0_4lessIvEEbEEEE10hipError_tPvRmT1_T2_T3_mmT4_T5_P12ihipStream_tbEUlRKS9_E_EESP_ST_SU_mSV_SY_bEUlT_E_NS1_11comp_targetILNS1_3genE4ELNS1_11target_archE910ELNS1_3gpuE8ELNS1_3repE0EEENS1_30default_config_static_selectorELNS0_4arch9wavefront6targetE1EEEvSS_,@function
_ZN7rocprim17ROCPRIM_400000_NS6detail17trampoline_kernelINS0_14default_configENS1_27lower_bound_config_selectorIN6thrust23THRUST_200600_302600_NS5tupleIiiNS6_9null_typeES8_S8_S8_S8_S8_S8_S8_EEiEEZNS1_14transform_implILb0ES3_SA_NS6_6detail15normal_iteratorINS6_10device_ptrIS9_EEEENSD_INSE_IiEEEEZNS1_13binary_searchIS3_SA_SG_SG_SI_NS1_21lower_bound_search_opENSC_16wrapped_functionINS0_4lessIvEEbEEEE10hipError_tPvRmT1_T2_T3_mmT4_T5_P12ihipStream_tbEUlRKS9_E_EESP_ST_SU_mSV_SY_bEUlT_E_NS1_11comp_targetILNS1_3genE4ELNS1_11target_archE910ELNS1_3gpuE8ELNS1_3repE0EEENS1_30default_config_static_selectorELNS0_4arch9wavefront6targetE1EEEvSS_: ; @_ZN7rocprim17ROCPRIM_400000_NS6detail17trampoline_kernelINS0_14default_configENS1_27lower_bound_config_selectorIN6thrust23THRUST_200600_302600_NS5tupleIiiNS6_9null_typeES8_S8_S8_S8_S8_S8_S8_EEiEEZNS1_14transform_implILb0ES3_SA_NS6_6detail15normal_iteratorINS6_10device_ptrIS9_EEEENSD_INSE_IiEEEEZNS1_13binary_searchIS3_SA_SG_SG_SI_NS1_21lower_bound_search_opENSC_16wrapped_functionINS0_4lessIvEEbEEEE10hipError_tPvRmT1_T2_T3_mmT4_T5_P12ihipStream_tbEUlRKS9_E_EESP_ST_SU_mSV_SY_bEUlT_E_NS1_11comp_targetILNS1_3genE4ELNS1_11target_archE910ELNS1_3gpuE8ELNS1_3repE0EEENS1_30default_config_static_selectorELNS0_4arch9wavefront6targetE1EEEvSS_
; %bb.0:
	.section	.rodata,"a",@progbits
	.p2align	6, 0x0
	.amdhsa_kernel _ZN7rocprim17ROCPRIM_400000_NS6detail17trampoline_kernelINS0_14default_configENS1_27lower_bound_config_selectorIN6thrust23THRUST_200600_302600_NS5tupleIiiNS6_9null_typeES8_S8_S8_S8_S8_S8_S8_EEiEEZNS1_14transform_implILb0ES3_SA_NS6_6detail15normal_iteratorINS6_10device_ptrIS9_EEEENSD_INSE_IiEEEEZNS1_13binary_searchIS3_SA_SG_SG_SI_NS1_21lower_bound_search_opENSC_16wrapped_functionINS0_4lessIvEEbEEEE10hipError_tPvRmT1_T2_T3_mmT4_T5_P12ihipStream_tbEUlRKS9_E_EESP_ST_SU_mSV_SY_bEUlT_E_NS1_11comp_targetILNS1_3genE4ELNS1_11target_archE910ELNS1_3gpuE8ELNS1_3repE0EEENS1_30default_config_static_selectorELNS0_4arch9wavefront6targetE1EEEvSS_
		.amdhsa_group_segment_fixed_size 0
		.amdhsa_private_segment_fixed_size 0
		.amdhsa_kernarg_size 56
		.amdhsa_user_sgpr_count 6
		.amdhsa_user_sgpr_private_segment_buffer 1
		.amdhsa_user_sgpr_dispatch_ptr 0
		.amdhsa_user_sgpr_queue_ptr 0
		.amdhsa_user_sgpr_kernarg_segment_ptr 1
		.amdhsa_user_sgpr_dispatch_id 0
		.amdhsa_user_sgpr_flat_scratch_init 0
		.amdhsa_user_sgpr_private_segment_size 0
		.amdhsa_uses_dynamic_stack 0
		.amdhsa_system_sgpr_private_segment_wavefront_offset 0
		.amdhsa_system_sgpr_workgroup_id_x 1
		.amdhsa_system_sgpr_workgroup_id_y 0
		.amdhsa_system_sgpr_workgroup_id_z 0
		.amdhsa_system_sgpr_workgroup_info 0
		.amdhsa_system_vgpr_workitem_id 0
		.amdhsa_next_free_vgpr 1
		.amdhsa_next_free_sgpr 0
		.amdhsa_reserve_vcc 0
		.amdhsa_reserve_flat_scratch 0
		.amdhsa_float_round_mode_32 0
		.amdhsa_float_round_mode_16_64 0
		.amdhsa_float_denorm_mode_32 3
		.amdhsa_float_denorm_mode_16_64 3
		.amdhsa_dx10_clamp 1
		.amdhsa_ieee_mode 1
		.amdhsa_fp16_overflow 0
		.amdhsa_exception_fp_ieee_invalid_op 0
		.amdhsa_exception_fp_denorm_src 0
		.amdhsa_exception_fp_ieee_div_zero 0
		.amdhsa_exception_fp_ieee_overflow 0
		.amdhsa_exception_fp_ieee_underflow 0
		.amdhsa_exception_fp_ieee_inexact 0
		.amdhsa_exception_int_div_zero 0
	.end_amdhsa_kernel
	.section	.text._ZN7rocprim17ROCPRIM_400000_NS6detail17trampoline_kernelINS0_14default_configENS1_27lower_bound_config_selectorIN6thrust23THRUST_200600_302600_NS5tupleIiiNS6_9null_typeES8_S8_S8_S8_S8_S8_S8_EEiEEZNS1_14transform_implILb0ES3_SA_NS6_6detail15normal_iteratorINS6_10device_ptrIS9_EEEENSD_INSE_IiEEEEZNS1_13binary_searchIS3_SA_SG_SG_SI_NS1_21lower_bound_search_opENSC_16wrapped_functionINS0_4lessIvEEbEEEE10hipError_tPvRmT1_T2_T3_mmT4_T5_P12ihipStream_tbEUlRKS9_E_EESP_ST_SU_mSV_SY_bEUlT_E_NS1_11comp_targetILNS1_3genE4ELNS1_11target_archE910ELNS1_3gpuE8ELNS1_3repE0EEENS1_30default_config_static_selectorELNS0_4arch9wavefront6targetE1EEEvSS_,"axG",@progbits,_ZN7rocprim17ROCPRIM_400000_NS6detail17trampoline_kernelINS0_14default_configENS1_27lower_bound_config_selectorIN6thrust23THRUST_200600_302600_NS5tupleIiiNS6_9null_typeES8_S8_S8_S8_S8_S8_S8_EEiEEZNS1_14transform_implILb0ES3_SA_NS6_6detail15normal_iteratorINS6_10device_ptrIS9_EEEENSD_INSE_IiEEEEZNS1_13binary_searchIS3_SA_SG_SG_SI_NS1_21lower_bound_search_opENSC_16wrapped_functionINS0_4lessIvEEbEEEE10hipError_tPvRmT1_T2_T3_mmT4_T5_P12ihipStream_tbEUlRKS9_E_EESP_ST_SU_mSV_SY_bEUlT_E_NS1_11comp_targetILNS1_3genE4ELNS1_11target_archE910ELNS1_3gpuE8ELNS1_3repE0EEENS1_30default_config_static_selectorELNS0_4arch9wavefront6targetE1EEEvSS_,comdat
.Lfunc_end491:
	.size	_ZN7rocprim17ROCPRIM_400000_NS6detail17trampoline_kernelINS0_14default_configENS1_27lower_bound_config_selectorIN6thrust23THRUST_200600_302600_NS5tupleIiiNS6_9null_typeES8_S8_S8_S8_S8_S8_S8_EEiEEZNS1_14transform_implILb0ES3_SA_NS6_6detail15normal_iteratorINS6_10device_ptrIS9_EEEENSD_INSE_IiEEEEZNS1_13binary_searchIS3_SA_SG_SG_SI_NS1_21lower_bound_search_opENSC_16wrapped_functionINS0_4lessIvEEbEEEE10hipError_tPvRmT1_T2_T3_mmT4_T5_P12ihipStream_tbEUlRKS9_E_EESP_ST_SU_mSV_SY_bEUlT_E_NS1_11comp_targetILNS1_3genE4ELNS1_11target_archE910ELNS1_3gpuE8ELNS1_3repE0EEENS1_30default_config_static_selectorELNS0_4arch9wavefront6targetE1EEEvSS_, .Lfunc_end491-_ZN7rocprim17ROCPRIM_400000_NS6detail17trampoline_kernelINS0_14default_configENS1_27lower_bound_config_selectorIN6thrust23THRUST_200600_302600_NS5tupleIiiNS6_9null_typeES8_S8_S8_S8_S8_S8_S8_EEiEEZNS1_14transform_implILb0ES3_SA_NS6_6detail15normal_iteratorINS6_10device_ptrIS9_EEEENSD_INSE_IiEEEEZNS1_13binary_searchIS3_SA_SG_SG_SI_NS1_21lower_bound_search_opENSC_16wrapped_functionINS0_4lessIvEEbEEEE10hipError_tPvRmT1_T2_T3_mmT4_T5_P12ihipStream_tbEUlRKS9_E_EESP_ST_SU_mSV_SY_bEUlT_E_NS1_11comp_targetILNS1_3genE4ELNS1_11target_archE910ELNS1_3gpuE8ELNS1_3repE0EEENS1_30default_config_static_selectorELNS0_4arch9wavefront6targetE1EEEvSS_
                                        ; -- End function
	.set _ZN7rocprim17ROCPRIM_400000_NS6detail17trampoline_kernelINS0_14default_configENS1_27lower_bound_config_selectorIN6thrust23THRUST_200600_302600_NS5tupleIiiNS6_9null_typeES8_S8_S8_S8_S8_S8_S8_EEiEEZNS1_14transform_implILb0ES3_SA_NS6_6detail15normal_iteratorINS6_10device_ptrIS9_EEEENSD_INSE_IiEEEEZNS1_13binary_searchIS3_SA_SG_SG_SI_NS1_21lower_bound_search_opENSC_16wrapped_functionINS0_4lessIvEEbEEEE10hipError_tPvRmT1_T2_T3_mmT4_T5_P12ihipStream_tbEUlRKS9_E_EESP_ST_SU_mSV_SY_bEUlT_E_NS1_11comp_targetILNS1_3genE4ELNS1_11target_archE910ELNS1_3gpuE8ELNS1_3repE0EEENS1_30default_config_static_selectorELNS0_4arch9wavefront6targetE1EEEvSS_.num_vgpr, 0
	.set _ZN7rocprim17ROCPRIM_400000_NS6detail17trampoline_kernelINS0_14default_configENS1_27lower_bound_config_selectorIN6thrust23THRUST_200600_302600_NS5tupleIiiNS6_9null_typeES8_S8_S8_S8_S8_S8_S8_EEiEEZNS1_14transform_implILb0ES3_SA_NS6_6detail15normal_iteratorINS6_10device_ptrIS9_EEEENSD_INSE_IiEEEEZNS1_13binary_searchIS3_SA_SG_SG_SI_NS1_21lower_bound_search_opENSC_16wrapped_functionINS0_4lessIvEEbEEEE10hipError_tPvRmT1_T2_T3_mmT4_T5_P12ihipStream_tbEUlRKS9_E_EESP_ST_SU_mSV_SY_bEUlT_E_NS1_11comp_targetILNS1_3genE4ELNS1_11target_archE910ELNS1_3gpuE8ELNS1_3repE0EEENS1_30default_config_static_selectorELNS0_4arch9wavefront6targetE1EEEvSS_.num_agpr, 0
	.set _ZN7rocprim17ROCPRIM_400000_NS6detail17trampoline_kernelINS0_14default_configENS1_27lower_bound_config_selectorIN6thrust23THRUST_200600_302600_NS5tupleIiiNS6_9null_typeES8_S8_S8_S8_S8_S8_S8_EEiEEZNS1_14transform_implILb0ES3_SA_NS6_6detail15normal_iteratorINS6_10device_ptrIS9_EEEENSD_INSE_IiEEEEZNS1_13binary_searchIS3_SA_SG_SG_SI_NS1_21lower_bound_search_opENSC_16wrapped_functionINS0_4lessIvEEbEEEE10hipError_tPvRmT1_T2_T3_mmT4_T5_P12ihipStream_tbEUlRKS9_E_EESP_ST_SU_mSV_SY_bEUlT_E_NS1_11comp_targetILNS1_3genE4ELNS1_11target_archE910ELNS1_3gpuE8ELNS1_3repE0EEENS1_30default_config_static_selectorELNS0_4arch9wavefront6targetE1EEEvSS_.numbered_sgpr, 0
	.set _ZN7rocprim17ROCPRIM_400000_NS6detail17trampoline_kernelINS0_14default_configENS1_27lower_bound_config_selectorIN6thrust23THRUST_200600_302600_NS5tupleIiiNS6_9null_typeES8_S8_S8_S8_S8_S8_S8_EEiEEZNS1_14transform_implILb0ES3_SA_NS6_6detail15normal_iteratorINS6_10device_ptrIS9_EEEENSD_INSE_IiEEEEZNS1_13binary_searchIS3_SA_SG_SG_SI_NS1_21lower_bound_search_opENSC_16wrapped_functionINS0_4lessIvEEbEEEE10hipError_tPvRmT1_T2_T3_mmT4_T5_P12ihipStream_tbEUlRKS9_E_EESP_ST_SU_mSV_SY_bEUlT_E_NS1_11comp_targetILNS1_3genE4ELNS1_11target_archE910ELNS1_3gpuE8ELNS1_3repE0EEENS1_30default_config_static_selectorELNS0_4arch9wavefront6targetE1EEEvSS_.num_named_barrier, 0
	.set _ZN7rocprim17ROCPRIM_400000_NS6detail17trampoline_kernelINS0_14default_configENS1_27lower_bound_config_selectorIN6thrust23THRUST_200600_302600_NS5tupleIiiNS6_9null_typeES8_S8_S8_S8_S8_S8_S8_EEiEEZNS1_14transform_implILb0ES3_SA_NS6_6detail15normal_iteratorINS6_10device_ptrIS9_EEEENSD_INSE_IiEEEEZNS1_13binary_searchIS3_SA_SG_SG_SI_NS1_21lower_bound_search_opENSC_16wrapped_functionINS0_4lessIvEEbEEEE10hipError_tPvRmT1_T2_T3_mmT4_T5_P12ihipStream_tbEUlRKS9_E_EESP_ST_SU_mSV_SY_bEUlT_E_NS1_11comp_targetILNS1_3genE4ELNS1_11target_archE910ELNS1_3gpuE8ELNS1_3repE0EEENS1_30default_config_static_selectorELNS0_4arch9wavefront6targetE1EEEvSS_.private_seg_size, 0
	.set _ZN7rocprim17ROCPRIM_400000_NS6detail17trampoline_kernelINS0_14default_configENS1_27lower_bound_config_selectorIN6thrust23THRUST_200600_302600_NS5tupleIiiNS6_9null_typeES8_S8_S8_S8_S8_S8_S8_EEiEEZNS1_14transform_implILb0ES3_SA_NS6_6detail15normal_iteratorINS6_10device_ptrIS9_EEEENSD_INSE_IiEEEEZNS1_13binary_searchIS3_SA_SG_SG_SI_NS1_21lower_bound_search_opENSC_16wrapped_functionINS0_4lessIvEEbEEEE10hipError_tPvRmT1_T2_T3_mmT4_T5_P12ihipStream_tbEUlRKS9_E_EESP_ST_SU_mSV_SY_bEUlT_E_NS1_11comp_targetILNS1_3genE4ELNS1_11target_archE910ELNS1_3gpuE8ELNS1_3repE0EEENS1_30default_config_static_selectorELNS0_4arch9wavefront6targetE1EEEvSS_.uses_vcc, 0
	.set _ZN7rocprim17ROCPRIM_400000_NS6detail17trampoline_kernelINS0_14default_configENS1_27lower_bound_config_selectorIN6thrust23THRUST_200600_302600_NS5tupleIiiNS6_9null_typeES8_S8_S8_S8_S8_S8_S8_EEiEEZNS1_14transform_implILb0ES3_SA_NS6_6detail15normal_iteratorINS6_10device_ptrIS9_EEEENSD_INSE_IiEEEEZNS1_13binary_searchIS3_SA_SG_SG_SI_NS1_21lower_bound_search_opENSC_16wrapped_functionINS0_4lessIvEEbEEEE10hipError_tPvRmT1_T2_T3_mmT4_T5_P12ihipStream_tbEUlRKS9_E_EESP_ST_SU_mSV_SY_bEUlT_E_NS1_11comp_targetILNS1_3genE4ELNS1_11target_archE910ELNS1_3gpuE8ELNS1_3repE0EEENS1_30default_config_static_selectorELNS0_4arch9wavefront6targetE1EEEvSS_.uses_flat_scratch, 0
	.set _ZN7rocprim17ROCPRIM_400000_NS6detail17trampoline_kernelINS0_14default_configENS1_27lower_bound_config_selectorIN6thrust23THRUST_200600_302600_NS5tupleIiiNS6_9null_typeES8_S8_S8_S8_S8_S8_S8_EEiEEZNS1_14transform_implILb0ES3_SA_NS6_6detail15normal_iteratorINS6_10device_ptrIS9_EEEENSD_INSE_IiEEEEZNS1_13binary_searchIS3_SA_SG_SG_SI_NS1_21lower_bound_search_opENSC_16wrapped_functionINS0_4lessIvEEbEEEE10hipError_tPvRmT1_T2_T3_mmT4_T5_P12ihipStream_tbEUlRKS9_E_EESP_ST_SU_mSV_SY_bEUlT_E_NS1_11comp_targetILNS1_3genE4ELNS1_11target_archE910ELNS1_3gpuE8ELNS1_3repE0EEENS1_30default_config_static_selectorELNS0_4arch9wavefront6targetE1EEEvSS_.has_dyn_sized_stack, 0
	.set _ZN7rocprim17ROCPRIM_400000_NS6detail17trampoline_kernelINS0_14default_configENS1_27lower_bound_config_selectorIN6thrust23THRUST_200600_302600_NS5tupleIiiNS6_9null_typeES8_S8_S8_S8_S8_S8_S8_EEiEEZNS1_14transform_implILb0ES3_SA_NS6_6detail15normal_iteratorINS6_10device_ptrIS9_EEEENSD_INSE_IiEEEEZNS1_13binary_searchIS3_SA_SG_SG_SI_NS1_21lower_bound_search_opENSC_16wrapped_functionINS0_4lessIvEEbEEEE10hipError_tPvRmT1_T2_T3_mmT4_T5_P12ihipStream_tbEUlRKS9_E_EESP_ST_SU_mSV_SY_bEUlT_E_NS1_11comp_targetILNS1_3genE4ELNS1_11target_archE910ELNS1_3gpuE8ELNS1_3repE0EEENS1_30default_config_static_selectorELNS0_4arch9wavefront6targetE1EEEvSS_.has_recursion, 0
	.set _ZN7rocprim17ROCPRIM_400000_NS6detail17trampoline_kernelINS0_14default_configENS1_27lower_bound_config_selectorIN6thrust23THRUST_200600_302600_NS5tupleIiiNS6_9null_typeES8_S8_S8_S8_S8_S8_S8_EEiEEZNS1_14transform_implILb0ES3_SA_NS6_6detail15normal_iteratorINS6_10device_ptrIS9_EEEENSD_INSE_IiEEEEZNS1_13binary_searchIS3_SA_SG_SG_SI_NS1_21lower_bound_search_opENSC_16wrapped_functionINS0_4lessIvEEbEEEE10hipError_tPvRmT1_T2_T3_mmT4_T5_P12ihipStream_tbEUlRKS9_E_EESP_ST_SU_mSV_SY_bEUlT_E_NS1_11comp_targetILNS1_3genE4ELNS1_11target_archE910ELNS1_3gpuE8ELNS1_3repE0EEENS1_30default_config_static_selectorELNS0_4arch9wavefront6targetE1EEEvSS_.has_indirect_call, 0
	.section	.AMDGPU.csdata,"",@progbits
; Kernel info:
; codeLenInByte = 0
; TotalNumSgprs: 4
; NumVgprs: 0
; ScratchSize: 0
; MemoryBound: 0
; FloatMode: 240
; IeeeMode: 1
; LDSByteSize: 0 bytes/workgroup (compile time only)
; SGPRBlocks: 0
; VGPRBlocks: 0
; NumSGPRsForWavesPerEU: 4
; NumVGPRsForWavesPerEU: 1
; Occupancy: 10
; WaveLimiterHint : 0
; COMPUTE_PGM_RSRC2:SCRATCH_EN: 0
; COMPUTE_PGM_RSRC2:USER_SGPR: 6
; COMPUTE_PGM_RSRC2:TRAP_HANDLER: 0
; COMPUTE_PGM_RSRC2:TGID_X_EN: 1
; COMPUTE_PGM_RSRC2:TGID_Y_EN: 0
; COMPUTE_PGM_RSRC2:TGID_Z_EN: 0
; COMPUTE_PGM_RSRC2:TIDIG_COMP_CNT: 0
	.section	.text._ZN7rocprim17ROCPRIM_400000_NS6detail17trampoline_kernelINS0_14default_configENS1_27lower_bound_config_selectorIN6thrust23THRUST_200600_302600_NS5tupleIiiNS6_9null_typeES8_S8_S8_S8_S8_S8_S8_EEiEEZNS1_14transform_implILb0ES3_SA_NS6_6detail15normal_iteratorINS6_10device_ptrIS9_EEEENSD_INSE_IiEEEEZNS1_13binary_searchIS3_SA_SG_SG_SI_NS1_21lower_bound_search_opENSC_16wrapped_functionINS0_4lessIvEEbEEEE10hipError_tPvRmT1_T2_T3_mmT4_T5_P12ihipStream_tbEUlRKS9_E_EESP_ST_SU_mSV_SY_bEUlT_E_NS1_11comp_targetILNS1_3genE3ELNS1_11target_archE908ELNS1_3gpuE7ELNS1_3repE0EEENS1_30default_config_static_selectorELNS0_4arch9wavefront6targetE1EEEvSS_,"axG",@progbits,_ZN7rocprim17ROCPRIM_400000_NS6detail17trampoline_kernelINS0_14default_configENS1_27lower_bound_config_selectorIN6thrust23THRUST_200600_302600_NS5tupleIiiNS6_9null_typeES8_S8_S8_S8_S8_S8_S8_EEiEEZNS1_14transform_implILb0ES3_SA_NS6_6detail15normal_iteratorINS6_10device_ptrIS9_EEEENSD_INSE_IiEEEEZNS1_13binary_searchIS3_SA_SG_SG_SI_NS1_21lower_bound_search_opENSC_16wrapped_functionINS0_4lessIvEEbEEEE10hipError_tPvRmT1_T2_T3_mmT4_T5_P12ihipStream_tbEUlRKS9_E_EESP_ST_SU_mSV_SY_bEUlT_E_NS1_11comp_targetILNS1_3genE3ELNS1_11target_archE908ELNS1_3gpuE7ELNS1_3repE0EEENS1_30default_config_static_selectorELNS0_4arch9wavefront6targetE1EEEvSS_,comdat
	.protected	_ZN7rocprim17ROCPRIM_400000_NS6detail17trampoline_kernelINS0_14default_configENS1_27lower_bound_config_selectorIN6thrust23THRUST_200600_302600_NS5tupleIiiNS6_9null_typeES8_S8_S8_S8_S8_S8_S8_EEiEEZNS1_14transform_implILb0ES3_SA_NS6_6detail15normal_iteratorINS6_10device_ptrIS9_EEEENSD_INSE_IiEEEEZNS1_13binary_searchIS3_SA_SG_SG_SI_NS1_21lower_bound_search_opENSC_16wrapped_functionINS0_4lessIvEEbEEEE10hipError_tPvRmT1_T2_T3_mmT4_T5_P12ihipStream_tbEUlRKS9_E_EESP_ST_SU_mSV_SY_bEUlT_E_NS1_11comp_targetILNS1_3genE3ELNS1_11target_archE908ELNS1_3gpuE7ELNS1_3repE0EEENS1_30default_config_static_selectorELNS0_4arch9wavefront6targetE1EEEvSS_ ; -- Begin function _ZN7rocprim17ROCPRIM_400000_NS6detail17trampoline_kernelINS0_14default_configENS1_27lower_bound_config_selectorIN6thrust23THRUST_200600_302600_NS5tupleIiiNS6_9null_typeES8_S8_S8_S8_S8_S8_S8_EEiEEZNS1_14transform_implILb0ES3_SA_NS6_6detail15normal_iteratorINS6_10device_ptrIS9_EEEENSD_INSE_IiEEEEZNS1_13binary_searchIS3_SA_SG_SG_SI_NS1_21lower_bound_search_opENSC_16wrapped_functionINS0_4lessIvEEbEEEE10hipError_tPvRmT1_T2_T3_mmT4_T5_P12ihipStream_tbEUlRKS9_E_EESP_ST_SU_mSV_SY_bEUlT_E_NS1_11comp_targetILNS1_3genE3ELNS1_11target_archE908ELNS1_3gpuE7ELNS1_3repE0EEENS1_30default_config_static_selectorELNS0_4arch9wavefront6targetE1EEEvSS_
	.globl	_ZN7rocprim17ROCPRIM_400000_NS6detail17trampoline_kernelINS0_14default_configENS1_27lower_bound_config_selectorIN6thrust23THRUST_200600_302600_NS5tupleIiiNS6_9null_typeES8_S8_S8_S8_S8_S8_S8_EEiEEZNS1_14transform_implILb0ES3_SA_NS6_6detail15normal_iteratorINS6_10device_ptrIS9_EEEENSD_INSE_IiEEEEZNS1_13binary_searchIS3_SA_SG_SG_SI_NS1_21lower_bound_search_opENSC_16wrapped_functionINS0_4lessIvEEbEEEE10hipError_tPvRmT1_T2_T3_mmT4_T5_P12ihipStream_tbEUlRKS9_E_EESP_ST_SU_mSV_SY_bEUlT_E_NS1_11comp_targetILNS1_3genE3ELNS1_11target_archE908ELNS1_3gpuE7ELNS1_3repE0EEENS1_30default_config_static_selectorELNS0_4arch9wavefront6targetE1EEEvSS_
	.p2align	8
	.type	_ZN7rocprim17ROCPRIM_400000_NS6detail17trampoline_kernelINS0_14default_configENS1_27lower_bound_config_selectorIN6thrust23THRUST_200600_302600_NS5tupleIiiNS6_9null_typeES8_S8_S8_S8_S8_S8_S8_EEiEEZNS1_14transform_implILb0ES3_SA_NS6_6detail15normal_iteratorINS6_10device_ptrIS9_EEEENSD_INSE_IiEEEEZNS1_13binary_searchIS3_SA_SG_SG_SI_NS1_21lower_bound_search_opENSC_16wrapped_functionINS0_4lessIvEEbEEEE10hipError_tPvRmT1_T2_T3_mmT4_T5_P12ihipStream_tbEUlRKS9_E_EESP_ST_SU_mSV_SY_bEUlT_E_NS1_11comp_targetILNS1_3genE3ELNS1_11target_archE908ELNS1_3gpuE7ELNS1_3repE0EEENS1_30default_config_static_selectorELNS0_4arch9wavefront6targetE1EEEvSS_,@function
_ZN7rocprim17ROCPRIM_400000_NS6detail17trampoline_kernelINS0_14default_configENS1_27lower_bound_config_selectorIN6thrust23THRUST_200600_302600_NS5tupleIiiNS6_9null_typeES8_S8_S8_S8_S8_S8_S8_EEiEEZNS1_14transform_implILb0ES3_SA_NS6_6detail15normal_iteratorINS6_10device_ptrIS9_EEEENSD_INSE_IiEEEEZNS1_13binary_searchIS3_SA_SG_SG_SI_NS1_21lower_bound_search_opENSC_16wrapped_functionINS0_4lessIvEEbEEEE10hipError_tPvRmT1_T2_T3_mmT4_T5_P12ihipStream_tbEUlRKS9_E_EESP_ST_SU_mSV_SY_bEUlT_E_NS1_11comp_targetILNS1_3genE3ELNS1_11target_archE908ELNS1_3gpuE7ELNS1_3repE0EEENS1_30default_config_static_selectorELNS0_4arch9wavefront6targetE1EEEvSS_: ; @_ZN7rocprim17ROCPRIM_400000_NS6detail17trampoline_kernelINS0_14default_configENS1_27lower_bound_config_selectorIN6thrust23THRUST_200600_302600_NS5tupleIiiNS6_9null_typeES8_S8_S8_S8_S8_S8_S8_EEiEEZNS1_14transform_implILb0ES3_SA_NS6_6detail15normal_iteratorINS6_10device_ptrIS9_EEEENSD_INSE_IiEEEEZNS1_13binary_searchIS3_SA_SG_SG_SI_NS1_21lower_bound_search_opENSC_16wrapped_functionINS0_4lessIvEEbEEEE10hipError_tPvRmT1_T2_T3_mmT4_T5_P12ihipStream_tbEUlRKS9_E_EESP_ST_SU_mSV_SY_bEUlT_E_NS1_11comp_targetILNS1_3genE3ELNS1_11target_archE908ELNS1_3gpuE7ELNS1_3repE0EEENS1_30default_config_static_selectorELNS0_4arch9wavefront6targetE1EEEvSS_
; %bb.0:
	.section	.rodata,"a",@progbits
	.p2align	6, 0x0
	.amdhsa_kernel _ZN7rocprim17ROCPRIM_400000_NS6detail17trampoline_kernelINS0_14default_configENS1_27lower_bound_config_selectorIN6thrust23THRUST_200600_302600_NS5tupleIiiNS6_9null_typeES8_S8_S8_S8_S8_S8_S8_EEiEEZNS1_14transform_implILb0ES3_SA_NS6_6detail15normal_iteratorINS6_10device_ptrIS9_EEEENSD_INSE_IiEEEEZNS1_13binary_searchIS3_SA_SG_SG_SI_NS1_21lower_bound_search_opENSC_16wrapped_functionINS0_4lessIvEEbEEEE10hipError_tPvRmT1_T2_T3_mmT4_T5_P12ihipStream_tbEUlRKS9_E_EESP_ST_SU_mSV_SY_bEUlT_E_NS1_11comp_targetILNS1_3genE3ELNS1_11target_archE908ELNS1_3gpuE7ELNS1_3repE0EEENS1_30default_config_static_selectorELNS0_4arch9wavefront6targetE1EEEvSS_
		.amdhsa_group_segment_fixed_size 0
		.amdhsa_private_segment_fixed_size 0
		.amdhsa_kernarg_size 56
		.amdhsa_user_sgpr_count 6
		.amdhsa_user_sgpr_private_segment_buffer 1
		.amdhsa_user_sgpr_dispatch_ptr 0
		.amdhsa_user_sgpr_queue_ptr 0
		.amdhsa_user_sgpr_kernarg_segment_ptr 1
		.amdhsa_user_sgpr_dispatch_id 0
		.amdhsa_user_sgpr_flat_scratch_init 0
		.amdhsa_user_sgpr_private_segment_size 0
		.amdhsa_uses_dynamic_stack 0
		.amdhsa_system_sgpr_private_segment_wavefront_offset 0
		.amdhsa_system_sgpr_workgroup_id_x 1
		.amdhsa_system_sgpr_workgroup_id_y 0
		.amdhsa_system_sgpr_workgroup_id_z 0
		.amdhsa_system_sgpr_workgroup_info 0
		.amdhsa_system_vgpr_workitem_id 0
		.amdhsa_next_free_vgpr 1
		.amdhsa_next_free_sgpr 0
		.amdhsa_reserve_vcc 0
		.amdhsa_reserve_flat_scratch 0
		.amdhsa_float_round_mode_32 0
		.amdhsa_float_round_mode_16_64 0
		.amdhsa_float_denorm_mode_32 3
		.amdhsa_float_denorm_mode_16_64 3
		.amdhsa_dx10_clamp 1
		.amdhsa_ieee_mode 1
		.amdhsa_fp16_overflow 0
		.amdhsa_exception_fp_ieee_invalid_op 0
		.amdhsa_exception_fp_denorm_src 0
		.amdhsa_exception_fp_ieee_div_zero 0
		.amdhsa_exception_fp_ieee_overflow 0
		.amdhsa_exception_fp_ieee_underflow 0
		.amdhsa_exception_fp_ieee_inexact 0
		.amdhsa_exception_int_div_zero 0
	.end_amdhsa_kernel
	.section	.text._ZN7rocprim17ROCPRIM_400000_NS6detail17trampoline_kernelINS0_14default_configENS1_27lower_bound_config_selectorIN6thrust23THRUST_200600_302600_NS5tupleIiiNS6_9null_typeES8_S8_S8_S8_S8_S8_S8_EEiEEZNS1_14transform_implILb0ES3_SA_NS6_6detail15normal_iteratorINS6_10device_ptrIS9_EEEENSD_INSE_IiEEEEZNS1_13binary_searchIS3_SA_SG_SG_SI_NS1_21lower_bound_search_opENSC_16wrapped_functionINS0_4lessIvEEbEEEE10hipError_tPvRmT1_T2_T3_mmT4_T5_P12ihipStream_tbEUlRKS9_E_EESP_ST_SU_mSV_SY_bEUlT_E_NS1_11comp_targetILNS1_3genE3ELNS1_11target_archE908ELNS1_3gpuE7ELNS1_3repE0EEENS1_30default_config_static_selectorELNS0_4arch9wavefront6targetE1EEEvSS_,"axG",@progbits,_ZN7rocprim17ROCPRIM_400000_NS6detail17trampoline_kernelINS0_14default_configENS1_27lower_bound_config_selectorIN6thrust23THRUST_200600_302600_NS5tupleIiiNS6_9null_typeES8_S8_S8_S8_S8_S8_S8_EEiEEZNS1_14transform_implILb0ES3_SA_NS6_6detail15normal_iteratorINS6_10device_ptrIS9_EEEENSD_INSE_IiEEEEZNS1_13binary_searchIS3_SA_SG_SG_SI_NS1_21lower_bound_search_opENSC_16wrapped_functionINS0_4lessIvEEbEEEE10hipError_tPvRmT1_T2_T3_mmT4_T5_P12ihipStream_tbEUlRKS9_E_EESP_ST_SU_mSV_SY_bEUlT_E_NS1_11comp_targetILNS1_3genE3ELNS1_11target_archE908ELNS1_3gpuE7ELNS1_3repE0EEENS1_30default_config_static_selectorELNS0_4arch9wavefront6targetE1EEEvSS_,comdat
.Lfunc_end492:
	.size	_ZN7rocprim17ROCPRIM_400000_NS6detail17trampoline_kernelINS0_14default_configENS1_27lower_bound_config_selectorIN6thrust23THRUST_200600_302600_NS5tupleIiiNS6_9null_typeES8_S8_S8_S8_S8_S8_S8_EEiEEZNS1_14transform_implILb0ES3_SA_NS6_6detail15normal_iteratorINS6_10device_ptrIS9_EEEENSD_INSE_IiEEEEZNS1_13binary_searchIS3_SA_SG_SG_SI_NS1_21lower_bound_search_opENSC_16wrapped_functionINS0_4lessIvEEbEEEE10hipError_tPvRmT1_T2_T3_mmT4_T5_P12ihipStream_tbEUlRKS9_E_EESP_ST_SU_mSV_SY_bEUlT_E_NS1_11comp_targetILNS1_3genE3ELNS1_11target_archE908ELNS1_3gpuE7ELNS1_3repE0EEENS1_30default_config_static_selectorELNS0_4arch9wavefront6targetE1EEEvSS_, .Lfunc_end492-_ZN7rocprim17ROCPRIM_400000_NS6detail17trampoline_kernelINS0_14default_configENS1_27lower_bound_config_selectorIN6thrust23THRUST_200600_302600_NS5tupleIiiNS6_9null_typeES8_S8_S8_S8_S8_S8_S8_EEiEEZNS1_14transform_implILb0ES3_SA_NS6_6detail15normal_iteratorINS6_10device_ptrIS9_EEEENSD_INSE_IiEEEEZNS1_13binary_searchIS3_SA_SG_SG_SI_NS1_21lower_bound_search_opENSC_16wrapped_functionINS0_4lessIvEEbEEEE10hipError_tPvRmT1_T2_T3_mmT4_T5_P12ihipStream_tbEUlRKS9_E_EESP_ST_SU_mSV_SY_bEUlT_E_NS1_11comp_targetILNS1_3genE3ELNS1_11target_archE908ELNS1_3gpuE7ELNS1_3repE0EEENS1_30default_config_static_selectorELNS0_4arch9wavefront6targetE1EEEvSS_
                                        ; -- End function
	.set _ZN7rocprim17ROCPRIM_400000_NS6detail17trampoline_kernelINS0_14default_configENS1_27lower_bound_config_selectorIN6thrust23THRUST_200600_302600_NS5tupleIiiNS6_9null_typeES8_S8_S8_S8_S8_S8_S8_EEiEEZNS1_14transform_implILb0ES3_SA_NS6_6detail15normal_iteratorINS6_10device_ptrIS9_EEEENSD_INSE_IiEEEEZNS1_13binary_searchIS3_SA_SG_SG_SI_NS1_21lower_bound_search_opENSC_16wrapped_functionINS0_4lessIvEEbEEEE10hipError_tPvRmT1_T2_T3_mmT4_T5_P12ihipStream_tbEUlRKS9_E_EESP_ST_SU_mSV_SY_bEUlT_E_NS1_11comp_targetILNS1_3genE3ELNS1_11target_archE908ELNS1_3gpuE7ELNS1_3repE0EEENS1_30default_config_static_selectorELNS0_4arch9wavefront6targetE1EEEvSS_.num_vgpr, 0
	.set _ZN7rocprim17ROCPRIM_400000_NS6detail17trampoline_kernelINS0_14default_configENS1_27lower_bound_config_selectorIN6thrust23THRUST_200600_302600_NS5tupleIiiNS6_9null_typeES8_S8_S8_S8_S8_S8_S8_EEiEEZNS1_14transform_implILb0ES3_SA_NS6_6detail15normal_iteratorINS6_10device_ptrIS9_EEEENSD_INSE_IiEEEEZNS1_13binary_searchIS3_SA_SG_SG_SI_NS1_21lower_bound_search_opENSC_16wrapped_functionINS0_4lessIvEEbEEEE10hipError_tPvRmT1_T2_T3_mmT4_T5_P12ihipStream_tbEUlRKS9_E_EESP_ST_SU_mSV_SY_bEUlT_E_NS1_11comp_targetILNS1_3genE3ELNS1_11target_archE908ELNS1_3gpuE7ELNS1_3repE0EEENS1_30default_config_static_selectorELNS0_4arch9wavefront6targetE1EEEvSS_.num_agpr, 0
	.set _ZN7rocprim17ROCPRIM_400000_NS6detail17trampoline_kernelINS0_14default_configENS1_27lower_bound_config_selectorIN6thrust23THRUST_200600_302600_NS5tupleIiiNS6_9null_typeES8_S8_S8_S8_S8_S8_S8_EEiEEZNS1_14transform_implILb0ES3_SA_NS6_6detail15normal_iteratorINS6_10device_ptrIS9_EEEENSD_INSE_IiEEEEZNS1_13binary_searchIS3_SA_SG_SG_SI_NS1_21lower_bound_search_opENSC_16wrapped_functionINS0_4lessIvEEbEEEE10hipError_tPvRmT1_T2_T3_mmT4_T5_P12ihipStream_tbEUlRKS9_E_EESP_ST_SU_mSV_SY_bEUlT_E_NS1_11comp_targetILNS1_3genE3ELNS1_11target_archE908ELNS1_3gpuE7ELNS1_3repE0EEENS1_30default_config_static_selectorELNS0_4arch9wavefront6targetE1EEEvSS_.numbered_sgpr, 0
	.set _ZN7rocprim17ROCPRIM_400000_NS6detail17trampoline_kernelINS0_14default_configENS1_27lower_bound_config_selectorIN6thrust23THRUST_200600_302600_NS5tupleIiiNS6_9null_typeES8_S8_S8_S8_S8_S8_S8_EEiEEZNS1_14transform_implILb0ES3_SA_NS6_6detail15normal_iteratorINS6_10device_ptrIS9_EEEENSD_INSE_IiEEEEZNS1_13binary_searchIS3_SA_SG_SG_SI_NS1_21lower_bound_search_opENSC_16wrapped_functionINS0_4lessIvEEbEEEE10hipError_tPvRmT1_T2_T3_mmT4_T5_P12ihipStream_tbEUlRKS9_E_EESP_ST_SU_mSV_SY_bEUlT_E_NS1_11comp_targetILNS1_3genE3ELNS1_11target_archE908ELNS1_3gpuE7ELNS1_3repE0EEENS1_30default_config_static_selectorELNS0_4arch9wavefront6targetE1EEEvSS_.num_named_barrier, 0
	.set _ZN7rocprim17ROCPRIM_400000_NS6detail17trampoline_kernelINS0_14default_configENS1_27lower_bound_config_selectorIN6thrust23THRUST_200600_302600_NS5tupleIiiNS6_9null_typeES8_S8_S8_S8_S8_S8_S8_EEiEEZNS1_14transform_implILb0ES3_SA_NS6_6detail15normal_iteratorINS6_10device_ptrIS9_EEEENSD_INSE_IiEEEEZNS1_13binary_searchIS3_SA_SG_SG_SI_NS1_21lower_bound_search_opENSC_16wrapped_functionINS0_4lessIvEEbEEEE10hipError_tPvRmT1_T2_T3_mmT4_T5_P12ihipStream_tbEUlRKS9_E_EESP_ST_SU_mSV_SY_bEUlT_E_NS1_11comp_targetILNS1_3genE3ELNS1_11target_archE908ELNS1_3gpuE7ELNS1_3repE0EEENS1_30default_config_static_selectorELNS0_4arch9wavefront6targetE1EEEvSS_.private_seg_size, 0
	.set _ZN7rocprim17ROCPRIM_400000_NS6detail17trampoline_kernelINS0_14default_configENS1_27lower_bound_config_selectorIN6thrust23THRUST_200600_302600_NS5tupleIiiNS6_9null_typeES8_S8_S8_S8_S8_S8_S8_EEiEEZNS1_14transform_implILb0ES3_SA_NS6_6detail15normal_iteratorINS6_10device_ptrIS9_EEEENSD_INSE_IiEEEEZNS1_13binary_searchIS3_SA_SG_SG_SI_NS1_21lower_bound_search_opENSC_16wrapped_functionINS0_4lessIvEEbEEEE10hipError_tPvRmT1_T2_T3_mmT4_T5_P12ihipStream_tbEUlRKS9_E_EESP_ST_SU_mSV_SY_bEUlT_E_NS1_11comp_targetILNS1_3genE3ELNS1_11target_archE908ELNS1_3gpuE7ELNS1_3repE0EEENS1_30default_config_static_selectorELNS0_4arch9wavefront6targetE1EEEvSS_.uses_vcc, 0
	.set _ZN7rocprim17ROCPRIM_400000_NS6detail17trampoline_kernelINS0_14default_configENS1_27lower_bound_config_selectorIN6thrust23THRUST_200600_302600_NS5tupleIiiNS6_9null_typeES8_S8_S8_S8_S8_S8_S8_EEiEEZNS1_14transform_implILb0ES3_SA_NS6_6detail15normal_iteratorINS6_10device_ptrIS9_EEEENSD_INSE_IiEEEEZNS1_13binary_searchIS3_SA_SG_SG_SI_NS1_21lower_bound_search_opENSC_16wrapped_functionINS0_4lessIvEEbEEEE10hipError_tPvRmT1_T2_T3_mmT4_T5_P12ihipStream_tbEUlRKS9_E_EESP_ST_SU_mSV_SY_bEUlT_E_NS1_11comp_targetILNS1_3genE3ELNS1_11target_archE908ELNS1_3gpuE7ELNS1_3repE0EEENS1_30default_config_static_selectorELNS0_4arch9wavefront6targetE1EEEvSS_.uses_flat_scratch, 0
	.set _ZN7rocprim17ROCPRIM_400000_NS6detail17trampoline_kernelINS0_14default_configENS1_27lower_bound_config_selectorIN6thrust23THRUST_200600_302600_NS5tupleIiiNS6_9null_typeES8_S8_S8_S8_S8_S8_S8_EEiEEZNS1_14transform_implILb0ES3_SA_NS6_6detail15normal_iteratorINS6_10device_ptrIS9_EEEENSD_INSE_IiEEEEZNS1_13binary_searchIS3_SA_SG_SG_SI_NS1_21lower_bound_search_opENSC_16wrapped_functionINS0_4lessIvEEbEEEE10hipError_tPvRmT1_T2_T3_mmT4_T5_P12ihipStream_tbEUlRKS9_E_EESP_ST_SU_mSV_SY_bEUlT_E_NS1_11comp_targetILNS1_3genE3ELNS1_11target_archE908ELNS1_3gpuE7ELNS1_3repE0EEENS1_30default_config_static_selectorELNS0_4arch9wavefront6targetE1EEEvSS_.has_dyn_sized_stack, 0
	.set _ZN7rocprim17ROCPRIM_400000_NS6detail17trampoline_kernelINS0_14default_configENS1_27lower_bound_config_selectorIN6thrust23THRUST_200600_302600_NS5tupleIiiNS6_9null_typeES8_S8_S8_S8_S8_S8_S8_EEiEEZNS1_14transform_implILb0ES3_SA_NS6_6detail15normal_iteratorINS6_10device_ptrIS9_EEEENSD_INSE_IiEEEEZNS1_13binary_searchIS3_SA_SG_SG_SI_NS1_21lower_bound_search_opENSC_16wrapped_functionINS0_4lessIvEEbEEEE10hipError_tPvRmT1_T2_T3_mmT4_T5_P12ihipStream_tbEUlRKS9_E_EESP_ST_SU_mSV_SY_bEUlT_E_NS1_11comp_targetILNS1_3genE3ELNS1_11target_archE908ELNS1_3gpuE7ELNS1_3repE0EEENS1_30default_config_static_selectorELNS0_4arch9wavefront6targetE1EEEvSS_.has_recursion, 0
	.set _ZN7rocprim17ROCPRIM_400000_NS6detail17trampoline_kernelINS0_14default_configENS1_27lower_bound_config_selectorIN6thrust23THRUST_200600_302600_NS5tupleIiiNS6_9null_typeES8_S8_S8_S8_S8_S8_S8_EEiEEZNS1_14transform_implILb0ES3_SA_NS6_6detail15normal_iteratorINS6_10device_ptrIS9_EEEENSD_INSE_IiEEEEZNS1_13binary_searchIS3_SA_SG_SG_SI_NS1_21lower_bound_search_opENSC_16wrapped_functionINS0_4lessIvEEbEEEE10hipError_tPvRmT1_T2_T3_mmT4_T5_P12ihipStream_tbEUlRKS9_E_EESP_ST_SU_mSV_SY_bEUlT_E_NS1_11comp_targetILNS1_3genE3ELNS1_11target_archE908ELNS1_3gpuE7ELNS1_3repE0EEENS1_30default_config_static_selectorELNS0_4arch9wavefront6targetE1EEEvSS_.has_indirect_call, 0
	.section	.AMDGPU.csdata,"",@progbits
; Kernel info:
; codeLenInByte = 0
; TotalNumSgprs: 4
; NumVgprs: 0
; ScratchSize: 0
; MemoryBound: 0
; FloatMode: 240
; IeeeMode: 1
; LDSByteSize: 0 bytes/workgroup (compile time only)
; SGPRBlocks: 0
; VGPRBlocks: 0
; NumSGPRsForWavesPerEU: 4
; NumVGPRsForWavesPerEU: 1
; Occupancy: 10
; WaveLimiterHint : 0
; COMPUTE_PGM_RSRC2:SCRATCH_EN: 0
; COMPUTE_PGM_RSRC2:USER_SGPR: 6
; COMPUTE_PGM_RSRC2:TRAP_HANDLER: 0
; COMPUTE_PGM_RSRC2:TGID_X_EN: 1
; COMPUTE_PGM_RSRC2:TGID_Y_EN: 0
; COMPUTE_PGM_RSRC2:TGID_Z_EN: 0
; COMPUTE_PGM_RSRC2:TIDIG_COMP_CNT: 0
	.section	.text._ZN7rocprim17ROCPRIM_400000_NS6detail17trampoline_kernelINS0_14default_configENS1_27lower_bound_config_selectorIN6thrust23THRUST_200600_302600_NS5tupleIiiNS6_9null_typeES8_S8_S8_S8_S8_S8_S8_EEiEEZNS1_14transform_implILb0ES3_SA_NS6_6detail15normal_iteratorINS6_10device_ptrIS9_EEEENSD_INSE_IiEEEEZNS1_13binary_searchIS3_SA_SG_SG_SI_NS1_21lower_bound_search_opENSC_16wrapped_functionINS0_4lessIvEEbEEEE10hipError_tPvRmT1_T2_T3_mmT4_T5_P12ihipStream_tbEUlRKS9_E_EESP_ST_SU_mSV_SY_bEUlT_E_NS1_11comp_targetILNS1_3genE2ELNS1_11target_archE906ELNS1_3gpuE6ELNS1_3repE0EEENS1_30default_config_static_selectorELNS0_4arch9wavefront6targetE1EEEvSS_,"axG",@progbits,_ZN7rocprim17ROCPRIM_400000_NS6detail17trampoline_kernelINS0_14default_configENS1_27lower_bound_config_selectorIN6thrust23THRUST_200600_302600_NS5tupleIiiNS6_9null_typeES8_S8_S8_S8_S8_S8_S8_EEiEEZNS1_14transform_implILb0ES3_SA_NS6_6detail15normal_iteratorINS6_10device_ptrIS9_EEEENSD_INSE_IiEEEEZNS1_13binary_searchIS3_SA_SG_SG_SI_NS1_21lower_bound_search_opENSC_16wrapped_functionINS0_4lessIvEEbEEEE10hipError_tPvRmT1_T2_T3_mmT4_T5_P12ihipStream_tbEUlRKS9_E_EESP_ST_SU_mSV_SY_bEUlT_E_NS1_11comp_targetILNS1_3genE2ELNS1_11target_archE906ELNS1_3gpuE6ELNS1_3repE0EEENS1_30default_config_static_selectorELNS0_4arch9wavefront6targetE1EEEvSS_,comdat
	.protected	_ZN7rocprim17ROCPRIM_400000_NS6detail17trampoline_kernelINS0_14default_configENS1_27lower_bound_config_selectorIN6thrust23THRUST_200600_302600_NS5tupleIiiNS6_9null_typeES8_S8_S8_S8_S8_S8_S8_EEiEEZNS1_14transform_implILb0ES3_SA_NS6_6detail15normal_iteratorINS6_10device_ptrIS9_EEEENSD_INSE_IiEEEEZNS1_13binary_searchIS3_SA_SG_SG_SI_NS1_21lower_bound_search_opENSC_16wrapped_functionINS0_4lessIvEEbEEEE10hipError_tPvRmT1_T2_T3_mmT4_T5_P12ihipStream_tbEUlRKS9_E_EESP_ST_SU_mSV_SY_bEUlT_E_NS1_11comp_targetILNS1_3genE2ELNS1_11target_archE906ELNS1_3gpuE6ELNS1_3repE0EEENS1_30default_config_static_selectorELNS0_4arch9wavefront6targetE1EEEvSS_ ; -- Begin function _ZN7rocprim17ROCPRIM_400000_NS6detail17trampoline_kernelINS0_14default_configENS1_27lower_bound_config_selectorIN6thrust23THRUST_200600_302600_NS5tupleIiiNS6_9null_typeES8_S8_S8_S8_S8_S8_S8_EEiEEZNS1_14transform_implILb0ES3_SA_NS6_6detail15normal_iteratorINS6_10device_ptrIS9_EEEENSD_INSE_IiEEEEZNS1_13binary_searchIS3_SA_SG_SG_SI_NS1_21lower_bound_search_opENSC_16wrapped_functionINS0_4lessIvEEbEEEE10hipError_tPvRmT1_T2_T3_mmT4_T5_P12ihipStream_tbEUlRKS9_E_EESP_ST_SU_mSV_SY_bEUlT_E_NS1_11comp_targetILNS1_3genE2ELNS1_11target_archE906ELNS1_3gpuE6ELNS1_3repE0EEENS1_30default_config_static_selectorELNS0_4arch9wavefront6targetE1EEEvSS_
	.globl	_ZN7rocprim17ROCPRIM_400000_NS6detail17trampoline_kernelINS0_14default_configENS1_27lower_bound_config_selectorIN6thrust23THRUST_200600_302600_NS5tupleIiiNS6_9null_typeES8_S8_S8_S8_S8_S8_S8_EEiEEZNS1_14transform_implILb0ES3_SA_NS6_6detail15normal_iteratorINS6_10device_ptrIS9_EEEENSD_INSE_IiEEEEZNS1_13binary_searchIS3_SA_SG_SG_SI_NS1_21lower_bound_search_opENSC_16wrapped_functionINS0_4lessIvEEbEEEE10hipError_tPvRmT1_T2_T3_mmT4_T5_P12ihipStream_tbEUlRKS9_E_EESP_ST_SU_mSV_SY_bEUlT_E_NS1_11comp_targetILNS1_3genE2ELNS1_11target_archE906ELNS1_3gpuE6ELNS1_3repE0EEENS1_30default_config_static_selectorELNS0_4arch9wavefront6targetE1EEEvSS_
	.p2align	8
	.type	_ZN7rocprim17ROCPRIM_400000_NS6detail17trampoline_kernelINS0_14default_configENS1_27lower_bound_config_selectorIN6thrust23THRUST_200600_302600_NS5tupleIiiNS6_9null_typeES8_S8_S8_S8_S8_S8_S8_EEiEEZNS1_14transform_implILb0ES3_SA_NS6_6detail15normal_iteratorINS6_10device_ptrIS9_EEEENSD_INSE_IiEEEEZNS1_13binary_searchIS3_SA_SG_SG_SI_NS1_21lower_bound_search_opENSC_16wrapped_functionINS0_4lessIvEEbEEEE10hipError_tPvRmT1_T2_T3_mmT4_T5_P12ihipStream_tbEUlRKS9_E_EESP_ST_SU_mSV_SY_bEUlT_E_NS1_11comp_targetILNS1_3genE2ELNS1_11target_archE906ELNS1_3gpuE6ELNS1_3repE0EEENS1_30default_config_static_selectorELNS0_4arch9wavefront6targetE1EEEvSS_,@function
_ZN7rocprim17ROCPRIM_400000_NS6detail17trampoline_kernelINS0_14default_configENS1_27lower_bound_config_selectorIN6thrust23THRUST_200600_302600_NS5tupleIiiNS6_9null_typeES8_S8_S8_S8_S8_S8_S8_EEiEEZNS1_14transform_implILb0ES3_SA_NS6_6detail15normal_iteratorINS6_10device_ptrIS9_EEEENSD_INSE_IiEEEEZNS1_13binary_searchIS3_SA_SG_SG_SI_NS1_21lower_bound_search_opENSC_16wrapped_functionINS0_4lessIvEEbEEEE10hipError_tPvRmT1_T2_T3_mmT4_T5_P12ihipStream_tbEUlRKS9_E_EESP_ST_SU_mSV_SY_bEUlT_E_NS1_11comp_targetILNS1_3genE2ELNS1_11target_archE906ELNS1_3gpuE6ELNS1_3repE0EEENS1_30default_config_static_selectorELNS0_4arch9wavefront6targetE1EEEvSS_: ; @_ZN7rocprim17ROCPRIM_400000_NS6detail17trampoline_kernelINS0_14default_configENS1_27lower_bound_config_selectorIN6thrust23THRUST_200600_302600_NS5tupleIiiNS6_9null_typeES8_S8_S8_S8_S8_S8_S8_EEiEEZNS1_14transform_implILb0ES3_SA_NS6_6detail15normal_iteratorINS6_10device_ptrIS9_EEEENSD_INSE_IiEEEEZNS1_13binary_searchIS3_SA_SG_SG_SI_NS1_21lower_bound_search_opENSC_16wrapped_functionINS0_4lessIvEEbEEEE10hipError_tPvRmT1_T2_T3_mmT4_T5_P12ihipStream_tbEUlRKS9_E_EESP_ST_SU_mSV_SY_bEUlT_E_NS1_11comp_targetILNS1_3genE2ELNS1_11target_archE906ELNS1_3gpuE6ELNS1_3repE0EEENS1_30default_config_static_selectorELNS0_4arch9wavefront6targetE1EEEvSS_
; %bb.0:
	s_load_dwordx4 s[12:15], s[4:5], 0x0
	s_load_dwordx4 s[8:11], s[4:5], 0x18
	s_load_dwordx2 s[16:17], s[4:5], 0x28
	s_load_dword s2, s[4:5], 0x38
	s_waitcnt lgkmcnt(0)
	s_lshl_b64 s[0:1], s[14:15], 3
	s_add_u32 s20, s12, s0
	s_addc_u32 s21, s13, s1
	s_lshl_b32 s12, s6, 8
	s_add_i32 s2, s2, -1
	s_cmp_lg_u32 s6, s2
	s_mov_b32 s13, 0
	s_cbranch_scc0 .LBB493_6
; %bb.1:
	v_mov_b32_e32 v1, 0
	s_mov_b64 s[18:19], 0
	s_cmp_eq_u64 s[16:17], 0
	v_mov_b32_e32 v2, v1
	s_cbranch_scc1 .LBB493_5
; %bb.2:
	s_lshl_b64 s[0:1], s[12:13], 3
	s_add_u32 s0, s20, s0
	s_addc_u32 s1, s21, s1
	v_lshlrev_b32_e32 v2, 3, v0
	v_mov_b32_e32 v3, s1
	v_add_co_u32_e32 v2, vcc, s0, v2
	v_addc_co_u32_e32 v3, vcc, 0, v3, vcc
	flat_load_dwordx2 v[4:5], v[2:3]
	v_mov_b32_e32 v2, 0
	v_mov_b32_e32 v6, s16
	s_mov_b64 s[6:7], 0
	v_mov_b32_e32 v3, 0
	v_mov_b32_e32 v7, s17
	;; [unrolled: 1-line block ×3, first 2 shown]
.LBB493_3:                              ; =>This Inner Loop Header: Depth=1
	v_sub_co_u32_e32 v9, vcc, v6, v2
	v_subb_co_u32_e32 v10, vcc, v7, v3, vcc
	v_lshrrev_b64 v[11:12], 1, v[9:10]
	v_lshrrev_b64 v[9:10], 6, v[9:10]
	v_add_co_u32_e32 v11, vcc, v11, v2
	v_addc_co_u32_e32 v12, vcc, v12, v3, vcc
	v_add_co_u32_e32 v9, vcc, v11, v9
	v_addc_co_u32_e32 v10, vcc, v12, v10, vcc
	v_lshlrev_b64 v[11:12], 3, v[9:10]
	v_add_co_u32_e32 v11, vcc, s10, v11
	v_addc_co_u32_e32 v12, vcc, v8, v12, vcc
	global_load_dwordx2 v[11:12], v[11:12], off
	v_add_co_u32_e32 v13, vcc, 1, v9
	v_addc_co_u32_e32 v14, vcc, 0, v10, vcc
	s_waitcnt vmcnt(0) lgkmcnt(0)
	v_cmp_ge_i32_e64 s[0:1], v4, v11
	v_cmp_lt_i32_e64 s[2:3], v12, v5
	v_cmp_lt_i32_e32 vcc, v11, v4
	s_and_b64 s[0:1], s[0:1], s[2:3]
	s_or_b64 vcc, vcc, s[0:1]
	v_cndmask_b32_e32 v7, v10, v7, vcc
	v_cndmask_b32_e32 v6, v9, v6, vcc
	;; [unrolled: 1-line block ×4, first 2 shown]
	v_cmp_ge_u64_e32 vcc, v[2:3], v[6:7]
	s_or_b64 s[6:7], vcc, s[6:7]
	s_andn2_b64 exec, exec, s[6:7]
	s_cbranch_execnz .LBB493_3
; %bb.4:
	s_or_b64 exec, exec, s[6:7]
.LBB493_5:
	s_mov_b64 s[6:7], -1
	s_andn2_b64 vcc, exec, s[18:19]
	s_cbranch_vccz .LBB493_7
	s_branch .LBB493_14
.LBB493_6:
	s_mov_b64 s[6:7], 0
                                        ; implicit-def: $vgpr2
.LBB493_7:
	s_load_dword s0, s[4:5], 0x10
                                        ; implicit-def: $vgpr2
	s_waitcnt lgkmcnt(0)
	s_sub_i32 s0, s0, s12
	v_cmp_gt_u32_e32 vcc, s0, v0
	s_and_saveexec_b64 s[4:5], vcc
	s_cbranch_execz .LBB493_13
; %bb.8:
	v_mov_b32_e32 v1, 0
	s_mov_b64 s[18:19], 0
	s_cmp_eq_u64 s[16:17], 0
	v_mov_b32_e32 v2, v1
	s_cbranch_scc1 .LBB493_12
; %bb.9:
	s_lshl_b64 s[0:1], s[12:13], 3
	s_add_u32 s0, s20, s0
	s_addc_u32 s1, s21, s1
	v_lshlrev_b32_e32 v2, 3, v0
	v_mov_b32_e32 v3, s1
	v_add_co_u32_e32 v2, vcc, s0, v2
	v_addc_co_u32_e32 v3, vcc, 0, v3, vcc
	flat_load_dwordx2 v[4:5], v[2:3]
	v_mov_b32_e32 v2, 0
	v_mov_b32_e32 v6, s16
	;; [unrolled: 1-line block ×5, first 2 shown]
.LBB493_10:                             ; =>This Inner Loop Header: Depth=1
	v_sub_co_u32_e32 v9, vcc, v6, v2
	v_subb_co_u32_e32 v10, vcc, v7, v3, vcc
	v_lshrrev_b64 v[11:12], 1, v[9:10]
	v_lshrrev_b64 v[9:10], 6, v[9:10]
	v_add_co_u32_e32 v11, vcc, v11, v2
	v_addc_co_u32_e32 v12, vcc, v12, v3, vcc
	v_add_co_u32_e32 v9, vcc, v11, v9
	v_addc_co_u32_e32 v10, vcc, v12, v10, vcc
	v_lshlrev_b64 v[11:12], 3, v[9:10]
	v_add_co_u32_e32 v11, vcc, s10, v11
	v_addc_co_u32_e32 v12, vcc, v8, v12, vcc
	global_load_dwordx2 v[11:12], v[11:12], off
	v_add_co_u32_e32 v13, vcc, 1, v9
	v_addc_co_u32_e32 v14, vcc, 0, v10, vcc
	s_waitcnt vmcnt(0) lgkmcnt(0)
	v_cmp_ge_i32_e64 s[0:1], v4, v11
	v_cmp_lt_i32_e64 s[2:3], v12, v5
	v_cmp_lt_i32_e32 vcc, v11, v4
	s_and_b64 s[0:1], s[0:1], s[2:3]
	s_or_b64 vcc, vcc, s[0:1]
	v_cndmask_b32_e32 v7, v10, v7, vcc
	v_cndmask_b32_e32 v6, v9, v6, vcc
	;; [unrolled: 1-line block ×4, first 2 shown]
	v_cmp_ge_u64_e32 vcc, v[2:3], v[6:7]
	s_or_b64 s[18:19], vcc, s[18:19]
	s_andn2_b64 exec, exec, s[18:19]
	s_cbranch_execnz .LBB493_10
; %bb.11:
	s_or_b64 exec, exec, s[18:19]
.LBB493_12:
	s_or_b64 s[6:7], s[6:7], exec
.LBB493_13:
	s_or_b64 exec, exec, s[4:5]
.LBB493_14:
	s_and_saveexec_b64 s[0:1], s[6:7]
	s_cbranch_execnz .LBB493_16
; %bb.15:
	s_endpgm
.LBB493_16:
	s_lshl_b64 s[0:1], s[14:15], 2
	s_add_u32 s2, s8, s0
	s_addc_u32 s3, s9, s1
	s_lshl_b64 s[0:1], s[12:13], 2
	s_add_u32 s0, s2, s0
	v_lshlrev_b64 v[0:1], 2, v[0:1]
	s_addc_u32 s1, s3, s1
	v_mov_b32_e32 v3, s1
	v_add_co_u32_e32 v0, vcc, s0, v0
	v_addc_co_u32_e32 v1, vcc, v3, v1, vcc
	flat_store_dword v[0:1], v2
	s_endpgm
	.section	.rodata,"a",@progbits
	.p2align	6, 0x0
	.amdhsa_kernel _ZN7rocprim17ROCPRIM_400000_NS6detail17trampoline_kernelINS0_14default_configENS1_27lower_bound_config_selectorIN6thrust23THRUST_200600_302600_NS5tupleIiiNS6_9null_typeES8_S8_S8_S8_S8_S8_S8_EEiEEZNS1_14transform_implILb0ES3_SA_NS6_6detail15normal_iteratorINS6_10device_ptrIS9_EEEENSD_INSE_IiEEEEZNS1_13binary_searchIS3_SA_SG_SG_SI_NS1_21lower_bound_search_opENSC_16wrapped_functionINS0_4lessIvEEbEEEE10hipError_tPvRmT1_T2_T3_mmT4_T5_P12ihipStream_tbEUlRKS9_E_EESP_ST_SU_mSV_SY_bEUlT_E_NS1_11comp_targetILNS1_3genE2ELNS1_11target_archE906ELNS1_3gpuE6ELNS1_3repE0EEENS1_30default_config_static_selectorELNS0_4arch9wavefront6targetE1EEEvSS_
		.amdhsa_group_segment_fixed_size 0
		.amdhsa_private_segment_fixed_size 0
		.amdhsa_kernarg_size 312
		.amdhsa_user_sgpr_count 6
		.amdhsa_user_sgpr_private_segment_buffer 1
		.amdhsa_user_sgpr_dispatch_ptr 0
		.amdhsa_user_sgpr_queue_ptr 0
		.amdhsa_user_sgpr_kernarg_segment_ptr 1
		.amdhsa_user_sgpr_dispatch_id 0
		.amdhsa_user_sgpr_flat_scratch_init 0
		.amdhsa_user_sgpr_private_segment_size 0
		.amdhsa_uses_dynamic_stack 0
		.amdhsa_system_sgpr_private_segment_wavefront_offset 0
		.amdhsa_system_sgpr_workgroup_id_x 1
		.amdhsa_system_sgpr_workgroup_id_y 0
		.amdhsa_system_sgpr_workgroup_id_z 0
		.amdhsa_system_sgpr_workgroup_info 0
		.amdhsa_system_vgpr_workitem_id 0
		.amdhsa_next_free_vgpr 15
		.amdhsa_next_free_sgpr 22
		.amdhsa_reserve_vcc 1
		.amdhsa_reserve_flat_scratch 0
		.amdhsa_float_round_mode_32 0
		.amdhsa_float_round_mode_16_64 0
		.amdhsa_float_denorm_mode_32 3
		.amdhsa_float_denorm_mode_16_64 3
		.amdhsa_dx10_clamp 1
		.amdhsa_ieee_mode 1
		.amdhsa_fp16_overflow 0
		.amdhsa_exception_fp_ieee_invalid_op 0
		.amdhsa_exception_fp_denorm_src 0
		.amdhsa_exception_fp_ieee_div_zero 0
		.amdhsa_exception_fp_ieee_overflow 0
		.amdhsa_exception_fp_ieee_underflow 0
		.amdhsa_exception_fp_ieee_inexact 0
		.amdhsa_exception_int_div_zero 0
	.end_amdhsa_kernel
	.section	.text._ZN7rocprim17ROCPRIM_400000_NS6detail17trampoline_kernelINS0_14default_configENS1_27lower_bound_config_selectorIN6thrust23THRUST_200600_302600_NS5tupleIiiNS6_9null_typeES8_S8_S8_S8_S8_S8_S8_EEiEEZNS1_14transform_implILb0ES3_SA_NS6_6detail15normal_iteratorINS6_10device_ptrIS9_EEEENSD_INSE_IiEEEEZNS1_13binary_searchIS3_SA_SG_SG_SI_NS1_21lower_bound_search_opENSC_16wrapped_functionINS0_4lessIvEEbEEEE10hipError_tPvRmT1_T2_T3_mmT4_T5_P12ihipStream_tbEUlRKS9_E_EESP_ST_SU_mSV_SY_bEUlT_E_NS1_11comp_targetILNS1_3genE2ELNS1_11target_archE906ELNS1_3gpuE6ELNS1_3repE0EEENS1_30default_config_static_selectorELNS0_4arch9wavefront6targetE1EEEvSS_,"axG",@progbits,_ZN7rocprim17ROCPRIM_400000_NS6detail17trampoline_kernelINS0_14default_configENS1_27lower_bound_config_selectorIN6thrust23THRUST_200600_302600_NS5tupleIiiNS6_9null_typeES8_S8_S8_S8_S8_S8_S8_EEiEEZNS1_14transform_implILb0ES3_SA_NS6_6detail15normal_iteratorINS6_10device_ptrIS9_EEEENSD_INSE_IiEEEEZNS1_13binary_searchIS3_SA_SG_SG_SI_NS1_21lower_bound_search_opENSC_16wrapped_functionINS0_4lessIvEEbEEEE10hipError_tPvRmT1_T2_T3_mmT4_T5_P12ihipStream_tbEUlRKS9_E_EESP_ST_SU_mSV_SY_bEUlT_E_NS1_11comp_targetILNS1_3genE2ELNS1_11target_archE906ELNS1_3gpuE6ELNS1_3repE0EEENS1_30default_config_static_selectorELNS0_4arch9wavefront6targetE1EEEvSS_,comdat
.Lfunc_end493:
	.size	_ZN7rocprim17ROCPRIM_400000_NS6detail17trampoline_kernelINS0_14default_configENS1_27lower_bound_config_selectorIN6thrust23THRUST_200600_302600_NS5tupleIiiNS6_9null_typeES8_S8_S8_S8_S8_S8_S8_EEiEEZNS1_14transform_implILb0ES3_SA_NS6_6detail15normal_iteratorINS6_10device_ptrIS9_EEEENSD_INSE_IiEEEEZNS1_13binary_searchIS3_SA_SG_SG_SI_NS1_21lower_bound_search_opENSC_16wrapped_functionINS0_4lessIvEEbEEEE10hipError_tPvRmT1_T2_T3_mmT4_T5_P12ihipStream_tbEUlRKS9_E_EESP_ST_SU_mSV_SY_bEUlT_E_NS1_11comp_targetILNS1_3genE2ELNS1_11target_archE906ELNS1_3gpuE6ELNS1_3repE0EEENS1_30default_config_static_selectorELNS0_4arch9wavefront6targetE1EEEvSS_, .Lfunc_end493-_ZN7rocprim17ROCPRIM_400000_NS6detail17trampoline_kernelINS0_14default_configENS1_27lower_bound_config_selectorIN6thrust23THRUST_200600_302600_NS5tupleIiiNS6_9null_typeES8_S8_S8_S8_S8_S8_S8_EEiEEZNS1_14transform_implILb0ES3_SA_NS6_6detail15normal_iteratorINS6_10device_ptrIS9_EEEENSD_INSE_IiEEEEZNS1_13binary_searchIS3_SA_SG_SG_SI_NS1_21lower_bound_search_opENSC_16wrapped_functionINS0_4lessIvEEbEEEE10hipError_tPvRmT1_T2_T3_mmT4_T5_P12ihipStream_tbEUlRKS9_E_EESP_ST_SU_mSV_SY_bEUlT_E_NS1_11comp_targetILNS1_3genE2ELNS1_11target_archE906ELNS1_3gpuE6ELNS1_3repE0EEENS1_30default_config_static_selectorELNS0_4arch9wavefront6targetE1EEEvSS_
                                        ; -- End function
	.set _ZN7rocprim17ROCPRIM_400000_NS6detail17trampoline_kernelINS0_14default_configENS1_27lower_bound_config_selectorIN6thrust23THRUST_200600_302600_NS5tupleIiiNS6_9null_typeES8_S8_S8_S8_S8_S8_S8_EEiEEZNS1_14transform_implILb0ES3_SA_NS6_6detail15normal_iteratorINS6_10device_ptrIS9_EEEENSD_INSE_IiEEEEZNS1_13binary_searchIS3_SA_SG_SG_SI_NS1_21lower_bound_search_opENSC_16wrapped_functionINS0_4lessIvEEbEEEE10hipError_tPvRmT1_T2_T3_mmT4_T5_P12ihipStream_tbEUlRKS9_E_EESP_ST_SU_mSV_SY_bEUlT_E_NS1_11comp_targetILNS1_3genE2ELNS1_11target_archE906ELNS1_3gpuE6ELNS1_3repE0EEENS1_30default_config_static_selectorELNS0_4arch9wavefront6targetE1EEEvSS_.num_vgpr, 15
	.set _ZN7rocprim17ROCPRIM_400000_NS6detail17trampoline_kernelINS0_14default_configENS1_27lower_bound_config_selectorIN6thrust23THRUST_200600_302600_NS5tupleIiiNS6_9null_typeES8_S8_S8_S8_S8_S8_S8_EEiEEZNS1_14transform_implILb0ES3_SA_NS6_6detail15normal_iteratorINS6_10device_ptrIS9_EEEENSD_INSE_IiEEEEZNS1_13binary_searchIS3_SA_SG_SG_SI_NS1_21lower_bound_search_opENSC_16wrapped_functionINS0_4lessIvEEbEEEE10hipError_tPvRmT1_T2_T3_mmT4_T5_P12ihipStream_tbEUlRKS9_E_EESP_ST_SU_mSV_SY_bEUlT_E_NS1_11comp_targetILNS1_3genE2ELNS1_11target_archE906ELNS1_3gpuE6ELNS1_3repE0EEENS1_30default_config_static_selectorELNS0_4arch9wavefront6targetE1EEEvSS_.num_agpr, 0
	.set _ZN7rocprim17ROCPRIM_400000_NS6detail17trampoline_kernelINS0_14default_configENS1_27lower_bound_config_selectorIN6thrust23THRUST_200600_302600_NS5tupleIiiNS6_9null_typeES8_S8_S8_S8_S8_S8_S8_EEiEEZNS1_14transform_implILb0ES3_SA_NS6_6detail15normal_iteratorINS6_10device_ptrIS9_EEEENSD_INSE_IiEEEEZNS1_13binary_searchIS3_SA_SG_SG_SI_NS1_21lower_bound_search_opENSC_16wrapped_functionINS0_4lessIvEEbEEEE10hipError_tPvRmT1_T2_T3_mmT4_T5_P12ihipStream_tbEUlRKS9_E_EESP_ST_SU_mSV_SY_bEUlT_E_NS1_11comp_targetILNS1_3genE2ELNS1_11target_archE906ELNS1_3gpuE6ELNS1_3repE0EEENS1_30default_config_static_selectorELNS0_4arch9wavefront6targetE1EEEvSS_.numbered_sgpr, 22
	.set _ZN7rocprim17ROCPRIM_400000_NS6detail17trampoline_kernelINS0_14default_configENS1_27lower_bound_config_selectorIN6thrust23THRUST_200600_302600_NS5tupleIiiNS6_9null_typeES8_S8_S8_S8_S8_S8_S8_EEiEEZNS1_14transform_implILb0ES3_SA_NS6_6detail15normal_iteratorINS6_10device_ptrIS9_EEEENSD_INSE_IiEEEEZNS1_13binary_searchIS3_SA_SG_SG_SI_NS1_21lower_bound_search_opENSC_16wrapped_functionINS0_4lessIvEEbEEEE10hipError_tPvRmT1_T2_T3_mmT4_T5_P12ihipStream_tbEUlRKS9_E_EESP_ST_SU_mSV_SY_bEUlT_E_NS1_11comp_targetILNS1_3genE2ELNS1_11target_archE906ELNS1_3gpuE6ELNS1_3repE0EEENS1_30default_config_static_selectorELNS0_4arch9wavefront6targetE1EEEvSS_.num_named_barrier, 0
	.set _ZN7rocprim17ROCPRIM_400000_NS6detail17trampoline_kernelINS0_14default_configENS1_27lower_bound_config_selectorIN6thrust23THRUST_200600_302600_NS5tupleIiiNS6_9null_typeES8_S8_S8_S8_S8_S8_S8_EEiEEZNS1_14transform_implILb0ES3_SA_NS6_6detail15normal_iteratorINS6_10device_ptrIS9_EEEENSD_INSE_IiEEEEZNS1_13binary_searchIS3_SA_SG_SG_SI_NS1_21lower_bound_search_opENSC_16wrapped_functionINS0_4lessIvEEbEEEE10hipError_tPvRmT1_T2_T3_mmT4_T5_P12ihipStream_tbEUlRKS9_E_EESP_ST_SU_mSV_SY_bEUlT_E_NS1_11comp_targetILNS1_3genE2ELNS1_11target_archE906ELNS1_3gpuE6ELNS1_3repE0EEENS1_30default_config_static_selectorELNS0_4arch9wavefront6targetE1EEEvSS_.private_seg_size, 0
	.set _ZN7rocprim17ROCPRIM_400000_NS6detail17trampoline_kernelINS0_14default_configENS1_27lower_bound_config_selectorIN6thrust23THRUST_200600_302600_NS5tupleIiiNS6_9null_typeES8_S8_S8_S8_S8_S8_S8_EEiEEZNS1_14transform_implILb0ES3_SA_NS6_6detail15normal_iteratorINS6_10device_ptrIS9_EEEENSD_INSE_IiEEEEZNS1_13binary_searchIS3_SA_SG_SG_SI_NS1_21lower_bound_search_opENSC_16wrapped_functionINS0_4lessIvEEbEEEE10hipError_tPvRmT1_T2_T3_mmT4_T5_P12ihipStream_tbEUlRKS9_E_EESP_ST_SU_mSV_SY_bEUlT_E_NS1_11comp_targetILNS1_3genE2ELNS1_11target_archE906ELNS1_3gpuE6ELNS1_3repE0EEENS1_30default_config_static_selectorELNS0_4arch9wavefront6targetE1EEEvSS_.uses_vcc, 1
	.set _ZN7rocprim17ROCPRIM_400000_NS6detail17trampoline_kernelINS0_14default_configENS1_27lower_bound_config_selectorIN6thrust23THRUST_200600_302600_NS5tupleIiiNS6_9null_typeES8_S8_S8_S8_S8_S8_S8_EEiEEZNS1_14transform_implILb0ES3_SA_NS6_6detail15normal_iteratorINS6_10device_ptrIS9_EEEENSD_INSE_IiEEEEZNS1_13binary_searchIS3_SA_SG_SG_SI_NS1_21lower_bound_search_opENSC_16wrapped_functionINS0_4lessIvEEbEEEE10hipError_tPvRmT1_T2_T3_mmT4_T5_P12ihipStream_tbEUlRKS9_E_EESP_ST_SU_mSV_SY_bEUlT_E_NS1_11comp_targetILNS1_3genE2ELNS1_11target_archE906ELNS1_3gpuE6ELNS1_3repE0EEENS1_30default_config_static_selectorELNS0_4arch9wavefront6targetE1EEEvSS_.uses_flat_scratch, 0
	.set _ZN7rocprim17ROCPRIM_400000_NS6detail17trampoline_kernelINS0_14default_configENS1_27lower_bound_config_selectorIN6thrust23THRUST_200600_302600_NS5tupleIiiNS6_9null_typeES8_S8_S8_S8_S8_S8_S8_EEiEEZNS1_14transform_implILb0ES3_SA_NS6_6detail15normal_iteratorINS6_10device_ptrIS9_EEEENSD_INSE_IiEEEEZNS1_13binary_searchIS3_SA_SG_SG_SI_NS1_21lower_bound_search_opENSC_16wrapped_functionINS0_4lessIvEEbEEEE10hipError_tPvRmT1_T2_T3_mmT4_T5_P12ihipStream_tbEUlRKS9_E_EESP_ST_SU_mSV_SY_bEUlT_E_NS1_11comp_targetILNS1_3genE2ELNS1_11target_archE906ELNS1_3gpuE6ELNS1_3repE0EEENS1_30default_config_static_selectorELNS0_4arch9wavefront6targetE1EEEvSS_.has_dyn_sized_stack, 0
	.set _ZN7rocprim17ROCPRIM_400000_NS6detail17trampoline_kernelINS0_14default_configENS1_27lower_bound_config_selectorIN6thrust23THRUST_200600_302600_NS5tupleIiiNS6_9null_typeES8_S8_S8_S8_S8_S8_S8_EEiEEZNS1_14transform_implILb0ES3_SA_NS6_6detail15normal_iteratorINS6_10device_ptrIS9_EEEENSD_INSE_IiEEEEZNS1_13binary_searchIS3_SA_SG_SG_SI_NS1_21lower_bound_search_opENSC_16wrapped_functionINS0_4lessIvEEbEEEE10hipError_tPvRmT1_T2_T3_mmT4_T5_P12ihipStream_tbEUlRKS9_E_EESP_ST_SU_mSV_SY_bEUlT_E_NS1_11comp_targetILNS1_3genE2ELNS1_11target_archE906ELNS1_3gpuE6ELNS1_3repE0EEENS1_30default_config_static_selectorELNS0_4arch9wavefront6targetE1EEEvSS_.has_recursion, 0
	.set _ZN7rocprim17ROCPRIM_400000_NS6detail17trampoline_kernelINS0_14default_configENS1_27lower_bound_config_selectorIN6thrust23THRUST_200600_302600_NS5tupleIiiNS6_9null_typeES8_S8_S8_S8_S8_S8_S8_EEiEEZNS1_14transform_implILb0ES3_SA_NS6_6detail15normal_iteratorINS6_10device_ptrIS9_EEEENSD_INSE_IiEEEEZNS1_13binary_searchIS3_SA_SG_SG_SI_NS1_21lower_bound_search_opENSC_16wrapped_functionINS0_4lessIvEEbEEEE10hipError_tPvRmT1_T2_T3_mmT4_T5_P12ihipStream_tbEUlRKS9_E_EESP_ST_SU_mSV_SY_bEUlT_E_NS1_11comp_targetILNS1_3genE2ELNS1_11target_archE906ELNS1_3gpuE6ELNS1_3repE0EEENS1_30default_config_static_selectorELNS0_4arch9wavefront6targetE1EEEvSS_.has_indirect_call, 0
	.section	.AMDGPU.csdata,"",@progbits
; Kernel info:
; codeLenInByte = 628
; TotalNumSgprs: 26
; NumVgprs: 15
; ScratchSize: 0
; MemoryBound: 0
; FloatMode: 240
; IeeeMode: 1
; LDSByteSize: 0 bytes/workgroup (compile time only)
; SGPRBlocks: 3
; VGPRBlocks: 3
; NumSGPRsForWavesPerEU: 26
; NumVGPRsForWavesPerEU: 15
; Occupancy: 10
; WaveLimiterHint : 0
; COMPUTE_PGM_RSRC2:SCRATCH_EN: 0
; COMPUTE_PGM_RSRC2:USER_SGPR: 6
; COMPUTE_PGM_RSRC2:TRAP_HANDLER: 0
; COMPUTE_PGM_RSRC2:TGID_X_EN: 1
; COMPUTE_PGM_RSRC2:TGID_Y_EN: 0
; COMPUTE_PGM_RSRC2:TGID_Z_EN: 0
; COMPUTE_PGM_RSRC2:TIDIG_COMP_CNT: 0
	.section	.text._ZN6thrust23THRUST_200600_302600_NS11hip_rocprim14__parallel_for6kernelILj256ENS1_20__uninitialized_copy7functorINS0_10device_ptrINS0_5tupleIiiNS0_9null_typeES8_S8_S8_S8_S8_S8_S8_EEEENS0_7pointerIS9_NS1_3tagENS0_11use_defaultESD_EEEEmLj1EEEvT0_T1_SH_,"axG",@progbits,_ZN6thrust23THRUST_200600_302600_NS11hip_rocprim14__parallel_for6kernelILj256ENS1_20__uninitialized_copy7functorINS0_10device_ptrINS0_5tupleIiiNS0_9null_typeES8_S8_S8_S8_S8_S8_S8_EEEENS0_7pointerIS9_NS1_3tagENS0_11use_defaultESD_EEEEmLj1EEEvT0_T1_SH_,comdat
	.protected	_ZN6thrust23THRUST_200600_302600_NS11hip_rocprim14__parallel_for6kernelILj256ENS1_20__uninitialized_copy7functorINS0_10device_ptrINS0_5tupleIiiNS0_9null_typeES8_S8_S8_S8_S8_S8_S8_EEEENS0_7pointerIS9_NS1_3tagENS0_11use_defaultESD_EEEEmLj1EEEvT0_T1_SH_ ; -- Begin function _ZN6thrust23THRUST_200600_302600_NS11hip_rocprim14__parallel_for6kernelILj256ENS1_20__uninitialized_copy7functorINS0_10device_ptrINS0_5tupleIiiNS0_9null_typeES8_S8_S8_S8_S8_S8_S8_EEEENS0_7pointerIS9_NS1_3tagENS0_11use_defaultESD_EEEEmLj1EEEvT0_T1_SH_
	.globl	_ZN6thrust23THRUST_200600_302600_NS11hip_rocprim14__parallel_for6kernelILj256ENS1_20__uninitialized_copy7functorINS0_10device_ptrINS0_5tupleIiiNS0_9null_typeES8_S8_S8_S8_S8_S8_S8_EEEENS0_7pointerIS9_NS1_3tagENS0_11use_defaultESD_EEEEmLj1EEEvT0_T1_SH_
	.p2align	8
	.type	_ZN6thrust23THRUST_200600_302600_NS11hip_rocprim14__parallel_for6kernelILj256ENS1_20__uninitialized_copy7functorINS0_10device_ptrINS0_5tupleIiiNS0_9null_typeES8_S8_S8_S8_S8_S8_S8_EEEENS0_7pointerIS9_NS1_3tagENS0_11use_defaultESD_EEEEmLj1EEEvT0_T1_SH_,@function
_ZN6thrust23THRUST_200600_302600_NS11hip_rocprim14__parallel_for6kernelILj256ENS1_20__uninitialized_copy7functorINS0_10device_ptrINS0_5tupleIiiNS0_9null_typeES8_S8_S8_S8_S8_S8_S8_EEEENS0_7pointerIS9_NS1_3tagENS0_11use_defaultESD_EEEEmLj1EEEvT0_T1_SH_: ; @_ZN6thrust23THRUST_200600_302600_NS11hip_rocprim14__parallel_for6kernelILj256ENS1_20__uninitialized_copy7functorINS0_10device_ptrINS0_5tupleIiiNS0_9null_typeES8_S8_S8_S8_S8_S8_S8_EEEENS0_7pointerIS9_NS1_3tagENS0_11use_defaultESD_EEEEmLj1EEEvT0_T1_SH_
; %bb.0:
	s_load_dwordx8 s[8:15], s[4:5], 0x0
	s_lshl_b32 s0, s6, 8
	v_mov_b32_e32 v1, 0xff
	v_mov_b32_e32 v2, 0
	s_mov_b64 s[2:3], -1
	s_waitcnt lgkmcnt(0)
	s_add_u32 s4, s14, s0
	s_addc_u32 s5, s15, 0
	s_sub_u32 s0, s12, s4
	s_subb_u32 s1, s13, s5
	v_cmp_gt_u64_e32 vcc, s[0:1], v[1:2]
	s_cbranch_vccz .LBB494_3
; %bb.1:
	s_andn2_b64 vcc, exec, s[2:3]
	s_cbranch_vccz .LBB494_6
.LBB494_2:
	s_endpgm
.LBB494_3:
	v_cmp_gt_u32_e32 vcc, s0, v0
	s_and_saveexec_b64 s[0:1], vcc
	s_cbranch_execz .LBB494_5
; %bb.4:
	v_mov_b32_e32 v2, s5
	v_add_co_u32_e32 v1, vcc, s4, v0
	v_addc_co_u32_e32 v2, vcc, 0, v2, vcc
	v_lshlrev_b64 v[1:2], 3, v[1:2]
	v_mov_b32_e32 v4, s9
	v_add_co_u32_e32 v3, vcc, s8, v1
	v_addc_co_u32_e32 v4, vcc, v4, v2, vcc
	flat_load_dwordx2 v[3:4], v[3:4]
	v_mov_b32_e32 v5, s11
	v_add_co_u32_e32 v1, vcc, s10, v1
	v_addc_co_u32_e32 v2, vcc, v5, v2, vcc
	s_waitcnt vmcnt(0) lgkmcnt(0)
	flat_store_dwordx2 v[1:2], v[3:4]
.LBB494_5:
	s_or_b64 exec, exec, s[0:1]
	s_cbranch_execnz .LBB494_2
.LBB494_6:
	v_mov_b32_e32 v1, s5
	v_add_co_u32_e32 v0, vcc, s4, v0
	v_addc_co_u32_e32 v1, vcc, 0, v1, vcc
	v_lshlrev_b64 v[0:1], 3, v[0:1]
	v_mov_b32_e32 v3, s9
	v_add_co_u32_e32 v2, vcc, s8, v0
	v_addc_co_u32_e32 v3, vcc, v3, v1, vcc
	flat_load_dwordx2 v[2:3], v[2:3]
	v_mov_b32_e32 v4, s11
	v_add_co_u32_e32 v0, vcc, s10, v0
	v_addc_co_u32_e32 v1, vcc, v4, v1, vcc
	s_waitcnt vmcnt(0) lgkmcnt(0)
	flat_store_dwordx2 v[0:1], v[2:3]
	s_endpgm
	.section	.rodata,"a",@progbits
	.p2align	6, 0x0
	.amdhsa_kernel _ZN6thrust23THRUST_200600_302600_NS11hip_rocprim14__parallel_for6kernelILj256ENS1_20__uninitialized_copy7functorINS0_10device_ptrINS0_5tupleIiiNS0_9null_typeES8_S8_S8_S8_S8_S8_S8_EEEENS0_7pointerIS9_NS1_3tagENS0_11use_defaultESD_EEEEmLj1EEEvT0_T1_SH_
		.amdhsa_group_segment_fixed_size 0
		.amdhsa_private_segment_fixed_size 0
		.amdhsa_kernarg_size 32
		.amdhsa_user_sgpr_count 6
		.amdhsa_user_sgpr_private_segment_buffer 1
		.amdhsa_user_sgpr_dispatch_ptr 0
		.amdhsa_user_sgpr_queue_ptr 0
		.amdhsa_user_sgpr_kernarg_segment_ptr 1
		.amdhsa_user_sgpr_dispatch_id 0
		.amdhsa_user_sgpr_flat_scratch_init 0
		.amdhsa_user_sgpr_private_segment_size 0
		.amdhsa_uses_dynamic_stack 0
		.amdhsa_system_sgpr_private_segment_wavefront_offset 0
		.amdhsa_system_sgpr_workgroup_id_x 1
		.amdhsa_system_sgpr_workgroup_id_y 0
		.amdhsa_system_sgpr_workgroup_id_z 0
		.amdhsa_system_sgpr_workgroup_info 0
		.amdhsa_system_vgpr_workitem_id 0
		.amdhsa_next_free_vgpr 6
		.amdhsa_next_free_sgpr 16
		.amdhsa_reserve_vcc 1
		.amdhsa_reserve_flat_scratch 0
		.amdhsa_float_round_mode_32 0
		.amdhsa_float_round_mode_16_64 0
		.amdhsa_float_denorm_mode_32 3
		.amdhsa_float_denorm_mode_16_64 3
		.amdhsa_dx10_clamp 1
		.amdhsa_ieee_mode 1
		.amdhsa_fp16_overflow 0
		.amdhsa_exception_fp_ieee_invalid_op 0
		.amdhsa_exception_fp_denorm_src 0
		.amdhsa_exception_fp_ieee_div_zero 0
		.amdhsa_exception_fp_ieee_overflow 0
		.amdhsa_exception_fp_ieee_underflow 0
		.amdhsa_exception_fp_ieee_inexact 0
		.amdhsa_exception_int_div_zero 0
	.end_amdhsa_kernel
	.section	.text._ZN6thrust23THRUST_200600_302600_NS11hip_rocprim14__parallel_for6kernelILj256ENS1_20__uninitialized_copy7functorINS0_10device_ptrINS0_5tupleIiiNS0_9null_typeES8_S8_S8_S8_S8_S8_S8_EEEENS0_7pointerIS9_NS1_3tagENS0_11use_defaultESD_EEEEmLj1EEEvT0_T1_SH_,"axG",@progbits,_ZN6thrust23THRUST_200600_302600_NS11hip_rocprim14__parallel_for6kernelILj256ENS1_20__uninitialized_copy7functorINS0_10device_ptrINS0_5tupleIiiNS0_9null_typeES8_S8_S8_S8_S8_S8_S8_EEEENS0_7pointerIS9_NS1_3tagENS0_11use_defaultESD_EEEEmLj1EEEvT0_T1_SH_,comdat
.Lfunc_end494:
	.size	_ZN6thrust23THRUST_200600_302600_NS11hip_rocprim14__parallel_for6kernelILj256ENS1_20__uninitialized_copy7functorINS0_10device_ptrINS0_5tupleIiiNS0_9null_typeES8_S8_S8_S8_S8_S8_S8_EEEENS0_7pointerIS9_NS1_3tagENS0_11use_defaultESD_EEEEmLj1EEEvT0_T1_SH_, .Lfunc_end494-_ZN6thrust23THRUST_200600_302600_NS11hip_rocprim14__parallel_for6kernelILj256ENS1_20__uninitialized_copy7functorINS0_10device_ptrINS0_5tupleIiiNS0_9null_typeES8_S8_S8_S8_S8_S8_S8_EEEENS0_7pointerIS9_NS1_3tagENS0_11use_defaultESD_EEEEmLj1EEEvT0_T1_SH_
                                        ; -- End function
	.set _ZN6thrust23THRUST_200600_302600_NS11hip_rocprim14__parallel_for6kernelILj256ENS1_20__uninitialized_copy7functorINS0_10device_ptrINS0_5tupleIiiNS0_9null_typeES8_S8_S8_S8_S8_S8_S8_EEEENS0_7pointerIS9_NS1_3tagENS0_11use_defaultESD_EEEEmLj1EEEvT0_T1_SH_.num_vgpr, 6
	.set _ZN6thrust23THRUST_200600_302600_NS11hip_rocprim14__parallel_for6kernelILj256ENS1_20__uninitialized_copy7functorINS0_10device_ptrINS0_5tupleIiiNS0_9null_typeES8_S8_S8_S8_S8_S8_S8_EEEENS0_7pointerIS9_NS1_3tagENS0_11use_defaultESD_EEEEmLj1EEEvT0_T1_SH_.num_agpr, 0
	.set _ZN6thrust23THRUST_200600_302600_NS11hip_rocprim14__parallel_for6kernelILj256ENS1_20__uninitialized_copy7functorINS0_10device_ptrINS0_5tupleIiiNS0_9null_typeES8_S8_S8_S8_S8_S8_S8_EEEENS0_7pointerIS9_NS1_3tagENS0_11use_defaultESD_EEEEmLj1EEEvT0_T1_SH_.numbered_sgpr, 16
	.set _ZN6thrust23THRUST_200600_302600_NS11hip_rocprim14__parallel_for6kernelILj256ENS1_20__uninitialized_copy7functorINS0_10device_ptrINS0_5tupleIiiNS0_9null_typeES8_S8_S8_S8_S8_S8_S8_EEEENS0_7pointerIS9_NS1_3tagENS0_11use_defaultESD_EEEEmLj1EEEvT0_T1_SH_.num_named_barrier, 0
	.set _ZN6thrust23THRUST_200600_302600_NS11hip_rocprim14__parallel_for6kernelILj256ENS1_20__uninitialized_copy7functorINS0_10device_ptrINS0_5tupleIiiNS0_9null_typeES8_S8_S8_S8_S8_S8_S8_EEEENS0_7pointerIS9_NS1_3tagENS0_11use_defaultESD_EEEEmLj1EEEvT0_T1_SH_.private_seg_size, 0
	.set _ZN6thrust23THRUST_200600_302600_NS11hip_rocprim14__parallel_for6kernelILj256ENS1_20__uninitialized_copy7functorINS0_10device_ptrINS0_5tupleIiiNS0_9null_typeES8_S8_S8_S8_S8_S8_S8_EEEENS0_7pointerIS9_NS1_3tagENS0_11use_defaultESD_EEEEmLj1EEEvT0_T1_SH_.uses_vcc, 1
	.set _ZN6thrust23THRUST_200600_302600_NS11hip_rocprim14__parallel_for6kernelILj256ENS1_20__uninitialized_copy7functorINS0_10device_ptrINS0_5tupleIiiNS0_9null_typeES8_S8_S8_S8_S8_S8_S8_EEEENS0_7pointerIS9_NS1_3tagENS0_11use_defaultESD_EEEEmLj1EEEvT0_T1_SH_.uses_flat_scratch, 0
	.set _ZN6thrust23THRUST_200600_302600_NS11hip_rocprim14__parallel_for6kernelILj256ENS1_20__uninitialized_copy7functorINS0_10device_ptrINS0_5tupleIiiNS0_9null_typeES8_S8_S8_S8_S8_S8_S8_EEEENS0_7pointerIS9_NS1_3tagENS0_11use_defaultESD_EEEEmLj1EEEvT0_T1_SH_.has_dyn_sized_stack, 0
	.set _ZN6thrust23THRUST_200600_302600_NS11hip_rocprim14__parallel_for6kernelILj256ENS1_20__uninitialized_copy7functorINS0_10device_ptrINS0_5tupleIiiNS0_9null_typeES8_S8_S8_S8_S8_S8_S8_EEEENS0_7pointerIS9_NS1_3tagENS0_11use_defaultESD_EEEEmLj1EEEvT0_T1_SH_.has_recursion, 0
	.set _ZN6thrust23THRUST_200600_302600_NS11hip_rocprim14__parallel_for6kernelILj256ENS1_20__uninitialized_copy7functorINS0_10device_ptrINS0_5tupleIiiNS0_9null_typeES8_S8_S8_S8_S8_S8_S8_EEEENS0_7pointerIS9_NS1_3tagENS0_11use_defaultESD_EEEEmLj1EEEvT0_T1_SH_.has_indirect_call, 0
	.section	.AMDGPU.csdata,"",@progbits
; Kernel info:
; codeLenInByte = 220
; TotalNumSgprs: 20
; NumVgprs: 6
; ScratchSize: 0
; MemoryBound: 0
; FloatMode: 240
; IeeeMode: 1
; LDSByteSize: 0 bytes/workgroup (compile time only)
; SGPRBlocks: 2
; VGPRBlocks: 1
; NumSGPRsForWavesPerEU: 20
; NumVGPRsForWavesPerEU: 6
; Occupancy: 10
; WaveLimiterHint : 0
; COMPUTE_PGM_RSRC2:SCRATCH_EN: 0
; COMPUTE_PGM_RSRC2:USER_SGPR: 6
; COMPUTE_PGM_RSRC2:TRAP_HANDLER: 0
; COMPUTE_PGM_RSRC2:TGID_X_EN: 1
; COMPUTE_PGM_RSRC2:TGID_Y_EN: 0
; COMPUTE_PGM_RSRC2:TGID_Z_EN: 0
; COMPUTE_PGM_RSRC2:TIDIG_COMP_CNT: 0
	.section	.text._ZN7rocprim17ROCPRIM_400000_NS6detail17trampoline_kernelINS0_14default_configENS1_27lower_bound_config_selectorIN6thrust23THRUST_200600_302600_NS5tupleIiiNS6_9null_typeES8_S8_S8_S8_S8_S8_S8_EEiEEZNS1_14transform_implILb0ES3_SA_NS6_6detail15normal_iteratorINS6_10device_ptrIS9_EEEENSD_INSE_IiEEEEZNS1_13binary_searchIS3_SA_SG_SG_SI_NS1_21lower_bound_search_opENSC_16wrapped_functionINS0_4lessIvEEbEEEE10hipError_tPvRmT1_T2_T3_mmT4_T5_P12ihipStream_tbEUlRKS9_E_EESP_ST_SU_mSV_SY_bEUlT_E_NS1_11comp_targetILNS1_3genE10ELNS1_11target_archE1201ELNS1_3gpuE5ELNS1_3repE0EEENS1_30default_config_static_selectorELNS0_4arch9wavefront6targetE1EEEvSS_,"axG",@progbits,_ZN7rocprim17ROCPRIM_400000_NS6detail17trampoline_kernelINS0_14default_configENS1_27lower_bound_config_selectorIN6thrust23THRUST_200600_302600_NS5tupleIiiNS6_9null_typeES8_S8_S8_S8_S8_S8_S8_EEiEEZNS1_14transform_implILb0ES3_SA_NS6_6detail15normal_iteratorINS6_10device_ptrIS9_EEEENSD_INSE_IiEEEEZNS1_13binary_searchIS3_SA_SG_SG_SI_NS1_21lower_bound_search_opENSC_16wrapped_functionINS0_4lessIvEEbEEEE10hipError_tPvRmT1_T2_T3_mmT4_T5_P12ihipStream_tbEUlRKS9_E_EESP_ST_SU_mSV_SY_bEUlT_E_NS1_11comp_targetILNS1_3genE10ELNS1_11target_archE1201ELNS1_3gpuE5ELNS1_3repE0EEENS1_30default_config_static_selectorELNS0_4arch9wavefront6targetE1EEEvSS_,comdat
	.protected	_ZN7rocprim17ROCPRIM_400000_NS6detail17trampoline_kernelINS0_14default_configENS1_27lower_bound_config_selectorIN6thrust23THRUST_200600_302600_NS5tupleIiiNS6_9null_typeES8_S8_S8_S8_S8_S8_S8_EEiEEZNS1_14transform_implILb0ES3_SA_NS6_6detail15normal_iteratorINS6_10device_ptrIS9_EEEENSD_INSE_IiEEEEZNS1_13binary_searchIS3_SA_SG_SG_SI_NS1_21lower_bound_search_opENSC_16wrapped_functionINS0_4lessIvEEbEEEE10hipError_tPvRmT1_T2_T3_mmT4_T5_P12ihipStream_tbEUlRKS9_E_EESP_ST_SU_mSV_SY_bEUlT_E_NS1_11comp_targetILNS1_3genE10ELNS1_11target_archE1201ELNS1_3gpuE5ELNS1_3repE0EEENS1_30default_config_static_selectorELNS0_4arch9wavefront6targetE1EEEvSS_ ; -- Begin function _ZN7rocprim17ROCPRIM_400000_NS6detail17trampoline_kernelINS0_14default_configENS1_27lower_bound_config_selectorIN6thrust23THRUST_200600_302600_NS5tupleIiiNS6_9null_typeES8_S8_S8_S8_S8_S8_S8_EEiEEZNS1_14transform_implILb0ES3_SA_NS6_6detail15normal_iteratorINS6_10device_ptrIS9_EEEENSD_INSE_IiEEEEZNS1_13binary_searchIS3_SA_SG_SG_SI_NS1_21lower_bound_search_opENSC_16wrapped_functionINS0_4lessIvEEbEEEE10hipError_tPvRmT1_T2_T3_mmT4_T5_P12ihipStream_tbEUlRKS9_E_EESP_ST_SU_mSV_SY_bEUlT_E_NS1_11comp_targetILNS1_3genE10ELNS1_11target_archE1201ELNS1_3gpuE5ELNS1_3repE0EEENS1_30default_config_static_selectorELNS0_4arch9wavefront6targetE1EEEvSS_
	.globl	_ZN7rocprim17ROCPRIM_400000_NS6detail17trampoline_kernelINS0_14default_configENS1_27lower_bound_config_selectorIN6thrust23THRUST_200600_302600_NS5tupleIiiNS6_9null_typeES8_S8_S8_S8_S8_S8_S8_EEiEEZNS1_14transform_implILb0ES3_SA_NS6_6detail15normal_iteratorINS6_10device_ptrIS9_EEEENSD_INSE_IiEEEEZNS1_13binary_searchIS3_SA_SG_SG_SI_NS1_21lower_bound_search_opENSC_16wrapped_functionINS0_4lessIvEEbEEEE10hipError_tPvRmT1_T2_T3_mmT4_T5_P12ihipStream_tbEUlRKS9_E_EESP_ST_SU_mSV_SY_bEUlT_E_NS1_11comp_targetILNS1_3genE10ELNS1_11target_archE1201ELNS1_3gpuE5ELNS1_3repE0EEENS1_30default_config_static_selectorELNS0_4arch9wavefront6targetE1EEEvSS_
	.p2align	8
	.type	_ZN7rocprim17ROCPRIM_400000_NS6detail17trampoline_kernelINS0_14default_configENS1_27lower_bound_config_selectorIN6thrust23THRUST_200600_302600_NS5tupleIiiNS6_9null_typeES8_S8_S8_S8_S8_S8_S8_EEiEEZNS1_14transform_implILb0ES3_SA_NS6_6detail15normal_iteratorINS6_10device_ptrIS9_EEEENSD_INSE_IiEEEEZNS1_13binary_searchIS3_SA_SG_SG_SI_NS1_21lower_bound_search_opENSC_16wrapped_functionINS0_4lessIvEEbEEEE10hipError_tPvRmT1_T2_T3_mmT4_T5_P12ihipStream_tbEUlRKS9_E_EESP_ST_SU_mSV_SY_bEUlT_E_NS1_11comp_targetILNS1_3genE10ELNS1_11target_archE1201ELNS1_3gpuE5ELNS1_3repE0EEENS1_30default_config_static_selectorELNS0_4arch9wavefront6targetE1EEEvSS_,@function
_ZN7rocprim17ROCPRIM_400000_NS6detail17trampoline_kernelINS0_14default_configENS1_27lower_bound_config_selectorIN6thrust23THRUST_200600_302600_NS5tupleIiiNS6_9null_typeES8_S8_S8_S8_S8_S8_S8_EEiEEZNS1_14transform_implILb0ES3_SA_NS6_6detail15normal_iteratorINS6_10device_ptrIS9_EEEENSD_INSE_IiEEEEZNS1_13binary_searchIS3_SA_SG_SG_SI_NS1_21lower_bound_search_opENSC_16wrapped_functionINS0_4lessIvEEbEEEE10hipError_tPvRmT1_T2_T3_mmT4_T5_P12ihipStream_tbEUlRKS9_E_EESP_ST_SU_mSV_SY_bEUlT_E_NS1_11comp_targetILNS1_3genE10ELNS1_11target_archE1201ELNS1_3gpuE5ELNS1_3repE0EEENS1_30default_config_static_selectorELNS0_4arch9wavefront6targetE1EEEvSS_: ; @_ZN7rocprim17ROCPRIM_400000_NS6detail17trampoline_kernelINS0_14default_configENS1_27lower_bound_config_selectorIN6thrust23THRUST_200600_302600_NS5tupleIiiNS6_9null_typeES8_S8_S8_S8_S8_S8_S8_EEiEEZNS1_14transform_implILb0ES3_SA_NS6_6detail15normal_iteratorINS6_10device_ptrIS9_EEEENSD_INSE_IiEEEEZNS1_13binary_searchIS3_SA_SG_SG_SI_NS1_21lower_bound_search_opENSC_16wrapped_functionINS0_4lessIvEEbEEEE10hipError_tPvRmT1_T2_T3_mmT4_T5_P12ihipStream_tbEUlRKS9_E_EESP_ST_SU_mSV_SY_bEUlT_E_NS1_11comp_targetILNS1_3genE10ELNS1_11target_archE1201ELNS1_3gpuE5ELNS1_3repE0EEENS1_30default_config_static_selectorELNS0_4arch9wavefront6targetE1EEEvSS_
; %bb.0:
	.section	.rodata,"a",@progbits
	.p2align	6, 0x0
	.amdhsa_kernel _ZN7rocprim17ROCPRIM_400000_NS6detail17trampoline_kernelINS0_14default_configENS1_27lower_bound_config_selectorIN6thrust23THRUST_200600_302600_NS5tupleIiiNS6_9null_typeES8_S8_S8_S8_S8_S8_S8_EEiEEZNS1_14transform_implILb0ES3_SA_NS6_6detail15normal_iteratorINS6_10device_ptrIS9_EEEENSD_INSE_IiEEEEZNS1_13binary_searchIS3_SA_SG_SG_SI_NS1_21lower_bound_search_opENSC_16wrapped_functionINS0_4lessIvEEbEEEE10hipError_tPvRmT1_T2_T3_mmT4_T5_P12ihipStream_tbEUlRKS9_E_EESP_ST_SU_mSV_SY_bEUlT_E_NS1_11comp_targetILNS1_3genE10ELNS1_11target_archE1201ELNS1_3gpuE5ELNS1_3repE0EEENS1_30default_config_static_selectorELNS0_4arch9wavefront6targetE1EEEvSS_
		.amdhsa_group_segment_fixed_size 0
		.amdhsa_private_segment_fixed_size 0
		.amdhsa_kernarg_size 56
		.amdhsa_user_sgpr_count 6
		.amdhsa_user_sgpr_private_segment_buffer 1
		.amdhsa_user_sgpr_dispatch_ptr 0
		.amdhsa_user_sgpr_queue_ptr 0
		.amdhsa_user_sgpr_kernarg_segment_ptr 1
		.amdhsa_user_sgpr_dispatch_id 0
		.amdhsa_user_sgpr_flat_scratch_init 0
		.amdhsa_user_sgpr_private_segment_size 0
		.amdhsa_uses_dynamic_stack 0
		.amdhsa_system_sgpr_private_segment_wavefront_offset 0
		.amdhsa_system_sgpr_workgroup_id_x 1
		.amdhsa_system_sgpr_workgroup_id_y 0
		.amdhsa_system_sgpr_workgroup_id_z 0
		.amdhsa_system_sgpr_workgroup_info 0
		.amdhsa_system_vgpr_workitem_id 0
		.amdhsa_next_free_vgpr 1
		.amdhsa_next_free_sgpr 0
		.amdhsa_reserve_vcc 0
		.amdhsa_reserve_flat_scratch 0
		.amdhsa_float_round_mode_32 0
		.amdhsa_float_round_mode_16_64 0
		.amdhsa_float_denorm_mode_32 3
		.amdhsa_float_denorm_mode_16_64 3
		.amdhsa_dx10_clamp 1
		.amdhsa_ieee_mode 1
		.amdhsa_fp16_overflow 0
		.amdhsa_exception_fp_ieee_invalid_op 0
		.amdhsa_exception_fp_denorm_src 0
		.amdhsa_exception_fp_ieee_div_zero 0
		.amdhsa_exception_fp_ieee_overflow 0
		.amdhsa_exception_fp_ieee_underflow 0
		.amdhsa_exception_fp_ieee_inexact 0
		.amdhsa_exception_int_div_zero 0
	.end_amdhsa_kernel
	.section	.text._ZN7rocprim17ROCPRIM_400000_NS6detail17trampoline_kernelINS0_14default_configENS1_27lower_bound_config_selectorIN6thrust23THRUST_200600_302600_NS5tupleIiiNS6_9null_typeES8_S8_S8_S8_S8_S8_S8_EEiEEZNS1_14transform_implILb0ES3_SA_NS6_6detail15normal_iteratorINS6_10device_ptrIS9_EEEENSD_INSE_IiEEEEZNS1_13binary_searchIS3_SA_SG_SG_SI_NS1_21lower_bound_search_opENSC_16wrapped_functionINS0_4lessIvEEbEEEE10hipError_tPvRmT1_T2_T3_mmT4_T5_P12ihipStream_tbEUlRKS9_E_EESP_ST_SU_mSV_SY_bEUlT_E_NS1_11comp_targetILNS1_3genE10ELNS1_11target_archE1201ELNS1_3gpuE5ELNS1_3repE0EEENS1_30default_config_static_selectorELNS0_4arch9wavefront6targetE1EEEvSS_,"axG",@progbits,_ZN7rocprim17ROCPRIM_400000_NS6detail17trampoline_kernelINS0_14default_configENS1_27lower_bound_config_selectorIN6thrust23THRUST_200600_302600_NS5tupleIiiNS6_9null_typeES8_S8_S8_S8_S8_S8_S8_EEiEEZNS1_14transform_implILb0ES3_SA_NS6_6detail15normal_iteratorINS6_10device_ptrIS9_EEEENSD_INSE_IiEEEEZNS1_13binary_searchIS3_SA_SG_SG_SI_NS1_21lower_bound_search_opENSC_16wrapped_functionINS0_4lessIvEEbEEEE10hipError_tPvRmT1_T2_T3_mmT4_T5_P12ihipStream_tbEUlRKS9_E_EESP_ST_SU_mSV_SY_bEUlT_E_NS1_11comp_targetILNS1_3genE10ELNS1_11target_archE1201ELNS1_3gpuE5ELNS1_3repE0EEENS1_30default_config_static_selectorELNS0_4arch9wavefront6targetE1EEEvSS_,comdat
.Lfunc_end495:
	.size	_ZN7rocprim17ROCPRIM_400000_NS6detail17trampoline_kernelINS0_14default_configENS1_27lower_bound_config_selectorIN6thrust23THRUST_200600_302600_NS5tupleIiiNS6_9null_typeES8_S8_S8_S8_S8_S8_S8_EEiEEZNS1_14transform_implILb0ES3_SA_NS6_6detail15normal_iteratorINS6_10device_ptrIS9_EEEENSD_INSE_IiEEEEZNS1_13binary_searchIS3_SA_SG_SG_SI_NS1_21lower_bound_search_opENSC_16wrapped_functionINS0_4lessIvEEbEEEE10hipError_tPvRmT1_T2_T3_mmT4_T5_P12ihipStream_tbEUlRKS9_E_EESP_ST_SU_mSV_SY_bEUlT_E_NS1_11comp_targetILNS1_3genE10ELNS1_11target_archE1201ELNS1_3gpuE5ELNS1_3repE0EEENS1_30default_config_static_selectorELNS0_4arch9wavefront6targetE1EEEvSS_, .Lfunc_end495-_ZN7rocprim17ROCPRIM_400000_NS6detail17trampoline_kernelINS0_14default_configENS1_27lower_bound_config_selectorIN6thrust23THRUST_200600_302600_NS5tupleIiiNS6_9null_typeES8_S8_S8_S8_S8_S8_S8_EEiEEZNS1_14transform_implILb0ES3_SA_NS6_6detail15normal_iteratorINS6_10device_ptrIS9_EEEENSD_INSE_IiEEEEZNS1_13binary_searchIS3_SA_SG_SG_SI_NS1_21lower_bound_search_opENSC_16wrapped_functionINS0_4lessIvEEbEEEE10hipError_tPvRmT1_T2_T3_mmT4_T5_P12ihipStream_tbEUlRKS9_E_EESP_ST_SU_mSV_SY_bEUlT_E_NS1_11comp_targetILNS1_3genE10ELNS1_11target_archE1201ELNS1_3gpuE5ELNS1_3repE0EEENS1_30default_config_static_selectorELNS0_4arch9wavefront6targetE1EEEvSS_
                                        ; -- End function
	.set _ZN7rocprim17ROCPRIM_400000_NS6detail17trampoline_kernelINS0_14default_configENS1_27lower_bound_config_selectorIN6thrust23THRUST_200600_302600_NS5tupleIiiNS6_9null_typeES8_S8_S8_S8_S8_S8_S8_EEiEEZNS1_14transform_implILb0ES3_SA_NS6_6detail15normal_iteratorINS6_10device_ptrIS9_EEEENSD_INSE_IiEEEEZNS1_13binary_searchIS3_SA_SG_SG_SI_NS1_21lower_bound_search_opENSC_16wrapped_functionINS0_4lessIvEEbEEEE10hipError_tPvRmT1_T2_T3_mmT4_T5_P12ihipStream_tbEUlRKS9_E_EESP_ST_SU_mSV_SY_bEUlT_E_NS1_11comp_targetILNS1_3genE10ELNS1_11target_archE1201ELNS1_3gpuE5ELNS1_3repE0EEENS1_30default_config_static_selectorELNS0_4arch9wavefront6targetE1EEEvSS_.num_vgpr, 0
	.set _ZN7rocprim17ROCPRIM_400000_NS6detail17trampoline_kernelINS0_14default_configENS1_27lower_bound_config_selectorIN6thrust23THRUST_200600_302600_NS5tupleIiiNS6_9null_typeES8_S8_S8_S8_S8_S8_S8_EEiEEZNS1_14transform_implILb0ES3_SA_NS6_6detail15normal_iteratorINS6_10device_ptrIS9_EEEENSD_INSE_IiEEEEZNS1_13binary_searchIS3_SA_SG_SG_SI_NS1_21lower_bound_search_opENSC_16wrapped_functionINS0_4lessIvEEbEEEE10hipError_tPvRmT1_T2_T3_mmT4_T5_P12ihipStream_tbEUlRKS9_E_EESP_ST_SU_mSV_SY_bEUlT_E_NS1_11comp_targetILNS1_3genE10ELNS1_11target_archE1201ELNS1_3gpuE5ELNS1_3repE0EEENS1_30default_config_static_selectorELNS0_4arch9wavefront6targetE1EEEvSS_.num_agpr, 0
	.set _ZN7rocprim17ROCPRIM_400000_NS6detail17trampoline_kernelINS0_14default_configENS1_27lower_bound_config_selectorIN6thrust23THRUST_200600_302600_NS5tupleIiiNS6_9null_typeES8_S8_S8_S8_S8_S8_S8_EEiEEZNS1_14transform_implILb0ES3_SA_NS6_6detail15normal_iteratorINS6_10device_ptrIS9_EEEENSD_INSE_IiEEEEZNS1_13binary_searchIS3_SA_SG_SG_SI_NS1_21lower_bound_search_opENSC_16wrapped_functionINS0_4lessIvEEbEEEE10hipError_tPvRmT1_T2_T3_mmT4_T5_P12ihipStream_tbEUlRKS9_E_EESP_ST_SU_mSV_SY_bEUlT_E_NS1_11comp_targetILNS1_3genE10ELNS1_11target_archE1201ELNS1_3gpuE5ELNS1_3repE0EEENS1_30default_config_static_selectorELNS0_4arch9wavefront6targetE1EEEvSS_.numbered_sgpr, 0
	.set _ZN7rocprim17ROCPRIM_400000_NS6detail17trampoline_kernelINS0_14default_configENS1_27lower_bound_config_selectorIN6thrust23THRUST_200600_302600_NS5tupleIiiNS6_9null_typeES8_S8_S8_S8_S8_S8_S8_EEiEEZNS1_14transform_implILb0ES3_SA_NS6_6detail15normal_iteratorINS6_10device_ptrIS9_EEEENSD_INSE_IiEEEEZNS1_13binary_searchIS3_SA_SG_SG_SI_NS1_21lower_bound_search_opENSC_16wrapped_functionINS0_4lessIvEEbEEEE10hipError_tPvRmT1_T2_T3_mmT4_T5_P12ihipStream_tbEUlRKS9_E_EESP_ST_SU_mSV_SY_bEUlT_E_NS1_11comp_targetILNS1_3genE10ELNS1_11target_archE1201ELNS1_3gpuE5ELNS1_3repE0EEENS1_30default_config_static_selectorELNS0_4arch9wavefront6targetE1EEEvSS_.num_named_barrier, 0
	.set _ZN7rocprim17ROCPRIM_400000_NS6detail17trampoline_kernelINS0_14default_configENS1_27lower_bound_config_selectorIN6thrust23THRUST_200600_302600_NS5tupleIiiNS6_9null_typeES8_S8_S8_S8_S8_S8_S8_EEiEEZNS1_14transform_implILb0ES3_SA_NS6_6detail15normal_iteratorINS6_10device_ptrIS9_EEEENSD_INSE_IiEEEEZNS1_13binary_searchIS3_SA_SG_SG_SI_NS1_21lower_bound_search_opENSC_16wrapped_functionINS0_4lessIvEEbEEEE10hipError_tPvRmT1_T2_T3_mmT4_T5_P12ihipStream_tbEUlRKS9_E_EESP_ST_SU_mSV_SY_bEUlT_E_NS1_11comp_targetILNS1_3genE10ELNS1_11target_archE1201ELNS1_3gpuE5ELNS1_3repE0EEENS1_30default_config_static_selectorELNS0_4arch9wavefront6targetE1EEEvSS_.private_seg_size, 0
	.set _ZN7rocprim17ROCPRIM_400000_NS6detail17trampoline_kernelINS0_14default_configENS1_27lower_bound_config_selectorIN6thrust23THRUST_200600_302600_NS5tupleIiiNS6_9null_typeES8_S8_S8_S8_S8_S8_S8_EEiEEZNS1_14transform_implILb0ES3_SA_NS6_6detail15normal_iteratorINS6_10device_ptrIS9_EEEENSD_INSE_IiEEEEZNS1_13binary_searchIS3_SA_SG_SG_SI_NS1_21lower_bound_search_opENSC_16wrapped_functionINS0_4lessIvEEbEEEE10hipError_tPvRmT1_T2_T3_mmT4_T5_P12ihipStream_tbEUlRKS9_E_EESP_ST_SU_mSV_SY_bEUlT_E_NS1_11comp_targetILNS1_3genE10ELNS1_11target_archE1201ELNS1_3gpuE5ELNS1_3repE0EEENS1_30default_config_static_selectorELNS0_4arch9wavefront6targetE1EEEvSS_.uses_vcc, 0
	.set _ZN7rocprim17ROCPRIM_400000_NS6detail17trampoline_kernelINS0_14default_configENS1_27lower_bound_config_selectorIN6thrust23THRUST_200600_302600_NS5tupleIiiNS6_9null_typeES8_S8_S8_S8_S8_S8_S8_EEiEEZNS1_14transform_implILb0ES3_SA_NS6_6detail15normal_iteratorINS6_10device_ptrIS9_EEEENSD_INSE_IiEEEEZNS1_13binary_searchIS3_SA_SG_SG_SI_NS1_21lower_bound_search_opENSC_16wrapped_functionINS0_4lessIvEEbEEEE10hipError_tPvRmT1_T2_T3_mmT4_T5_P12ihipStream_tbEUlRKS9_E_EESP_ST_SU_mSV_SY_bEUlT_E_NS1_11comp_targetILNS1_3genE10ELNS1_11target_archE1201ELNS1_3gpuE5ELNS1_3repE0EEENS1_30default_config_static_selectorELNS0_4arch9wavefront6targetE1EEEvSS_.uses_flat_scratch, 0
	.set _ZN7rocprim17ROCPRIM_400000_NS6detail17trampoline_kernelINS0_14default_configENS1_27lower_bound_config_selectorIN6thrust23THRUST_200600_302600_NS5tupleIiiNS6_9null_typeES8_S8_S8_S8_S8_S8_S8_EEiEEZNS1_14transform_implILb0ES3_SA_NS6_6detail15normal_iteratorINS6_10device_ptrIS9_EEEENSD_INSE_IiEEEEZNS1_13binary_searchIS3_SA_SG_SG_SI_NS1_21lower_bound_search_opENSC_16wrapped_functionINS0_4lessIvEEbEEEE10hipError_tPvRmT1_T2_T3_mmT4_T5_P12ihipStream_tbEUlRKS9_E_EESP_ST_SU_mSV_SY_bEUlT_E_NS1_11comp_targetILNS1_3genE10ELNS1_11target_archE1201ELNS1_3gpuE5ELNS1_3repE0EEENS1_30default_config_static_selectorELNS0_4arch9wavefront6targetE1EEEvSS_.has_dyn_sized_stack, 0
	.set _ZN7rocprim17ROCPRIM_400000_NS6detail17trampoline_kernelINS0_14default_configENS1_27lower_bound_config_selectorIN6thrust23THRUST_200600_302600_NS5tupleIiiNS6_9null_typeES8_S8_S8_S8_S8_S8_S8_EEiEEZNS1_14transform_implILb0ES3_SA_NS6_6detail15normal_iteratorINS6_10device_ptrIS9_EEEENSD_INSE_IiEEEEZNS1_13binary_searchIS3_SA_SG_SG_SI_NS1_21lower_bound_search_opENSC_16wrapped_functionINS0_4lessIvEEbEEEE10hipError_tPvRmT1_T2_T3_mmT4_T5_P12ihipStream_tbEUlRKS9_E_EESP_ST_SU_mSV_SY_bEUlT_E_NS1_11comp_targetILNS1_3genE10ELNS1_11target_archE1201ELNS1_3gpuE5ELNS1_3repE0EEENS1_30default_config_static_selectorELNS0_4arch9wavefront6targetE1EEEvSS_.has_recursion, 0
	.set _ZN7rocprim17ROCPRIM_400000_NS6detail17trampoline_kernelINS0_14default_configENS1_27lower_bound_config_selectorIN6thrust23THRUST_200600_302600_NS5tupleIiiNS6_9null_typeES8_S8_S8_S8_S8_S8_S8_EEiEEZNS1_14transform_implILb0ES3_SA_NS6_6detail15normal_iteratorINS6_10device_ptrIS9_EEEENSD_INSE_IiEEEEZNS1_13binary_searchIS3_SA_SG_SG_SI_NS1_21lower_bound_search_opENSC_16wrapped_functionINS0_4lessIvEEbEEEE10hipError_tPvRmT1_T2_T3_mmT4_T5_P12ihipStream_tbEUlRKS9_E_EESP_ST_SU_mSV_SY_bEUlT_E_NS1_11comp_targetILNS1_3genE10ELNS1_11target_archE1201ELNS1_3gpuE5ELNS1_3repE0EEENS1_30default_config_static_selectorELNS0_4arch9wavefront6targetE1EEEvSS_.has_indirect_call, 0
	.section	.AMDGPU.csdata,"",@progbits
; Kernel info:
; codeLenInByte = 0
; TotalNumSgprs: 4
; NumVgprs: 0
; ScratchSize: 0
; MemoryBound: 0
; FloatMode: 240
; IeeeMode: 1
; LDSByteSize: 0 bytes/workgroup (compile time only)
; SGPRBlocks: 0
; VGPRBlocks: 0
; NumSGPRsForWavesPerEU: 4
; NumVGPRsForWavesPerEU: 1
; Occupancy: 10
; WaveLimiterHint : 0
; COMPUTE_PGM_RSRC2:SCRATCH_EN: 0
; COMPUTE_PGM_RSRC2:USER_SGPR: 6
; COMPUTE_PGM_RSRC2:TRAP_HANDLER: 0
; COMPUTE_PGM_RSRC2:TGID_X_EN: 1
; COMPUTE_PGM_RSRC2:TGID_Y_EN: 0
; COMPUTE_PGM_RSRC2:TGID_Z_EN: 0
; COMPUTE_PGM_RSRC2:TIDIG_COMP_CNT: 0
	.section	.text._ZN7rocprim17ROCPRIM_400000_NS6detail17trampoline_kernelINS0_14default_configENS1_27lower_bound_config_selectorIN6thrust23THRUST_200600_302600_NS5tupleIiiNS6_9null_typeES8_S8_S8_S8_S8_S8_S8_EEiEEZNS1_14transform_implILb0ES3_SA_NS6_6detail15normal_iteratorINS6_10device_ptrIS9_EEEENSD_INSE_IiEEEEZNS1_13binary_searchIS3_SA_SG_SG_SI_NS1_21lower_bound_search_opENSC_16wrapped_functionINS0_4lessIvEEbEEEE10hipError_tPvRmT1_T2_T3_mmT4_T5_P12ihipStream_tbEUlRKS9_E_EESP_ST_SU_mSV_SY_bEUlT_E_NS1_11comp_targetILNS1_3genE10ELNS1_11target_archE1200ELNS1_3gpuE4ELNS1_3repE0EEENS1_30default_config_static_selectorELNS0_4arch9wavefront6targetE1EEEvSS_,"axG",@progbits,_ZN7rocprim17ROCPRIM_400000_NS6detail17trampoline_kernelINS0_14default_configENS1_27lower_bound_config_selectorIN6thrust23THRUST_200600_302600_NS5tupleIiiNS6_9null_typeES8_S8_S8_S8_S8_S8_S8_EEiEEZNS1_14transform_implILb0ES3_SA_NS6_6detail15normal_iteratorINS6_10device_ptrIS9_EEEENSD_INSE_IiEEEEZNS1_13binary_searchIS3_SA_SG_SG_SI_NS1_21lower_bound_search_opENSC_16wrapped_functionINS0_4lessIvEEbEEEE10hipError_tPvRmT1_T2_T3_mmT4_T5_P12ihipStream_tbEUlRKS9_E_EESP_ST_SU_mSV_SY_bEUlT_E_NS1_11comp_targetILNS1_3genE10ELNS1_11target_archE1200ELNS1_3gpuE4ELNS1_3repE0EEENS1_30default_config_static_selectorELNS0_4arch9wavefront6targetE1EEEvSS_,comdat
	.protected	_ZN7rocprim17ROCPRIM_400000_NS6detail17trampoline_kernelINS0_14default_configENS1_27lower_bound_config_selectorIN6thrust23THRUST_200600_302600_NS5tupleIiiNS6_9null_typeES8_S8_S8_S8_S8_S8_S8_EEiEEZNS1_14transform_implILb0ES3_SA_NS6_6detail15normal_iteratorINS6_10device_ptrIS9_EEEENSD_INSE_IiEEEEZNS1_13binary_searchIS3_SA_SG_SG_SI_NS1_21lower_bound_search_opENSC_16wrapped_functionINS0_4lessIvEEbEEEE10hipError_tPvRmT1_T2_T3_mmT4_T5_P12ihipStream_tbEUlRKS9_E_EESP_ST_SU_mSV_SY_bEUlT_E_NS1_11comp_targetILNS1_3genE10ELNS1_11target_archE1200ELNS1_3gpuE4ELNS1_3repE0EEENS1_30default_config_static_selectorELNS0_4arch9wavefront6targetE1EEEvSS_ ; -- Begin function _ZN7rocprim17ROCPRIM_400000_NS6detail17trampoline_kernelINS0_14default_configENS1_27lower_bound_config_selectorIN6thrust23THRUST_200600_302600_NS5tupleIiiNS6_9null_typeES8_S8_S8_S8_S8_S8_S8_EEiEEZNS1_14transform_implILb0ES3_SA_NS6_6detail15normal_iteratorINS6_10device_ptrIS9_EEEENSD_INSE_IiEEEEZNS1_13binary_searchIS3_SA_SG_SG_SI_NS1_21lower_bound_search_opENSC_16wrapped_functionINS0_4lessIvEEbEEEE10hipError_tPvRmT1_T2_T3_mmT4_T5_P12ihipStream_tbEUlRKS9_E_EESP_ST_SU_mSV_SY_bEUlT_E_NS1_11comp_targetILNS1_3genE10ELNS1_11target_archE1200ELNS1_3gpuE4ELNS1_3repE0EEENS1_30default_config_static_selectorELNS0_4arch9wavefront6targetE1EEEvSS_
	.globl	_ZN7rocprim17ROCPRIM_400000_NS6detail17trampoline_kernelINS0_14default_configENS1_27lower_bound_config_selectorIN6thrust23THRUST_200600_302600_NS5tupleIiiNS6_9null_typeES8_S8_S8_S8_S8_S8_S8_EEiEEZNS1_14transform_implILb0ES3_SA_NS6_6detail15normal_iteratorINS6_10device_ptrIS9_EEEENSD_INSE_IiEEEEZNS1_13binary_searchIS3_SA_SG_SG_SI_NS1_21lower_bound_search_opENSC_16wrapped_functionINS0_4lessIvEEbEEEE10hipError_tPvRmT1_T2_T3_mmT4_T5_P12ihipStream_tbEUlRKS9_E_EESP_ST_SU_mSV_SY_bEUlT_E_NS1_11comp_targetILNS1_3genE10ELNS1_11target_archE1200ELNS1_3gpuE4ELNS1_3repE0EEENS1_30default_config_static_selectorELNS0_4arch9wavefront6targetE1EEEvSS_
	.p2align	8
	.type	_ZN7rocprim17ROCPRIM_400000_NS6detail17trampoline_kernelINS0_14default_configENS1_27lower_bound_config_selectorIN6thrust23THRUST_200600_302600_NS5tupleIiiNS6_9null_typeES8_S8_S8_S8_S8_S8_S8_EEiEEZNS1_14transform_implILb0ES3_SA_NS6_6detail15normal_iteratorINS6_10device_ptrIS9_EEEENSD_INSE_IiEEEEZNS1_13binary_searchIS3_SA_SG_SG_SI_NS1_21lower_bound_search_opENSC_16wrapped_functionINS0_4lessIvEEbEEEE10hipError_tPvRmT1_T2_T3_mmT4_T5_P12ihipStream_tbEUlRKS9_E_EESP_ST_SU_mSV_SY_bEUlT_E_NS1_11comp_targetILNS1_3genE10ELNS1_11target_archE1200ELNS1_3gpuE4ELNS1_3repE0EEENS1_30default_config_static_selectorELNS0_4arch9wavefront6targetE1EEEvSS_,@function
_ZN7rocprim17ROCPRIM_400000_NS6detail17trampoline_kernelINS0_14default_configENS1_27lower_bound_config_selectorIN6thrust23THRUST_200600_302600_NS5tupleIiiNS6_9null_typeES8_S8_S8_S8_S8_S8_S8_EEiEEZNS1_14transform_implILb0ES3_SA_NS6_6detail15normal_iteratorINS6_10device_ptrIS9_EEEENSD_INSE_IiEEEEZNS1_13binary_searchIS3_SA_SG_SG_SI_NS1_21lower_bound_search_opENSC_16wrapped_functionINS0_4lessIvEEbEEEE10hipError_tPvRmT1_T2_T3_mmT4_T5_P12ihipStream_tbEUlRKS9_E_EESP_ST_SU_mSV_SY_bEUlT_E_NS1_11comp_targetILNS1_3genE10ELNS1_11target_archE1200ELNS1_3gpuE4ELNS1_3repE0EEENS1_30default_config_static_selectorELNS0_4arch9wavefront6targetE1EEEvSS_: ; @_ZN7rocprim17ROCPRIM_400000_NS6detail17trampoline_kernelINS0_14default_configENS1_27lower_bound_config_selectorIN6thrust23THRUST_200600_302600_NS5tupleIiiNS6_9null_typeES8_S8_S8_S8_S8_S8_S8_EEiEEZNS1_14transform_implILb0ES3_SA_NS6_6detail15normal_iteratorINS6_10device_ptrIS9_EEEENSD_INSE_IiEEEEZNS1_13binary_searchIS3_SA_SG_SG_SI_NS1_21lower_bound_search_opENSC_16wrapped_functionINS0_4lessIvEEbEEEE10hipError_tPvRmT1_T2_T3_mmT4_T5_P12ihipStream_tbEUlRKS9_E_EESP_ST_SU_mSV_SY_bEUlT_E_NS1_11comp_targetILNS1_3genE10ELNS1_11target_archE1200ELNS1_3gpuE4ELNS1_3repE0EEENS1_30default_config_static_selectorELNS0_4arch9wavefront6targetE1EEEvSS_
; %bb.0:
	.section	.rodata,"a",@progbits
	.p2align	6, 0x0
	.amdhsa_kernel _ZN7rocprim17ROCPRIM_400000_NS6detail17trampoline_kernelINS0_14default_configENS1_27lower_bound_config_selectorIN6thrust23THRUST_200600_302600_NS5tupleIiiNS6_9null_typeES8_S8_S8_S8_S8_S8_S8_EEiEEZNS1_14transform_implILb0ES3_SA_NS6_6detail15normal_iteratorINS6_10device_ptrIS9_EEEENSD_INSE_IiEEEEZNS1_13binary_searchIS3_SA_SG_SG_SI_NS1_21lower_bound_search_opENSC_16wrapped_functionINS0_4lessIvEEbEEEE10hipError_tPvRmT1_T2_T3_mmT4_T5_P12ihipStream_tbEUlRKS9_E_EESP_ST_SU_mSV_SY_bEUlT_E_NS1_11comp_targetILNS1_3genE10ELNS1_11target_archE1200ELNS1_3gpuE4ELNS1_3repE0EEENS1_30default_config_static_selectorELNS0_4arch9wavefront6targetE1EEEvSS_
		.amdhsa_group_segment_fixed_size 0
		.amdhsa_private_segment_fixed_size 0
		.amdhsa_kernarg_size 56
		.amdhsa_user_sgpr_count 6
		.amdhsa_user_sgpr_private_segment_buffer 1
		.amdhsa_user_sgpr_dispatch_ptr 0
		.amdhsa_user_sgpr_queue_ptr 0
		.amdhsa_user_sgpr_kernarg_segment_ptr 1
		.amdhsa_user_sgpr_dispatch_id 0
		.amdhsa_user_sgpr_flat_scratch_init 0
		.amdhsa_user_sgpr_private_segment_size 0
		.amdhsa_uses_dynamic_stack 0
		.amdhsa_system_sgpr_private_segment_wavefront_offset 0
		.amdhsa_system_sgpr_workgroup_id_x 1
		.amdhsa_system_sgpr_workgroup_id_y 0
		.amdhsa_system_sgpr_workgroup_id_z 0
		.amdhsa_system_sgpr_workgroup_info 0
		.amdhsa_system_vgpr_workitem_id 0
		.amdhsa_next_free_vgpr 1
		.amdhsa_next_free_sgpr 0
		.amdhsa_reserve_vcc 0
		.amdhsa_reserve_flat_scratch 0
		.amdhsa_float_round_mode_32 0
		.amdhsa_float_round_mode_16_64 0
		.amdhsa_float_denorm_mode_32 3
		.amdhsa_float_denorm_mode_16_64 3
		.amdhsa_dx10_clamp 1
		.amdhsa_ieee_mode 1
		.amdhsa_fp16_overflow 0
		.amdhsa_exception_fp_ieee_invalid_op 0
		.amdhsa_exception_fp_denorm_src 0
		.amdhsa_exception_fp_ieee_div_zero 0
		.amdhsa_exception_fp_ieee_overflow 0
		.amdhsa_exception_fp_ieee_underflow 0
		.amdhsa_exception_fp_ieee_inexact 0
		.amdhsa_exception_int_div_zero 0
	.end_amdhsa_kernel
	.section	.text._ZN7rocprim17ROCPRIM_400000_NS6detail17trampoline_kernelINS0_14default_configENS1_27lower_bound_config_selectorIN6thrust23THRUST_200600_302600_NS5tupleIiiNS6_9null_typeES8_S8_S8_S8_S8_S8_S8_EEiEEZNS1_14transform_implILb0ES3_SA_NS6_6detail15normal_iteratorINS6_10device_ptrIS9_EEEENSD_INSE_IiEEEEZNS1_13binary_searchIS3_SA_SG_SG_SI_NS1_21lower_bound_search_opENSC_16wrapped_functionINS0_4lessIvEEbEEEE10hipError_tPvRmT1_T2_T3_mmT4_T5_P12ihipStream_tbEUlRKS9_E_EESP_ST_SU_mSV_SY_bEUlT_E_NS1_11comp_targetILNS1_3genE10ELNS1_11target_archE1200ELNS1_3gpuE4ELNS1_3repE0EEENS1_30default_config_static_selectorELNS0_4arch9wavefront6targetE1EEEvSS_,"axG",@progbits,_ZN7rocprim17ROCPRIM_400000_NS6detail17trampoline_kernelINS0_14default_configENS1_27lower_bound_config_selectorIN6thrust23THRUST_200600_302600_NS5tupleIiiNS6_9null_typeES8_S8_S8_S8_S8_S8_S8_EEiEEZNS1_14transform_implILb0ES3_SA_NS6_6detail15normal_iteratorINS6_10device_ptrIS9_EEEENSD_INSE_IiEEEEZNS1_13binary_searchIS3_SA_SG_SG_SI_NS1_21lower_bound_search_opENSC_16wrapped_functionINS0_4lessIvEEbEEEE10hipError_tPvRmT1_T2_T3_mmT4_T5_P12ihipStream_tbEUlRKS9_E_EESP_ST_SU_mSV_SY_bEUlT_E_NS1_11comp_targetILNS1_3genE10ELNS1_11target_archE1200ELNS1_3gpuE4ELNS1_3repE0EEENS1_30default_config_static_selectorELNS0_4arch9wavefront6targetE1EEEvSS_,comdat
.Lfunc_end496:
	.size	_ZN7rocprim17ROCPRIM_400000_NS6detail17trampoline_kernelINS0_14default_configENS1_27lower_bound_config_selectorIN6thrust23THRUST_200600_302600_NS5tupleIiiNS6_9null_typeES8_S8_S8_S8_S8_S8_S8_EEiEEZNS1_14transform_implILb0ES3_SA_NS6_6detail15normal_iteratorINS6_10device_ptrIS9_EEEENSD_INSE_IiEEEEZNS1_13binary_searchIS3_SA_SG_SG_SI_NS1_21lower_bound_search_opENSC_16wrapped_functionINS0_4lessIvEEbEEEE10hipError_tPvRmT1_T2_T3_mmT4_T5_P12ihipStream_tbEUlRKS9_E_EESP_ST_SU_mSV_SY_bEUlT_E_NS1_11comp_targetILNS1_3genE10ELNS1_11target_archE1200ELNS1_3gpuE4ELNS1_3repE0EEENS1_30default_config_static_selectorELNS0_4arch9wavefront6targetE1EEEvSS_, .Lfunc_end496-_ZN7rocprim17ROCPRIM_400000_NS6detail17trampoline_kernelINS0_14default_configENS1_27lower_bound_config_selectorIN6thrust23THRUST_200600_302600_NS5tupleIiiNS6_9null_typeES8_S8_S8_S8_S8_S8_S8_EEiEEZNS1_14transform_implILb0ES3_SA_NS6_6detail15normal_iteratorINS6_10device_ptrIS9_EEEENSD_INSE_IiEEEEZNS1_13binary_searchIS3_SA_SG_SG_SI_NS1_21lower_bound_search_opENSC_16wrapped_functionINS0_4lessIvEEbEEEE10hipError_tPvRmT1_T2_T3_mmT4_T5_P12ihipStream_tbEUlRKS9_E_EESP_ST_SU_mSV_SY_bEUlT_E_NS1_11comp_targetILNS1_3genE10ELNS1_11target_archE1200ELNS1_3gpuE4ELNS1_3repE0EEENS1_30default_config_static_selectorELNS0_4arch9wavefront6targetE1EEEvSS_
                                        ; -- End function
	.set _ZN7rocprim17ROCPRIM_400000_NS6detail17trampoline_kernelINS0_14default_configENS1_27lower_bound_config_selectorIN6thrust23THRUST_200600_302600_NS5tupleIiiNS6_9null_typeES8_S8_S8_S8_S8_S8_S8_EEiEEZNS1_14transform_implILb0ES3_SA_NS6_6detail15normal_iteratorINS6_10device_ptrIS9_EEEENSD_INSE_IiEEEEZNS1_13binary_searchIS3_SA_SG_SG_SI_NS1_21lower_bound_search_opENSC_16wrapped_functionINS0_4lessIvEEbEEEE10hipError_tPvRmT1_T2_T3_mmT4_T5_P12ihipStream_tbEUlRKS9_E_EESP_ST_SU_mSV_SY_bEUlT_E_NS1_11comp_targetILNS1_3genE10ELNS1_11target_archE1200ELNS1_3gpuE4ELNS1_3repE0EEENS1_30default_config_static_selectorELNS0_4arch9wavefront6targetE1EEEvSS_.num_vgpr, 0
	.set _ZN7rocprim17ROCPRIM_400000_NS6detail17trampoline_kernelINS0_14default_configENS1_27lower_bound_config_selectorIN6thrust23THRUST_200600_302600_NS5tupleIiiNS6_9null_typeES8_S8_S8_S8_S8_S8_S8_EEiEEZNS1_14transform_implILb0ES3_SA_NS6_6detail15normal_iteratorINS6_10device_ptrIS9_EEEENSD_INSE_IiEEEEZNS1_13binary_searchIS3_SA_SG_SG_SI_NS1_21lower_bound_search_opENSC_16wrapped_functionINS0_4lessIvEEbEEEE10hipError_tPvRmT1_T2_T3_mmT4_T5_P12ihipStream_tbEUlRKS9_E_EESP_ST_SU_mSV_SY_bEUlT_E_NS1_11comp_targetILNS1_3genE10ELNS1_11target_archE1200ELNS1_3gpuE4ELNS1_3repE0EEENS1_30default_config_static_selectorELNS0_4arch9wavefront6targetE1EEEvSS_.num_agpr, 0
	.set _ZN7rocprim17ROCPRIM_400000_NS6detail17trampoline_kernelINS0_14default_configENS1_27lower_bound_config_selectorIN6thrust23THRUST_200600_302600_NS5tupleIiiNS6_9null_typeES8_S8_S8_S8_S8_S8_S8_EEiEEZNS1_14transform_implILb0ES3_SA_NS6_6detail15normal_iteratorINS6_10device_ptrIS9_EEEENSD_INSE_IiEEEEZNS1_13binary_searchIS3_SA_SG_SG_SI_NS1_21lower_bound_search_opENSC_16wrapped_functionINS0_4lessIvEEbEEEE10hipError_tPvRmT1_T2_T3_mmT4_T5_P12ihipStream_tbEUlRKS9_E_EESP_ST_SU_mSV_SY_bEUlT_E_NS1_11comp_targetILNS1_3genE10ELNS1_11target_archE1200ELNS1_3gpuE4ELNS1_3repE0EEENS1_30default_config_static_selectorELNS0_4arch9wavefront6targetE1EEEvSS_.numbered_sgpr, 0
	.set _ZN7rocprim17ROCPRIM_400000_NS6detail17trampoline_kernelINS0_14default_configENS1_27lower_bound_config_selectorIN6thrust23THRUST_200600_302600_NS5tupleIiiNS6_9null_typeES8_S8_S8_S8_S8_S8_S8_EEiEEZNS1_14transform_implILb0ES3_SA_NS6_6detail15normal_iteratorINS6_10device_ptrIS9_EEEENSD_INSE_IiEEEEZNS1_13binary_searchIS3_SA_SG_SG_SI_NS1_21lower_bound_search_opENSC_16wrapped_functionINS0_4lessIvEEbEEEE10hipError_tPvRmT1_T2_T3_mmT4_T5_P12ihipStream_tbEUlRKS9_E_EESP_ST_SU_mSV_SY_bEUlT_E_NS1_11comp_targetILNS1_3genE10ELNS1_11target_archE1200ELNS1_3gpuE4ELNS1_3repE0EEENS1_30default_config_static_selectorELNS0_4arch9wavefront6targetE1EEEvSS_.num_named_barrier, 0
	.set _ZN7rocprim17ROCPRIM_400000_NS6detail17trampoline_kernelINS0_14default_configENS1_27lower_bound_config_selectorIN6thrust23THRUST_200600_302600_NS5tupleIiiNS6_9null_typeES8_S8_S8_S8_S8_S8_S8_EEiEEZNS1_14transform_implILb0ES3_SA_NS6_6detail15normal_iteratorINS6_10device_ptrIS9_EEEENSD_INSE_IiEEEEZNS1_13binary_searchIS3_SA_SG_SG_SI_NS1_21lower_bound_search_opENSC_16wrapped_functionINS0_4lessIvEEbEEEE10hipError_tPvRmT1_T2_T3_mmT4_T5_P12ihipStream_tbEUlRKS9_E_EESP_ST_SU_mSV_SY_bEUlT_E_NS1_11comp_targetILNS1_3genE10ELNS1_11target_archE1200ELNS1_3gpuE4ELNS1_3repE0EEENS1_30default_config_static_selectorELNS0_4arch9wavefront6targetE1EEEvSS_.private_seg_size, 0
	.set _ZN7rocprim17ROCPRIM_400000_NS6detail17trampoline_kernelINS0_14default_configENS1_27lower_bound_config_selectorIN6thrust23THRUST_200600_302600_NS5tupleIiiNS6_9null_typeES8_S8_S8_S8_S8_S8_S8_EEiEEZNS1_14transform_implILb0ES3_SA_NS6_6detail15normal_iteratorINS6_10device_ptrIS9_EEEENSD_INSE_IiEEEEZNS1_13binary_searchIS3_SA_SG_SG_SI_NS1_21lower_bound_search_opENSC_16wrapped_functionINS0_4lessIvEEbEEEE10hipError_tPvRmT1_T2_T3_mmT4_T5_P12ihipStream_tbEUlRKS9_E_EESP_ST_SU_mSV_SY_bEUlT_E_NS1_11comp_targetILNS1_3genE10ELNS1_11target_archE1200ELNS1_3gpuE4ELNS1_3repE0EEENS1_30default_config_static_selectorELNS0_4arch9wavefront6targetE1EEEvSS_.uses_vcc, 0
	.set _ZN7rocprim17ROCPRIM_400000_NS6detail17trampoline_kernelINS0_14default_configENS1_27lower_bound_config_selectorIN6thrust23THRUST_200600_302600_NS5tupleIiiNS6_9null_typeES8_S8_S8_S8_S8_S8_S8_EEiEEZNS1_14transform_implILb0ES3_SA_NS6_6detail15normal_iteratorINS6_10device_ptrIS9_EEEENSD_INSE_IiEEEEZNS1_13binary_searchIS3_SA_SG_SG_SI_NS1_21lower_bound_search_opENSC_16wrapped_functionINS0_4lessIvEEbEEEE10hipError_tPvRmT1_T2_T3_mmT4_T5_P12ihipStream_tbEUlRKS9_E_EESP_ST_SU_mSV_SY_bEUlT_E_NS1_11comp_targetILNS1_3genE10ELNS1_11target_archE1200ELNS1_3gpuE4ELNS1_3repE0EEENS1_30default_config_static_selectorELNS0_4arch9wavefront6targetE1EEEvSS_.uses_flat_scratch, 0
	.set _ZN7rocprim17ROCPRIM_400000_NS6detail17trampoline_kernelINS0_14default_configENS1_27lower_bound_config_selectorIN6thrust23THRUST_200600_302600_NS5tupleIiiNS6_9null_typeES8_S8_S8_S8_S8_S8_S8_EEiEEZNS1_14transform_implILb0ES3_SA_NS6_6detail15normal_iteratorINS6_10device_ptrIS9_EEEENSD_INSE_IiEEEEZNS1_13binary_searchIS3_SA_SG_SG_SI_NS1_21lower_bound_search_opENSC_16wrapped_functionINS0_4lessIvEEbEEEE10hipError_tPvRmT1_T2_T3_mmT4_T5_P12ihipStream_tbEUlRKS9_E_EESP_ST_SU_mSV_SY_bEUlT_E_NS1_11comp_targetILNS1_3genE10ELNS1_11target_archE1200ELNS1_3gpuE4ELNS1_3repE0EEENS1_30default_config_static_selectorELNS0_4arch9wavefront6targetE1EEEvSS_.has_dyn_sized_stack, 0
	.set _ZN7rocprim17ROCPRIM_400000_NS6detail17trampoline_kernelINS0_14default_configENS1_27lower_bound_config_selectorIN6thrust23THRUST_200600_302600_NS5tupleIiiNS6_9null_typeES8_S8_S8_S8_S8_S8_S8_EEiEEZNS1_14transform_implILb0ES3_SA_NS6_6detail15normal_iteratorINS6_10device_ptrIS9_EEEENSD_INSE_IiEEEEZNS1_13binary_searchIS3_SA_SG_SG_SI_NS1_21lower_bound_search_opENSC_16wrapped_functionINS0_4lessIvEEbEEEE10hipError_tPvRmT1_T2_T3_mmT4_T5_P12ihipStream_tbEUlRKS9_E_EESP_ST_SU_mSV_SY_bEUlT_E_NS1_11comp_targetILNS1_3genE10ELNS1_11target_archE1200ELNS1_3gpuE4ELNS1_3repE0EEENS1_30default_config_static_selectorELNS0_4arch9wavefront6targetE1EEEvSS_.has_recursion, 0
	.set _ZN7rocprim17ROCPRIM_400000_NS6detail17trampoline_kernelINS0_14default_configENS1_27lower_bound_config_selectorIN6thrust23THRUST_200600_302600_NS5tupleIiiNS6_9null_typeES8_S8_S8_S8_S8_S8_S8_EEiEEZNS1_14transform_implILb0ES3_SA_NS6_6detail15normal_iteratorINS6_10device_ptrIS9_EEEENSD_INSE_IiEEEEZNS1_13binary_searchIS3_SA_SG_SG_SI_NS1_21lower_bound_search_opENSC_16wrapped_functionINS0_4lessIvEEbEEEE10hipError_tPvRmT1_T2_T3_mmT4_T5_P12ihipStream_tbEUlRKS9_E_EESP_ST_SU_mSV_SY_bEUlT_E_NS1_11comp_targetILNS1_3genE10ELNS1_11target_archE1200ELNS1_3gpuE4ELNS1_3repE0EEENS1_30default_config_static_selectorELNS0_4arch9wavefront6targetE1EEEvSS_.has_indirect_call, 0
	.section	.AMDGPU.csdata,"",@progbits
; Kernel info:
; codeLenInByte = 0
; TotalNumSgprs: 4
; NumVgprs: 0
; ScratchSize: 0
; MemoryBound: 0
; FloatMode: 240
; IeeeMode: 1
; LDSByteSize: 0 bytes/workgroup (compile time only)
; SGPRBlocks: 0
; VGPRBlocks: 0
; NumSGPRsForWavesPerEU: 4
; NumVGPRsForWavesPerEU: 1
; Occupancy: 10
; WaveLimiterHint : 0
; COMPUTE_PGM_RSRC2:SCRATCH_EN: 0
; COMPUTE_PGM_RSRC2:USER_SGPR: 6
; COMPUTE_PGM_RSRC2:TRAP_HANDLER: 0
; COMPUTE_PGM_RSRC2:TGID_X_EN: 1
; COMPUTE_PGM_RSRC2:TGID_Y_EN: 0
; COMPUTE_PGM_RSRC2:TGID_Z_EN: 0
; COMPUTE_PGM_RSRC2:TIDIG_COMP_CNT: 0
	.section	.text._ZN7rocprim17ROCPRIM_400000_NS6detail17trampoline_kernelINS0_14default_configENS1_27lower_bound_config_selectorIN6thrust23THRUST_200600_302600_NS5tupleIiiNS6_9null_typeES8_S8_S8_S8_S8_S8_S8_EEiEEZNS1_14transform_implILb0ES3_SA_NS6_6detail15normal_iteratorINS6_10device_ptrIS9_EEEENSD_INSE_IiEEEEZNS1_13binary_searchIS3_SA_SG_SG_SI_NS1_21lower_bound_search_opENSC_16wrapped_functionINS0_4lessIvEEbEEEE10hipError_tPvRmT1_T2_T3_mmT4_T5_P12ihipStream_tbEUlRKS9_E_EESP_ST_SU_mSV_SY_bEUlT_E_NS1_11comp_targetILNS1_3genE9ELNS1_11target_archE1100ELNS1_3gpuE3ELNS1_3repE0EEENS1_30default_config_static_selectorELNS0_4arch9wavefront6targetE1EEEvSS_,"axG",@progbits,_ZN7rocprim17ROCPRIM_400000_NS6detail17trampoline_kernelINS0_14default_configENS1_27lower_bound_config_selectorIN6thrust23THRUST_200600_302600_NS5tupleIiiNS6_9null_typeES8_S8_S8_S8_S8_S8_S8_EEiEEZNS1_14transform_implILb0ES3_SA_NS6_6detail15normal_iteratorINS6_10device_ptrIS9_EEEENSD_INSE_IiEEEEZNS1_13binary_searchIS3_SA_SG_SG_SI_NS1_21lower_bound_search_opENSC_16wrapped_functionINS0_4lessIvEEbEEEE10hipError_tPvRmT1_T2_T3_mmT4_T5_P12ihipStream_tbEUlRKS9_E_EESP_ST_SU_mSV_SY_bEUlT_E_NS1_11comp_targetILNS1_3genE9ELNS1_11target_archE1100ELNS1_3gpuE3ELNS1_3repE0EEENS1_30default_config_static_selectorELNS0_4arch9wavefront6targetE1EEEvSS_,comdat
	.protected	_ZN7rocprim17ROCPRIM_400000_NS6detail17trampoline_kernelINS0_14default_configENS1_27lower_bound_config_selectorIN6thrust23THRUST_200600_302600_NS5tupleIiiNS6_9null_typeES8_S8_S8_S8_S8_S8_S8_EEiEEZNS1_14transform_implILb0ES3_SA_NS6_6detail15normal_iteratorINS6_10device_ptrIS9_EEEENSD_INSE_IiEEEEZNS1_13binary_searchIS3_SA_SG_SG_SI_NS1_21lower_bound_search_opENSC_16wrapped_functionINS0_4lessIvEEbEEEE10hipError_tPvRmT1_T2_T3_mmT4_T5_P12ihipStream_tbEUlRKS9_E_EESP_ST_SU_mSV_SY_bEUlT_E_NS1_11comp_targetILNS1_3genE9ELNS1_11target_archE1100ELNS1_3gpuE3ELNS1_3repE0EEENS1_30default_config_static_selectorELNS0_4arch9wavefront6targetE1EEEvSS_ ; -- Begin function _ZN7rocprim17ROCPRIM_400000_NS6detail17trampoline_kernelINS0_14default_configENS1_27lower_bound_config_selectorIN6thrust23THRUST_200600_302600_NS5tupleIiiNS6_9null_typeES8_S8_S8_S8_S8_S8_S8_EEiEEZNS1_14transform_implILb0ES3_SA_NS6_6detail15normal_iteratorINS6_10device_ptrIS9_EEEENSD_INSE_IiEEEEZNS1_13binary_searchIS3_SA_SG_SG_SI_NS1_21lower_bound_search_opENSC_16wrapped_functionINS0_4lessIvEEbEEEE10hipError_tPvRmT1_T2_T3_mmT4_T5_P12ihipStream_tbEUlRKS9_E_EESP_ST_SU_mSV_SY_bEUlT_E_NS1_11comp_targetILNS1_3genE9ELNS1_11target_archE1100ELNS1_3gpuE3ELNS1_3repE0EEENS1_30default_config_static_selectorELNS0_4arch9wavefront6targetE1EEEvSS_
	.globl	_ZN7rocprim17ROCPRIM_400000_NS6detail17trampoline_kernelINS0_14default_configENS1_27lower_bound_config_selectorIN6thrust23THRUST_200600_302600_NS5tupleIiiNS6_9null_typeES8_S8_S8_S8_S8_S8_S8_EEiEEZNS1_14transform_implILb0ES3_SA_NS6_6detail15normal_iteratorINS6_10device_ptrIS9_EEEENSD_INSE_IiEEEEZNS1_13binary_searchIS3_SA_SG_SG_SI_NS1_21lower_bound_search_opENSC_16wrapped_functionINS0_4lessIvEEbEEEE10hipError_tPvRmT1_T2_T3_mmT4_T5_P12ihipStream_tbEUlRKS9_E_EESP_ST_SU_mSV_SY_bEUlT_E_NS1_11comp_targetILNS1_3genE9ELNS1_11target_archE1100ELNS1_3gpuE3ELNS1_3repE0EEENS1_30default_config_static_selectorELNS0_4arch9wavefront6targetE1EEEvSS_
	.p2align	8
	.type	_ZN7rocprim17ROCPRIM_400000_NS6detail17trampoline_kernelINS0_14default_configENS1_27lower_bound_config_selectorIN6thrust23THRUST_200600_302600_NS5tupleIiiNS6_9null_typeES8_S8_S8_S8_S8_S8_S8_EEiEEZNS1_14transform_implILb0ES3_SA_NS6_6detail15normal_iteratorINS6_10device_ptrIS9_EEEENSD_INSE_IiEEEEZNS1_13binary_searchIS3_SA_SG_SG_SI_NS1_21lower_bound_search_opENSC_16wrapped_functionINS0_4lessIvEEbEEEE10hipError_tPvRmT1_T2_T3_mmT4_T5_P12ihipStream_tbEUlRKS9_E_EESP_ST_SU_mSV_SY_bEUlT_E_NS1_11comp_targetILNS1_3genE9ELNS1_11target_archE1100ELNS1_3gpuE3ELNS1_3repE0EEENS1_30default_config_static_selectorELNS0_4arch9wavefront6targetE1EEEvSS_,@function
_ZN7rocprim17ROCPRIM_400000_NS6detail17trampoline_kernelINS0_14default_configENS1_27lower_bound_config_selectorIN6thrust23THRUST_200600_302600_NS5tupleIiiNS6_9null_typeES8_S8_S8_S8_S8_S8_S8_EEiEEZNS1_14transform_implILb0ES3_SA_NS6_6detail15normal_iteratorINS6_10device_ptrIS9_EEEENSD_INSE_IiEEEEZNS1_13binary_searchIS3_SA_SG_SG_SI_NS1_21lower_bound_search_opENSC_16wrapped_functionINS0_4lessIvEEbEEEE10hipError_tPvRmT1_T2_T3_mmT4_T5_P12ihipStream_tbEUlRKS9_E_EESP_ST_SU_mSV_SY_bEUlT_E_NS1_11comp_targetILNS1_3genE9ELNS1_11target_archE1100ELNS1_3gpuE3ELNS1_3repE0EEENS1_30default_config_static_selectorELNS0_4arch9wavefront6targetE1EEEvSS_: ; @_ZN7rocprim17ROCPRIM_400000_NS6detail17trampoline_kernelINS0_14default_configENS1_27lower_bound_config_selectorIN6thrust23THRUST_200600_302600_NS5tupleIiiNS6_9null_typeES8_S8_S8_S8_S8_S8_S8_EEiEEZNS1_14transform_implILb0ES3_SA_NS6_6detail15normal_iteratorINS6_10device_ptrIS9_EEEENSD_INSE_IiEEEEZNS1_13binary_searchIS3_SA_SG_SG_SI_NS1_21lower_bound_search_opENSC_16wrapped_functionINS0_4lessIvEEbEEEE10hipError_tPvRmT1_T2_T3_mmT4_T5_P12ihipStream_tbEUlRKS9_E_EESP_ST_SU_mSV_SY_bEUlT_E_NS1_11comp_targetILNS1_3genE9ELNS1_11target_archE1100ELNS1_3gpuE3ELNS1_3repE0EEENS1_30default_config_static_selectorELNS0_4arch9wavefront6targetE1EEEvSS_
; %bb.0:
	.section	.rodata,"a",@progbits
	.p2align	6, 0x0
	.amdhsa_kernel _ZN7rocprim17ROCPRIM_400000_NS6detail17trampoline_kernelINS0_14default_configENS1_27lower_bound_config_selectorIN6thrust23THRUST_200600_302600_NS5tupleIiiNS6_9null_typeES8_S8_S8_S8_S8_S8_S8_EEiEEZNS1_14transform_implILb0ES3_SA_NS6_6detail15normal_iteratorINS6_10device_ptrIS9_EEEENSD_INSE_IiEEEEZNS1_13binary_searchIS3_SA_SG_SG_SI_NS1_21lower_bound_search_opENSC_16wrapped_functionINS0_4lessIvEEbEEEE10hipError_tPvRmT1_T2_T3_mmT4_T5_P12ihipStream_tbEUlRKS9_E_EESP_ST_SU_mSV_SY_bEUlT_E_NS1_11comp_targetILNS1_3genE9ELNS1_11target_archE1100ELNS1_3gpuE3ELNS1_3repE0EEENS1_30default_config_static_selectorELNS0_4arch9wavefront6targetE1EEEvSS_
		.amdhsa_group_segment_fixed_size 0
		.amdhsa_private_segment_fixed_size 0
		.amdhsa_kernarg_size 56
		.amdhsa_user_sgpr_count 6
		.amdhsa_user_sgpr_private_segment_buffer 1
		.amdhsa_user_sgpr_dispatch_ptr 0
		.amdhsa_user_sgpr_queue_ptr 0
		.amdhsa_user_sgpr_kernarg_segment_ptr 1
		.amdhsa_user_sgpr_dispatch_id 0
		.amdhsa_user_sgpr_flat_scratch_init 0
		.amdhsa_user_sgpr_private_segment_size 0
		.amdhsa_uses_dynamic_stack 0
		.amdhsa_system_sgpr_private_segment_wavefront_offset 0
		.amdhsa_system_sgpr_workgroup_id_x 1
		.amdhsa_system_sgpr_workgroup_id_y 0
		.amdhsa_system_sgpr_workgroup_id_z 0
		.amdhsa_system_sgpr_workgroup_info 0
		.amdhsa_system_vgpr_workitem_id 0
		.amdhsa_next_free_vgpr 1
		.amdhsa_next_free_sgpr 0
		.amdhsa_reserve_vcc 0
		.amdhsa_reserve_flat_scratch 0
		.amdhsa_float_round_mode_32 0
		.amdhsa_float_round_mode_16_64 0
		.amdhsa_float_denorm_mode_32 3
		.amdhsa_float_denorm_mode_16_64 3
		.amdhsa_dx10_clamp 1
		.amdhsa_ieee_mode 1
		.amdhsa_fp16_overflow 0
		.amdhsa_exception_fp_ieee_invalid_op 0
		.amdhsa_exception_fp_denorm_src 0
		.amdhsa_exception_fp_ieee_div_zero 0
		.amdhsa_exception_fp_ieee_overflow 0
		.amdhsa_exception_fp_ieee_underflow 0
		.amdhsa_exception_fp_ieee_inexact 0
		.amdhsa_exception_int_div_zero 0
	.end_amdhsa_kernel
	.section	.text._ZN7rocprim17ROCPRIM_400000_NS6detail17trampoline_kernelINS0_14default_configENS1_27lower_bound_config_selectorIN6thrust23THRUST_200600_302600_NS5tupleIiiNS6_9null_typeES8_S8_S8_S8_S8_S8_S8_EEiEEZNS1_14transform_implILb0ES3_SA_NS6_6detail15normal_iteratorINS6_10device_ptrIS9_EEEENSD_INSE_IiEEEEZNS1_13binary_searchIS3_SA_SG_SG_SI_NS1_21lower_bound_search_opENSC_16wrapped_functionINS0_4lessIvEEbEEEE10hipError_tPvRmT1_T2_T3_mmT4_T5_P12ihipStream_tbEUlRKS9_E_EESP_ST_SU_mSV_SY_bEUlT_E_NS1_11comp_targetILNS1_3genE9ELNS1_11target_archE1100ELNS1_3gpuE3ELNS1_3repE0EEENS1_30default_config_static_selectorELNS0_4arch9wavefront6targetE1EEEvSS_,"axG",@progbits,_ZN7rocprim17ROCPRIM_400000_NS6detail17trampoline_kernelINS0_14default_configENS1_27lower_bound_config_selectorIN6thrust23THRUST_200600_302600_NS5tupleIiiNS6_9null_typeES8_S8_S8_S8_S8_S8_S8_EEiEEZNS1_14transform_implILb0ES3_SA_NS6_6detail15normal_iteratorINS6_10device_ptrIS9_EEEENSD_INSE_IiEEEEZNS1_13binary_searchIS3_SA_SG_SG_SI_NS1_21lower_bound_search_opENSC_16wrapped_functionINS0_4lessIvEEbEEEE10hipError_tPvRmT1_T2_T3_mmT4_T5_P12ihipStream_tbEUlRKS9_E_EESP_ST_SU_mSV_SY_bEUlT_E_NS1_11comp_targetILNS1_3genE9ELNS1_11target_archE1100ELNS1_3gpuE3ELNS1_3repE0EEENS1_30default_config_static_selectorELNS0_4arch9wavefront6targetE1EEEvSS_,comdat
.Lfunc_end497:
	.size	_ZN7rocprim17ROCPRIM_400000_NS6detail17trampoline_kernelINS0_14default_configENS1_27lower_bound_config_selectorIN6thrust23THRUST_200600_302600_NS5tupleIiiNS6_9null_typeES8_S8_S8_S8_S8_S8_S8_EEiEEZNS1_14transform_implILb0ES3_SA_NS6_6detail15normal_iteratorINS6_10device_ptrIS9_EEEENSD_INSE_IiEEEEZNS1_13binary_searchIS3_SA_SG_SG_SI_NS1_21lower_bound_search_opENSC_16wrapped_functionINS0_4lessIvEEbEEEE10hipError_tPvRmT1_T2_T3_mmT4_T5_P12ihipStream_tbEUlRKS9_E_EESP_ST_SU_mSV_SY_bEUlT_E_NS1_11comp_targetILNS1_3genE9ELNS1_11target_archE1100ELNS1_3gpuE3ELNS1_3repE0EEENS1_30default_config_static_selectorELNS0_4arch9wavefront6targetE1EEEvSS_, .Lfunc_end497-_ZN7rocprim17ROCPRIM_400000_NS6detail17trampoline_kernelINS0_14default_configENS1_27lower_bound_config_selectorIN6thrust23THRUST_200600_302600_NS5tupleIiiNS6_9null_typeES8_S8_S8_S8_S8_S8_S8_EEiEEZNS1_14transform_implILb0ES3_SA_NS6_6detail15normal_iteratorINS6_10device_ptrIS9_EEEENSD_INSE_IiEEEEZNS1_13binary_searchIS3_SA_SG_SG_SI_NS1_21lower_bound_search_opENSC_16wrapped_functionINS0_4lessIvEEbEEEE10hipError_tPvRmT1_T2_T3_mmT4_T5_P12ihipStream_tbEUlRKS9_E_EESP_ST_SU_mSV_SY_bEUlT_E_NS1_11comp_targetILNS1_3genE9ELNS1_11target_archE1100ELNS1_3gpuE3ELNS1_3repE0EEENS1_30default_config_static_selectorELNS0_4arch9wavefront6targetE1EEEvSS_
                                        ; -- End function
	.set _ZN7rocprim17ROCPRIM_400000_NS6detail17trampoline_kernelINS0_14default_configENS1_27lower_bound_config_selectorIN6thrust23THRUST_200600_302600_NS5tupleIiiNS6_9null_typeES8_S8_S8_S8_S8_S8_S8_EEiEEZNS1_14transform_implILb0ES3_SA_NS6_6detail15normal_iteratorINS6_10device_ptrIS9_EEEENSD_INSE_IiEEEEZNS1_13binary_searchIS3_SA_SG_SG_SI_NS1_21lower_bound_search_opENSC_16wrapped_functionINS0_4lessIvEEbEEEE10hipError_tPvRmT1_T2_T3_mmT4_T5_P12ihipStream_tbEUlRKS9_E_EESP_ST_SU_mSV_SY_bEUlT_E_NS1_11comp_targetILNS1_3genE9ELNS1_11target_archE1100ELNS1_3gpuE3ELNS1_3repE0EEENS1_30default_config_static_selectorELNS0_4arch9wavefront6targetE1EEEvSS_.num_vgpr, 0
	.set _ZN7rocprim17ROCPRIM_400000_NS6detail17trampoline_kernelINS0_14default_configENS1_27lower_bound_config_selectorIN6thrust23THRUST_200600_302600_NS5tupleIiiNS6_9null_typeES8_S8_S8_S8_S8_S8_S8_EEiEEZNS1_14transform_implILb0ES3_SA_NS6_6detail15normal_iteratorINS6_10device_ptrIS9_EEEENSD_INSE_IiEEEEZNS1_13binary_searchIS3_SA_SG_SG_SI_NS1_21lower_bound_search_opENSC_16wrapped_functionINS0_4lessIvEEbEEEE10hipError_tPvRmT1_T2_T3_mmT4_T5_P12ihipStream_tbEUlRKS9_E_EESP_ST_SU_mSV_SY_bEUlT_E_NS1_11comp_targetILNS1_3genE9ELNS1_11target_archE1100ELNS1_3gpuE3ELNS1_3repE0EEENS1_30default_config_static_selectorELNS0_4arch9wavefront6targetE1EEEvSS_.num_agpr, 0
	.set _ZN7rocprim17ROCPRIM_400000_NS6detail17trampoline_kernelINS0_14default_configENS1_27lower_bound_config_selectorIN6thrust23THRUST_200600_302600_NS5tupleIiiNS6_9null_typeES8_S8_S8_S8_S8_S8_S8_EEiEEZNS1_14transform_implILb0ES3_SA_NS6_6detail15normal_iteratorINS6_10device_ptrIS9_EEEENSD_INSE_IiEEEEZNS1_13binary_searchIS3_SA_SG_SG_SI_NS1_21lower_bound_search_opENSC_16wrapped_functionINS0_4lessIvEEbEEEE10hipError_tPvRmT1_T2_T3_mmT4_T5_P12ihipStream_tbEUlRKS9_E_EESP_ST_SU_mSV_SY_bEUlT_E_NS1_11comp_targetILNS1_3genE9ELNS1_11target_archE1100ELNS1_3gpuE3ELNS1_3repE0EEENS1_30default_config_static_selectorELNS0_4arch9wavefront6targetE1EEEvSS_.numbered_sgpr, 0
	.set _ZN7rocprim17ROCPRIM_400000_NS6detail17trampoline_kernelINS0_14default_configENS1_27lower_bound_config_selectorIN6thrust23THRUST_200600_302600_NS5tupleIiiNS6_9null_typeES8_S8_S8_S8_S8_S8_S8_EEiEEZNS1_14transform_implILb0ES3_SA_NS6_6detail15normal_iteratorINS6_10device_ptrIS9_EEEENSD_INSE_IiEEEEZNS1_13binary_searchIS3_SA_SG_SG_SI_NS1_21lower_bound_search_opENSC_16wrapped_functionINS0_4lessIvEEbEEEE10hipError_tPvRmT1_T2_T3_mmT4_T5_P12ihipStream_tbEUlRKS9_E_EESP_ST_SU_mSV_SY_bEUlT_E_NS1_11comp_targetILNS1_3genE9ELNS1_11target_archE1100ELNS1_3gpuE3ELNS1_3repE0EEENS1_30default_config_static_selectorELNS0_4arch9wavefront6targetE1EEEvSS_.num_named_barrier, 0
	.set _ZN7rocprim17ROCPRIM_400000_NS6detail17trampoline_kernelINS0_14default_configENS1_27lower_bound_config_selectorIN6thrust23THRUST_200600_302600_NS5tupleIiiNS6_9null_typeES8_S8_S8_S8_S8_S8_S8_EEiEEZNS1_14transform_implILb0ES3_SA_NS6_6detail15normal_iteratorINS6_10device_ptrIS9_EEEENSD_INSE_IiEEEEZNS1_13binary_searchIS3_SA_SG_SG_SI_NS1_21lower_bound_search_opENSC_16wrapped_functionINS0_4lessIvEEbEEEE10hipError_tPvRmT1_T2_T3_mmT4_T5_P12ihipStream_tbEUlRKS9_E_EESP_ST_SU_mSV_SY_bEUlT_E_NS1_11comp_targetILNS1_3genE9ELNS1_11target_archE1100ELNS1_3gpuE3ELNS1_3repE0EEENS1_30default_config_static_selectorELNS0_4arch9wavefront6targetE1EEEvSS_.private_seg_size, 0
	.set _ZN7rocprim17ROCPRIM_400000_NS6detail17trampoline_kernelINS0_14default_configENS1_27lower_bound_config_selectorIN6thrust23THRUST_200600_302600_NS5tupleIiiNS6_9null_typeES8_S8_S8_S8_S8_S8_S8_EEiEEZNS1_14transform_implILb0ES3_SA_NS6_6detail15normal_iteratorINS6_10device_ptrIS9_EEEENSD_INSE_IiEEEEZNS1_13binary_searchIS3_SA_SG_SG_SI_NS1_21lower_bound_search_opENSC_16wrapped_functionINS0_4lessIvEEbEEEE10hipError_tPvRmT1_T2_T3_mmT4_T5_P12ihipStream_tbEUlRKS9_E_EESP_ST_SU_mSV_SY_bEUlT_E_NS1_11comp_targetILNS1_3genE9ELNS1_11target_archE1100ELNS1_3gpuE3ELNS1_3repE0EEENS1_30default_config_static_selectorELNS0_4arch9wavefront6targetE1EEEvSS_.uses_vcc, 0
	.set _ZN7rocprim17ROCPRIM_400000_NS6detail17trampoline_kernelINS0_14default_configENS1_27lower_bound_config_selectorIN6thrust23THRUST_200600_302600_NS5tupleIiiNS6_9null_typeES8_S8_S8_S8_S8_S8_S8_EEiEEZNS1_14transform_implILb0ES3_SA_NS6_6detail15normal_iteratorINS6_10device_ptrIS9_EEEENSD_INSE_IiEEEEZNS1_13binary_searchIS3_SA_SG_SG_SI_NS1_21lower_bound_search_opENSC_16wrapped_functionINS0_4lessIvEEbEEEE10hipError_tPvRmT1_T2_T3_mmT4_T5_P12ihipStream_tbEUlRKS9_E_EESP_ST_SU_mSV_SY_bEUlT_E_NS1_11comp_targetILNS1_3genE9ELNS1_11target_archE1100ELNS1_3gpuE3ELNS1_3repE0EEENS1_30default_config_static_selectorELNS0_4arch9wavefront6targetE1EEEvSS_.uses_flat_scratch, 0
	.set _ZN7rocprim17ROCPRIM_400000_NS6detail17trampoline_kernelINS0_14default_configENS1_27lower_bound_config_selectorIN6thrust23THRUST_200600_302600_NS5tupleIiiNS6_9null_typeES8_S8_S8_S8_S8_S8_S8_EEiEEZNS1_14transform_implILb0ES3_SA_NS6_6detail15normal_iteratorINS6_10device_ptrIS9_EEEENSD_INSE_IiEEEEZNS1_13binary_searchIS3_SA_SG_SG_SI_NS1_21lower_bound_search_opENSC_16wrapped_functionINS0_4lessIvEEbEEEE10hipError_tPvRmT1_T2_T3_mmT4_T5_P12ihipStream_tbEUlRKS9_E_EESP_ST_SU_mSV_SY_bEUlT_E_NS1_11comp_targetILNS1_3genE9ELNS1_11target_archE1100ELNS1_3gpuE3ELNS1_3repE0EEENS1_30default_config_static_selectorELNS0_4arch9wavefront6targetE1EEEvSS_.has_dyn_sized_stack, 0
	.set _ZN7rocprim17ROCPRIM_400000_NS6detail17trampoline_kernelINS0_14default_configENS1_27lower_bound_config_selectorIN6thrust23THRUST_200600_302600_NS5tupleIiiNS6_9null_typeES8_S8_S8_S8_S8_S8_S8_EEiEEZNS1_14transform_implILb0ES3_SA_NS6_6detail15normal_iteratorINS6_10device_ptrIS9_EEEENSD_INSE_IiEEEEZNS1_13binary_searchIS3_SA_SG_SG_SI_NS1_21lower_bound_search_opENSC_16wrapped_functionINS0_4lessIvEEbEEEE10hipError_tPvRmT1_T2_T3_mmT4_T5_P12ihipStream_tbEUlRKS9_E_EESP_ST_SU_mSV_SY_bEUlT_E_NS1_11comp_targetILNS1_3genE9ELNS1_11target_archE1100ELNS1_3gpuE3ELNS1_3repE0EEENS1_30default_config_static_selectorELNS0_4arch9wavefront6targetE1EEEvSS_.has_recursion, 0
	.set _ZN7rocprim17ROCPRIM_400000_NS6detail17trampoline_kernelINS0_14default_configENS1_27lower_bound_config_selectorIN6thrust23THRUST_200600_302600_NS5tupleIiiNS6_9null_typeES8_S8_S8_S8_S8_S8_S8_EEiEEZNS1_14transform_implILb0ES3_SA_NS6_6detail15normal_iteratorINS6_10device_ptrIS9_EEEENSD_INSE_IiEEEEZNS1_13binary_searchIS3_SA_SG_SG_SI_NS1_21lower_bound_search_opENSC_16wrapped_functionINS0_4lessIvEEbEEEE10hipError_tPvRmT1_T2_T3_mmT4_T5_P12ihipStream_tbEUlRKS9_E_EESP_ST_SU_mSV_SY_bEUlT_E_NS1_11comp_targetILNS1_3genE9ELNS1_11target_archE1100ELNS1_3gpuE3ELNS1_3repE0EEENS1_30default_config_static_selectorELNS0_4arch9wavefront6targetE1EEEvSS_.has_indirect_call, 0
	.section	.AMDGPU.csdata,"",@progbits
; Kernel info:
; codeLenInByte = 0
; TotalNumSgprs: 4
; NumVgprs: 0
; ScratchSize: 0
; MemoryBound: 0
; FloatMode: 240
; IeeeMode: 1
; LDSByteSize: 0 bytes/workgroup (compile time only)
; SGPRBlocks: 0
; VGPRBlocks: 0
; NumSGPRsForWavesPerEU: 4
; NumVGPRsForWavesPerEU: 1
; Occupancy: 10
; WaveLimiterHint : 0
; COMPUTE_PGM_RSRC2:SCRATCH_EN: 0
; COMPUTE_PGM_RSRC2:USER_SGPR: 6
; COMPUTE_PGM_RSRC2:TRAP_HANDLER: 0
; COMPUTE_PGM_RSRC2:TGID_X_EN: 1
; COMPUTE_PGM_RSRC2:TGID_Y_EN: 0
; COMPUTE_PGM_RSRC2:TGID_Z_EN: 0
; COMPUTE_PGM_RSRC2:TIDIG_COMP_CNT: 0
	.section	.text._ZN7rocprim17ROCPRIM_400000_NS6detail17trampoline_kernelINS0_14default_configENS1_27lower_bound_config_selectorIN6thrust23THRUST_200600_302600_NS5tupleIiiNS6_9null_typeES8_S8_S8_S8_S8_S8_S8_EEiEEZNS1_14transform_implILb0ES3_SA_NS6_6detail15normal_iteratorINS6_10device_ptrIS9_EEEENSD_INSE_IiEEEEZNS1_13binary_searchIS3_SA_SG_SG_SI_NS1_21lower_bound_search_opENSC_16wrapped_functionINS0_4lessIvEEbEEEE10hipError_tPvRmT1_T2_T3_mmT4_T5_P12ihipStream_tbEUlRKS9_E_EESP_ST_SU_mSV_SY_bEUlT_E_NS1_11comp_targetILNS1_3genE8ELNS1_11target_archE1030ELNS1_3gpuE2ELNS1_3repE0EEENS1_30default_config_static_selectorELNS0_4arch9wavefront6targetE1EEEvSS_,"axG",@progbits,_ZN7rocprim17ROCPRIM_400000_NS6detail17trampoline_kernelINS0_14default_configENS1_27lower_bound_config_selectorIN6thrust23THRUST_200600_302600_NS5tupleIiiNS6_9null_typeES8_S8_S8_S8_S8_S8_S8_EEiEEZNS1_14transform_implILb0ES3_SA_NS6_6detail15normal_iteratorINS6_10device_ptrIS9_EEEENSD_INSE_IiEEEEZNS1_13binary_searchIS3_SA_SG_SG_SI_NS1_21lower_bound_search_opENSC_16wrapped_functionINS0_4lessIvEEbEEEE10hipError_tPvRmT1_T2_T3_mmT4_T5_P12ihipStream_tbEUlRKS9_E_EESP_ST_SU_mSV_SY_bEUlT_E_NS1_11comp_targetILNS1_3genE8ELNS1_11target_archE1030ELNS1_3gpuE2ELNS1_3repE0EEENS1_30default_config_static_selectorELNS0_4arch9wavefront6targetE1EEEvSS_,comdat
	.protected	_ZN7rocprim17ROCPRIM_400000_NS6detail17trampoline_kernelINS0_14default_configENS1_27lower_bound_config_selectorIN6thrust23THRUST_200600_302600_NS5tupleIiiNS6_9null_typeES8_S8_S8_S8_S8_S8_S8_EEiEEZNS1_14transform_implILb0ES3_SA_NS6_6detail15normal_iteratorINS6_10device_ptrIS9_EEEENSD_INSE_IiEEEEZNS1_13binary_searchIS3_SA_SG_SG_SI_NS1_21lower_bound_search_opENSC_16wrapped_functionINS0_4lessIvEEbEEEE10hipError_tPvRmT1_T2_T3_mmT4_T5_P12ihipStream_tbEUlRKS9_E_EESP_ST_SU_mSV_SY_bEUlT_E_NS1_11comp_targetILNS1_3genE8ELNS1_11target_archE1030ELNS1_3gpuE2ELNS1_3repE0EEENS1_30default_config_static_selectorELNS0_4arch9wavefront6targetE1EEEvSS_ ; -- Begin function _ZN7rocprim17ROCPRIM_400000_NS6detail17trampoline_kernelINS0_14default_configENS1_27lower_bound_config_selectorIN6thrust23THRUST_200600_302600_NS5tupleIiiNS6_9null_typeES8_S8_S8_S8_S8_S8_S8_EEiEEZNS1_14transform_implILb0ES3_SA_NS6_6detail15normal_iteratorINS6_10device_ptrIS9_EEEENSD_INSE_IiEEEEZNS1_13binary_searchIS3_SA_SG_SG_SI_NS1_21lower_bound_search_opENSC_16wrapped_functionINS0_4lessIvEEbEEEE10hipError_tPvRmT1_T2_T3_mmT4_T5_P12ihipStream_tbEUlRKS9_E_EESP_ST_SU_mSV_SY_bEUlT_E_NS1_11comp_targetILNS1_3genE8ELNS1_11target_archE1030ELNS1_3gpuE2ELNS1_3repE0EEENS1_30default_config_static_selectorELNS0_4arch9wavefront6targetE1EEEvSS_
	.globl	_ZN7rocprim17ROCPRIM_400000_NS6detail17trampoline_kernelINS0_14default_configENS1_27lower_bound_config_selectorIN6thrust23THRUST_200600_302600_NS5tupleIiiNS6_9null_typeES8_S8_S8_S8_S8_S8_S8_EEiEEZNS1_14transform_implILb0ES3_SA_NS6_6detail15normal_iteratorINS6_10device_ptrIS9_EEEENSD_INSE_IiEEEEZNS1_13binary_searchIS3_SA_SG_SG_SI_NS1_21lower_bound_search_opENSC_16wrapped_functionINS0_4lessIvEEbEEEE10hipError_tPvRmT1_T2_T3_mmT4_T5_P12ihipStream_tbEUlRKS9_E_EESP_ST_SU_mSV_SY_bEUlT_E_NS1_11comp_targetILNS1_3genE8ELNS1_11target_archE1030ELNS1_3gpuE2ELNS1_3repE0EEENS1_30default_config_static_selectorELNS0_4arch9wavefront6targetE1EEEvSS_
	.p2align	8
	.type	_ZN7rocprim17ROCPRIM_400000_NS6detail17trampoline_kernelINS0_14default_configENS1_27lower_bound_config_selectorIN6thrust23THRUST_200600_302600_NS5tupleIiiNS6_9null_typeES8_S8_S8_S8_S8_S8_S8_EEiEEZNS1_14transform_implILb0ES3_SA_NS6_6detail15normal_iteratorINS6_10device_ptrIS9_EEEENSD_INSE_IiEEEEZNS1_13binary_searchIS3_SA_SG_SG_SI_NS1_21lower_bound_search_opENSC_16wrapped_functionINS0_4lessIvEEbEEEE10hipError_tPvRmT1_T2_T3_mmT4_T5_P12ihipStream_tbEUlRKS9_E_EESP_ST_SU_mSV_SY_bEUlT_E_NS1_11comp_targetILNS1_3genE8ELNS1_11target_archE1030ELNS1_3gpuE2ELNS1_3repE0EEENS1_30default_config_static_selectorELNS0_4arch9wavefront6targetE1EEEvSS_,@function
_ZN7rocprim17ROCPRIM_400000_NS6detail17trampoline_kernelINS0_14default_configENS1_27lower_bound_config_selectorIN6thrust23THRUST_200600_302600_NS5tupleIiiNS6_9null_typeES8_S8_S8_S8_S8_S8_S8_EEiEEZNS1_14transform_implILb0ES3_SA_NS6_6detail15normal_iteratorINS6_10device_ptrIS9_EEEENSD_INSE_IiEEEEZNS1_13binary_searchIS3_SA_SG_SG_SI_NS1_21lower_bound_search_opENSC_16wrapped_functionINS0_4lessIvEEbEEEE10hipError_tPvRmT1_T2_T3_mmT4_T5_P12ihipStream_tbEUlRKS9_E_EESP_ST_SU_mSV_SY_bEUlT_E_NS1_11comp_targetILNS1_3genE8ELNS1_11target_archE1030ELNS1_3gpuE2ELNS1_3repE0EEENS1_30default_config_static_selectorELNS0_4arch9wavefront6targetE1EEEvSS_: ; @_ZN7rocprim17ROCPRIM_400000_NS6detail17trampoline_kernelINS0_14default_configENS1_27lower_bound_config_selectorIN6thrust23THRUST_200600_302600_NS5tupleIiiNS6_9null_typeES8_S8_S8_S8_S8_S8_S8_EEiEEZNS1_14transform_implILb0ES3_SA_NS6_6detail15normal_iteratorINS6_10device_ptrIS9_EEEENSD_INSE_IiEEEEZNS1_13binary_searchIS3_SA_SG_SG_SI_NS1_21lower_bound_search_opENSC_16wrapped_functionINS0_4lessIvEEbEEEE10hipError_tPvRmT1_T2_T3_mmT4_T5_P12ihipStream_tbEUlRKS9_E_EESP_ST_SU_mSV_SY_bEUlT_E_NS1_11comp_targetILNS1_3genE8ELNS1_11target_archE1030ELNS1_3gpuE2ELNS1_3repE0EEENS1_30default_config_static_selectorELNS0_4arch9wavefront6targetE1EEEvSS_
; %bb.0:
	.section	.rodata,"a",@progbits
	.p2align	6, 0x0
	.amdhsa_kernel _ZN7rocprim17ROCPRIM_400000_NS6detail17trampoline_kernelINS0_14default_configENS1_27lower_bound_config_selectorIN6thrust23THRUST_200600_302600_NS5tupleIiiNS6_9null_typeES8_S8_S8_S8_S8_S8_S8_EEiEEZNS1_14transform_implILb0ES3_SA_NS6_6detail15normal_iteratorINS6_10device_ptrIS9_EEEENSD_INSE_IiEEEEZNS1_13binary_searchIS3_SA_SG_SG_SI_NS1_21lower_bound_search_opENSC_16wrapped_functionINS0_4lessIvEEbEEEE10hipError_tPvRmT1_T2_T3_mmT4_T5_P12ihipStream_tbEUlRKS9_E_EESP_ST_SU_mSV_SY_bEUlT_E_NS1_11comp_targetILNS1_3genE8ELNS1_11target_archE1030ELNS1_3gpuE2ELNS1_3repE0EEENS1_30default_config_static_selectorELNS0_4arch9wavefront6targetE1EEEvSS_
		.amdhsa_group_segment_fixed_size 0
		.amdhsa_private_segment_fixed_size 0
		.amdhsa_kernarg_size 56
		.amdhsa_user_sgpr_count 6
		.amdhsa_user_sgpr_private_segment_buffer 1
		.amdhsa_user_sgpr_dispatch_ptr 0
		.amdhsa_user_sgpr_queue_ptr 0
		.amdhsa_user_sgpr_kernarg_segment_ptr 1
		.amdhsa_user_sgpr_dispatch_id 0
		.amdhsa_user_sgpr_flat_scratch_init 0
		.amdhsa_user_sgpr_private_segment_size 0
		.amdhsa_uses_dynamic_stack 0
		.amdhsa_system_sgpr_private_segment_wavefront_offset 0
		.amdhsa_system_sgpr_workgroup_id_x 1
		.amdhsa_system_sgpr_workgroup_id_y 0
		.amdhsa_system_sgpr_workgroup_id_z 0
		.amdhsa_system_sgpr_workgroup_info 0
		.amdhsa_system_vgpr_workitem_id 0
		.amdhsa_next_free_vgpr 1
		.amdhsa_next_free_sgpr 0
		.amdhsa_reserve_vcc 0
		.amdhsa_reserve_flat_scratch 0
		.amdhsa_float_round_mode_32 0
		.amdhsa_float_round_mode_16_64 0
		.amdhsa_float_denorm_mode_32 3
		.amdhsa_float_denorm_mode_16_64 3
		.amdhsa_dx10_clamp 1
		.amdhsa_ieee_mode 1
		.amdhsa_fp16_overflow 0
		.amdhsa_exception_fp_ieee_invalid_op 0
		.amdhsa_exception_fp_denorm_src 0
		.amdhsa_exception_fp_ieee_div_zero 0
		.amdhsa_exception_fp_ieee_overflow 0
		.amdhsa_exception_fp_ieee_underflow 0
		.amdhsa_exception_fp_ieee_inexact 0
		.amdhsa_exception_int_div_zero 0
	.end_amdhsa_kernel
	.section	.text._ZN7rocprim17ROCPRIM_400000_NS6detail17trampoline_kernelINS0_14default_configENS1_27lower_bound_config_selectorIN6thrust23THRUST_200600_302600_NS5tupleIiiNS6_9null_typeES8_S8_S8_S8_S8_S8_S8_EEiEEZNS1_14transform_implILb0ES3_SA_NS6_6detail15normal_iteratorINS6_10device_ptrIS9_EEEENSD_INSE_IiEEEEZNS1_13binary_searchIS3_SA_SG_SG_SI_NS1_21lower_bound_search_opENSC_16wrapped_functionINS0_4lessIvEEbEEEE10hipError_tPvRmT1_T2_T3_mmT4_T5_P12ihipStream_tbEUlRKS9_E_EESP_ST_SU_mSV_SY_bEUlT_E_NS1_11comp_targetILNS1_3genE8ELNS1_11target_archE1030ELNS1_3gpuE2ELNS1_3repE0EEENS1_30default_config_static_selectorELNS0_4arch9wavefront6targetE1EEEvSS_,"axG",@progbits,_ZN7rocprim17ROCPRIM_400000_NS6detail17trampoline_kernelINS0_14default_configENS1_27lower_bound_config_selectorIN6thrust23THRUST_200600_302600_NS5tupleIiiNS6_9null_typeES8_S8_S8_S8_S8_S8_S8_EEiEEZNS1_14transform_implILb0ES3_SA_NS6_6detail15normal_iteratorINS6_10device_ptrIS9_EEEENSD_INSE_IiEEEEZNS1_13binary_searchIS3_SA_SG_SG_SI_NS1_21lower_bound_search_opENSC_16wrapped_functionINS0_4lessIvEEbEEEE10hipError_tPvRmT1_T2_T3_mmT4_T5_P12ihipStream_tbEUlRKS9_E_EESP_ST_SU_mSV_SY_bEUlT_E_NS1_11comp_targetILNS1_3genE8ELNS1_11target_archE1030ELNS1_3gpuE2ELNS1_3repE0EEENS1_30default_config_static_selectorELNS0_4arch9wavefront6targetE1EEEvSS_,comdat
.Lfunc_end498:
	.size	_ZN7rocprim17ROCPRIM_400000_NS6detail17trampoline_kernelINS0_14default_configENS1_27lower_bound_config_selectorIN6thrust23THRUST_200600_302600_NS5tupleIiiNS6_9null_typeES8_S8_S8_S8_S8_S8_S8_EEiEEZNS1_14transform_implILb0ES3_SA_NS6_6detail15normal_iteratorINS6_10device_ptrIS9_EEEENSD_INSE_IiEEEEZNS1_13binary_searchIS3_SA_SG_SG_SI_NS1_21lower_bound_search_opENSC_16wrapped_functionINS0_4lessIvEEbEEEE10hipError_tPvRmT1_T2_T3_mmT4_T5_P12ihipStream_tbEUlRKS9_E_EESP_ST_SU_mSV_SY_bEUlT_E_NS1_11comp_targetILNS1_3genE8ELNS1_11target_archE1030ELNS1_3gpuE2ELNS1_3repE0EEENS1_30default_config_static_selectorELNS0_4arch9wavefront6targetE1EEEvSS_, .Lfunc_end498-_ZN7rocprim17ROCPRIM_400000_NS6detail17trampoline_kernelINS0_14default_configENS1_27lower_bound_config_selectorIN6thrust23THRUST_200600_302600_NS5tupleIiiNS6_9null_typeES8_S8_S8_S8_S8_S8_S8_EEiEEZNS1_14transform_implILb0ES3_SA_NS6_6detail15normal_iteratorINS6_10device_ptrIS9_EEEENSD_INSE_IiEEEEZNS1_13binary_searchIS3_SA_SG_SG_SI_NS1_21lower_bound_search_opENSC_16wrapped_functionINS0_4lessIvEEbEEEE10hipError_tPvRmT1_T2_T3_mmT4_T5_P12ihipStream_tbEUlRKS9_E_EESP_ST_SU_mSV_SY_bEUlT_E_NS1_11comp_targetILNS1_3genE8ELNS1_11target_archE1030ELNS1_3gpuE2ELNS1_3repE0EEENS1_30default_config_static_selectorELNS0_4arch9wavefront6targetE1EEEvSS_
                                        ; -- End function
	.set _ZN7rocprim17ROCPRIM_400000_NS6detail17trampoline_kernelINS0_14default_configENS1_27lower_bound_config_selectorIN6thrust23THRUST_200600_302600_NS5tupleIiiNS6_9null_typeES8_S8_S8_S8_S8_S8_S8_EEiEEZNS1_14transform_implILb0ES3_SA_NS6_6detail15normal_iteratorINS6_10device_ptrIS9_EEEENSD_INSE_IiEEEEZNS1_13binary_searchIS3_SA_SG_SG_SI_NS1_21lower_bound_search_opENSC_16wrapped_functionINS0_4lessIvEEbEEEE10hipError_tPvRmT1_T2_T3_mmT4_T5_P12ihipStream_tbEUlRKS9_E_EESP_ST_SU_mSV_SY_bEUlT_E_NS1_11comp_targetILNS1_3genE8ELNS1_11target_archE1030ELNS1_3gpuE2ELNS1_3repE0EEENS1_30default_config_static_selectorELNS0_4arch9wavefront6targetE1EEEvSS_.num_vgpr, 0
	.set _ZN7rocprim17ROCPRIM_400000_NS6detail17trampoline_kernelINS0_14default_configENS1_27lower_bound_config_selectorIN6thrust23THRUST_200600_302600_NS5tupleIiiNS6_9null_typeES8_S8_S8_S8_S8_S8_S8_EEiEEZNS1_14transform_implILb0ES3_SA_NS6_6detail15normal_iteratorINS6_10device_ptrIS9_EEEENSD_INSE_IiEEEEZNS1_13binary_searchIS3_SA_SG_SG_SI_NS1_21lower_bound_search_opENSC_16wrapped_functionINS0_4lessIvEEbEEEE10hipError_tPvRmT1_T2_T3_mmT4_T5_P12ihipStream_tbEUlRKS9_E_EESP_ST_SU_mSV_SY_bEUlT_E_NS1_11comp_targetILNS1_3genE8ELNS1_11target_archE1030ELNS1_3gpuE2ELNS1_3repE0EEENS1_30default_config_static_selectorELNS0_4arch9wavefront6targetE1EEEvSS_.num_agpr, 0
	.set _ZN7rocprim17ROCPRIM_400000_NS6detail17trampoline_kernelINS0_14default_configENS1_27lower_bound_config_selectorIN6thrust23THRUST_200600_302600_NS5tupleIiiNS6_9null_typeES8_S8_S8_S8_S8_S8_S8_EEiEEZNS1_14transform_implILb0ES3_SA_NS6_6detail15normal_iteratorINS6_10device_ptrIS9_EEEENSD_INSE_IiEEEEZNS1_13binary_searchIS3_SA_SG_SG_SI_NS1_21lower_bound_search_opENSC_16wrapped_functionINS0_4lessIvEEbEEEE10hipError_tPvRmT1_T2_T3_mmT4_T5_P12ihipStream_tbEUlRKS9_E_EESP_ST_SU_mSV_SY_bEUlT_E_NS1_11comp_targetILNS1_3genE8ELNS1_11target_archE1030ELNS1_3gpuE2ELNS1_3repE0EEENS1_30default_config_static_selectorELNS0_4arch9wavefront6targetE1EEEvSS_.numbered_sgpr, 0
	.set _ZN7rocprim17ROCPRIM_400000_NS6detail17trampoline_kernelINS0_14default_configENS1_27lower_bound_config_selectorIN6thrust23THRUST_200600_302600_NS5tupleIiiNS6_9null_typeES8_S8_S8_S8_S8_S8_S8_EEiEEZNS1_14transform_implILb0ES3_SA_NS6_6detail15normal_iteratorINS6_10device_ptrIS9_EEEENSD_INSE_IiEEEEZNS1_13binary_searchIS3_SA_SG_SG_SI_NS1_21lower_bound_search_opENSC_16wrapped_functionINS0_4lessIvEEbEEEE10hipError_tPvRmT1_T2_T3_mmT4_T5_P12ihipStream_tbEUlRKS9_E_EESP_ST_SU_mSV_SY_bEUlT_E_NS1_11comp_targetILNS1_3genE8ELNS1_11target_archE1030ELNS1_3gpuE2ELNS1_3repE0EEENS1_30default_config_static_selectorELNS0_4arch9wavefront6targetE1EEEvSS_.num_named_barrier, 0
	.set _ZN7rocprim17ROCPRIM_400000_NS6detail17trampoline_kernelINS0_14default_configENS1_27lower_bound_config_selectorIN6thrust23THRUST_200600_302600_NS5tupleIiiNS6_9null_typeES8_S8_S8_S8_S8_S8_S8_EEiEEZNS1_14transform_implILb0ES3_SA_NS6_6detail15normal_iteratorINS6_10device_ptrIS9_EEEENSD_INSE_IiEEEEZNS1_13binary_searchIS3_SA_SG_SG_SI_NS1_21lower_bound_search_opENSC_16wrapped_functionINS0_4lessIvEEbEEEE10hipError_tPvRmT1_T2_T3_mmT4_T5_P12ihipStream_tbEUlRKS9_E_EESP_ST_SU_mSV_SY_bEUlT_E_NS1_11comp_targetILNS1_3genE8ELNS1_11target_archE1030ELNS1_3gpuE2ELNS1_3repE0EEENS1_30default_config_static_selectorELNS0_4arch9wavefront6targetE1EEEvSS_.private_seg_size, 0
	.set _ZN7rocprim17ROCPRIM_400000_NS6detail17trampoline_kernelINS0_14default_configENS1_27lower_bound_config_selectorIN6thrust23THRUST_200600_302600_NS5tupleIiiNS6_9null_typeES8_S8_S8_S8_S8_S8_S8_EEiEEZNS1_14transform_implILb0ES3_SA_NS6_6detail15normal_iteratorINS6_10device_ptrIS9_EEEENSD_INSE_IiEEEEZNS1_13binary_searchIS3_SA_SG_SG_SI_NS1_21lower_bound_search_opENSC_16wrapped_functionINS0_4lessIvEEbEEEE10hipError_tPvRmT1_T2_T3_mmT4_T5_P12ihipStream_tbEUlRKS9_E_EESP_ST_SU_mSV_SY_bEUlT_E_NS1_11comp_targetILNS1_3genE8ELNS1_11target_archE1030ELNS1_3gpuE2ELNS1_3repE0EEENS1_30default_config_static_selectorELNS0_4arch9wavefront6targetE1EEEvSS_.uses_vcc, 0
	.set _ZN7rocprim17ROCPRIM_400000_NS6detail17trampoline_kernelINS0_14default_configENS1_27lower_bound_config_selectorIN6thrust23THRUST_200600_302600_NS5tupleIiiNS6_9null_typeES8_S8_S8_S8_S8_S8_S8_EEiEEZNS1_14transform_implILb0ES3_SA_NS6_6detail15normal_iteratorINS6_10device_ptrIS9_EEEENSD_INSE_IiEEEEZNS1_13binary_searchIS3_SA_SG_SG_SI_NS1_21lower_bound_search_opENSC_16wrapped_functionINS0_4lessIvEEbEEEE10hipError_tPvRmT1_T2_T3_mmT4_T5_P12ihipStream_tbEUlRKS9_E_EESP_ST_SU_mSV_SY_bEUlT_E_NS1_11comp_targetILNS1_3genE8ELNS1_11target_archE1030ELNS1_3gpuE2ELNS1_3repE0EEENS1_30default_config_static_selectorELNS0_4arch9wavefront6targetE1EEEvSS_.uses_flat_scratch, 0
	.set _ZN7rocprim17ROCPRIM_400000_NS6detail17trampoline_kernelINS0_14default_configENS1_27lower_bound_config_selectorIN6thrust23THRUST_200600_302600_NS5tupleIiiNS6_9null_typeES8_S8_S8_S8_S8_S8_S8_EEiEEZNS1_14transform_implILb0ES3_SA_NS6_6detail15normal_iteratorINS6_10device_ptrIS9_EEEENSD_INSE_IiEEEEZNS1_13binary_searchIS3_SA_SG_SG_SI_NS1_21lower_bound_search_opENSC_16wrapped_functionINS0_4lessIvEEbEEEE10hipError_tPvRmT1_T2_T3_mmT4_T5_P12ihipStream_tbEUlRKS9_E_EESP_ST_SU_mSV_SY_bEUlT_E_NS1_11comp_targetILNS1_3genE8ELNS1_11target_archE1030ELNS1_3gpuE2ELNS1_3repE0EEENS1_30default_config_static_selectorELNS0_4arch9wavefront6targetE1EEEvSS_.has_dyn_sized_stack, 0
	.set _ZN7rocprim17ROCPRIM_400000_NS6detail17trampoline_kernelINS0_14default_configENS1_27lower_bound_config_selectorIN6thrust23THRUST_200600_302600_NS5tupleIiiNS6_9null_typeES8_S8_S8_S8_S8_S8_S8_EEiEEZNS1_14transform_implILb0ES3_SA_NS6_6detail15normal_iteratorINS6_10device_ptrIS9_EEEENSD_INSE_IiEEEEZNS1_13binary_searchIS3_SA_SG_SG_SI_NS1_21lower_bound_search_opENSC_16wrapped_functionINS0_4lessIvEEbEEEE10hipError_tPvRmT1_T2_T3_mmT4_T5_P12ihipStream_tbEUlRKS9_E_EESP_ST_SU_mSV_SY_bEUlT_E_NS1_11comp_targetILNS1_3genE8ELNS1_11target_archE1030ELNS1_3gpuE2ELNS1_3repE0EEENS1_30default_config_static_selectorELNS0_4arch9wavefront6targetE1EEEvSS_.has_recursion, 0
	.set _ZN7rocprim17ROCPRIM_400000_NS6detail17trampoline_kernelINS0_14default_configENS1_27lower_bound_config_selectorIN6thrust23THRUST_200600_302600_NS5tupleIiiNS6_9null_typeES8_S8_S8_S8_S8_S8_S8_EEiEEZNS1_14transform_implILb0ES3_SA_NS6_6detail15normal_iteratorINS6_10device_ptrIS9_EEEENSD_INSE_IiEEEEZNS1_13binary_searchIS3_SA_SG_SG_SI_NS1_21lower_bound_search_opENSC_16wrapped_functionINS0_4lessIvEEbEEEE10hipError_tPvRmT1_T2_T3_mmT4_T5_P12ihipStream_tbEUlRKS9_E_EESP_ST_SU_mSV_SY_bEUlT_E_NS1_11comp_targetILNS1_3genE8ELNS1_11target_archE1030ELNS1_3gpuE2ELNS1_3repE0EEENS1_30default_config_static_selectorELNS0_4arch9wavefront6targetE1EEEvSS_.has_indirect_call, 0
	.section	.AMDGPU.csdata,"",@progbits
; Kernel info:
; codeLenInByte = 0
; TotalNumSgprs: 4
; NumVgprs: 0
; ScratchSize: 0
; MemoryBound: 0
; FloatMode: 240
; IeeeMode: 1
; LDSByteSize: 0 bytes/workgroup (compile time only)
; SGPRBlocks: 0
; VGPRBlocks: 0
; NumSGPRsForWavesPerEU: 4
; NumVGPRsForWavesPerEU: 1
; Occupancy: 10
; WaveLimiterHint : 0
; COMPUTE_PGM_RSRC2:SCRATCH_EN: 0
; COMPUTE_PGM_RSRC2:USER_SGPR: 6
; COMPUTE_PGM_RSRC2:TRAP_HANDLER: 0
; COMPUTE_PGM_RSRC2:TGID_X_EN: 1
; COMPUTE_PGM_RSRC2:TGID_Y_EN: 0
; COMPUTE_PGM_RSRC2:TGID_Z_EN: 0
; COMPUTE_PGM_RSRC2:TIDIG_COMP_CNT: 0
	.section	.text._ZN6thrust23THRUST_200600_302600_NS11hip_rocprim14__parallel_for6kernelILj256ENS1_20__uninitialized_fill7functorINS0_10device_ptrIiEEiEEmLj1EEEvT0_T1_SA_,"axG",@progbits,_ZN6thrust23THRUST_200600_302600_NS11hip_rocprim14__parallel_for6kernelILj256ENS1_20__uninitialized_fill7functorINS0_10device_ptrIiEEiEEmLj1EEEvT0_T1_SA_,comdat
	.protected	_ZN6thrust23THRUST_200600_302600_NS11hip_rocprim14__parallel_for6kernelILj256ENS1_20__uninitialized_fill7functorINS0_10device_ptrIiEEiEEmLj1EEEvT0_T1_SA_ ; -- Begin function _ZN6thrust23THRUST_200600_302600_NS11hip_rocprim14__parallel_for6kernelILj256ENS1_20__uninitialized_fill7functorINS0_10device_ptrIiEEiEEmLj1EEEvT0_T1_SA_
	.globl	_ZN6thrust23THRUST_200600_302600_NS11hip_rocprim14__parallel_for6kernelILj256ENS1_20__uninitialized_fill7functorINS0_10device_ptrIiEEiEEmLj1EEEvT0_T1_SA_
	.p2align	8
	.type	_ZN6thrust23THRUST_200600_302600_NS11hip_rocprim14__parallel_for6kernelILj256ENS1_20__uninitialized_fill7functorINS0_10device_ptrIiEEiEEmLj1EEEvT0_T1_SA_,@function
_ZN6thrust23THRUST_200600_302600_NS11hip_rocprim14__parallel_for6kernelILj256ENS1_20__uninitialized_fill7functorINS0_10device_ptrIiEEiEEmLj1EEEvT0_T1_SA_: ; @_ZN6thrust23THRUST_200600_302600_NS11hip_rocprim14__parallel_for6kernelILj256ENS1_20__uninitialized_fill7functorINS0_10device_ptrIiEEiEEmLj1EEEvT0_T1_SA_
; %bb.0:
	s_load_dwordx4 s[12:15], s[4:5], 0x10
	s_load_dwordx2 s[0:1], s[4:5], 0x0
	s_load_dword s8, s[4:5], 0x8
	s_lshl_b32 s2, s6, 8
	v_mov_b32_e32 v1, 0xff
	s_waitcnt lgkmcnt(0)
	s_add_u32 s2, s14, s2
	s_addc_u32 s3, s15, 0
	s_sub_u32 s4, s12, s2
	v_mov_b32_e32 v2, 0
	s_subb_u32 s5, s13, s3
	v_cmp_gt_u64_e32 vcc, s[4:5], v[1:2]
	s_mov_b64 s[6:7], -1
	s_cbranch_vccz .LBB499_3
; %bb.1:
	s_andn2_b64 vcc, exec, s[6:7]
	s_cbranch_vccz .LBB499_6
.LBB499_2:
	s_endpgm
.LBB499_3:
	v_cmp_gt_u32_e32 vcc, s4, v0
	s_and_saveexec_b64 s[4:5], vcc
	s_cbranch_execz .LBB499_5
; %bb.4:
	s_lshl_b64 s[6:7], s[2:3], 2
	s_add_u32 s6, s0, s6
	s_addc_u32 s7, s1, s7
	v_lshlrev_b32_e32 v1, 2, v0
	v_mov_b32_e32 v2, s7
	v_add_co_u32_e32 v1, vcc, s6, v1
	v_addc_co_u32_e32 v2, vcc, 0, v2, vcc
	v_mov_b32_e32 v3, s8
	flat_store_dword v[1:2], v3
.LBB499_5:
	s_or_b64 exec, exec, s[4:5]
	s_cbranch_execnz .LBB499_2
.LBB499_6:
	s_lshl_b64 s[2:3], s[2:3], 2
	s_add_u32 s0, s0, s2
	s_addc_u32 s1, s1, s3
	v_lshlrev_b32_e32 v0, 2, v0
	v_mov_b32_e32 v1, s1
	v_add_co_u32_e32 v0, vcc, s0, v0
	v_addc_co_u32_e32 v1, vcc, 0, v1, vcc
	v_mov_b32_e32 v2, s8
	flat_store_dword v[0:1], v2
	s_endpgm
	.section	.rodata,"a",@progbits
	.p2align	6, 0x0
	.amdhsa_kernel _ZN6thrust23THRUST_200600_302600_NS11hip_rocprim14__parallel_for6kernelILj256ENS1_20__uninitialized_fill7functorINS0_10device_ptrIiEEiEEmLj1EEEvT0_T1_SA_
		.amdhsa_group_segment_fixed_size 0
		.amdhsa_private_segment_fixed_size 0
		.amdhsa_kernarg_size 32
		.amdhsa_user_sgpr_count 6
		.amdhsa_user_sgpr_private_segment_buffer 1
		.amdhsa_user_sgpr_dispatch_ptr 0
		.amdhsa_user_sgpr_queue_ptr 0
		.amdhsa_user_sgpr_kernarg_segment_ptr 1
		.amdhsa_user_sgpr_dispatch_id 0
		.amdhsa_user_sgpr_flat_scratch_init 0
		.amdhsa_user_sgpr_private_segment_size 0
		.amdhsa_uses_dynamic_stack 0
		.amdhsa_system_sgpr_private_segment_wavefront_offset 0
		.amdhsa_system_sgpr_workgroup_id_x 1
		.amdhsa_system_sgpr_workgroup_id_y 0
		.amdhsa_system_sgpr_workgroup_id_z 0
		.amdhsa_system_sgpr_workgroup_info 0
		.amdhsa_system_vgpr_workitem_id 0
		.amdhsa_next_free_vgpr 4
		.amdhsa_next_free_sgpr 16
		.amdhsa_reserve_vcc 1
		.amdhsa_reserve_flat_scratch 0
		.amdhsa_float_round_mode_32 0
		.amdhsa_float_round_mode_16_64 0
		.amdhsa_float_denorm_mode_32 3
		.amdhsa_float_denorm_mode_16_64 3
		.amdhsa_dx10_clamp 1
		.amdhsa_ieee_mode 1
		.amdhsa_fp16_overflow 0
		.amdhsa_exception_fp_ieee_invalid_op 0
		.amdhsa_exception_fp_denorm_src 0
		.amdhsa_exception_fp_ieee_div_zero 0
		.amdhsa_exception_fp_ieee_overflow 0
		.amdhsa_exception_fp_ieee_underflow 0
		.amdhsa_exception_fp_ieee_inexact 0
		.amdhsa_exception_int_div_zero 0
	.end_amdhsa_kernel
	.section	.text._ZN6thrust23THRUST_200600_302600_NS11hip_rocprim14__parallel_for6kernelILj256ENS1_20__uninitialized_fill7functorINS0_10device_ptrIiEEiEEmLj1EEEvT0_T1_SA_,"axG",@progbits,_ZN6thrust23THRUST_200600_302600_NS11hip_rocprim14__parallel_for6kernelILj256ENS1_20__uninitialized_fill7functorINS0_10device_ptrIiEEiEEmLj1EEEvT0_T1_SA_,comdat
.Lfunc_end499:
	.size	_ZN6thrust23THRUST_200600_302600_NS11hip_rocprim14__parallel_for6kernelILj256ENS1_20__uninitialized_fill7functorINS0_10device_ptrIiEEiEEmLj1EEEvT0_T1_SA_, .Lfunc_end499-_ZN6thrust23THRUST_200600_302600_NS11hip_rocprim14__parallel_for6kernelILj256ENS1_20__uninitialized_fill7functorINS0_10device_ptrIiEEiEEmLj1EEEvT0_T1_SA_
                                        ; -- End function
	.set _ZN6thrust23THRUST_200600_302600_NS11hip_rocprim14__parallel_for6kernelILj256ENS1_20__uninitialized_fill7functorINS0_10device_ptrIiEEiEEmLj1EEEvT0_T1_SA_.num_vgpr, 4
	.set _ZN6thrust23THRUST_200600_302600_NS11hip_rocprim14__parallel_for6kernelILj256ENS1_20__uninitialized_fill7functorINS0_10device_ptrIiEEiEEmLj1EEEvT0_T1_SA_.num_agpr, 0
	.set _ZN6thrust23THRUST_200600_302600_NS11hip_rocprim14__parallel_for6kernelILj256ENS1_20__uninitialized_fill7functorINS0_10device_ptrIiEEiEEmLj1EEEvT0_T1_SA_.numbered_sgpr, 16
	.set _ZN6thrust23THRUST_200600_302600_NS11hip_rocprim14__parallel_for6kernelILj256ENS1_20__uninitialized_fill7functorINS0_10device_ptrIiEEiEEmLj1EEEvT0_T1_SA_.num_named_barrier, 0
	.set _ZN6thrust23THRUST_200600_302600_NS11hip_rocprim14__parallel_for6kernelILj256ENS1_20__uninitialized_fill7functorINS0_10device_ptrIiEEiEEmLj1EEEvT0_T1_SA_.private_seg_size, 0
	.set _ZN6thrust23THRUST_200600_302600_NS11hip_rocprim14__parallel_for6kernelILj256ENS1_20__uninitialized_fill7functorINS0_10device_ptrIiEEiEEmLj1EEEvT0_T1_SA_.uses_vcc, 1
	.set _ZN6thrust23THRUST_200600_302600_NS11hip_rocprim14__parallel_for6kernelILj256ENS1_20__uninitialized_fill7functorINS0_10device_ptrIiEEiEEmLj1EEEvT0_T1_SA_.uses_flat_scratch, 0
	.set _ZN6thrust23THRUST_200600_302600_NS11hip_rocprim14__parallel_for6kernelILj256ENS1_20__uninitialized_fill7functorINS0_10device_ptrIiEEiEEmLj1EEEvT0_T1_SA_.has_dyn_sized_stack, 0
	.set _ZN6thrust23THRUST_200600_302600_NS11hip_rocprim14__parallel_for6kernelILj256ENS1_20__uninitialized_fill7functorINS0_10device_ptrIiEEiEEmLj1EEEvT0_T1_SA_.has_recursion, 0
	.set _ZN6thrust23THRUST_200600_302600_NS11hip_rocprim14__parallel_for6kernelILj256ENS1_20__uninitialized_fill7functorINS0_10device_ptrIiEEiEEmLj1EEEvT0_T1_SA_.has_indirect_call, 0
	.section	.AMDGPU.csdata,"",@progbits
; Kernel info:
; codeLenInByte = 188
; TotalNumSgprs: 20
; NumVgprs: 4
; ScratchSize: 0
; MemoryBound: 0
; FloatMode: 240
; IeeeMode: 1
; LDSByteSize: 0 bytes/workgroup (compile time only)
; SGPRBlocks: 2
; VGPRBlocks: 0
; NumSGPRsForWavesPerEU: 20
; NumVGPRsForWavesPerEU: 4
; Occupancy: 10
; WaveLimiterHint : 0
; COMPUTE_PGM_RSRC2:SCRATCH_EN: 0
; COMPUTE_PGM_RSRC2:USER_SGPR: 6
; COMPUTE_PGM_RSRC2:TRAP_HANDLER: 0
; COMPUTE_PGM_RSRC2:TGID_X_EN: 1
; COMPUTE_PGM_RSRC2:TGID_Y_EN: 0
; COMPUTE_PGM_RSRC2:TGID_Z_EN: 0
; COMPUTE_PGM_RSRC2:TIDIG_COMP_CNT: 0
	.section	.text._ZN7rocprim17ROCPRIM_400000_NS6detail17trampoline_kernelINS0_14default_configENS1_27upper_bound_config_selectorIdlEEZNS1_14transform_implILb0ES3_S5_N6thrust23THRUST_200600_302600_NS6detail15normal_iteratorINS8_7pointerIdNS8_11hip_rocprim5par_tENS8_11use_defaultESE_EEEENSA_INSB_IlSD_SE_SE_EEEEZNS1_13binary_searchIS3_S5_NSA_INS8_10device_ptrIdEEEESG_SI_NS1_21upper_bound_search_opENS9_16wrapped_functionINS8_6system6detail7generic6detail18binary_search_lessEbEEEE10hipError_tPvRmT1_T2_T3_mmT4_T5_P12ihipStream_tbEUlRKdE_EESV_SZ_S10_mS11_S14_bEUlT_E_NS1_11comp_targetILNS1_3genE0ELNS1_11target_archE4294967295ELNS1_3gpuE0ELNS1_3repE0EEENS1_30default_config_static_selectorELNS0_4arch9wavefront6targetE1EEEvSY_,"axG",@progbits,_ZN7rocprim17ROCPRIM_400000_NS6detail17trampoline_kernelINS0_14default_configENS1_27upper_bound_config_selectorIdlEEZNS1_14transform_implILb0ES3_S5_N6thrust23THRUST_200600_302600_NS6detail15normal_iteratorINS8_7pointerIdNS8_11hip_rocprim5par_tENS8_11use_defaultESE_EEEENSA_INSB_IlSD_SE_SE_EEEEZNS1_13binary_searchIS3_S5_NSA_INS8_10device_ptrIdEEEESG_SI_NS1_21upper_bound_search_opENS9_16wrapped_functionINS8_6system6detail7generic6detail18binary_search_lessEbEEEE10hipError_tPvRmT1_T2_T3_mmT4_T5_P12ihipStream_tbEUlRKdE_EESV_SZ_S10_mS11_S14_bEUlT_E_NS1_11comp_targetILNS1_3genE0ELNS1_11target_archE4294967295ELNS1_3gpuE0ELNS1_3repE0EEENS1_30default_config_static_selectorELNS0_4arch9wavefront6targetE1EEEvSY_,comdat
	.protected	_ZN7rocprim17ROCPRIM_400000_NS6detail17trampoline_kernelINS0_14default_configENS1_27upper_bound_config_selectorIdlEEZNS1_14transform_implILb0ES3_S5_N6thrust23THRUST_200600_302600_NS6detail15normal_iteratorINS8_7pointerIdNS8_11hip_rocprim5par_tENS8_11use_defaultESE_EEEENSA_INSB_IlSD_SE_SE_EEEEZNS1_13binary_searchIS3_S5_NSA_INS8_10device_ptrIdEEEESG_SI_NS1_21upper_bound_search_opENS9_16wrapped_functionINS8_6system6detail7generic6detail18binary_search_lessEbEEEE10hipError_tPvRmT1_T2_T3_mmT4_T5_P12ihipStream_tbEUlRKdE_EESV_SZ_S10_mS11_S14_bEUlT_E_NS1_11comp_targetILNS1_3genE0ELNS1_11target_archE4294967295ELNS1_3gpuE0ELNS1_3repE0EEENS1_30default_config_static_selectorELNS0_4arch9wavefront6targetE1EEEvSY_ ; -- Begin function _ZN7rocprim17ROCPRIM_400000_NS6detail17trampoline_kernelINS0_14default_configENS1_27upper_bound_config_selectorIdlEEZNS1_14transform_implILb0ES3_S5_N6thrust23THRUST_200600_302600_NS6detail15normal_iteratorINS8_7pointerIdNS8_11hip_rocprim5par_tENS8_11use_defaultESE_EEEENSA_INSB_IlSD_SE_SE_EEEEZNS1_13binary_searchIS3_S5_NSA_INS8_10device_ptrIdEEEESG_SI_NS1_21upper_bound_search_opENS9_16wrapped_functionINS8_6system6detail7generic6detail18binary_search_lessEbEEEE10hipError_tPvRmT1_T2_T3_mmT4_T5_P12ihipStream_tbEUlRKdE_EESV_SZ_S10_mS11_S14_bEUlT_E_NS1_11comp_targetILNS1_3genE0ELNS1_11target_archE4294967295ELNS1_3gpuE0ELNS1_3repE0EEENS1_30default_config_static_selectorELNS0_4arch9wavefront6targetE1EEEvSY_
	.globl	_ZN7rocprim17ROCPRIM_400000_NS6detail17trampoline_kernelINS0_14default_configENS1_27upper_bound_config_selectorIdlEEZNS1_14transform_implILb0ES3_S5_N6thrust23THRUST_200600_302600_NS6detail15normal_iteratorINS8_7pointerIdNS8_11hip_rocprim5par_tENS8_11use_defaultESE_EEEENSA_INSB_IlSD_SE_SE_EEEEZNS1_13binary_searchIS3_S5_NSA_INS8_10device_ptrIdEEEESG_SI_NS1_21upper_bound_search_opENS9_16wrapped_functionINS8_6system6detail7generic6detail18binary_search_lessEbEEEE10hipError_tPvRmT1_T2_T3_mmT4_T5_P12ihipStream_tbEUlRKdE_EESV_SZ_S10_mS11_S14_bEUlT_E_NS1_11comp_targetILNS1_3genE0ELNS1_11target_archE4294967295ELNS1_3gpuE0ELNS1_3repE0EEENS1_30default_config_static_selectorELNS0_4arch9wavefront6targetE1EEEvSY_
	.p2align	8
	.type	_ZN7rocprim17ROCPRIM_400000_NS6detail17trampoline_kernelINS0_14default_configENS1_27upper_bound_config_selectorIdlEEZNS1_14transform_implILb0ES3_S5_N6thrust23THRUST_200600_302600_NS6detail15normal_iteratorINS8_7pointerIdNS8_11hip_rocprim5par_tENS8_11use_defaultESE_EEEENSA_INSB_IlSD_SE_SE_EEEEZNS1_13binary_searchIS3_S5_NSA_INS8_10device_ptrIdEEEESG_SI_NS1_21upper_bound_search_opENS9_16wrapped_functionINS8_6system6detail7generic6detail18binary_search_lessEbEEEE10hipError_tPvRmT1_T2_T3_mmT4_T5_P12ihipStream_tbEUlRKdE_EESV_SZ_S10_mS11_S14_bEUlT_E_NS1_11comp_targetILNS1_3genE0ELNS1_11target_archE4294967295ELNS1_3gpuE0ELNS1_3repE0EEENS1_30default_config_static_selectorELNS0_4arch9wavefront6targetE1EEEvSY_,@function
_ZN7rocprim17ROCPRIM_400000_NS6detail17trampoline_kernelINS0_14default_configENS1_27upper_bound_config_selectorIdlEEZNS1_14transform_implILb0ES3_S5_N6thrust23THRUST_200600_302600_NS6detail15normal_iteratorINS8_7pointerIdNS8_11hip_rocprim5par_tENS8_11use_defaultESE_EEEENSA_INSB_IlSD_SE_SE_EEEEZNS1_13binary_searchIS3_S5_NSA_INS8_10device_ptrIdEEEESG_SI_NS1_21upper_bound_search_opENS9_16wrapped_functionINS8_6system6detail7generic6detail18binary_search_lessEbEEEE10hipError_tPvRmT1_T2_T3_mmT4_T5_P12ihipStream_tbEUlRKdE_EESV_SZ_S10_mS11_S14_bEUlT_E_NS1_11comp_targetILNS1_3genE0ELNS1_11target_archE4294967295ELNS1_3gpuE0ELNS1_3repE0EEENS1_30default_config_static_selectorELNS0_4arch9wavefront6targetE1EEEvSY_: ; @_ZN7rocprim17ROCPRIM_400000_NS6detail17trampoline_kernelINS0_14default_configENS1_27upper_bound_config_selectorIdlEEZNS1_14transform_implILb0ES3_S5_N6thrust23THRUST_200600_302600_NS6detail15normal_iteratorINS8_7pointerIdNS8_11hip_rocprim5par_tENS8_11use_defaultESE_EEEENSA_INSB_IlSD_SE_SE_EEEEZNS1_13binary_searchIS3_S5_NSA_INS8_10device_ptrIdEEEESG_SI_NS1_21upper_bound_search_opENS9_16wrapped_functionINS8_6system6detail7generic6detail18binary_search_lessEbEEEE10hipError_tPvRmT1_T2_T3_mmT4_T5_P12ihipStream_tbEUlRKdE_EESV_SZ_S10_mS11_S14_bEUlT_E_NS1_11comp_targetILNS1_3genE0ELNS1_11target_archE4294967295ELNS1_3gpuE0ELNS1_3repE0EEENS1_30default_config_static_selectorELNS0_4arch9wavefront6targetE1EEEvSY_
; %bb.0:
	.section	.rodata,"a",@progbits
	.p2align	6, 0x0
	.amdhsa_kernel _ZN7rocprim17ROCPRIM_400000_NS6detail17trampoline_kernelINS0_14default_configENS1_27upper_bound_config_selectorIdlEEZNS1_14transform_implILb0ES3_S5_N6thrust23THRUST_200600_302600_NS6detail15normal_iteratorINS8_7pointerIdNS8_11hip_rocprim5par_tENS8_11use_defaultESE_EEEENSA_INSB_IlSD_SE_SE_EEEEZNS1_13binary_searchIS3_S5_NSA_INS8_10device_ptrIdEEEESG_SI_NS1_21upper_bound_search_opENS9_16wrapped_functionINS8_6system6detail7generic6detail18binary_search_lessEbEEEE10hipError_tPvRmT1_T2_T3_mmT4_T5_P12ihipStream_tbEUlRKdE_EESV_SZ_S10_mS11_S14_bEUlT_E_NS1_11comp_targetILNS1_3genE0ELNS1_11target_archE4294967295ELNS1_3gpuE0ELNS1_3repE0EEENS1_30default_config_static_selectorELNS0_4arch9wavefront6targetE1EEEvSY_
		.amdhsa_group_segment_fixed_size 0
		.amdhsa_private_segment_fixed_size 0
		.amdhsa_kernarg_size 56
		.amdhsa_user_sgpr_count 6
		.amdhsa_user_sgpr_private_segment_buffer 1
		.amdhsa_user_sgpr_dispatch_ptr 0
		.amdhsa_user_sgpr_queue_ptr 0
		.amdhsa_user_sgpr_kernarg_segment_ptr 1
		.amdhsa_user_sgpr_dispatch_id 0
		.amdhsa_user_sgpr_flat_scratch_init 0
		.amdhsa_user_sgpr_private_segment_size 0
		.amdhsa_uses_dynamic_stack 0
		.amdhsa_system_sgpr_private_segment_wavefront_offset 0
		.amdhsa_system_sgpr_workgroup_id_x 1
		.amdhsa_system_sgpr_workgroup_id_y 0
		.amdhsa_system_sgpr_workgroup_id_z 0
		.amdhsa_system_sgpr_workgroup_info 0
		.amdhsa_system_vgpr_workitem_id 0
		.amdhsa_next_free_vgpr 1
		.amdhsa_next_free_sgpr 0
		.amdhsa_reserve_vcc 0
		.amdhsa_reserve_flat_scratch 0
		.amdhsa_float_round_mode_32 0
		.amdhsa_float_round_mode_16_64 0
		.amdhsa_float_denorm_mode_32 3
		.amdhsa_float_denorm_mode_16_64 3
		.amdhsa_dx10_clamp 1
		.amdhsa_ieee_mode 1
		.amdhsa_fp16_overflow 0
		.amdhsa_exception_fp_ieee_invalid_op 0
		.amdhsa_exception_fp_denorm_src 0
		.amdhsa_exception_fp_ieee_div_zero 0
		.amdhsa_exception_fp_ieee_overflow 0
		.amdhsa_exception_fp_ieee_underflow 0
		.amdhsa_exception_fp_ieee_inexact 0
		.amdhsa_exception_int_div_zero 0
	.end_amdhsa_kernel
	.section	.text._ZN7rocprim17ROCPRIM_400000_NS6detail17trampoline_kernelINS0_14default_configENS1_27upper_bound_config_selectorIdlEEZNS1_14transform_implILb0ES3_S5_N6thrust23THRUST_200600_302600_NS6detail15normal_iteratorINS8_7pointerIdNS8_11hip_rocprim5par_tENS8_11use_defaultESE_EEEENSA_INSB_IlSD_SE_SE_EEEEZNS1_13binary_searchIS3_S5_NSA_INS8_10device_ptrIdEEEESG_SI_NS1_21upper_bound_search_opENS9_16wrapped_functionINS8_6system6detail7generic6detail18binary_search_lessEbEEEE10hipError_tPvRmT1_T2_T3_mmT4_T5_P12ihipStream_tbEUlRKdE_EESV_SZ_S10_mS11_S14_bEUlT_E_NS1_11comp_targetILNS1_3genE0ELNS1_11target_archE4294967295ELNS1_3gpuE0ELNS1_3repE0EEENS1_30default_config_static_selectorELNS0_4arch9wavefront6targetE1EEEvSY_,"axG",@progbits,_ZN7rocprim17ROCPRIM_400000_NS6detail17trampoline_kernelINS0_14default_configENS1_27upper_bound_config_selectorIdlEEZNS1_14transform_implILb0ES3_S5_N6thrust23THRUST_200600_302600_NS6detail15normal_iteratorINS8_7pointerIdNS8_11hip_rocprim5par_tENS8_11use_defaultESE_EEEENSA_INSB_IlSD_SE_SE_EEEEZNS1_13binary_searchIS3_S5_NSA_INS8_10device_ptrIdEEEESG_SI_NS1_21upper_bound_search_opENS9_16wrapped_functionINS8_6system6detail7generic6detail18binary_search_lessEbEEEE10hipError_tPvRmT1_T2_T3_mmT4_T5_P12ihipStream_tbEUlRKdE_EESV_SZ_S10_mS11_S14_bEUlT_E_NS1_11comp_targetILNS1_3genE0ELNS1_11target_archE4294967295ELNS1_3gpuE0ELNS1_3repE0EEENS1_30default_config_static_selectorELNS0_4arch9wavefront6targetE1EEEvSY_,comdat
.Lfunc_end500:
	.size	_ZN7rocprim17ROCPRIM_400000_NS6detail17trampoline_kernelINS0_14default_configENS1_27upper_bound_config_selectorIdlEEZNS1_14transform_implILb0ES3_S5_N6thrust23THRUST_200600_302600_NS6detail15normal_iteratorINS8_7pointerIdNS8_11hip_rocprim5par_tENS8_11use_defaultESE_EEEENSA_INSB_IlSD_SE_SE_EEEEZNS1_13binary_searchIS3_S5_NSA_INS8_10device_ptrIdEEEESG_SI_NS1_21upper_bound_search_opENS9_16wrapped_functionINS8_6system6detail7generic6detail18binary_search_lessEbEEEE10hipError_tPvRmT1_T2_T3_mmT4_T5_P12ihipStream_tbEUlRKdE_EESV_SZ_S10_mS11_S14_bEUlT_E_NS1_11comp_targetILNS1_3genE0ELNS1_11target_archE4294967295ELNS1_3gpuE0ELNS1_3repE0EEENS1_30default_config_static_selectorELNS0_4arch9wavefront6targetE1EEEvSY_, .Lfunc_end500-_ZN7rocprim17ROCPRIM_400000_NS6detail17trampoline_kernelINS0_14default_configENS1_27upper_bound_config_selectorIdlEEZNS1_14transform_implILb0ES3_S5_N6thrust23THRUST_200600_302600_NS6detail15normal_iteratorINS8_7pointerIdNS8_11hip_rocprim5par_tENS8_11use_defaultESE_EEEENSA_INSB_IlSD_SE_SE_EEEEZNS1_13binary_searchIS3_S5_NSA_INS8_10device_ptrIdEEEESG_SI_NS1_21upper_bound_search_opENS9_16wrapped_functionINS8_6system6detail7generic6detail18binary_search_lessEbEEEE10hipError_tPvRmT1_T2_T3_mmT4_T5_P12ihipStream_tbEUlRKdE_EESV_SZ_S10_mS11_S14_bEUlT_E_NS1_11comp_targetILNS1_3genE0ELNS1_11target_archE4294967295ELNS1_3gpuE0ELNS1_3repE0EEENS1_30default_config_static_selectorELNS0_4arch9wavefront6targetE1EEEvSY_
                                        ; -- End function
	.set _ZN7rocprim17ROCPRIM_400000_NS6detail17trampoline_kernelINS0_14default_configENS1_27upper_bound_config_selectorIdlEEZNS1_14transform_implILb0ES3_S5_N6thrust23THRUST_200600_302600_NS6detail15normal_iteratorINS8_7pointerIdNS8_11hip_rocprim5par_tENS8_11use_defaultESE_EEEENSA_INSB_IlSD_SE_SE_EEEEZNS1_13binary_searchIS3_S5_NSA_INS8_10device_ptrIdEEEESG_SI_NS1_21upper_bound_search_opENS9_16wrapped_functionINS8_6system6detail7generic6detail18binary_search_lessEbEEEE10hipError_tPvRmT1_T2_T3_mmT4_T5_P12ihipStream_tbEUlRKdE_EESV_SZ_S10_mS11_S14_bEUlT_E_NS1_11comp_targetILNS1_3genE0ELNS1_11target_archE4294967295ELNS1_3gpuE0ELNS1_3repE0EEENS1_30default_config_static_selectorELNS0_4arch9wavefront6targetE1EEEvSY_.num_vgpr, 0
	.set _ZN7rocprim17ROCPRIM_400000_NS6detail17trampoline_kernelINS0_14default_configENS1_27upper_bound_config_selectorIdlEEZNS1_14transform_implILb0ES3_S5_N6thrust23THRUST_200600_302600_NS6detail15normal_iteratorINS8_7pointerIdNS8_11hip_rocprim5par_tENS8_11use_defaultESE_EEEENSA_INSB_IlSD_SE_SE_EEEEZNS1_13binary_searchIS3_S5_NSA_INS8_10device_ptrIdEEEESG_SI_NS1_21upper_bound_search_opENS9_16wrapped_functionINS8_6system6detail7generic6detail18binary_search_lessEbEEEE10hipError_tPvRmT1_T2_T3_mmT4_T5_P12ihipStream_tbEUlRKdE_EESV_SZ_S10_mS11_S14_bEUlT_E_NS1_11comp_targetILNS1_3genE0ELNS1_11target_archE4294967295ELNS1_3gpuE0ELNS1_3repE0EEENS1_30default_config_static_selectorELNS0_4arch9wavefront6targetE1EEEvSY_.num_agpr, 0
	.set _ZN7rocprim17ROCPRIM_400000_NS6detail17trampoline_kernelINS0_14default_configENS1_27upper_bound_config_selectorIdlEEZNS1_14transform_implILb0ES3_S5_N6thrust23THRUST_200600_302600_NS6detail15normal_iteratorINS8_7pointerIdNS8_11hip_rocprim5par_tENS8_11use_defaultESE_EEEENSA_INSB_IlSD_SE_SE_EEEEZNS1_13binary_searchIS3_S5_NSA_INS8_10device_ptrIdEEEESG_SI_NS1_21upper_bound_search_opENS9_16wrapped_functionINS8_6system6detail7generic6detail18binary_search_lessEbEEEE10hipError_tPvRmT1_T2_T3_mmT4_T5_P12ihipStream_tbEUlRKdE_EESV_SZ_S10_mS11_S14_bEUlT_E_NS1_11comp_targetILNS1_3genE0ELNS1_11target_archE4294967295ELNS1_3gpuE0ELNS1_3repE0EEENS1_30default_config_static_selectorELNS0_4arch9wavefront6targetE1EEEvSY_.numbered_sgpr, 0
	.set _ZN7rocprim17ROCPRIM_400000_NS6detail17trampoline_kernelINS0_14default_configENS1_27upper_bound_config_selectorIdlEEZNS1_14transform_implILb0ES3_S5_N6thrust23THRUST_200600_302600_NS6detail15normal_iteratorINS8_7pointerIdNS8_11hip_rocprim5par_tENS8_11use_defaultESE_EEEENSA_INSB_IlSD_SE_SE_EEEEZNS1_13binary_searchIS3_S5_NSA_INS8_10device_ptrIdEEEESG_SI_NS1_21upper_bound_search_opENS9_16wrapped_functionINS8_6system6detail7generic6detail18binary_search_lessEbEEEE10hipError_tPvRmT1_T2_T3_mmT4_T5_P12ihipStream_tbEUlRKdE_EESV_SZ_S10_mS11_S14_bEUlT_E_NS1_11comp_targetILNS1_3genE0ELNS1_11target_archE4294967295ELNS1_3gpuE0ELNS1_3repE0EEENS1_30default_config_static_selectorELNS0_4arch9wavefront6targetE1EEEvSY_.num_named_barrier, 0
	.set _ZN7rocprim17ROCPRIM_400000_NS6detail17trampoline_kernelINS0_14default_configENS1_27upper_bound_config_selectorIdlEEZNS1_14transform_implILb0ES3_S5_N6thrust23THRUST_200600_302600_NS6detail15normal_iteratorINS8_7pointerIdNS8_11hip_rocprim5par_tENS8_11use_defaultESE_EEEENSA_INSB_IlSD_SE_SE_EEEEZNS1_13binary_searchIS3_S5_NSA_INS8_10device_ptrIdEEEESG_SI_NS1_21upper_bound_search_opENS9_16wrapped_functionINS8_6system6detail7generic6detail18binary_search_lessEbEEEE10hipError_tPvRmT1_T2_T3_mmT4_T5_P12ihipStream_tbEUlRKdE_EESV_SZ_S10_mS11_S14_bEUlT_E_NS1_11comp_targetILNS1_3genE0ELNS1_11target_archE4294967295ELNS1_3gpuE0ELNS1_3repE0EEENS1_30default_config_static_selectorELNS0_4arch9wavefront6targetE1EEEvSY_.private_seg_size, 0
	.set _ZN7rocprim17ROCPRIM_400000_NS6detail17trampoline_kernelINS0_14default_configENS1_27upper_bound_config_selectorIdlEEZNS1_14transform_implILb0ES3_S5_N6thrust23THRUST_200600_302600_NS6detail15normal_iteratorINS8_7pointerIdNS8_11hip_rocprim5par_tENS8_11use_defaultESE_EEEENSA_INSB_IlSD_SE_SE_EEEEZNS1_13binary_searchIS3_S5_NSA_INS8_10device_ptrIdEEEESG_SI_NS1_21upper_bound_search_opENS9_16wrapped_functionINS8_6system6detail7generic6detail18binary_search_lessEbEEEE10hipError_tPvRmT1_T2_T3_mmT4_T5_P12ihipStream_tbEUlRKdE_EESV_SZ_S10_mS11_S14_bEUlT_E_NS1_11comp_targetILNS1_3genE0ELNS1_11target_archE4294967295ELNS1_3gpuE0ELNS1_3repE0EEENS1_30default_config_static_selectorELNS0_4arch9wavefront6targetE1EEEvSY_.uses_vcc, 0
	.set _ZN7rocprim17ROCPRIM_400000_NS6detail17trampoline_kernelINS0_14default_configENS1_27upper_bound_config_selectorIdlEEZNS1_14transform_implILb0ES3_S5_N6thrust23THRUST_200600_302600_NS6detail15normal_iteratorINS8_7pointerIdNS8_11hip_rocprim5par_tENS8_11use_defaultESE_EEEENSA_INSB_IlSD_SE_SE_EEEEZNS1_13binary_searchIS3_S5_NSA_INS8_10device_ptrIdEEEESG_SI_NS1_21upper_bound_search_opENS9_16wrapped_functionINS8_6system6detail7generic6detail18binary_search_lessEbEEEE10hipError_tPvRmT1_T2_T3_mmT4_T5_P12ihipStream_tbEUlRKdE_EESV_SZ_S10_mS11_S14_bEUlT_E_NS1_11comp_targetILNS1_3genE0ELNS1_11target_archE4294967295ELNS1_3gpuE0ELNS1_3repE0EEENS1_30default_config_static_selectorELNS0_4arch9wavefront6targetE1EEEvSY_.uses_flat_scratch, 0
	.set _ZN7rocprim17ROCPRIM_400000_NS6detail17trampoline_kernelINS0_14default_configENS1_27upper_bound_config_selectorIdlEEZNS1_14transform_implILb0ES3_S5_N6thrust23THRUST_200600_302600_NS6detail15normal_iteratorINS8_7pointerIdNS8_11hip_rocprim5par_tENS8_11use_defaultESE_EEEENSA_INSB_IlSD_SE_SE_EEEEZNS1_13binary_searchIS3_S5_NSA_INS8_10device_ptrIdEEEESG_SI_NS1_21upper_bound_search_opENS9_16wrapped_functionINS8_6system6detail7generic6detail18binary_search_lessEbEEEE10hipError_tPvRmT1_T2_T3_mmT4_T5_P12ihipStream_tbEUlRKdE_EESV_SZ_S10_mS11_S14_bEUlT_E_NS1_11comp_targetILNS1_3genE0ELNS1_11target_archE4294967295ELNS1_3gpuE0ELNS1_3repE0EEENS1_30default_config_static_selectorELNS0_4arch9wavefront6targetE1EEEvSY_.has_dyn_sized_stack, 0
	.set _ZN7rocprim17ROCPRIM_400000_NS6detail17trampoline_kernelINS0_14default_configENS1_27upper_bound_config_selectorIdlEEZNS1_14transform_implILb0ES3_S5_N6thrust23THRUST_200600_302600_NS6detail15normal_iteratorINS8_7pointerIdNS8_11hip_rocprim5par_tENS8_11use_defaultESE_EEEENSA_INSB_IlSD_SE_SE_EEEEZNS1_13binary_searchIS3_S5_NSA_INS8_10device_ptrIdEEEESG_SI_NS1_21upper_bound_search_opENS9_16wrapped_functionINS8_6system6detail7generic6detail18binary_search_lessEbEEEE10hipError_tPvRmT1_T2_T3_mmT4_T5_P12ihipStream_tbEUlRKdE_EESV_SZ_S10_mS11_S14_bEUlT_E_NS1_11comp_targetILNS1_3genE0ELNS1_11target_archE4294967295ELNS1_3gpuE0ELNS1_3repE0EEENS1_30default_config_static_selectorELNS0_4arch9wavefront6targetE1EEEvSY_.has_recursion, 0
	.set _ZN7rocprim17ROCPRIM_400000_NS6detail17trampoline_kernelINS0_14default_configENS1_27upper_bound_config_selectorIdlEEZNS1_14transform_implILb0ES3_S5_N6thrust23THRUST_200600_302600_NS6detail15normal_iteratorINS8_7pointerIdNS8_11hip_rocprim5par_tENS8_11use_defaultESE_EEEENSA_INSB_IlSD_SE_SE_EEEEZNS1_13binary_searchIS3_S5_NSA_INS8_10device_ptrIdEEEESG_SI_NS1_21upper_bound_search_opENS9_16wrapped_functionINS8_6system6detail7generic6detail18binary_search_lessEbEEEE10hipError_tPvRmT1_T2_T3_mmT4_T5_P12ihipStream_tbEUlRKdE_EESV_SZ_S10_mS11_S14_bEUlT_E_NS1_11comp_targetILNS1_3genE0ELNS1_11target_archE4294967295ELNS1_3gpuE0ELNS1_3repE0EEENS1_30default_config_static_selectorELNS0_4arch9wavefront6targetE1EEEvSY_.has_indirect_call, 0
	.section	.AMDGPU.csdata,"",@progbits
; Kernel info:
; codeLenInByte = 0
; TotalNumSgprs: 4
; NumVgprs: 0
; ScratchSize: 0
; MemoryBound: 0
; FloatMode: 240
; IeeeMode: 1
; LDSByteSize: 0 bytes/workgroup (compile time only)
; SGPRBlocks: 0
; VGPRBlocks: 0
; NumSGPRsForWavesPerEU: 4
; NumVGPRsForWavesPerEU: 1
; Occupancy: 10
; WaveLimiterHint : 0
; COMPUTE_PGM_RSRC2:SCRATCH_EN: 0
; COMPUTE_PGM_RSRC2:USER_SGPR: 6
; COMPUTE_PGM_RSRC2:TRAP_HANDLER: 0
; COMPUTE_PGM_RSRC2:TGID_X_EN: 1
; COMPUTE_PGM_RSRC2:TGID_Y_EN: 0
; COMPUTE_PGM_RSRC2:TGID_Z_EN: 0
; COMPUTE_PGM_RSRC2:TIDIG_COMP_CNT: 0
	.section	.text._ZN7rocprim17ROCPRIM_400000_NS6detail17trampoline_kernelINS0_14default_configENS1_27upper_bound_config_selectorIdlEEZNS1_14transform_implILb0ES3_S5_N6thrust23THRUST_200600_302600_NS6detail15normal_iteratorINS8_7pointerIdNS8_11hip_rocprim5par_tENS8_11use_defaultESE_EEEENSA_INSB_IlSD_SE_SE_EEEEZNS1_13binary_searchIS3_S5_NSA_INS8_10device_ptrIdEEEESG_SI_NS1_21upper_bound_search_opENS9_16wrapped_functionINS8_6system6detail7generic6detail18binary_search_lessEbEEEE10hipError_tPvRmT1_T2_T3_mmT4_T5_P12ihipStream_tbEUlRKdE_EESV_SZ_S10_mS11_S14_bEUlT_E_NS1_11comp_targetILNS1_3genE5ELNS1_11target_archE942ELNS1_3gpuE9ELNS1_3repE0EEENS1_30default_config_static_selectorELNS0_4arch9wavefront6targetE1EEEvSY_,"axG",@progbits,_ZN7rocprim17ROCPRIM_400000_NS6detail17trampoline_kernelINS0_14default_configENS1_27upper_bound_config_selectorIdlEEZNS1_14transform_implILb0ES3_S5_N6thrust23THRUST_200600_302600_NS6detail15normal_iteratorINS8_7pointerIdNS8_11hip_rocprim5par_tENS8_11use_defaultESE_EEEENSA_INSB_IlSD_SE_SE_EEEEZNS1_13binary_searchIS3_S5_NSA_INS8_10device_ptrIdEEEESG_SI_NS1_21upper_bound_search_opENS9_16wrapped_functionINS8_6system6detail7generic6detail18binary_search_lessEbEEEE10hipError_tPvRmT1_T2_T3_mmT4_T5_P12ihipStream_tbEUlRKdE_EESV_SZ_S10_mS11_S14_bEUlT_E_NS1_11comp_targetILNS1_3genE5ELNS1_11target_archE942ELNS1_3gpuE9ELNS1_3repE0EEENS1_30default_config_static_selectorELNS0_4arch9wavefront6targetE1EEEvSY_,comdat
	.protected	_ZN7rocprim17ROCPRIM_400000_NS6detail17trampoline_kernelINS0_14default_configENS1_27upper_bound_config_selectorIdlEEZNS1_14transform_implILb0ES3_S5_N6thrust23THRUST_200600_302600_NS6detail15normal_iteratorINS8_7pointerIdNS8_11hip_rocprim5par_tENS8_11use_defaultESE_EEEENSA_INSB_IlSD_SE_SE_EEEEZNS1_13binary_searchIS3_S5_NSA_INS8_10device_ptrIdEEEESG_SI_NS1_21upper_bound_search_opENS9_16wrapped_functionINS8_6system6detail7generic6detail18binary_search_lessEbEEEE10hipError_tPvRmT1_T2_T3_mmT4_T5_P12ihipStream_tbEUlRKdE_EESV_SZ_S10_mS11_S14_bEUlT_E_NS1_11comp_targetILNS1_3genE5ELNS1_11target_archE942ELNS1_3gpuE9ELNS1_3repE0EEENS1_30default_config_static_selectorELNS0_4arch9wavefront6targetE1EEEvSY_ ; -- Begin function _ZN7rocprim17ROCPRIM_400000_NS6detail17trampoline_kernelINS0_14default_configENS1_27upper_bound_config_selectorIdlEEZNS1_14transform_implILb0ES3_S5_N6thrust23THRUST_200600_302600_NS6detail15normal_iteratorINS8_7pointerIdNS8_11hip_rocprim5par_tENS8_11use_defaultESE_EEEENSA_INSB_IlSD_SE_SE_EEEEZNS1_13binary_searchIS3_S5_NSA_INS8_10device_ptrIdEEEESG_SI_NS1_21upper_bound_search_opENS9_16wrapped_functionINS8_6system6detail7generic6detail18binary_search_lessEbEEEE10hipError_tPvRmT1_T2_T3_mmT4_T5_P12ihipStream_tbEUlRKdE_EESV_SZ_S10_mS11_S14_bEUlT_E_NS1_11comp_targetILNS1_3genE5ELNS1_11target_archE942ELNS1_3gpuE9ELNS1_3repE0EEENS1_30default_config_static_selectorELNS0_4arch9wavefront6targetE1EEEvSY_
	.globl	_ZN7rocprim17ROCPRIM_400000_NS6detail17trampoline_kernelINS0_14default_configENS1_27upper_bound_config_selectorIdlEEZNS1_14transform_implILb0ES3_S5_N6thrust23THRUST_200600_302600_NS6detail15normal_iteratorINS8_7pointerIdNS8_11hip_rocprim5par_tENS8_11use_defaultESE_EEEENSA_INSB_IlSD_SE_SE_EEEEZNS1_13binary_searchIS3_S5_NSA_INS8_10device_ptrIdEEEESG_SI_NS1_21upper_bound_search_opENS9_16wrapped_functionINS8_6system6detail7generic6detail18binary_search_lessEbEEEE10hipError_tPvRmT1_T2_T3_mmT4_T5_P12ihipStream_tbEUlRKdE_EESV_SZ_S10_mS11_S14_bEUlT_E_NS1_11comp_targetILNS1_3genE5ELNS1_11target_archE942ELNS1_3gpuE9ELNS1_3repE0EEENS1_30default_config_static_selectorELNS0_4arch9wavefront6targetE1EEEvSY_
	.p2align	8
	.type	_ZN7rocprim17ROCPRIM_400000_NS6detail17trampoline_kernelINS0_14default_configENS1_27upper_bound_config_selectorIdlEEZNS1_14transform_implILb0ES3_S5_N6thrust23THRUST_200600_302600_NS6detail15normal_iteratorINS8_7pointerIdNS8_11hip_rocprim5par_tENS8_11use_defaultESE_EEEENSA_INSB_IlSD_SE_SE_EEEEZNS1_13binary_searchIS3_S5_NSA_INS8_10device_ptrIdEEEESG_SI_NS1_21upper_bound_search_opENS9_16wrapped_functionINS8_6system6detail7generic6detail18binary_search_lessEbEEEE10hipError_tPvRmT1_T2_T3_mmT4_T5_P12ihipStream_tbEUlRKdE_EESV_SZ_S10_mS11_S14_bEUlT_E_NS1_11comp_targetILNS1_3genE5ELNS1_11target_archE942ELNS1_3gpuE9ELNS1_3repE0EEENS1_30default_config_static_selectorELNS0_4arch9wavefront6targetE1EEEvSY_,@function
_ZN7rocprim17ROCPRIM_400000_NS6detail17trampoline_kernelINS0_14default_configENS1_27upper_bound_config_selectorIdlEEZNS1_14transform_implILb0ES3_S5_N6thrust23THRUST_200600_302600_NS6detail15normal_iteratorINS8_7pointerIdNS8_11hip_rocprim5par_tENS8_11use_defaultESE_EEEENSA_INSB_IlSD_SE_SE_EEEEZNS1_13binary_searchIS3_S5_NSA_INS8_10device_ptrIdEEEESG_SI_NS1_21upper_bound_search_opENS9_16wrapped_functionINS8_6system6detail7generic6detail18binary_search_lessEbEEEE10hipError_tPvRmT1_T2_T3_mmT4_T5_P12ihipStream_tbEUlRKdE_EESV_SZ_S10_mS11_S14_bEUlT_E_NS1_11comp_targetILNS1_3genE5ELNS1_11target_archE942ELNS1_3gpuE9ELNS1_3repE0EEENS1_30default_config_static_selectorELNS0_4arch9wavefront6targetE1EEEvSY_: ; @_ZN7rocprim17ROCPRIM_400000_NS6detail17trampoline_kernelINS0_14default_configENS1_27upper_bound_config_selectorIdlEEZNS1_14transform_implILb0ES3_S5_N6thrust23THRUST_200600_302600_NS6detail15normal_iteratorINS8_7pointerIdNS8_11hip_rocprim5par_tENS8_11use_defaultESE_EEEENSA_INSB_IlSD_SE_SE_EEEEZNS1_13binary_searchIS3_S5_NSA_INS8_10device_ptrIdEEEESG_SI_NS1_21upper_bound_search_opENS9_16wrapped_functionINS8_6system6detail7generic6detail18binary_search_lessEbEEEE10hipError_tPvRmT1_T2_T3_mmT4_T5_P12ihipStream_tbEUlRKdE_EESV_SZ_S10_mS11_S14_bEUlT_E_NS1_11comp_targetILNS1_3genE5ELNS1_11target_archE942ELNS1_3gpuE9ELNS1_3repE0EEENS1_30default_config_static_selectorELNS0_4arch9wavefront6targetE1EEEvSY_
; %bb.0:
	.section	.rodata,"a",@progbits
	.p2align	6, 0x0
	.amdhsa_kernel _ZN7rocprim17ROCPRIM_400000_NS6detail17trampoline_kernelINS0_14default_configENS1_27upper_bound_config_selectorIdlEEZNS1_14transform_implILb0ES3_S5_N6thrust23THRUST_200600_302600_NS6detail15normal_iteratorINS8_7pointerIdNS8_11hip_rocprim5par_tENS8_11use_defaultESE_EEEENSA_INSB_IlSD_SE_SE_EEEEZNS1_13binary_searchIS3_S5_NSA_INS8_10device_ptrIdEEEESG_SI_NS1_21upper_bound_search_opENS9_16wrapped_functionINS8_6system6detail7generic6detail18binary_search_lessEbEEEE10hipError_tPvRmT1_T2_T3_mmT4_T5_P12ihipStream_tbEUlRKdE_EESV_SZ_S10_mS11_S14_bEUlT_E_NS1_11comp_targetILNS1_3genE5ELNS1_11target_archE942ELNS1_3gpuE9ELNS1_3repE0EEENS1_30default_config_static_selectorELNS0_4arch9wavefront6targetE1EEEvSY_
		.amdhsa_group_segment_fixed_size 0
		.amdhsa_private_segment_fixed_size 0
		.amdhsa_kernarg_size 56
		.amdhsa_user_sgpr_count 6
		.amdhsa_user_sgpr_private_segment_buffer 1
		.amdhsa_user_sgpr_dispatch_ptr 0
		.amdhsa_user_sgpr_queue_ptr 0
		.amdhsa_user_sgpr_kernarg_segment_ptr 1
		.amdhsa_user_sgpr_dispatch_id 0
		.amdhsa_user_sgpr_flat_scratch_init 0
		.amdhsa_user_sgpr_private_segment_size 0
		.amdhsa_uses_dynamic_stack 0
		.amdhsa_system_sgpr_private_segment_wavefront_offset 0
		.amdhsa_system_sgpr_workgroup_id_x 1
		.amdhsa_system_sgpr_workgroup_id_y 0
		.amdhsa_system_sgpr_workgroup_id_z 0
		.amdhsa_system_sgpr_workgroup_info 0
		.amdhsa_system_vgpr_workitem_id 0
		.amdhsa_next_free_vgpr 1
		.amdhsa_next_free_sgpr 0
		.amdhsa_reserve_vcc 0
		.amdhsa_reserve_flat_scratch 0
		.amdhsa_float_round_mode_32 0
		.amdhsa_float_round_mode_16_64 0
		.amdhsa_float_denorm_mode_32 3
		.amdhsa_float_denorm_mode_16_64 3
		.amdhsa_dx10_clamp 1
		.amdhsa_ieee_mode 1
		.amdhsa_fp16_overflow 0
		.amdhsa_exception_fp_ieee_invalid_op 0
		.amdhsa_exception_fp_denorm_src 0
		.amdhsa_exception_fp_ieee_div_zero 0
		.amdhsa_exception_fp_ieee_overflow 0
		.amdhsa_exception_fp_ieee_underflow 0
		.amdhsa_exception_fp_ieee_inexact 0
		.amdhsa_exception_int_div_zero 0
	.end_amdhsa_kernel
	.section	.text._ZN7rocprim17ROCPRIM_400000_NS6detail17trampoline_kernelINS0_14default_configENS1_27upper_bound_config_selectorIdlEEZNS1_14transform_implILb0ES3_S5_N6thrust23THRUST_200600_302600_NS6detail15normal_iteratorINS8_7pointerIdNS8_11hip_rocprim5par_tENS8_11use_defaultESE_EEEENSA_INSB_IlSD_SE_SE_EEEEZNS1_13binary_searchIS3_S5_NSA_INS8_10device_ptrIdEEEESG_SI_NS1_21upper_bound_search_opENS9_16wrapped_functionINS8_6system6detail7generic6detail18binary_search_lessEbEEEE10hipError_tPvRmT1_T2_T3_mmT4_T5_P12ihipStream_tbEUlRKdE_EESV_SZ_S10_mS11_S14_bEUlT_E_NS1_11comp_targetILNS1_3genE5ELNS1_11target_archE942ELNS1_3gpuE9ELNS1_3repE0EEENS1_30default_config_static_selectorELNS0_4arch9wavefront6targetE1EEEvSY_,"axG",@progbits,_ZN7rocprim17ROCPRIM_400000_NS6detail17trampoline_kernelINS0_14default_configENS1_27upper_bound_config_selectorIdlEEZNS1_14transform_implILb0ES3_S5_N6thrust23THRUST_200600_302600_NS6detail15normal_iteratorINS8_7pointerIdNS8_11hip_rocprim5par_tENS8_11use_defaultESE_EEEENSA_INSB_IlSD_SE_SE_EEEEZNS1_13binary_searchIS3_S5_NSA_INS8_10device_ptrIdEEEESG_SI_NS1_21upper_bound_search_opENS9_16wrapped_functionINS8_6system6detail7generic6detail18binary_search_lessEbEEEE10hipError_tPvRmT1_T2_T3_mmT4_T5_P12ihipStream_tbEUlRKdE_EESV_SZ_S10_mS11_S14_bEUlT_E_NS1_11comp_targetILNS1_3genE5ELNS1_11target_archE942ELNS1_3gpuE9ELNS1_3repE0EEENS1_30default_config_static_selectorELNS0_4arch9wavefront6targetE1EEEvSY_,comdat
.Lfunc_end501:
	.size	_ZN7rocprim17ROCPRIM_400000_NS6detail17trampoline_kernelINS0_14default_configENS1_27upper_bound_config_selectorIdlEEZNS1_14transform_implILb0ES3_S5_N6thrust23THRUST_200600_302600_NS6detail15normal_iteratorINS8_7pointerIdNS8_11hip_rocprim5par_tENS8_11use_defaultESE_EEEENSA_INSB_IlSD_SE_SE_EEEEZNS1_13binary_searchIS3_S5_NSA_INS8_10device_ptrIdEEEESG_SI_NS1_21upper_bound_search_opENS9_16wrapped_functionINS8_6system6detail7generic6detail18binary_search_lessEbEEEE10hipError_tPvRmT1_T2_T3_mmT4_T5_P12ihipStream_tbEUlRKdE_EESV_SZ_S10_mS11_S14_bEUlT_E_NS1_11comp_targetILNS1_3genE5ELNS1_11target_archE942ELNS1_3gpuE9ELNS1_3repE0EEENS1_30default_config_static_selectorELNS0_4arch9wavefront6targetE1EEEvSY_, .Lfunc_end501-_ZN7rocprim17ROCPRIM_400000_NS6detail17trampoline_kernelINS0_14default_configENS1_27upper_bound_config_selectorIdlEEZNS1_14transform_implILb0ES3_S5_N6thrust23THRUST_200600_302600_NS6detail15normal_iteratorINS8_7pointerIdNS8_11hip_rocprim5par_tENS8_11use_defaultESE_EEEENSA_INSB_IlSD_SE_SE_EEEEZNS1_13binary_searchIS3_S5_NSA_INS8_10device_ptrIdEEEESG_SI_NS1_21upper_bound_search_opENS9_16wrapped_functionINS8_6system6detail7generic6detail18binary_search_lessEbEEEE10hipError_tPvRmT1_T2_T3_mmT4_T5_P12ihipStream_tbEUlRKdE_EESV_SZ_S10_mS11_S14_bEUlT_E_NS1_11comp_targetILNS1_3genE5ELNS1_11target_archE942ELNS1_3gpuE9ELNS1_3repE0EEENS1_30default_config_static_selectorELNS0_4arch9wavefront6targetE1EEEvSY_
                                        ; -- End function
	.set _ZN7rocprim17ROCPRIM_400000_NS6detail17trampoline_kernelINS0_14default_configENS1_27upper_bound_config_selectorIdlEEZNS1_14transform_implILb0ES3_S5_N6thrust23THRUST_200600_302600_NS6detail15normal_iteratorINS8_7pointerIdNS8_11hip_rocprim5par_tENS8_11use_defaultESE_EEEENSA_INSB_IlSD_SE_SE_EEEEZNS1_13binary_searchIS3_S5_NSA_INS8_10device_ptrIdEEEESG_SI_NS1_21upper_bound_search_opENS9_16wrapped_functionINS8_6system6detail7generic6detail18binary_search_lessEbEEEE10hipError_tPvRmT1_T2_T3_mmT4_T5_P12ihipStream_tbEUlRKdE_EESV_SZ_S10_mS11_S14_bEUlT_E_NS1_11comp_targetILNS1_3genE5ELNS1_11target_archE942ELNS1_3gpuE9ELNS1_3repE0EEENS1_30default_config_static_selectorELNS0_4arch9wavefront6targetE1EEEvSY_.num_vgpr, 0
	.set _ZN7rocprim17ROCPRIM_400000_NS6detail17trampoline_kernelINS0_14default_configENS1_27upper_bound_config_selectorIdlEEZNS1_14transform_implILb0ES3_S5_N6thrust23THRUST_200600_302600_NS6detail15normal_iteratorINS8_7pointerIdNS8_11hip_rocprim5par_tENS8_11use_defaultESE_EEEENSA_INSB_IlSD_SE_SE_EEEEZNS1_13binary_searchIS3_S5_NSA_INS8_10device_ptrIdEEEESG_SI_NS1_21upper_bound_search_opENS9_16wrapped_functionINS8_6system6detail7generic6detail18binary_search_lessEbEEEE10hipError_tPvRmT1_T2_T3_mmT4_T5_P12ihipStream_tbEUlRKdE_EESV_SZ_S10_mS11_S14_bEUlT_E_NS1_11comp_targetILNS1_3genE5ELNS1_11target_archE942ELNS1_3gpuE9ELNS1_3repE0EEENS1_30default_config_static_selectorELNS0_4arch9wavefront6targetE1EEEvSY_.num_agpr, 0
	.set _ZN7rocprim17ROCPRIM_400000_NS6detail17trampoline_kernelINS0_14default_configENS1_27upper_bound_config_selectorIdlEEZNS1_14transform_implILb0ES3_S5_N6thrust23THRUST_200600_302600_NS6detail15normal_iteratorINS8_7pointerIdNS8_11hip_rocprim5par_tENS8_11use_defaultESE_EEEENSA_INSB_IlSD_SE_SE_EEEEZNS1_13binary_searchIS3_S5_NSA_INS8_10device_ptrIdEEEESG_SI_NS1_21upper_bound_search_opENS9_16wrapped_functionINS8_6system6detail7generic6detail18binary_search_lessEbEEEE10hipError_tPvRmT1_T2_T3_mmT4_T5_P12ihipStream_tbEUlRKdE_EESV_SZ_S10_mS11_S14_bEUlT_E_NS1_11comp_targetILNS1_3genE5ELNS1_11target_archE942ELNS1_3gpuE9ELNS1_3repE0EEENS1_30default_config_static_selectorELNS0_4arch9wavefront6targetE1EEEvSY_.numbered_sgpr, 0
	.set _ZN7rocprim17ROCPRIM_400000_NS6detail17trampoline_kernelINS0_14default_configENS1_27upper_bound_config_selectorIdlEEZNS1_14transform_implILb0ES3_S5_N6thrust23THRUST_200600_302600_NS6detail15normal_iteratorINS8_7pointerIdNS8_11hip_rocprim5par_tENS8_11use_defaultESE_EEEENSA_INSB_IlSD_SE_SE_EEEEZNS1_13binary_searchIS3_S5_NSA_INS8_10device_ptrIdEEEESG_SI_NS1_21upper_bound_search_opENS9_16wrapped_functionINS8_6system6detail7generic6detail18binary_search_lessEbEEEE10hipError_tPvRmT1_T2_T3_mmT4_T5_P12ihipStream_tbEUlRKdE_EESV_SZ_S10_mS11_S14_bEUlT_E_NS1_11comp_targetILNS1_3genE5ELNS1_11target_archE942ELNS1_3gpuE9ELNS1_3repE0EEENS1_30default_config_static_selectorELNS0_4arch9wavefront6targetE1EEEvSY_.num_named_barrier, 0
	.set _ZN7rocprim17ROCPRIM_400000_NS6detail17trampoline_kernelINS0_14default_configENS1_27upper_bound_config_selectorIdlEEZNS1_14transform_implILb0ES3_S5_N6thrust23THRUST_200600_302600_NS6detail15normal_iteratorINS8_7pointerIdNS8_11hip_rocprim5par_tENS8_11use_defaultESE_EEEENSA_INSB_IlSD_SE_SE_EEEEZNS1_13binary_searchIS3_S5_NSA_INS8_10device_ptrIdEEEESG_SI_NS1_21upper_bound_search_opENS9_16wrapped_functionINS8_6system6detail7generic6detail18binary_search_lessEbEEEE10hipError_tPvRmT1_T2_T3_mmT4_T5_P12ihipStream_tbEUlRKdE_EESV_SZ_S10_mS11_S14_bEUlT_E_NS1_11comp_targetILNS1_3genE5ELNS1_11target_archE942ELNS1_3gpuE9ELNS1_3repE0EEENS1_30default_config_static_selectorELNS0_4arch9wavefront6targetE1EEEvSY_.private_seg_size, 0
	.set _ZN7rocprim17ROCPRIM_400000_NS6detail17trampoline_kernelINS0_14default_configENS1_27upper_bound_config_selectorIdlEEZNS1_14transform_implILb0ES3_S5_N6thrust23THRUST_200600_302600_NS6detail15normal_iteratorINS8_7pointerIdNS8_11hip_rocprim5par_tENS8_11use_defaultESE_EEEENSA_INSB_IlSD_SE_SE_EEEEZNS1_13binary_searchIS3_S5_NSA_INS8_10device_ptrIdEEEESG_SI_NS1_21upper_bound_search_opENS9_16wrapped_functionINS8_6system6detail7generic6detail18binary_search_lessEbEEEE10hipError_tPvRmT1_T2_T3_mmT4_T5_P12ihipStream_tbEUlRKdE_EESV_SZ_S10_mS11_S14_bEUlT_E_NS1_11comp_targetILNS1_3genE5ELNS1_11target_archE942ELNS1_3gpuE9ELNS1_3repE0EEENS1_30default_config_static_selectorELNS0_4arch9wavefront6targetE1EEEvSY_.uses_vcc, 0
	.set _ZN7rocprim17ROCPRIM_400000_NS6detail17trampoline_kernelINS0_14default_configENS1_27upper_bound_config_selectorIdlEEZNS1_14transform_implILb0ES3_S5_N6thrust23THRUST_200600_302600_NS6detail15normal_iteratorINS8_7pointerIdNS8_11hip_rocprim5par_tENS8_11use_defaultESE_EEEENSA_INSB_IlSD_SE_SE_EEEEZNS1_13binary_searchIS3_S5_NSA_INS8_10device_ptrIdEEEESG_SI_NS1_21upper_bound_search_opENS9_16wrapped_functionINS8_6system6detail7generic6detail18binary_search_lessEbEEEE10hipError_tPvRmT1_T2_T3_mmT4_T5_P12ihipStream_tbEUlRKdE_EESV_SZ_S10_mS11_S14_bEUlT_E_NS1_11comp_targetILNS1_3genE5ELNS1_11target_archE942ELNS1_3gpuE9ELNS1_3repE0EEENS1_30default_config_static_selectorELNS0_4arch9wavefront6targetE1EEEvSY_.uses_flat_scratch, 0
	.set _ZN7rocprim17ROCPRIM_400000_NS6detail17trampoline_kernelINS0_14default_configENS1_27upper_bound_config_selectorIdlEEZNS1_14transform_implILb0ES3_S5_N6thrust23THRUST_200600_302600_NS6detail15normal_iteratorINS8_7pointerIdNS8_11hip_rocprim5par_tENS8_11use_defaultESE_EEEENSA_INSB_IlSD_SE_SE_EEEEZNS1_13binary_searchIS3_S5_NSA_INS8_10device_ptrIdEEEESG_SI_NS1_21upper_bound_search_opENS9_16wrapped_functionINS8_6system6detail7generic6detail18binary_search_lessEbEEEE10hipError_tPvRmT1_T2_T3_mmT4_T5_P12ihipStream_tbEUlRKdE_EESV_SZ_S10_mS11_S14_bEUlT_E_NS1_11comp_targetILNS1_3genE5ELNS1_11target_archE942ELNS1_3gpuE9ELNS1_3repE0EEENS1_30default_config_static_selectorELNS0_4arch9wavefront6targetE1EEEvSY_.has_dyn_sized_stack, 0
	.set _ZN7rocprim17ROCPRIM_400000_NS6detail17trampoline_kernelINS0_14default_configENS1_27upper_bound_config_selectorIdlEEZNS1_14transform_implILb0ES3_S5_N6thrust23THRUST_200600_302600_NS6detail15normal_iteratorINS8_7pointerIdNS8_11hip_rocprim5par_tENS8_11use_defaultESE_EEEENSA_INSB_IlSD_SE_SE_EEEEZNS1_13binary_searchIS3_S5_NSA_INS8_10device_ptrIdEEEESG_SI_NS1_21upper_bound_search_opENS9_16wrapped_functionINS8_6system6detail7generic6detail18binary_search_lessEbEEEE10hipError_tPvRmT1_T2_T3_mmT4_T5_P12ihipStream_tbEUlRKdE_EESV_SZ_S10_mS11_S14_bEUlT_E_NS1_11comp_targetILNS1_3genE5ELNS1_11target_archE942ELNS1_3gpuE9ELNS1_3repE0EEENS1_30default_config_static_selectorELNS0_4arch9wavefront6targetE1EEEvSY_.has_recursion, 0
	.set _ZN7rocprim17ROCPRIM_400000_NS6detail17trampoline_kernelINS0_14default_configENS1_27upper_bound_config_selectorIdlEEZNS1_14transform_implILb0ES3_S5_N6thrust23THRUST_200600_302600_NS6detail15normal_iteratorINS8_7pointerIdNS8_11hip_rocprim5par_tENS8_11use_defaultESE_EEEENSA_INSB_IlSD_SE_SE_EEEEZNS1_13binary_searchIS3_S5_NSA_INS8_10device_ptrIdEEEESG_SI_NS1_21upper_bound_search_opENS9_16wrapped_functionINS8_6system6detail7generic6detail18binary_search_lessEbEEEE10hipError_tPvRmT1_T2_T3_mmT4_T5_P12ihipStream_tbEUlRKdE_EESV_SZ_S10_mS11_S14_bEUlT_E_NS1_11comp_targetILNS1_3genE5ELNS1_11target_archE942ELNS1_3gpuE9ELNS1_3repE0EEENS1_30default_config_static_selectorELNS0_4arch9wavefront6targetE1EEEvSY_.has_indirect_call, 0
	.section	.AMDGPU.csdata,"",@progbits
; Kernel info:
; codeLenInByte = 0
; TotalNumSgprs: 4
; NumVgprs: 0
; ScratchSize: 0
; MemoryBound: 0
; FloatMode: 240
; IeeeMode: 1
; LDSByteSize: 0 bytes/workgroup (compile time only)
; SGPRBlocks: 0
; VGPRBlocks: 0
; NumSGPRsForWavesPerEU: 4
; NumVGPRsForWavesPerEU: 1
; Occupancy: 10
; WaveLimiterHint : 0
; COMPUTE_PGM_RSRC2:SCRATCH_EN: 0
; COMPUTE_PGM_RSRC2:USER_SGPR: 6
; COMPUTE_PGM_RSRC2:TRAP_HANDLER: 0
; COMPUTE_PGM_RSRC2:TGID_X_EN: 1
; COMPUTE_PGM_RSRC2:TGID_Y_EN: 0
; COMPUTE_PGM_RSRC2:TGID_Z_EN: 0
; COMPUTE_PGM_RSRC2:TIDIG_COMP_CNT: 0
	.section	.text._ZN7rocprim17ROCPRIM_400000_NS6detail17trampoline_kernelINS0_14default_configENS1_27upper_bound_config_selectorIdlEEZNS1_14transform_implILb0ES3_S5_N6thrust23THRUST_200600_302600_NS6detail15normal_iteratorINS8_7pointerIdNS8_11hip_rocprim5par_tENS8_11use_defaultESE_EEEENSA_INSB_IlSD_SE_SE_EEEEZNS1_13binary_searchIS3_S5_NSA_INS8_10device_ptrIdEEEESG_SI_NS1_21upper_bound_search_opENS9_16wrapped_functionINS8_6system6detail7generic6detail18binary_search_lessEbEEEE10hipError_tPvRmT1_T2_T3_mmT4_T5_P12ihipStream_tbEUlRKdE_EESV_SZ_S10_mS11_S14_bEUlT_E_NS1_11comp_targetILNS1_3genE4ELNS1_11target_archE910ELNS1_3gpuE8ELNS1_3repE0EEENS1_30default_config_static_selectorELNS0_4arch9wavefront6targetE1EEEvSY_,"axG",@progbits,_ZN7rocprim17ROCPRIM_400000_NS6detail17trampoline_kernelINS0_14default_configENS1_27upper_bound_config_selectorIdlEEZNS1_14transform_implILb0ES3_S5_N6thrust23THRUST_200600_302600_NS6detail15normal_iteratorINS8_7pointerIdNS8_11hip_rocprim5par_tENS8_11use_defaultESE_EEEENSA_INSB_IlSD_SE_SE_EEEEZNS1_13binary_searchIS3_S5_NSA_INS8_10device_ptrIdEEEESG_SI_NS1_21upper_bound_search_opENS9_16wrapped_functionINS8_6system6detail7generic6detail18binary_search_lessEbEEEE10hipError_tPvRmT1_T2_T3_mmT4_T5_P12ihipStream_tbEUlRKdE_EESV_SZ_S10_mS11_S14_bEUlT_E_NS1_11comp_targetILNS1_3genE4ELNS1_11target_archE910ELNS1_3gpuE8ELNS1_3repE0EEENS1_30default_config_static_selectorELNS0_4arch9wavefront6targetE1EEEvSY_,comdat
	.protected	_ZN7rocprim17ROCPRIM_400000_NS6detail17trampoline_kernelINS0_14default_configENS1_27upper_bound_config_selectorIdlEEZNS1_14transform_implILb0ES3_S5_N6thrust23THRUST_200600_302600_NS6detail15normal_iteratorINS8_7pointerIdNS8_11hip_rocprim5par_tENS8_11use_defaultESE_EEEENSA_INSB_IlSD_SE_SE_EEEEZNS1_13binary_searchIS3_S5_NSA_INS8_10device_ptrIdEEEESG_SI_NS1_21upper_bound_search_opENS9_16wrapped_functionINS8_6system6detail7generic6detail18binary_search_lessEbEEEE10hipError_tPvRmT1_T2_T3_mmT4_T5_P12ihipStream_tbEUlRKdE_EESV_SZ_S10_mS11_S14_bEUlT_E_NS1_11comp_targetILNS1_3genE4ELNS1_11target_archE910ELNS1_3gpuE8ELNS1_3repE0EEENS1_30default_config_static_selectorELNS0_4arch9wavefront6targetE1EEEvSY_ ; -- Begin function _ZN7rocprim17ROCPRIM_400000_NS6detail17trampoline_kernelINS0_14default_configENS1_27upper_bound_config_selectorIdlEEZNS1_14transform_implILb0ES3_S5_N6thrust23THRUST_200600_302600_NS6detail15normal_iteratorINS8_7pointerIdNS8_11hip_rocprim5par_tENS8_11use_defaultESE_EEEENSA_INSB_IlSD_SE_SE_EEEEZNS1_13binary_searchIS3_S5_NSA_INS8_10device_ptrIdEEEESG_SI_NS1_21upper_bound_search_opENS9_16wrapped_functionINS8_6system6detail7generic6detail18binary_search_lessEbEEEE10hipError_tPvRmT1_T2_T3_mmT4_T5_P12ihipStream_tbEUlRKdE_EESV_SZ_S10_mS11_S14_bEUlT_E_NS1_11comp_targetILNS1_3genE4ELNS1_11target_archE910ELNS1_3gpuE8ELNS1_3repE0EEENS1_30default_config_static_selectorELNS0_4arch9wavefront6targetE1EEEvSY_
	.globl	_ZN7rocprim17ROCPRIM_400000_NS6detail17trampoline_kernelINS0_14default_configENS1_27upper_bound_config_selectorIdlEEZNS1_14transform_implILb0ES3_S5_N6thrust23THRUST_200600_302600_NS6detail15normal_iteratorINS8_7pointerIdNS8_11hip_rocprim5par_tENS8_11use_defaultESE_EEEENSA_INSB_IlSD_SE_SE_EEEEZNS1_13binary_searchIS3_S5_NSA_INS8_10device_ptrIdEEEESG_SI_NS1_21upper_bound_search_opENS9_16wrapped_functionINS8_6system6detail7generic6detail18binary_search_lessEbEEEE10hipError_tPvRmT1_T2_T3_mmT4_T5_P12ihipStream_tbEUlRKdE_EESV_SZ_S10_mS11_S14_bEUlT_E_NS1_11comp_targetILNS1_3genE4ELNS1_11target_archE910ELNS1_3gpuE8ELNS1_3repE0EEENS1_30default_config_static_selectorELNS0_4arch9wavefront6targetE1EEEvSY_
	.p2align	8
	.type	_ZN7rocprim17ROCPRIM_400000_NS6detail17trampoline_kernelINS0_14default_configENS1_27upper_bound_config_selectorIdlEEZNS1_14transform_implILb0ES3_S5_N6thrust23THRUST_200600_302600_NS6detail15normal_iteratorINS8_7pointerIdNS8_11hip_rocprim5par_tENS8_11use_defaultESE_EEEENSA_INSB_IlSD_SE_SE_EEEEZNS1_13binary_searchIS3_S5_NSA_INS8_10device_ptrIdEEEESG_SI_NS1_21upper_bound_search_opENS9_16wrapped_functionINS8_6system6detail7generic6detail18binary_search_lessEbEEEE10hipError_tPvRmT1_T2_T3_mmT4_T5_P12ihipStream_tbEUlRKdE_EESV_SZ_S10_mS11_S14_bEUlT_E_NS1_11comp_targetILNS1_3genE4ELNS1_11target_archE910ELNS1_3gpuE8ELNS1_3repE0EEENS1_30default_config_static_selectorELNS0_4arch9wavefront6targetE1EEEvSY_,@function
_ZN7rocprim17ROCPRIM_400000_NS6detail17trampoline_kernelINS0_14default_configENS1_27upper_bound_config_selectorIdlEEZNS1_14transform_implILb0ES3_S5_N6thrust23THRUST_200600_302600_NS6detail15normal_iteratorINS8_7pointerIdNS8_11hip_rocprim5par_tENS8_11use_defaultESE_EEEENSA_INSB_IlSD_SE_SE_EEEEZNS1_13binary_searchIS3_S5_NSA_INS8_10device_ptrIdEEEESG_SI_NS1_21upper_bound_search_opENS9_16wrapped_functionINS8_6system6detail7generic6detail18binary_search_lessEbEEEE10hipError_tPvRmT1_T2_T3_mmT4_T5_P12ihipStream_tbEUlRKdE_EESV_SZ_S10_mS11_S14_bEUlT_E_NS1_11comp_targetILNS1_3genE4ELNS1_11target_archE910ELNS1_3gpuE8ELNS1_3repE0EEENS1_30default_config_static_selectorELNS0_4arch9wavefront6targetE1EEEvSY_: ; @_ZN7rocprim17ROCPRIM_400000_NS6detail17trampoline_kernelINS0_14default_configENS1_27upper_bound_config_selectorIdlEEZNS1_14transform_implILb0ES3_S5_N6thrust23THRUST_200600_302600_NS6detail15normal_iteratorINS8_7pointerIdNS8_11hip_rocprim5par_tENS8_11use_defaultESE_EEEENSA_INSB_IlSD_SE_SE_EEEEZNS1_13binary_searchIS3_S5_NSA_INS8_10device_ptrIdEEEESG_SI_NS1_21upper_bound_search_opENS9_16wrapped_functionINS8_6system6detail7generic6detail18binary_search_lessEbEEEE10hipError_tPvRmT1_T2_T3_mmT4_T5_P12ihipStream_tbEUlRKdE_EESV_SZ_S10_mS11_S14_bEUlT_E_NS1_11comp_targetILNS1_3genE4ELNS1_11target_archE910ELNS1_3gpuE8ELNS1_3repE0EEENS1_30default_config_static_selectorELNS0_4arch9wavefront6targetE1EEEvSY_
; %bb.0:
	.section	.rodata,"a",@progbits
	.p2align	6, 0x0
	.amdhsa_kernel _ZN7rocprim17ROCPRIM_400000_NS6detail17trampoline_kernelINS0_14default_configENS1_27upper_bound_config_selectorIdlEEZNS1_14transform_implILb0ES3_S5_N6thrust23THRUST_200600_302600_NS6detail15normal_iteratorINS8_7pointerIdNS8_11hip_rocprim5par_tENS8_11use_defaultESE_EEEENSA_INSB_IlSD_SE_SE_EEEEZNS1_13binary_searchIS3_S5_NSA_INS8_10device_ptrIdEEEESG_SI_NS1_21upper_bound_search_opENS9_16wrapped_functionINS8_6system6detail7generic6detail18binary_search_lessEbEEEE10hipError_tPvRmT1_T2_T3_mmT4_T5_P12ihipStream_tbEUlRKdE_EESV_SZ_S10_mS11_S14_bEUlT_E_NS1_11comp_targetILNS1_3genE4ELNS1_11target_archE910ELNS1_3gpuE8ELNS1_3repE0EEENS1_30default_config_static_selectorELNS0_4arch9wavefront6targetE1EEEvSY_
		.amdhsa_group_segment_fixed_size 0
		.amdhsa_private_segment_fixed_size 0
		.amdhsa_kernarg_size 56
		.amdhsa_user_sgpr_count 6
		.amdhsa_user_sgpr_private_segment_buffer 1
		.amdhsa_user_sgpr_dispatch_ptr 0
		.amdhsa_user_sgpr_queue_ptr 0
		.amdhsa_user_sgpr_kernarg_segment_ptr 1
		.amdhsa_user_sgpr_dispatch_id 0
		.amdhsa_user_sgpr_flat_scratch_init 0
		.amdhsa_user_sgpr_private_segment_size 0
		.amdhsa_uses_dynamic_stack 0
		.amdhsa_system_sgpr_private_segment_wavefront_offset 0
		.amdhsa_system_sgpr_workgroup_id_x 1
		.amdhsa_system_sgpr_workgroup_id_y 0
		.amdhsa_system_sgpr_workgroup_id_z 0
		.amdhsa_system_sgpr_workgroup_info 0
		.amdhsa_system_vgpr_workitem_id 0
		.amdhsa_next_free_vgpr 1
		.amdhsa_next_free_sgpr 0
		.amdhsa_reserve_vcc 0
		.amdhsa_reserve_flat_scratch 0
		.amdhsa_float_round_mode_32 0
		.amdhsa_float_round_mode_16_64 0
		.amdhsa_float_denorm_mode_32 3
		.amdhsa_float_denorm_mode_16_64 3
		.amdhsa_dx10_clamp 1
		.amdhsa_ieee_mode 1
		.amdhsa_fp16_overflow 0
		.amdhsa_exception_fp_ieee_invalid_op 0
		.amdhsa_exception_fp_denorm_src 0
		.amdhsa_exception_fp_ieee_div_zero 0
		.amdhsa_exception_fp_ieee_overflow 0
		.amdhsa_exception_fp_ieee_underflow 0
		.amdhsa_exception_fp_ieee_inexact 0
		.amdhsa_exception_int_div_zero 0
	.end_amdhsa_kernel
	.section	.text._ZN7rocprim17ROCPRIM_400000_NS6detail17trampoline_kernelINS0_14default_configENS1_27upper_bound_config_selectorIdlEEZNS1_14transform_implILb0ES3_S5_N6thrust23THRUST_200600_302600_NS6detail15normal_iteratorINS8_7pointerIdNS8_11hip_rocprim5par_tENS8_11use_defaultESE_EEEENSA_INSB_IlSD_SE_SE_EEEEZNS1_13binary_searchIS3_S5_NSA_INS8_10device_ptrIdEEEESG_SI_NS1_21upper_bound_search_opENS9_16wrapped_functionINS8_6system6detail7generic6detail18binary_search_lessEbEEEE10hipError_tPvRmT1_T2_T3_mmT4_T5_P12ihipStream_tbEUlRKdE_EESV_SZ_S10_mS11_S14_bEUlT_E_NS1_11comp_targetILNS1_3genE4ELNS1_11target_archE910ELNS1_3gpuE8ELNS1_3repE0EEENS1_30default_config_static_selectorELNS0_4arch9wavefront6targetE1EEEvSY_,"axG",@progbits,_ZN7rocprim17ROCPRIM_400000_NS6detail17trampoline_kernelINS0_14default_configENS1_27upper_bound_config_selectorIdlEEZNS1_14transform_implILb0ES3_S5_N6thrust23THRUST_200600_302600_NS6detail15normal_iteratorINS8_7pointerIdNS8_11hip_rocprim5par_tENS8_11use_defaultESE_EEEENSA_INSB_IlSD_SE_SE_EEEEZNS1_13binary_searchIS3_S5_NSA_INS8_10device_ptrIdEEEESG_SI_NS1_21upper_bound_search_opENS9_16wrapped_functionINS8_6system6detail7generic6detail18binary_search_lessEbEEEE10hipError_tPvRmT1_T2_T3_mmT4_T5_P12ihipStream_tbEUlRKdE_EESV_SZ_S10_mS11_S14_bEUlT_E_NS1_11comp_targetILNS1_3genE4ELNS1_11target_archE910ELNS1_3gpuE8ELNS1_3repE0EEENS1_30default_config_static_selectorELNS0_4arch9wavefront6targetE1EEEvSY_,comdat
.Lfunc_end502:
	.size	_ZN7rocprim17ROCPRIM_400000_NS6detail17trampoline_kernelINS0_14default_configENS1_27upper_bound_config_selectorIdlEEZNS1_14transform_implILb0ES3_S5_N6thrust23THRUST_200600_302600_NS6detail15normal_iteratorINS8_7pointerIdNS8_11hip_rocprim5par_tENS8_11use_defaultESE_EEEENSA_INSB_IlSD_SE_SE_EEEEZNS1_13binary_searchIS3_S5_NSA_INS8_10device_ptrIdEEEESG_SI_NS1_21upper_bound_search_opENS9_16wrapped_functionINS8_6system6detail7generic6detail18binary_search_lessEbEEEE10hipError_tPvRmT1_T2_T3_mmT4_T5_P12ihipStream_tbEUlRKdE_EESV_SZ_S10_mS11_S14_bEUlT_E_NS1_11comp_targetILNS1_3genE4ELNS1_11target_archE910ELNS1_3gpuE8ELNS1_3repE0EEENS1_30default_config_static_selectorELNS0_4arch9wavefront6targetE1EEEvSY_, .Lfunc_end502-_ZN7rocprim17ROCPRIM_400000_NS6detail17trampoline_kernelINS0_14default_configENS1_27upper_bound_config_selectorIdlEEZNS1_14transform_implILb0ES3_S5_N6thrust23THRUST_200600_302600_NS6detail15normal_iteratorINS8_7pointerIdNS8_11hip_rocprim5par_tENS8_11use_defaultESE_EEEENSA_INSB_IlSD_SE_SE_EEEEZNS1_13binary_searchIS3_S5_NSA_INS8_10device_ptrIdEEEESG_SI_NS1_21upper_bound_search_opENS9_16wrapped_functionINS8_6system6detail7generic6detail18binary_search_lessEbEEEE10hipError_tPvRmT1_T2_T3_mmT4_T5_P12ihipStream_tbEUlRKdE_EESV_SZ_S10_mS11_S14_bEUlT_E_NS1_11comp_targetILNS1_3genE4ELNS1_11target_archE910ELNS1_3gpuE8ELNS1_3repE0EEENS1_30default_config_static_selectorELNS0_4arch9wavefront6targetE1EEEvSY_
                                        ; -- End function
	.set _ZN7rocprim17ROCPRIM_400000_NS6detail17trampoline_kernelINS0_14default_configENS1_27upper_bound_config_selectorIdlEEZNS1_14transform_implILb0ES3_S5_N6thrust23THRUST_200600_302600_NS6detail15normal_iteratorINS8_7pointerIdNS8_11hip_rocprim5par_tENS8_11use_defaultESE_EEEENSA_INSB_IlSD_SE_SE_EEEEZNS1_13binary_searchIS3_S5_NSA_INS8_10device_ptrIdEEEESG_SI_NS1_21upper_bound_search_opENS9_16wrapped_functionINS8_6system6detail7generic6detail18binary_search_lessEbEEEE10hipError_tPvRmT1_T2_T3_mmT4_T5_P12ihipStream_tbEUlRKdE_EESV_SZ_S10_mS11_S14_bEUlT_E_NS1_11comp_targetILNS1_3genE4ELNS1_11target_archE910ELNS1_3gpuE8ELNS1_3repE0EEENS1_30default_config_static_selectorELNS0_4arch9wavefront6targetE1EEEvSY_.num_vgpr, 0
	.set _ZN7rocprim17ROCPRIM_400000_NS6detail17trampoline_kernelINS0_14default_configENS1_27upper_bound_config_selectorIdlEEZNS1_14transform_implILb0ES3_S5_N6thrust23THRUST_200600_302600_NS6detail15normal_iteratorINS8_7pointerIdNS8_11hip_rocprim5par_tENS8_11use_defaultESE_EEEENSA_INSB_IlSD_SE_SE_EEEEZNS1_13binary_searchIS3_S5_NSA_INS8_10device_ptrIdEEEESG_SI_NS1_21upper_bound_search_opENS9_16wrapped_functionINS8_6system6detail7generic6detail18binary_search_lessEbEEEE10hipError_tPvRmT1_T2_T3_mmT4_T5_P12ihipStream_tbEUlRKdE_EESV_SZ_S10_mS11_S14_bEUlT_E_NS1_11comp_targetILNS1_3genE4ELNS1_11target_archE910ELNS1_3gpuE8ELNS1_3repE0EEENS1_30default_config_static_selectorELNS0_4arch9wavefront6targetE1EEEvSY_.num_agpr, 0
	.set _ZN7rocprim17ROCPRIM_400000_NS6detail17trampoline_kernelINS0_14default_configENS1_27upper_bound_config_selectorIdlEEZNS1_14transform_implILb0ES3_S5_N6thrust23THRUST_200600_302600_NS6detail15normal_iteratorINS8_7pointerIdNS8_11hip_rocprim5par_tENS8_11use_defaultESE_EEEENSA_INSB_IlSD_SE_SE_EEEEZNS1_13binary_searchIS3_S5_NSA_INS8_10device_ptrIdEEEESG_SI_NS1_21upper_bound_search_opENS9_16wrapped_functionINS8_6system6detail7generic6detail18binary_search_lessEbEEEE10hipError_tPvRmT1_T2_T3_mmT4_T5_P12ihipStream_tbEUlRKdE_EESV_SZ_S10_mS11_S14_bEUlT_E_NS1_11comp_targetILNS1_3genE4ELNS1_11target_archE910ELNS1_3gpuE8ELNS1_3repE0EEENS1_30default_config_static_selectorELNS0_4arch9wavefront6targetE1EEEvSY_.numbered_sgpr, 0
	.set _ZN7rocprim17ROCPRIM_400000_NS6detail17trampoline_kernelINS0_14default_configENS1_27upper_bound_config_selectorIdlEEZNS1_14transform_implILb0ES3_S5_N6thrust23THRUST_200600_302600_NS6detail15normal_iteratorINS8_7pointerIdNS8_11hip_rocprim5par_tENS8_11use_defaultESE_EEEENSA_INSB_IlSD_SE_SE_EEEEZNS1_13binary_searchIS3_S5_NSA_INS8_10device_ptrIdEEEESG_SI_NS1_21upper_bound_search_opENS9_16wrapped_functionINS8_6system6detail7generic6detail18binary_search_lessEbEEEE10hipError_tPvRmT1_T2_T3_mmT4_T5_P12ihipStream_tbEUlRKdE_EESV_SZ_S10_mS11_S14_bEUlT_E_NS1_11comp_targetILNS1_3genE4ELNS1_11target_archE910ELNS1_3gpuE8ELNS1_3repE0EEENS1_30default_config_static_selectorELNS0_4arch9wavefront6targetE1EEEvSY_.num_named_barrier, 0
	.set _ZN7rocprim17ROCPRIM_400000_NS6detail17trampoline_kernelINS0_14default_configENS1_27upper_bound_config_selectorIdlEEZNS1_14transform_implILb0ES3_S5_N6thrust23THRUST_200600_302600_NS6detail15normal_iteratorINS8_7pointerIdNS8_11hip_rocprim5par_tENS8_11use_defaultESE_EEEENSA_INSB_IlSD_SE_SE_EEEEZNS1_13binary_searchIS3_S5_NSA_INS8_10device_ptrIdEEEESG_SI_NS1_21upper_bound_search_opENS9_16wrapped_functionINS8_6system6detail7generic6detail18binary_search_lessEbEEEE10hipError_tPvRmT1_T2_T3_mmT4_T5_P12ihipStream_tbEUlRKdE_EESV_SZ_S10_mS11_S14_bEUlT_E_NS1_11comp_targetILNS1_3genE4ELNS1_11target_archE910ELNS1_3gpuE8ELNS1_3repE0EEENS1_30default_config_static_selectorELNS0_4arch9wavefront6targetE1EEEvSY_.private_seg_size, 0
	.set _ZN7rocprim17ROCPRIM_400000_NS6detail17trampoline_kernelINS0_14default_configENS1_27upper_bound_config_selectorIdlEEZNS1_14transform_implILb0ES3_S5_N6thrust23THRUST_200600_302600_NS6detail15normal_iteratorINS8_7pointerIdNS8_11hip_rocprim5par_tENS8_11use_defaultESE_EEEENSA_INSB_IlSD_SE_SE_EEEEZNS1_13binary_searchIS3_S5_NSA_INS8_10device_ptrIdEEEESG_SI_NS1_21upper_bound_search_opENS9_16wrapped_functionINS8_6system6detail7generic6detail18binary_search_lessEbEEEE10hipError_tPvRmT1_T2_T3_mmT4_T5_P12ihipStream_tbEUlRKdE_EESV_SZ_S10_mS11_S14_bEUlT_E_NS1_11comp_targetILNS1_3genE4ELNS1_11target_archE910ELNS1_3gpuE8ELNS1_3repE0EEENS1_30default_config_static_selectorELNS0_4arch9wavefront6targetE1EEEvSY_.uses_vcc, 0
	.set _ZN7rocprim17ROCPRIM_400000_NS6detail17trampoline_kernelINS0_14default_configENS1_27upper_bound_config_selectorIdlEEZNS1_14transform_implILb0ES3_S5_N6thrust23THRUST_200600_302600_NS6detail15normal_iteratorINS8_7pointerIdNS8_11hip_rocprim5par_tENS8_11use_defaultESE_EEEENSA_INSB_IlSD_SE_SE_EEEEZNS1_13binary_searchIS3_S5_NSA_INS8_10device_ptrIdEEEESG_SI_NS1_21upper_bound_search_opENS9_16wrapped_functionINS8_6system6detail7generic6detail18binary_search_lessEbEEEE10hipError_tPvRmT1_T2_T3_mmT4_T5_P12ihipStream_tbEUlRKdE_EESV_SZ_S10_mS11_S14_bEUlT_E_NS1_11comp_targetILNS1_3genE4ELNS1_11target_archE910ELNS1_3gpuE8ELNS1_3repE0EEENS1_30default_config_static_selectorELNS0_4arch9wavefront6targetE1EEEvSY_.uses_flat_scratch, 0
	.set _ZN7rocprim17ROCPRIM_400000_NS6detail17trampoline_kernelINS0_14default_configENS1_27upper_bound_config_selectorIdlEEZNS1_14transform_implILb0ES3_S5_N6thrust23THRUST_200600_302600_NS6detail15normal_iteratorINS8_7pointerIdNS8_11hip_rocprim5par_tENS8_11use_defaultESE_EEEENSA_INSB_IlSD_SE_SE_EEEEZNS1_13binary_searchIS3_S5_NSA_INS8_10device_ptrIdEEEESG_SI_NS1_21upper_bound_search_opENS9_16wrapped_functionINS8_6system6detail7generic6detail18binary_search_lessEbEEEE10hipError_tPvRmT1_T2_T3_mmT4_T5_P12ihipStream_tbEUlRKdE_EESV_SZ_S10_mS11_S14_bEUlT_E_NS1_11comp_targetILNS1_3genE4ELNS1_11target_archE910ELNS1_3gpuE8ELNS1_3repE0EEENS1_30default_config_static_selectorELNS0_4arch9wavefront6targetE1EEEvSY_.has_dyn_sized_stack, 0
	.set _ZN7rocprim17ROCPRIM_400000_NS6detail17trampoline_kernelINS0_14default_configENS1_27upper_bound_config_selectorIdlEEZNS1_14transform_implILb0ES3_S5_N6thrust23THRUST_200600_302600_NS6detail15normal_iteratorINS8_7pointerIdNS8_11hip_rocprim5par_tENS8_11use_defaultESE_EEEENSA_INSB_IlSD_SE_SE_EEEEZNS1_13binary_searchIS3_S5_NSA_INS8_10device_ptrIdEEEESG_SI_NS1_21upper_bound_search_opENS9_16wrapped_functionINS8_6system6detail7generic6detail18binary_search_lessEbEEEE10hipError_tPvRmT1_T2_T3_mmT4_T5_P12ihipStream_tbEUlRKdE_EESV_SZ_S10_mS11_S14_bEUlT_E_NS1_11comp_targetILNS1_3genE4ELNS1_11target_archE910ELNS1_3gpuE8ELNS1_3repE0EEENS1_30default_config_static_selectorELNS0_4arch9wavefront6targetE1EEEvSY_.has_recursion, 0
	.set _ZN7rocprim17ROCPRIM_400000_NS6detail17trampoline_kernelINS0_14default_configENS1_27upper_bound_config_selectorIdlEEZNS1_14transform_implILb0ES3_S5_N6thrust23THRUST_200600_302600_NS6detail15normal_iteratorINS8_7pointerIdNS8_11hip_rocprim5par_tENS8_11use_defaultESE_EEEENSA_INSB_IlSD_SE_SE_EEEEZNS1_13binary_searchIS3_S5_NSA_INS8_10device_ptrIdEEEESG_SI_NS1_21upper_bound_search_opENS9_16wrapped_functionINS8_6system6detail7generic6detail18binary_search_lessEbEEEE10hipError_tPvRmT1_T2_T3_mmT4_T5_P12ihipStream_tbEUlRKdE_EESV_SZ_S10_mS11_S14_bEUlT_E_NS1_11comp_targetILNS1_3genE4ELNS1_11target_archE910ELNS1_3gpuE8ELNS1_3repE0EEENS1_30default_config_static_selectorELNS0_4arch9wavefront6targetE1EEEvSY_.has_indirect_call, 0
	.section	.AMDGPU.csdata,"",@progbits
; Kernel info:
; codeLenInByte = 0
; TotalNumSgprs: 4
; NumVgprs: 0
; ScratchSize: 0
; MemoryBound: 0
; FloatMode: 240
; IeeeMode: 1
; LDSByteSize: 0 bytes/workgroup (compile time only)
; SGPRBlocks: 0
; VGPRBlocks: 0
; NumSGPRsForWavesPerEU: 4
; NumVGPRsForWavesPerEU: 1
; Occupancy: 10
; WaveLimiterHint : 0
; COMPUTE_PGM_RSRC2:SCRATCH_EN: 0
; COMPUTE_PGM_RSRC2:USER_SGPR: 6
; COMPUTE_PGM_RSRC2:TRAP_HANDLER: 0
; COMPUTE_PGM_RSRC2:TGID_X_EN: 1
; COMPUTE_PGM_RSRC2:TGID_Y_EN: 0
; COMPUTE_PGM_RSRC2:TGID_Z_EN: 0
; COMPUTE_PGM_RSRC2:TIDIG_COMP_CNT: 0
	.section	.text._ZN7rocprim17ROCPRIM_400000_NS6detail17trampoline_kernelINS0_14default_configENS1_27upper_bound_config_selectorIdlEEZNS1_14transform_implILb0ES3_S5_N6thrust23THRUST_200600_302600_NS6detail15normal_iteratorINS8_7pointerIdNS8_11hip_rocprim5par_tENS8_11use_defaultESE_EEEENSA_INSB_IlSD_SE_SE_EEEEZNS1_13binary_searchIS3_S5_NSA_INS8_10device_ptrIdEEEESG_SI_NS1_21upper_bound_search_opENS9_16wrapped_functionINS8_6system6detail7generic6detail18binary_search_lessEbEEEE10hipError_tPvRmT1_T2_T3_mmT4_T5_P12ihipStream_tbEUlRKdE_EESV_SZ_S10_mS11_S14_bEUlT_E_NS1_11comp_targetILNS1_3genE3ELNS1_11target_archE908ELNS1_3gpuE7ELNS1_3repE0EEENS1_30default_config_static_selectorELNS0_4arch9wavefront6targetE1EEEvSY_,"axG",@progbits,_ZN7rocprim17ROCPRIM_400000_NS6detail17trampoline_kernelINS0_14default_configENS1_27upper_bound_config_selectorIdlEEZNS1_14transform_implILb0ES3_S5_N6thrust23THRUST_200600_302600_NS6detail15normal_iteratorINS8_7pointerIdNS8_11hip_rocprim5par_tENS8_11use_defaultESE_EEEENSA_INSB_IlSD_SE_SE_EEEEZNS1_13binary_searchIS3_S5_NSA_INS8_10device_ptrIdEEEESG_SI_NS1_21upper_bound_search_opENS9_16wrapped_functionINS8_6system6detail7generic6detail18binary_search_lessEbEEEE10hipError_tPvRmT1_T2_T3_mmT4_T5_P12ihipStream_tbEUlRKdE_EESV_SZ_S10_mS11_S14_bEUlT_E_NS1_11comp_targetILNS1_3genE3ELNS1_11target_archE908ELNS1_3gpuE7ELNS1_3repE0EEENS1_30default_config_static_selectorELNS0_4arch9wavefront6targetE1EEEvSY_,comdat
	.protected	_ZN7rocprim17ROCPRIM_400000_NS6detail17trampoline_kernelINS0_14default_configENS1_27upper_bound_config_selectorIdlEEZNS1_14transform_implILb0ES3_S5_N6thrust23THRUST_200600_302600_NS6detail15normal_iteratorINS8_7pointerIdNS8_11hip_rocprim5par_tENS8_11use_defaultESE_EEEENSA_INSB_IlSD_SE_SE_EEEEZNS1_13binary_searchIS3_S5_NSA_INS8_10device_ptrIdEEEESG_SI_NS1_21upper_bound_search_opENS9_16wrapped_functionINS8_6system6detail7generic6detail18binary_search_lessEbEEEE10hipError_tPvRmT1_T2_T3_mmT4_T5_P12ihipStream_tbEUlRKdE_EESV_SZ_S10_mS11_S14_bEUlT_E_NS1_11comp_targetILNS1_3genE3ELNS1_11target_archE908ELNS1_3gpuE7ELNS1_3repE0EEENS1_30default_config_static_selectorELNS0_4arch9wavefront6targetE1EEEvSY_ ; -- Begin function _ZN7rocprim17ROCPRIM_400000_NS6detail17trampoline_kernelINS0_14default_configENS1_27upper_bound_config_selectorIdlEEZNS1_14transform_implILb0ES3_S5_N6thrust23THRUST_200600_302600_NS6detail15normal_iteratorINS8_7pointerIdNS8_11hip_rocprim5par_tENS8_11use_defaultESE_EEEENSA_INSB_IlSD_SE_SE_EEEEZNS1_13binary_searchIS3_S5_NSA_INS8_10device_ptrIdEEEESG_SI_NS1_21upper_bound_search_opENS9_16wrapped_functionINS8_6system6detail7generic6detail18binary_search_lessEbEEEE10hipError_tPvRmT1_T2_T3_mmT4_T5_P12ihipStream_tbEUlRKdE_EESV_SZ_S10_mS11_S14_bEUlT_E_NS1_11comp_targetILNS1_3genE3ELNS1_11target_archE908ELNS1_3gpuE7ELNS1_3repE0EEENS1_30default_config_static_selectorELNS0_4arch9wavefront6targetE1EEEvSY_
	.globl	_ZN7rocprim17ROCPRIM_400000_NS6detail17trampoline_kernelINS0_14default_configENS1_27upper_bound_config_selectorIdlEEZNS1_14transform_implILb0ES3_S5_N6thrust23THRUST_200600_302600_NS6detail15normal_iteratorINS8_7pointerIdNS8_11hip_rocprim5par_tENS8_11use_defaultESE_EEEENSA_INSB_IlSD_SE_SE_EEEEZNS1_13binary_searchIS3_S5_NSA_INS8_10device_ptrIdEEEESG_SI_NS1_21upper_bound_search_opENS9_16wrapped_functionINS8_6system6detail7generic6detail18binary_search_lessEbEEEE10hipError_tPvRmT1_T2_T3_mmT4_T5_P12ihipStream_tbEUlRKdE_EESV_SZ_S10_mS11_S14_bEUlT_E_NS1_11comp_targetILNS1_3genE3ELNS1_11target_archE908ELNS1_3gpuE7ELNS1_3repE0EEENS1_30default_config_static_selectorELNS0_4arch9wavefront6targetE1EEEvSY_
	.p2align	8
	.type	_ZN7rocprim17ROCPRIM_400000_NS6detail17trampoline_kernelINS0_14default_configENS1_27upper_bound_config_selectorIdlEEZNS1_14transform_implILb0ES3_S5_N6thrust23THRUST_200600_302600_NS6detail15normal_iteratorINS8_7pointerIdNS8_11hip_rocprim5par_tENS8_11use_defaultESE_EEEENSA_INSB_IlSD_SE_SE_EEEEZNS1_13binary_searchIS3_S5_NSA_INS8_10device_ptrIdEEEESG_SI_NS1_21upper_bound_search_opENS9_16wrapped_functionINS8_6system6detail7generic6detail18binary_search_lessEbEEEE10hipError_tPvRmT1_T2_T3_mmT4_T5_P12ihipStream_tbEUlRKdE_EESV_SZ_S10_mS11_S14_bEUlT_E_NS1_11comp_targetILNS1_3genE3ELNS1_11target_archE908ELNS1_3gpuE7ELNS1_3repE0EEENS1_30default_config_static_selectorELNS0_4arch9wavefront6targetE1EEEvSY_,@function
_ZN7rocprim17ROCPRIM_400000_NS6detail17trampoline_kernelINS0_14default_configENS1_27upper_bound_config_selectorIdlEEZNS1_14transform_implILb0ES3_S5_N6thrust23THRUST_200600_302600_NS6detail15normal_iteratorINS8_7pointerIdNS8_11hip_rocprim5par_tENS8_11use_defaultESE_EEEENSA_INSB_IlSD_SE_SE_EEEEZNS1_13binary_searchIS3_S5_NSA_INS8_10device_ptrIdEEEESG_SI_NS1_21upper_bound_search_opENS9_16wrapped_functionINS8_6system6detail7generic6detail18binary_search_lessEbEEEE10hipError_tPvRmT1_T2_T3_mmT4_T5_P12ihipStream_tbEUlRKdE_EESV_SZ_S10_mS11_S14_bEUlT_E_NS1_11comp_targetILNS1_3genE3ELNS1_11target_archE908ELNS1_3gpuE7ELNS1_3repE0EEENS1_30default_config_static_selectorELNS0_4arch9wavefront6targetE1EEEvSY_: ; @_ZN7rocprim17ROCPRIM_400000_NS6detail17trampoline_kernelINS0_14default_configENS1_27upper_bound_config_selectorIdlEEZNS1_14transform_implILb0ES3_S5_N6thrust23THRUST_200600_302600_NS6detail15normal_iteratorINS8_7pointerIdNS8_11hip_rocprim5par_tENS8_11use_defaultESE_EEEENSA_INSB_IlSD_SE_SE_EEEEZNS1_13binary_searchIS3_S5_NSA_INS8_10device_ptrIdEEEESG_SI_NS1_21upper_bound_search_opENS9_16wrapped_functionINS8_6system6detail7generic6detail18binary_search_lessEbEEEE10hipError_tPvRmT1_T2_T3_mmT4_T5_P12ihipStream_tbEUlRKdE_EESV_SZ_S10_mS11_S14_bEUlT_E_NS1_11comp_targetILNS1_3genE3ELNS1_11target_archE908ELNS1_3gpuE7ELNS1_3repE0EEENS1_30default_config_static_selectorELNS0_4arch9wavefront6targetE1EEEvSY_
; %bb.0:
	.section	.rodata,"a",@progbits
	.p2align	6, 0x0
	.amdhsa_kernel _ZN7rocprim17ROCPRIM_400000_NS6detail17trampoline_kernelINS0_14default_configENS1_27upper_bound_config_selectorIdlEEZNS1_14transform_implILb0ES3_S5_N6thrust23THRUST_200600_302600_NS6detail15normal_iteratorINS8_7pointerIdNS8_11hip_rocprim5par_tENS8_11use_defaultESE_EEEENSA_INSB_IlSD_SE_SE_EEEEZNS1_13binary_searchIS3_S5_NSA_INS8_10device_ptrIdEEEESG_SI_NS1_21upper_bound_search_opENS9_16wrapped_functionINS8_6system6detail7generic6detail18binary_search_lessEbEEEE10hipError_tPvRmT1_T2_T3_mmT4_T5_P12ihipStream_tbEUlRKdE_EESV_SZ_S10_mS11_S14_bEUlT_E_NS1_11comp_targetILNS1_3genE3ELNS1_11target_archE908ELNS1_3gpuE7ELNS1_3repE0EEENS1_30default_config_static_selectorELNS0_4arch9wavefront6targetE1EEEvSY_
		.amdhsa_group_segment_fixed_size 0
		.amdhsa_private_segment_fixed_size 0
		.amdhsa_kernarg_size 56
		.amdhsa_user_sgpr_count 6
		.amdhsa_user_sgpr_private_segment_buffer 1
		.amdhsa_user_sgpr_dispatch_ptr 0
		.amdhsa_user_sgpr_queue_ptr 0
		.amdhsa_user_sgpr_kernarg_segment_ptr 1
		.amdhsa_user_sgpr_dispatch_id 0
		.amdhsa_user_sgpr_flat_scratch_init 0
		.amdhsa_user_sgpr_private_segment_size 0
		.amdhsa_uses_dynamic_stack 0
		.amdhsa_system_sgpr_private_segment_wavefront_offset 0
		.amdhsa_system_sgpr_workgroup_id_x 1
		.amdhsa_system_sgpr_workgroup_id_y 0
		.amdhsa_system_sgpr_workgroup_id_z 0
		.amdhsa_system_sgpr_workgroup_info 0
		.amdhsa_system_vgpr_workitem_id 0
		.amdhsa_next_free_vgpr 1
		.amdhsa_next_free_sgpr 0
		.amdhsa_reserve_vcc 0
		.amdhsa_reserve_flat_scratch 0
		.amdhsa_float_round_mode_32 0
		.amdhsa_float_round_mode_16_64 0
		.amdhsa_float_denorm_mode_32 3
		.amdhsa_float_denorm_mode_16_64 3
		.amdhsa_dx10_clamp 1
		.amdhsa_ieee_mode 1
		.amdhsa_fp16_overflow 0
		.amdhsa_exception_fp_ieee_invalid_op 0
		.amdhsa_exception_fp_denorm_src 0
		.amdhsa_exception_fp_ieee_div_zero 0
		.amdhsa_exception_fp_ieee_overflow 0
		.amdhsa_exception_fp_ieee_underflow 0
		.amdhsa_exception_fp_ieee_inexact 0
		.amdhsa_exception_int_div_zero 0
	.end_amdhsa_kernel
	.section	.text._ZN7rocprim17ROCPRIM_400000_NS6detail17trampoline_kernelINS0_14default_configENS1_27upper_bound_config_selectorIdlEEZNS1_14transform_implILb0ES3_S5_N6thrust23THRUST_200600_302600_NS6detail15normal_iteratorINS8_7pointerIdNS8_11hip_rocprim5par_tENS8_11use_defaultESE_EEEENSA_INSB_IlSD_SE_SE_EEEEZNS1_13binary_searchIS3_S5_NSA_INS8_10device_ptrIdEEEESG_SI_NS1_21upper_bound_search_opENS9_16wrapped_functionINS8_6system6detail7generic6detail18binary_search_lessEbEEEE10hipError_tPvRmT1_T2_T3_mmT4_T5_P12ihipStream_tbEUlRKdE_EESV_SZ_S10_mS11_S14_bEUlT_E_NS1_11comp_targetILNS1_3genE3ELNS1_11target_archE908ELNS1_3gpuE7ELNS1_3repE0EEENS1_30default_config_static_selectorELNS0_4arch9wavefront6targetE1EEEvSY_,"axG",@progbits,_ZN7rocprim17ROCPRIM_400000_NS6detail17trampoline_kernelINS0_14default_configENS1_27upper_bound_config_selectorIdlEEZNS1_14transform_implILb0ES3_S5_N6thrust23THRUST_200600_302600_NS6detail15normal_iteratorINS8_7pointerIdNS8_11hip_rocprim5par_tENS8_11use_defaultESE_EEEENSA_INSB_IlSD_SE_SE_EEEEZNS1_13binary_searchIS3_S5_NSA_INS8_10device_ptrIdEEEESG_SI_NS1_21upper_bound_search_opENS9_16wrapped_functionINS8_6system6detail7generic6detail18binary_search_lessEbEEEE10hipError_tPvRmT1_T2_T3_mmT4_T5_P12ihipStream_tbEUlRKdE_EESV_SZ_S10_mS11_S14_bEUlT_E_NS1_11comp_targetILNS1_3genE3ELNS1_11target_archE908ELNS1_3gpuE7ELNS1_3repE0EEENS1_30default_config_static_selectorELNS0_4arch9wavefront6targetE1EEEvSY_,comdat
.Lfunc_end503:
	.size	_ZN7rocprim17ROCPRIM_400000_NS6detail17trampoline_kernelINS0_14default_configENS1_27upper_bound_config_selectorIdlEEZNS1_14transform_implILb0ES3_S5_N6thrust23THRUST_200600_302600_NS6detail15normal_iteratorINS8_7pointerIdNS8_11hip_rocprim5par_tENS8_11use_defaultESE_EEEENSA_INSB_IlSD_SE_SE_EEEEZNS1_13binary_searchIS3_S5_NSA_INS8_10device_ptrIdEEEESG_SI_NS1_21upper_bound_search_opENS9_16wrapped_functionINS8_6system6detail7generic6detail18binary_search_lessEbEEEE10hipError_tPvRmT1_T2_T3_mmT4_T5_P12ihipStream_tbEUlRKdE_EESV_SZ_S10_mS11_S14_bEUlT_E_NS1_11comp_targetILNS1_3genE3ELNS1_11target_archE908ELNS1_3gpuE7ELNS1_3repE0EEENS1_30default_config_static_selectorELNS0_4arch9wavefront6targetE1EEEvSY_, .Lfunc_end503-_ZN7rocprim17ROCPRIM_400000_NS6detail17trampoline_kernelINS0_14default_configENS1_27upper_bound_config_selectorIdlEEZNS1_14transform_implILb0ES3_S5_N6thrust23THRUST_200600_302600_NS6detail15normal_iteratorINS8_7pointerIdNS8_11hip_rocprim5par_tENS8_11use_defaultESE_EEEENSA_INSB_IlSD_SE_SE_EEEEZNS1_13binary_searchIS3_S5_NSA_INS8_10device_ptrIdEEEESG_SI_NS1_21upper_bound_search_opENS9_16wrapped_functionINS8_6system6detail7generic6detail18binary_search_lessEbEEEE10hipError_tPvRmT1_T2_T3_mmT4_T5_P12ihipStream_tbEUlRKdE_EESV_SZ_S10_mS11_S14_bEUlT_E_NS1_11comp_targetILNS1_3genE3ELNS1_11target_archE908ELNS1_3gpuE7ELNS1_3repE0EEENS1_30default_config_static_selectorELNS0_4arch9wavefront6targetE1EEEvSY_
                                        ; -- End function
	.set _ZN7rocprim17ROCPRIM_400000_NS6detail17trampoline_kernelINS0_14default_configENS1_27upper_bound_config_selectorIdlEEZNS1_14transform_implILb0ES3_S5_N6thrust23THRUST_200600_302600_NS6detail15normal_iteratorINS8_7pointerIdNS8_11hip_rocprim5par_tENS8_11use_defaultESE_EEEENSA_INSB_IlSD_SE_SE_EEEEZNS1_13binary_searchIS3_S5_NSA_INS8_10device_ptrIdEEEESG_SI_NS1_21upper_bound_search_opENS9_16wrapped_functionINS8_6system6detail7generic6detail18binary_search_lessEbEEEE10hipError_tPvRmT1_T2_T3_mmT4_T5_P12ihipStream_tbEUlRKdE_EESV_SZ_S10_mS11_S14_bEUlT_E_NS1_11comp_targetILNS1_3genE3ELNS1_11target_archE908ELNS1_3gpuE7ELNS1_3repE0EEENS1_30default_config_static_selectorELNS0_4arch9wavefront6targetE1EEEvSY_.num_vgpr, 0
	.set _ZN7rocprim17ROCPRIM_400000_NS6detail17trampoline_kernelINS0_14default_configENS1_27upper_bound_config_selectorIdlEEZNS1_14transform_implILb0ES3_S5_N6thrust23THRUST_200600_302600_NS6detail15normal_iteratorINS8_7pointerIdNS8_11hip_rocprim5par_tENS8_11use_defaultESE_EEEENSA_INSB_IlSD_SE_SE_EEEEZNS1_13binary_searchIS3_S5_NSA_INS8_10device_ptrIdEEEESG_SI_NS1_21upper_bound_search_opENS9_16wrapped_functionINS8_6system6detail7generic6detail18binary_search_lessEbEEEE10hipError_tPvRmT1_T2_T3_mmT4_T5_P12ihipStream_tbEUlRKdE_EESV_SZ_S10_mS11_S14_bEUlT_E_NS1_11comp_targetILNS1_3genE3ELNS1_11target_archE908ELNS1_3gpuE7ELNS1_3repE0EEENS1_30default_config_static_selectorELNS0_4arch9wavefront6targetE1EEEvSY_.num_agpr, 0
	.set _ZN7rocprim17ROCPRIM_400000_NS6detail17trampoline_kernelINS0_14default_configENS1_27upper_bound_config_selectorIdlEEZNS1_14transform_implILb0ES3_S5_N6thrust23THRUST_200600_302600_NS6detail15normal_iteratorINS8_7pointerIdNS8_11hip_rocprim5par_tENS8_11use_defaultESE_EEEENSA_INSB_IlSD_SE_SE_EEEEZNS1_13binary_searchIS3_S5_NSA_INS8_10device_ptrIdEEEESG_SI_NS1_21upper_bound_search_opENS9_16wrapped_functionINS8_6system6detail7generic6detail18binary_search_lessEbEEEE10hipError_tPvRmT1_T2_T3_mmT4_T5_P12ihipStream_tbEUlRKdE_EESV_SZ_S10_mS11_S14_bEUlT_E_NS1_11comp_targetILNS1_3genE3ELNS1_11target_archE908ELNS1_3gpuE7ELNS1_3repE0EEENS1_30default_config_static_selectorELNS0_4arch9wavefront6targetE1EEEvSY_.numbered_sgpr, 0
	.set _ZN7rocprim17ROCPRIM_400000_NS6detail17trampoline_kernelINS0_14default_configENS1_27upper_bound_config_selectorIdlEEZNS1_14transform_implILb0ES3_S5_N6thrust23THRUST_200600_302600_NS6detail15normal_iteratorINS8_7pointerIdNS8_11hip_rocprim5par_tENS8_11use_defaultESE_EEEENSA_INSB_IlSD_SE_SE_EEEEZNS1_13binary_searchIS3_S5_NSA_INS8_10device_ptrIdEEEESG_SI_NS1_21upper_bound_search_opENS9_16wrapped_functionINS8_6system6detail7generic6detail18binary_search_lessEbEEEE10hipError_tPvRmT1_T2_T3_mmT4_T5_P12ihipStream_tbEUlRKdE_EESV_SZ_S10_mS11_S14_bEUlT_E_NS1_11comp_targetILNS1_3genE3ELNS1_11target_archE908ELNS1_3gpuE7ELNS1_3repE0EEENS1_30default_config_static_selectorELNS0_4arch9wavefront6targetE1EEEvSY_.num_named_barrier, 0
	.set _ZN7rocprim17ROCPRIM_400000_NS6detail17trampoline_kernelINS0_14default_configENS1_27upper_bound_config_selectorIdlEEZNS1_14transform_implILb0ES3_S5_N6thrust23THRUST_200600_302600_NS6detail15normal_iteratorINS8_7pointerIdNS8_11hip_rocprim5par_tENS8_11use_defaultESE_EEEENSA_INSB_IlSD_SE_SE_EEEEZNS1_13binary_searchIS3_S5_NSA_INS8_10device_ptrIdEEEESG_SI_NS1_21upper_bound_search_opENS9_16wrapped_functionINS8_6system6detail7generic6detail18binary_search_lessEbEEEE10hipError_tPvRmT1_T2_T3_mmT4_T5_P12ihipStream_tbEUlRKdE_EESV_SZ_S10_mS11_S14_bEUlT_E_NS1_11comp_targetILNS1_3genE3ELNS1_11target_archE908ELNS1_3gpuE7ELNS1_3repE0EEENS1_30default_config_static_selectorELNS0_4arch9wavefront6targetE1EEEvSY_.private_seg_size, 0
	.set _ZN7rocprim17ROCPRIM_400000_NS6detail17trampoline_kernelINS0_14default_configENS1_27upper_bound_config_selectorIdlEEZNS1_14transform_implILb0ES3_S5_N6thrust23THRUST_200600_302600_NS6detail15normal_iteratorINS8_7pointerIdNS8_11hip_rocprim5par_tENS8_11use_defaultESE_EEEENSA_INSB_IlSD_SE_SE_EEEEZNS1_13binary_searchIS3_S5_NSA_INS8_10device_ptrIdEEEESG_SI_NS1_21upper_bound_search_opENS9_16wrapped_functionINS8_6system6detail7generic6detail18binary_search_lessEbEEEE10hipError_tPvRmT1_T2_T3_mmT4_T5_P12ihipStream_tbEUlRKdE_EESV_SZ_S10_mS11_S14_bEUlT_E_NS1_11comp_targetILNS1_3genE3ELNS1_11target_archE908ELNS1_3gpuE7ELNS1_3repE0EEENS1_30default_config_static_selectorELNS0_4arch9wavefront6targetE1EEEvSY_.uses_vcc, 0
	.set _ZN7rocprim17ROCPRIM_400000_NS6detail17trampoline_kernelINS0_14default_configENS1_27upper_bound_config_selectorIdlEEZNS1_14transform_implILb0ES3_S5_N6thrust23THRUST_200600_302600_NS6detail15normal_iteratorINS8_7pointerIdNS8_11hip_rocprim5par_tENS8_11use_defaultESE_EEEENSA_INSB_IlSD_SE_SE_EEEEZNS1_13binary_searchIS3_S5_NSA_INS8_10device_ptrIdEEEESG_SI_NS1_21upper_bound_search_opENS9_16wrapped_functionINS8_6system6detail7generic6detail18binary_search_lessEbEEEE10hipError_tPvRmT1_T2_T3_mmT4_T5_P12ihipStream_tbEUlRKdE_EESV_SZ_S10_mS11_S14_bEUlT_E_NS1_11comp_targetILNS1_3genE3ELNS1_11target_archE908ELNS1_3gpuE7ELNS1_3repE0EEENS1_30default_config_static_selectorELNS0_4arch9wavefront6targetE1EEEvSY_.uses_flat_scratch, 0
	.set _ZN7rocprim17ROCPRIM_400000_NS6detail17trampoline_kernelINS0_14default_configENS1_27upper_bound_config_selectorIdlEEZNS1_14transform_implILb0ES3_S5_N6thrust23THRUST_200600_302600_NS6detail15normal_iteratorINS8_7pointerIdNS8_11hip_rocprim5par_tENS8_11use_defaultESE_EEEENSA_INSB_IlSD_SE_SE_EEEEZNS1_13binary_searchIS3_S5_NSA_INS8_10device_ptrIdEEEESG_SI_NS1_21upper_bound_search_opENS9_16wrapped_functionINS8_6system6detail7generic6detail18binary_search_lessEbEEEE10hipError_tPvRmT1_T2_T3_mmT4_T5_P12ihipStream_tbEUlRKdE_EESV_SZ_S10_mS11_S14_bEUlT_E_NS1_11comp_targetILNS1_3genE3ELNS1_11target_archE908ELNS1_3gpuE7ELNS1_3repE0EEENS1_30default_config_static_selectorELNS0_4arch9wavefront6targetE1EEEvSY_.has_dyn_sized_stack, 0
	.set _ZN7rocprim17ROCPRIM_400000_NS6detail17trampoline_kernelINS0_14default_configENS1_27upper_bound_config_selectorIdlEEZNS1_14transform_implILb0ES3_S5_N6thrust23THRUST_200600_302600_NS6detail15normal_iteratorINS8_7pointerIdNS8_11hip_rocprim5par_tENS8_11use_defaultESE_EEEENSA_INSB_IlSD_SE_SE_EEEEZNS1_13binary_searchIS3_S5_NSA_INS8_10device_ptrIdEEEESG_SI_NS1_21upper_bound_search_opENS9_16wrapped_functionINS8_6system6detail7generic6detail18binary_search_lessEbEEEE10hipError_tPvRmT1_T2_T3_mmT4_T5_P12ihipStream_tbEUlRKdE_EESV_SZ_S10_mS11_S14_bEUlT_E_NS1_11comp_targetILNS1_3genE3ELNS1_11target_archE908ELNS1_3gpuE7ELNS1_3repE0EEENS1_30default_config_static_selectorELNS0_4arch9wavefront6targetE1EEEvSY_.has_recursion, 0
	.set _ZN7rocprim17ROCPRIM_400000_NS6detail17trampoline_kernelINS0_14default_configENS1_27upper_bound_config_selectorIdlEEZNS1_14transform_implILb0ES3_S5_N6thrust23THRUST_200600_302600_NS6detail15normal_iteratorINS8_7pointerIdNS8_11hip_rocprim5par_tENS8_11use_defaultESE_EEEENSA_INSB_IlSD_SE_SE_EEEEZNS1_13binary_searchIS3_S5_NSA_INS8_10device_ptrIdEEEESG_SI_NS1_21upper_bound_search_opENS9_16wrapped_functionINS8_6system6detail7generic6detail18binary_search_lessEbEEEE10hipError_tPvRmT1_T2_T3_mmT4_T5_P12ihipStream_tbEUlRKdE_EESV_SZ_S10_mS11_S14_bEUlT_E_NS1_11comp_targetILNS1_3genE3ELNS1_11target_archE908ELNS1_3gpuE7ELNS1_3repE0EEENS1_30default_config_static_selectorELNS0_4arch9wavefront6targetE1EEEvSY_.has_indirect_call, 0
	.section	.AMDGPU.csdata,"",@progbits
; Kernel info:
; codeLenInByte = 0
; TotalNumSgprs: 4
; NumVgprs: 0
; ScratchSize: 0
; MemoryBound: 0
; FloatMode: 240
; IeeeMode: 1
; LDSByteSize: 0 bytes/workgroup (compile time only)
; SGPRBlocks: 0
; VGPRBlocks: 0
; NumSGPRsForWavesPerEU: 4
; NumVGPRsForWavesPerEU: 1
; Occupancy: 10
; WaveLimiterHint : 0
; COMPUTE_PGM_RSRC2:SCRATCH_EN: 0
; COMPUTE_PGM_RSRC2:USER_SGPR: 6
; COMPUTE_PGM_RSRC2:TRAP_HANDLER: 0
; COMPUTE_PGM_RSRC2:TGID_X_EN: 1
; COMPUTE_PGM_RSRC2:TGID_Y_EN: 0
; COMPUTE_PGM_RSRC2:TGID_Z_EN: 0
; COMPUTE_PGM_RSRC2:TIDIG_COMP_CNT: 0
	.section	.text._ZN7rocprim17ROCPRIM_400000_NS6detail17trampoline_kernelINS0_14default_configENS1_27upper_bound_config_selectorIdlEEZNS1_14transform_implILb0ES3_S5_N6thrust23THRUST_200600_302600_NS6detail15normal_iteratorINS8_7pointerIdNS8_11hip_rocprim5par_tENS8_11use_defaultESE_EEEENSA_INSB_IlSD_SE_SE_EEEEZNS1_13binary_searchIS3_S5_NSA_INS8_10device_ptrIdEEEESG_SI_NS1_21upper_bound_search_opENS9_16wrapped_functionINS8_6system6detail7generic6detail18binary_search_lessEbEEEE10hipError_tPvRmT1_T2_T3_mmT4_T5_P12ihipStream_tbEUlRKdE_EESV_SZ_S10_mS11_S14_bEUlT_E_NS1_11comp_targetILNS1_3genE2ELNS1_11target_archE906ELNS1_3gpuE6ELNS1_3repE0EEENS1_30default_config_static_selectorELNS0_4arch9wavefront6targetE1EEEvSY_,"axG",@progbits,_ZN7rocprim17ROCPRIM_400000_NS6detail17trampoline_kernelINS0_14default_configENS1_27upper_bound_config_selectorIdlEEZNS1_14transform_implILb0ES3_S5_N6thrust23THRUST_200600_302600_NS6detail15normal_iteratorINS8_7pointerIdNS8_11hip_rocprim5par_tENS8_11use_defaultESE_EEEENSA_INSB_IlSD_SE_SE_EEEEZNS1_13binary_searchIS3_S5_NSA_INS8_10device_ptrIdEEEESG_SI_NS1_21upper_bound_search_opENS9_16wrapped_functionINS8_6system6detail7generic6detail18binary_search_lessEbEEEE10hipError_tPvRmT1_T2_T3_mmT4_T5_P12ihipStream_tbEUlRKdE_EESV_SZ_S10_mS11_S14_bEUlT_E_NS1_11comp_targetILNS1_3genE2ELNS1_11target_archE906ELNS1_3gpuE6ELNS1_3repE0EEENS1_30default_config_static_selectorELNS0_4arch9wavefront6targetE1EEEvSY_,comdat
	.protected	_ZN7rocprim17ROCPRIM_400000_NS6detail17trampoline_kernelINS0_14default_configENS1_27upper_bound_config_selectorIdlEEZNS1_14transform_implILb0ES3_S5_N6thrust23THRUST_200600_302600_NS6detail15normal_iteratorINS8_7pointerIdNS8_11hip_rocprim5par_tENS8_11use_defaultESE_EEEENSA_INSB_IlSD_SE_SE_EEEEZNS1_13binary_searchIS3_S5_NSA_INS8_10device_ptrIdEEEESG_SI_NS1_21upper_bound_search_opENS9_16wrapped_functionINS8_6system6detail7generic6detail18binary_search_lessEbEEEE10hipError_tPvRmT1_T2_T3_mmT4_T5_P12ihipStream_tbEUlRKdE_EESV_SZ_S10_mS11_S14_bEUlT_E_NS1_11comp_targetILNS1_3genE2ELNS1_11target_archE906ELNS1_3gpuE6ELNS1_3repE0EEENS1_30default_config_static_selectorELNS0_4arch9wavefront6targetE1EEEvSY_ ; -- Begin function _ZN7rocprim17ROCPRIM_400000_NS6detail17trampoline_kernelINS0_14default_configENS1_27upper_bound_config_selectorIdlEEZNS1_14transform_implILb0ES3_S5_N6thrust23THRUST_200600_302600_NS6detail15normal_iteratorINS8_7pointerIdNS8_11hip_rocprim5par_tENS8_11use_defaultESE_EEEENSA_INSB_IlSD_SE_SE_EEEEZNS1_13binary_searchIS3_S5_NSA_INS8_10device_ptrIdEEEESG_SI_NS1_21upper_bound_search_opENS9_16wrapped_functionINS8_6system6detail7generic6detail18binary_search_lessEbEEEE10hipError_tPvRmT1_T2_T3_mmT4_T5_P12ihipStream_tbEUlRKdE_EESV_SZ_S10_mS11_S14_bEUlT_E_NS1_11comp_targetILNS1_3genE2ELNS1_11target_archE906ELNS1_3gpuE6ELNS1_3repE0EEENS1_30default_config_static_selectorELNS0_4arch9wavefront6targetE1EEEvSY_
	.globl	_ZN7rocprim17ROCPRIM_400000_NS6detail17trampoline_kernelINS0_14default_configENS1_27upper_bound_config_selectorIdlEEZNS1_14transform_implILb0ES3_S5_N6thrust23THRUST_200600_302600_NS6detail15normal_iteratorINS8_7pointerIdNS8_11hip_rocprim5par_tENS8_11use_defaultESE_EEEENSA_INSB_IlSD_SE_SE_EEEEZNS1_13binary_searchIS3_S5_NSA_INS8_10device_ptrIdEEEESG_SI_NS1_21upper_bound_search_opENS9_16wrapped_functionINS8_6system6detail7generic6detail18binary_search_lessEbEEEE10hipError_tPvRmT1_T2_T3_mmT4_T5_P12ihipStream_tbEUlRKdE_EESV_SZ_S10_mS11_S14_bEUlT_E_NS1_11comp_targetILNS1_3genE2ELNS1_11target_archE906ELNS1_3gpuE6ELNS1_3repE0EEENS1_30default_config_static_selectorELNS0_4arch9wavefront6targetE1EEEvSY_
	.p2align	8
	.type	_ZN7rocprim17ROCPRIM_400000_NS6detail17trampoline_kernelINS0_14default_configENS1_27upper_bound_config_selectorIdlEEZNS1_14transform_implILb0ES3_S5_N6thrust23THRUST_200600_302600_NS6detail15normal_iteratorINS8_7pointerIdNS8_11hip_rocprim5par_tENS8_11use_defaultESE_EEEENSA_INSB_IlSD_SE_SE_EEEEZNS1_13binary_searchIS3_S5_NSA_INS8_10device_ptrIdEEEESG_SI_NS1_21upper_bound_search_opENS9_16wrapped_functionINS8_6system6detail7generic6detail18binary_search_lessEbEEEE10hipError_tPvRmT1_T2_T3_mmT4_T5_P12ihipStream_tbEUlRKdE_EESV_SZ_S10_mS11_S14_bEUlT_E_NS1_11comp_targetILNS1_3genE2ELNS1_11target_archE906ELNS1_3gpuE6ELNS1_3repE0EEENS1_30default_config_static_selectorELNS0_4arch9wavefront6targetE1EEEvSY_,@function
_ZN7rocprim17ROCPRIM_400000_NS6detail17trampoline_kernelINS0_14default_configENS1_27upper_bound_config_selectorIdlEEZNS1_14transform_implILb0ES3_S5_N6thrust23THRUST_200600_302600_NS6detail15normal_iteratorINS8_7pointerIdNS8_11hip_rocprim5par_tENS8_11use_defaultESE_EEEENSA_INSB_IlSD_SE_SE_EEEEZNS1_13binary_searchIS3_S5_NSA_INS8_10device_ptrIdEEEESG_SI_NS1_21upper_bound_search_opENS9_16wrapped_functionINS8_6system6detail7generic6detail18binary_search_lessEbEEEE10hipError_tPvRmT1_T2_T3_mmT4_T5_P12ihipStream_tbEUlRKdE_EESV_SZ_S10_mS11_S14_bEUlT_E_NS1_11comp_targetILNS1_3genE2ELNS1_11target_archE906ELNS1_3gpuE6ELNS1_3repE0EEENS1_30default_config_static_selectorELNS0_4arch9wavefront6targetE1EEEvSY_: ; @_ZN7rocprim17ROCPRIM_400000_NS6detail17trampoline_kernelINS0_14default_configENS1_27upper_bound_config_selectorIdlEEZNS1_14transform_implILb0ES3_S5_N6thrust23THRUST_200600_302600_NS6detail15normal_iteratorINS8_7pointerIdNS8_11hip_rocprim5par_tENS8_11use_defaultESE_EEEENSA_INSB_IlSD_SE_SE_EEEEZNS1_13binary_searchIS3_S5_NSA_INS8_10device_ptrIdEEEESG_SI_NS1_21upper_bound_search_opENS9_16wrapped_functionINS8_6system6detail7generic6detail18binary_search_lessEbEEEE10hipError_tPvRmT1_T2_T3_mmT4_T5_P12ihipStream_tbEUlRKdE_EESV_SZ_S10_mS11_S14_bEUlT_E_NS1_11comp_targetILNS1_3genE2ELNS1_11target_archE906ELNS1_3gpuE6ELNS1_3repE0EEENS1_30default_config_static_selectorELNS0_4arch9wavefront6targetE1EEEvSY_
; %bb.0:
	s_load_dwordx4 s[0:3], s[4:5], 0x0
	s_load_dwordx4 s[8:11], s[4:5], 0x18
	s_load_dwordx2 s[12:13], s[4:5], 0x28
	s_load_dword s17, s[4:5], 0x38
	s_waitcnt lgkmcnt(0)
	s_lshl_b64 s[2:3], s[2:3], 3
	s_add_u32 s7, s0, s2
	s_addc_u32 s16, s1, s3
	s_add_u32 s14, s8, s2
	s_addc_u32 s15, s9, s3
	s_lshl_b32 s8, s6, 8
	s_add_i32 s17, s17, -1
	s_mov_b32 s9, 0
	s_cmp_lg_u32 s6, s17
	s_mov_b64 s[0:1], -1
	s_cbranch_scc0 .LBB504_7
; %bb.1:
	s_cmp_eq_u64 s[12:13], 0
	s_mov_b64 s[2:3], 0
	s_cbranch_scc1 .LBB504_5
; %bb.2:
	s_lshl_b64 s[0:1], s[8:9], 3
	s_add_u32 s0, s7, s0
	s_addc_u32 s1, s16, s1
	v_lshlrev_b32_e32 v1, 3, v0
	v_mov_b32_e32 v2, s1
	v_add_co_u32_e32 v1, vcc, s0, v1
	v_addc_co_u32_e32 v2, vcc, 0, v2, vcc
	flat_load_dwordx2 v[3:4], v[1:2]
	v_mov_b32_e32 v1, 0
	v_mov_b32_e32 v5, s12
	;; [unrolled: 1-line block ×5, first 2 shown]
.LBB504_3:                              ; =>This Inner Loop Header: Depth=1
	v_sub_co_u32_e32 v8, vcc, v5, v1
	v_subb_co_u32_e32 v9, vcc, v6, v2, vcc
	v_lshrrev_b64 v[10:11], 1, v[8:9]
	v_lshrrev_b64 v[8:9], 6, v[8:9]
	v_add_co_u32_e32 v10, vcc, v10, v1
	v_addc_co_u32_e32 v11, vcc, v11, v2, vcc
	v_add_co_u32_e32 v8, vcc, v10, v8
	v_addc_co_u32_e32 v9, vcc, v11, v9, vcc
	v_lshlrev_b64 v[10:11], 3, v[8:9]
	v_add_co_u32_e32 v10, vcc, s10, v10
	v_addc_co_u32_e32 v11, vcc, v7, v11, vcc
	global_load_dwordx2 v[10:11], v[10:11], off
	s_waitcnt vmcnt(0) lgkmcnt(0)
	v_cmp_lt_f64_e32 vcc, v[3:4], v[10:11]
	v_add_co_u32_e64 v10, s[0:1], 1, v8
	v_addc_co_u32_e64 v11, s[0:1], 0, v9, s[0:1]
	v_cndmask_b32_e32 v6, v6, v9, vcc
	v_cndmask_b32_e32 v5, v5, v8, vcc
	;; [unrolled: 1-line block ×4, first 2 shown]
	v_cmp_ge_u64_e32 vcc, v[1:2], v[5:6]
	s_or_b64 s[2:3], vcc, s[2:3]
	s_andn2_b64 exec, exec, s[2:3]
	s_cbranch_execnz .LBB504_3
; %bb.4:
	s_or_b64 exec, exec, s[2:3]
	s_branch .LBB504_6
.LBB504_5:
	v_mov_b32_e32 v1, 0
	v_mov_b32_e32 v2, 0
.LBB504_6:
	s_lshl_b64 s[0:1], s[8:9], 3
	s_add_u32 s0, s14, s0
	s_addc_u32 s1, s15, s1
	v_lshlrev_b32_e32 v3, 3, v0
	v_mov_b32_e32 v4, s1
	v_add_co_u32_e32 v3, vcc, s0, v3
	v_addc_co_u32_e32 v4, vcc, 0, v4, vcc
	s_mov_b64 s[0:1], 0
	flat_store_dwordx2 v[3:4], v[1:2]
.LBB504_7:
	s_and_b64 vcc, exec, s[0:1]
	s_cbranch_vccz .LBB504_16
; %bb.8:
	s_load_dword s0, s[4:5], 0x10
                                        ; implicit-def: $vgpr3_vgpr4
	s_waitcnt lgkmcnt(0)
	s_sub_i32 s2, s0, s8
	v_cmp_le_u32_e64 s[0:1], s2, v0
	v_cmp_gt_u32_e32 vcc, s2, v0
	s_and_saveexec_b64 s[4:5], vcc
	s_cbranch_execz .LBB504_10
; %bb.9:
	s_lshl_b64 s[2:3], s[8:9], 3
	s_add_u32 s2, s7, s2
	s_addc_u32 s3, s16, s3
	v_lshlrev_b32_e32 v1, 3, v0
	v_mov_b32_e32 v2, s3
	v_add_co_u32_e64 v1, s[2:3], s2, v1
	v_addc_co_u32_e64 v2, s[2:3], 0, v2, s[2:3]
	flat_load_dwordx2 v[3:4], v[1:2]
.LBB504_10:
	s_or_b64 exec, exec, s[4:5]
	s_cmp_lg_u64 s[12:13], 0
	s_cselect_b64 s[2:3], -1, 0
	s_xor_b64 s[0:1], s[0:1], -1
	v_mov_b32_e32 v1, 0
	s_mov_b64 s[4:5], 0
	v_mov_b32_e32 v2, 0
	s_and_b64 s[0:1], s[0:1], s[2:3]
	s_and_saveexec_b64 s[6:7], s[0:1]
	s_cbranch_execz .LBB504_14
; %bb.11:
	v_mov_b32_e32 v1, 0
	v_mov_b32_e32 v5, s12
	;; [unrolled: 1-line block ×5, first 2 shown]
.LBB504_12:                             ; =>This Inner Loop Header: Depth=1
	v_sub_co_u32_e64 v8, s[0:1], v5, v1
	v_subb_co_u32_e64 v9, s[0:1], v6, v2, s[0:1]
	v_lshrrev_b64 v[10:11], 1, v[8:9]
	v_lshrrev_b64 v[8:9], 6, v[8:9]
	v_add_co_u32_e64 v10, s[0:1], v10, v1
	v_addc_co_u32_e64 v11, s[0:1], v11, v2, s[0:1]
	v_add_co_u32_e64 v8, s[0:1], v10, v8
	v_addc_co_u32_e64 v9, s[0:1], v11, v9, s[0:1]
	v_lshlrev_b64 v[10:11], 3, v[8:9]
	v_add_co_u32_e64 v10, s[0:1], s10, v10
	v_addc_co_u32_e64 v11, s[0:1], v7, v11, s[0:1]
	global_load_dwordx2 v[10:11], v[10:11], off
	s_waitcnt vmcnt(0) lgkmcnt(0)
	v_cmp_lt_f64_e64 s[0:1], v[3:4], v[10:11]
	v_add_co_u32_e64 v10, s[2:3], 1, v8
	v_addc_co_u32_e64 v11, s[2:3], 0, v9, s[2:3]
	v_cndmask_b32_e64 v6, v6, v9, s[0:1]
	v_cndmask_b32_e64 v5, v5, v8, s[0:1]
	;; [unrolled: 1-line block ×4, first 2 shown]
	v_cmp_ge_u64_e64 s[0:1], v[1:2], v[5:6]
	s_or_b64 s[4:5], s[0:1], s[4:5]
	s_andn2_b64 exec, exec, s[4:5]
	s_cbranch_execnz .LBB504_12
; %bb.13:
	s_or_b64 exec, exec, s[4:5]
.LBB504_14:
	s_or_b64 exec, exec, s[6:7]
	s_and_saveexec_b64 s[0:1], vcc
	s_cbranch_execz .LBB504_16
; %bb.15:
	s_lshl_b64 s[0:1], s[8:9], 3
	s_add_u32 s0, s14, s0
	s_addc_u32 s1, s15, s1
	v_lshlrev_b32_e32 v0, 3, v0
	s_waitcnt vmcnt(0) lgkmcnt(0)
	v_mov_b32_e32 v4, s1
	v_add_co_u32_e32 v3, vcc, s0, v0
	v_addc_co_u32_e32 v4, vcc, 0, v4, vcc
	flat_store_dwordx2 v[3:4], v[1:2]
.LBB504_16:
	s_endpgm
	.section	.rodata,"a",@progbits
	.p2align	6, 0x0
	.amdhsa_kernel _ZN7rocprim17ROCPRIM_400000_NS6detail17trampoline_kernelINS0_14default_configENS1_27upper_bound_config_selectorIdlEEZNS1_14transform_implILb0ES3_S5_N6thrust23THRUST_200600_302600_NS6detail15normal_iteratorINS8_7pointerIdNS8_11hip_rocprim5par_tENS8_11use_defaultESE_EEEENSA_INSB_IlSD_SE_SE_EEEEZNS1_13binary_searchIS3_S5_NSA_INS8_10device_ptrIdEEEESG_SI_NS1_21upper_bound_search_opENS9_16wrapped_functionINS8_6system6detail7generic6detail18binary_search_lessEbEEEE10hipError_tPvRmT1_T2_T3_mmT4_T5_P12ihipStream_tbEUlRKdE_EESV_SZ_S10_mS11_S14_bEUlT_E_NS1_11comp_targetILNS1_3genE2ELNS1_11target_archE906ELNS1_3gpuE6ELNS1_3repE0EEENS1_30default_config_static_selectorELNS0_4arch9wavefront6targetE1EEEvSY_
		.amdhsa_group_segment_fixed_size 0
		.amdhsa_private_segment_fixed_size 0
		.amdhsa_kernarg_size 312
		.amdhsa_user_sgpr_count 6
		.amdhsa_user_sgpr_private_segment_buffer 1
		.amdhsa_user_sgpr_dispatch_ptr 0
		.amdhsa_user_sgpr_queue_ptr 0
		.amdhsa_user_sgpr_kernarg_segment_ptr 1
		.amdhsa_user_sgpr_dispatch_id 0
		.amdhsa_user_sgpr_flat_scratch_init 0
		.amdhsa_user_sgpr_private_segment_size 0
		.amdhsa_uses_dynamic_stack 0
		.amdhsa_system_sgpr_private_segment_wavefront_offset 0
		.amdhsa_system_sgpr_workgroup_id_x 1
		.amdhsa_system_sgpr_workgroup_id_y 0
		.amdhsa_system_sgpr_workgroup_id_z 0
		.amdhsa_system_sgpr_workgroup_info 0
		.amdhsa_system_vgpr_workitem_id 0
		.amdhsa_next_free_vgpr 12
		.amdhsa_next_free_sgpr 18
		.amdhsa_reserve_vcc 1
		.amdhsa_reserve_flat_scratch 0
		.amdhsa_float_round_mode_32 0
		.amdhsa_float_round_mode_16_64 0
		.amdhsa_float_denorm_mode_32 3
		.amdhsa_float_denorm_mode_16_64 3
		.amdhsa_dx10_clamp 1
		.amdhsa_ieee_mode 1
		.amdhsa_fp16_overflow 0
		.amdhsa_exception_fp_ieee_invalid_op 0
		.amdhsa_exception_fp_denorm_src 0
		.amdhsa_exception_fp_ieee_div_zero 0
		.amdhsa_exception_fp_ieee_overflow 0
		.amdhsa_exception_fp_ieee_underflow 0
		.amdhsa_exception_fp_ieee_inexact 0
		.amdhsa_exception_int_div_zero 0
	.end_amdhsa_kernel
	.section	.text._ZN7rocprim17ROCPRIM_400000_NS6detail17trampoline_kernelINS0_14default_configENS1_27upper_bound_config_selectorIdlEEZNS1_14transform_implILb0ES3_S5_N6thrust23THRUST_200600_302600_NS6detail15normal_iteratorINS8_7pointerIdNS8_11hip_rocprim5par_tENS8_11use_defaultESE_EEEENSA_INSB_IlSD_SE_SE_EEEEZNS1_13binary_searchIS3_S5_NSA_INS8_10device_ptrIdEEEESG_SI_NS1_21upper_bound_search_opENS9_16wrapped_functionINS8_6system6detail7generic6detail18binary_search_lessEbEEEE10hipError_tPvRmT1_T2_T3_mmT4_T5_P12ihipStream_tbEUlRKdE_EESV_SZ_S10_mS11_S14_bEUlT_E_NS1_11comp_targetILNS1_3genE2ELNS1_11target_archE906ELNS1_3gpuE6ELNS1_3repE0EEENS1_30default_config_static_selectorELNS0_4arch9wavefront6targetE1EEEvSY_,"axG",@progbits,_ZN7rocprim17ROCPRIM_400000_NS6detail17trampoline_kernelINS0_14default_configENS1_27upper_bound_config_selectorIdlEEZNS1_14transform_implILb0ES3_S5_N6thrust23THRUST_200600_302600_NS6detail15normal_iteratorINS8_7pointerIdNS8_11hip_rocprim5par_tENS8_11use_defaultESE_EEEENSA_INSB_IlSD_SE_SE_EEEEZNS1_13binary_searchIS3_S5_NSA_INS8_10device_ptrIdEEEESG_SI_NS1_21upper_bound_search_opENS9_16wrapped_functionINS8_6system6detail7generic6detail18binary_search_lessEbEEEE10hipError_tPvRmT1_T2_T3_mmT4_T5_P12ihipStream_tbEUlRKdE_EESV_SZ_S10_mS11_S14_bEUlT_E_NS1_11comp_targetILNS1_3genE2ELNS1_11target_archE906ELNS1_3gpuE6ELNS1_3repE0EEENS1_30default_config_static_selectorELNS0_4arch9wavefront6targetE1EEEvSY_,comdat
.Lfunc_end504:
	.size	_ZN7rocprim17ROCPRIM_400000_NS6detail17trampoline_kernelINS0_14default_configENS1_27upper_bound_config_selectorIdlEEZNS1_14transform_implILb0ES3_S5_N6thrust23THRUST_200600_302600_NS6detail15normal_iteratorINS8_7pointerIdNS8_11hip_rocprim5par_tENS8_11use_defaultESE_EEEENSA_INSB_IlSD_SE_SE_EEEEZNS1_13binary_searchIS3_S5_NSA_INS8_10device_ptrIdEEEESG_SI_NS1_21upper_bound_search_opENS9_16wrapped_functionINS8_6system6detail7generic6detail18binary_search_lessEbEEEE10hipError_tPvRmT1_T2_T3_mmT4_T5_P12ihipStream_tbEUlRKdE_EESV_SZ_S10_mS11_S14_bEUlT_E_NS1_11comp_targetILNS1_3genE2ELNS1_11target_archE906ELNS1_3gpuE6ELNS1_3repE0EEENS1_30default_config_static_selectorELNS0_4arch9wavefront6targetE1EEEvSY_, .Lfunc_end504-_ZN7rocprim17ROCPRIM_400000_NS6detail17trampoline_kernelINS0_14default_configENS1_27upper_bound_config_selectorIdlEEZNS1_14transform_implILb0ES3_S5_N6thrust23THRUST_200600_302600_NS6detail15normal_iteratorINS8_7pointerIdNS8_11hip_rocprim5par_tENS8_11use_defaultESE_EEEENSA_INSB_IlSD_SE_SE_EEEEZNS1_13binary_searchIS3_S5_NSA_INS8_10device_ptrIdEEEESG_SI_NS1_21upper_bound_search_opENS9_16wrapped_functionINS8_6system6detail7generic6detail18binary_search_lessEbEEEE10hipError_tPvRmT1_T2_T3_mmT4_T5_P12ihipStream_tbEUlRKdE_EESV_SZ_S10_mS11_S14_bEUlT_E_NS1_11comp_targetILNS1_3genE2ELNS1_11target_archE906ELNS1_3gpuE6ELNS1_3repE0EEENS1_30default_config_static_selectorELNS0_4arch9wavefront6targetE1EEEvSY_
                                        ; -- End function
	.set _ZN7rocprim17ROCPRIM_400000_NS6detail17trampoline_kernelINS0_14default_configENS1_27upper_bound_config_selectorIdlEEZNS1_14transform_implILb0ES3_S5_N6thrust23THRUST_200600_302600_NS6detail15normal_iteratorINS8_7pointerIdNS8_11hip_rocprim5par_tENS8_11use_defaultESE_EEEENSA_INSB_IlSD_SE_SE_EEEEZNS1_13binary_searchIS3_S5_NSA_INS8_10device_ptrIdEEEESG_SI_NS1_21upper_bound_search_opENS9_16wrapped_functionINS8_6system6detail7generic6detail18binary_search_lessEbEEEE10hipError_tPvRmT1_T2_T3_mmT4_T5_P12ihipStream_tbEUlRKdE_EESV_SZ_S10_mS11_S14_bEUlT_E_NS1_11comp_targetILNS1_3genE2ELNS1_11target_archE906ELNS1_3gpuE6ELNS1_3repE0EEENS1_30default_config_static_selectorELNS0_4arch9wavefront6targetE1EEEvSY_.num_vgpr, 12
	.set _ZN7rocprim17ROCPRIM_400000_NS6detail17trampoline_kernelINS0_14default_configENS1_27upper_bound_config_selectorIdlEEZNS1_14transform_implILb0ES3_S5_N6thrust23THRUST_200600_302600_NS6detail15normal_iteratorINS8_7pointerIdNS8_11hip_rocprim5par_tENS8_11use_defaultESE_EEEENSA_INSB_IlSD_SE_SE_EEEEZNS1_13binary_searchIS3_S5_NSA_INS8_10device_ptrIdEEEESG_SI_NS1_21upper_bound_search_opENS9_16wrapped_functionINS8_6system6detail7generic6detail18binary_search_lessEbEEEE10hipError_tPvRmT1_T2_T3_mmT4_T5_P12ihipStream_tbEUlRKdE_EESV_SZ_S10_mS11_S14_bEUlT_E_NS1_11comp_targetILNS1_3genE2ELNS1_11target_archE906ELNS1_3gpuE6ELNS1_3repE0EEENS1_30default_config_static_selectorELNS0_4arch9wavefront6targetE1EEEvSY_.num_agpr, 0
	.set _ZN7rocprim17ROCPRIM_400000_NS6detail17trampoline_kernelINS0_14default_configENS1_27upper_bound_config_selectorIdlEEZNS1_14transform_implILb0ES3_S5_N6thrust23THRUST_200600_302600_NS6detail15normal_iteratorINS8_7pointerIdNS8_11hip_rocprim5par_tENS8_11use_defaultESE_EEEENSA_INSB_IlSD_SE_SE_EEEEZNS1_13binary_searchIS3_S5_NSA_INS8_10device_ptrIdEEEESG_SI_NS1_21upper_bound_search_opENS9_16wrapped_functionINS8_6system6detail7generic6detail18binary_search_lessEbEEEE10hipError_tPvRmT1_T2_T3_mmT4_T5_P12ihipStream_tbEUlRKdE_EESV_SZ_S10_mS11_S14_bEUlT_E_NS1_11comp_targetILNS1_3genE2ELNS1_11target_archE906ELNS1_3gpuE6ELNS1_3repE0EEENS1_30default_config_static_selectorELNS0_4arch9wavefront6targetE1EEEvSY_.numbered_sgpr, 18
	.set _ZN7rocprim17ROCPRIM_400000_NS6detail17trampoline_kernelINS0_14default_configENS1_27upper_bound_config_selectorIdlEEZNS1_14transform_implILb0ES3_S5_N6thrust23THRUST_200600_302600_NS6detail15normal_iteratorINS8_7pointerIdNS8_11hip_rocprim5par_tENS8_11use_defaultESE_EEEENSA_INSB_IlSD_SE_SE_EEEEZNS1_13binary_searchIS3_S5_NSA_INS8_10device_ptrIdEEEESG_SI_NS1_21upper_bound_search_opENS9_16wrapped_functionINS8_6system6detail7generic6detail18binary_search_lessEbEEEE10hipError_tPvRmT1_T2_T3_mmT4_T5_P12ihipStream_tbEUlRKdE_EESV_SZ_S10_mS11_S14_bEUlT_E_NS1_11comp_targetILNS1_3genE2ELNS1_11target_archE906ELNS1_3gpuE6ELNS1_3repE0EEENS1_30default_config_static_selectorELNS0_4arch9wavefront6targetE1EEEvSY_.num_named_barrier, 0
	.set _ZN7rocprim17ROCPRIM_400000_NS6detail17trampoline_kernelINS0_14default_configENS1_27upper_bound_config_selectorIdlEEZNS1_14transform_implILb0ES3_S5_N6thrust23THRUST_200600_302600_NS6detail15normal_iteratorINS8_7pointerIdNS8_11hip_rocprim5par_tENS8_11use_defaultESE_EEEENSA_INSB_IlSD_SE_SE_EEEEZNS1_13binary_searchIS3_S5_NSA_INS8_10device_ptrIdEEEESG_SI_NS1_21upper_bound_search_opENS9_16wrapped_functionINS8_6system6detail7generic6detail18binary_search_lessEbEEEE10hipError_tPvRmT1_T2_T3_mmT4_T5_P12ihipStream_tbEUlRKdE_EESV_SZ_S10_mS11_S14_bEUlT_E_NS1_11comp_targetILNS1_3genE2ELNS1_11target_archE906ELNS1_3gpuE6ELNS1_3repE0EEENS1_30default_config_static_selectorELNS0_4arch9wavefront6targetE1EEEvSY_.private_seg_size, 0
	.set _ZN7rocprim17ROCPRIM_400000_NS6detail17trampoline_kernelINS0_14default_configENS1_27upper_bound_config_selectorIdlEEZNS1_14transform_implILb0ES3_S5_N6thrust23THRUST_200600_302600_NS6detail15normal_iteratorINS8_7pointerIdNS8_11hip_rocprim5par_tENS8_11use_defaultESE_EEEENSA_INSB_IlSD_SE_SE_EEEEZNS1_13binary_searchIS3_S5_NSA_INS8_10device_ptrIdEEEESG_SI_NS1_21upper_bound_search_opENS9_16wrapped_functionINS8_6system6detail7generic6detail18binary_search_lessEbEEEE10hipError_tPvRmT1_T2_T3_mmT4_T5_P12ihipStream_tbEUlRKdE_EESV_SZ_S10_mS11_S14_bEUlT_E_NS1_11comp_targetILNS1_3genE2ELNS1_11target_archE906ELNS1_3gpuE6ELNS1_3repE0EEENS1_30default_config_static_selectorELNS0_4arch9wavefront6targetE1EEEvSY_.uses_vcc, 1
	.set _ZN7rocprim17ROCPRIM_400000_NS6detail17trampoline_kernelINS0_14default_configENS1_27upper_bound_config_selectorIdlEEZNS1_14transform_implILb0ES3_S5_N6thrust23THRUST_200600_302600_NS6detail15normal_iteratorINS8_7pointerIdNS8_11hip_rocprim5par_tENS8_11use_defaultESE_EEEENSA_INSB_IlSD_SE_SE_EEEEZNS1_13binary_searchIS3_S5_NSA_INS8_10device_ptrIdEEEESG_SI_NS1_21upper_bound_search_opENS9_16wrapped_functionINS8_6system6detail7generic6detail18binary_search_lessEbEEEE10hipError_tPvRmT1_T2_T3_mmT4_T5_P12ihipStream_tbEUlRKdE_EESV_SZ_S10_mS11_S14_bEUlT_E_NS1_11comp_targetILNS1_3genE2ELNS1_11target_archE906ELNS1_3gpuE6ELNS1_3repE0EEENS1_30default_config_static_selectorELNS0_4arch9wavefront6targetE1EEEvSY_.uses_flat_scratch, 0
	.set _ZN7rocprim17ROCPRIM_400000_NS6detail17trampoline_kernelINS0_14default_configENS1_27upper_bound_config_selectorIdlEEZNS1_14transform_implILb0ES3_S5_N6thrust23THRUST_200600_302600_NS6detail15normal_iteratorINS8_7pointerIdNS8_11hip_rocprim5par_tENS8_11use_defaultESE_EEEENSA_INSB_IlSD_SE_SE_EEEEZNS1_13binary_searchIS3_S5_NSA_INS8_10device_ptrIdEEEESG_SI_NS1_21upper_bound_search_opENS9_16wrapped_functionINS8_6system6detail7generic6detail18binary_search_lessEbEEEE10hipError_tPvRmT1_T2_T3_mmT4_T5_P12ihipStream_tbEUlRKdE_EESV_SZ_S10_mS11_S14_bEUlT_E_NS1_11comp_targetILNS1_3genE2ELNS1_11target_archE906ELNS1_3gpuE6ELNS1_3repE0EEENS1_30default_config_static_selectorELNS0_4arch9wavefront6targetE1EEEvSY_.has_dyn_sized_stack, 0
	.set _ZN7rocprim17ROCPRIM_400000_NS6detail17trampoline_kernelINS0_14default_configENS1_27upper_bound_config_selectorIdlEEZNS1_14transform_implILb0ES3_S5_N6thrust23THRUST_200600_302600_NS6detail15normal_iteratorINS8_7pointerIdNS8_11hip_rocprim5par_tENS8_11use_defaultESE_EEEENSA_INSB_IlSD_SE_SE_EEEEZNS1_13binary_searchIS3_S5_NSA_INS8_10device_ptrIdEEEESG_SI_NS1_21upper_bound_search_opENS9_16wrapped_functionINS8_6system6detail7generic6detail18binary_search_lessEbEEEE10hipError_tPvRmT1_T2_T3_mmT4_T5_P12ihipStream_tbEUlRKdE_EESV_SZ_S10_mS11_S14_bEUlT_E_NS1_11comp_targetILNS1_3genE2ELNS1_11target_archE906ELNS1_3gpuE6ELNS1_3repE0EEENS1_30default_config_static_selectorELNS0_4arch9wavefront6targetE1EEEvSY_.has_recursion, 0
	.set _ZN7rocprim17ROCPRIM_400000_NS6detail17trampoline_kernelINS0_14default_configENS1_27upper_bound_config_selectorIdlEEZNS1_14transform_implILb0ES3_S5_N6thrust23THRUST_200600_302600_NS6detail15normal_iteratorINS8_7pointerIdNS8_11hip_rocprim5par_tENS8_11use_defaultESE_EEEENSA_INSB_IlSD_SE_SE_EEEEZNS1_13binary_searchIS3_S5_NSA_INS8_10device_ptrIdEEEESG_SI_NS1_21upper_bound_search_opENS9_16wrapped_functionINS8_6system6detail7generic6detail18binary_search_lessEbEEEE10hipError_tPvRmT1_T2_T3_mmT4_T5_P12ihipStream_tbEUlRKdE_EESV_SZ_S10_mS11_S14_bEUlT_E_NS1_11comp_targetILNS1_3genE2ELNS1_11target_archE906ELNS1_3gpuE6ELNS1_3repE0EEENS1_30default_config_static_selectorELNS0_4arch9wavefront6targetE1EEEvSY_.has_indirect_call, 0
	.section	.AMDGPU.csdata,"",@progbits
; Kernel info:
; codeLenInByte = 708
; TotalNumSgprs: 22
; NumVgprs: 12
; ScratchSize: 0
; MemoryBound: 0
; FloatMode: 240
; IeeeMode: 1
; LDSByteSize: 0 bytes/workgroup (compile time only)
; SGPRBlocks: 2
; VGPRBlocks: 2
; NumSGPRsForWavesPerEU: 22
; NumVGPRsForWavesPerEU: 12
; Occupancy: 10
; WaveLimiterHint : 0
; COMPUTE_PGM_RSRC2:SCRATCH_EN: 0
; COMPUTE_PGM_RSRC2:USER_SGPR: 6
; COMPUTE_PGM_RSRC2:TRAP_HANDLER: 0
; COMPUTE_PGM_RSRC2:TGID_X_EN: 1
; COMPUTE_PGM_RSRC2:TGID_Y_EN: 0
; COMPUTE_PGM_RSRC2:TGID_Z_EN: 0
; COMPUTE_PGM_RSRC2:TIDIG_COMP_CNT: 0
	.section	.text._ZN7rocprim17ROCPRIM_400000_NS6detail17trampoline_kernelINS0_14default_configENS1_27upper_bound_config_selectorIdlEEZNS1_14transform_implILb0ES3_S5_N6thrust23THRUST_200600_302600_NS6detail15normal_iteratorINS8_7pointerIdNS8_11hip_rocprim5par_tENS8_11use_defaultESE_EEEENSA_INSB_IlSD_SE_SE_EEEEZNS1_13binary_searchIS3_S5_NSA_INS8_10device_ptrIdEEEESG_SI_NS1_21upper_bound_search_opENS9_16wrapped_functionINS8_6system6detail7generic6detail18binary_search_lessEbEEEE10hipError_tPvRmT1_T2_T3_mmT4_T5_P12ihipStream_tbEUlRKdE_EESV_SZ_S10_mS11_S14_bEUlT_E_NS1_11comp_targetILNS1_3genE10ELNS1_11target_archE1201ELNS1_3gpuE5ELNS1_3repE0EEENS1_30default_config_static_selectorELNS0_4arch9wavefront6targetE1EEEvSY_,"axG",@progbits,_ZN7rocprim17ROCPRIM_400000_NS6detail17trampoline_kernelINS0_14default_configENS1_27upper_bound_config_selectorIdlEEZNS1_14transform_implILb0ES3_S5_N6thrust23THRUST_200600_302600_NS6detail15normal_iteratorINS8_7pointerIdNS8_11hip_rocprim5par_tENS8_11use_defaultESE_EEEENSA_INSB_IlSD_SE_SE_EEEEZNS1_13binary_searchIS3_S5_NSA_INS8_10device_ptrIdEEEESG_SI_NS1_21upper_bound_search_opENS9_16wrapped_functionINS8_6system6detail7generic6detail18binary_search_lessEbEEEE10hipError_tPvRmT1_T2_T3_mmT4_T5_P12ihipStream_tbEUlRKdE_EESV_SZ_S10_mS11_S14_bEUlT_E_NS1_11comp_targetILNS1_3genE10ELNS1_11target_archE1201ELNS1_3gpuE5ELNS1_3repE0EEENS1_30default_config_static_selectorELNS0_4arch9wavefront6targetE1EEEvSY_,comdat
	.protected	_ZN7rocprim17ROCPRIM_400000_NS6detail17trampoline_kernelINS0_14default_configENS1_27upper_bound_config_selectorIdlEEZNS1_14transform_implILb0ES3_S5_N6thrust23THRUST_200600_302600_NS6detail15normal_iteratorINS8_7pointerIdNS8_11hip_rocprim5par_tENS8_11use_defaultESE_EEEENSA_INSB_IlSD_SE_SE_EEEEZNS1_13binary_searchIS3_S5_NSA_INS8_10device_ptrIdEEEESG_SI_NS1_21upper_bound_search_opENS9_16wrapped_functionINS8_6system6detail7generic6detail18binary_search_lessEbEEEE10hipError_tPvRmT1_T2_T3_mmT4_T5_P12ihipStream_tbEUlRKdE_EESV_SZ_S10_mS11_S14_bEUlT_E_NS1_11comp_targetILNS1_3genE10ELNS1_11target_archE1201ELNS1_3gpuE5ELNS1_3repE0EEENS1_30default_config_static_selectorELNS0_4arch9wavefront6targetE1EEEvSY_ ; -- Begin function _ZN7rocprim17ROCPRIM_400000_NS6detail17trampoline_kernelINS0_14default_configENS1_27upper_bound_config_selectorIdlEEZNS1_14transform_implILb0ES3_S5_N6thrust23THRUST_200600_302600_NS6detail15normal_iteratorINS8_7pointerIdNS8_11hip_rocprim5par_tENS8_11use_defaultESE_EEEENSA_INSB_IlSD_SE_SE_EEEEZNS1_13binary_searchIS3_S5_NSA_INS8_10device_ptrIdEEEESG_SI_NS1_21upper_bound_search_opENS9_16wrapped_functionINS8_6system6detail7generic6detail18binary_search_lessEbEEEE10hipError_tPvRmT1_T2_T3_mmT4_T5_P12ihipStream_tbEUlRKdE_EESV_SZ_S10_mS11_S14_bEUlT_E_NS1_11comp_targetILNS1_3genE10ELNS1_11target_archE1201ELNS1_3gpuE5ELNS1_3repE0EEENS1_30default_config_static_selectorELNS0_4arch9wavefront6targetE1EEEvSY_
	.globl	_ZN7rocprim17ROCPRIM_400000_NS6detail17trampoline_kernelINS0_14default_configENS1_27upper_bound_config_selectorIdlEEZNS1_14transform_implILb0ES3_S5_N6thrust23THRUST_200600_302600_NS6detail15normal_iteratorINS8_7pointerIdNS8_11hip_rocprim5par_tENS8_11use_defaultESE_EEEENSA_INSB_IlSD_SE_SE_EEEEZNS1_13binary_searchIS3_S5_NSA_INS8_10device_ptrIdEEEESG_SI_NS1_21upper_bound_search_opENS9_16wrapped_functionINS8_6system6detail7generic6detail18binary_search_lessEbEEEE10hipError_tPvRmT1_T2_T3_mmT4_T5_P12ihipStream_tbEUlRKdE_EESV_SZ_S10_mS11_S14_bEUlT_E_NS1_11comp_targetILNS1_3genE10ELNS1_11target_archE1201ELNS1_3gpuE5ELNS1_3repE0EEENS1_30default_config_static_selectorELNS0_4arch9wavefront6targetE1EEEvSY_
	.p2align	8
	.type	_ZN7rocprim17ROCPRIM_400000_NS6detail17trampoline_kernelINS0_14default_configENS1_27upper_bound_config_selectorIdlEEZNS1_14transform_implILb0ES3_S5_N6thrust23THRUST_200600_302600_NS6detail15normal_iteratorINS8_7pointerIdNS8_11hip_rocprim5par_tENS8_11use_defaultESE_EEEENSA_INSB_IlSD_SE_SE_EEEEZNS1_13binary_searchIS3_S5_NSA_INS8_10device_ptrIdEEEESG_SI_NS1_21upper_bound_search_opENS9_16wrapped_functionINS8_6system6detail7generic6detail18binary_search_lessEbEEEE10hipError_tPvRmT1_T2_T3_mmT4_T5_P12ihipStream_tbEUlRKdE_EESV_SZ_S10_mS11_S14_bEUlT_E_NS1_11comp_targetILNS1_3genE10ELNS1_11target_archE1201ELNS1_3gpuE5ELNS1_3repE0EEENS1_30default_config_static_selectorELNS0_4arch9wavefront6targetE1EEEvSY_,@function
_ZN7rocprim17ROCPRIM_400000_NS6detail17trampoline_kernelINS0_14default_configENS1_27upper_bound_config_selectorIdlEEZNS1_14transform_implILb0ES3_S5_N6thrust23THRUST_200600_302600_NS6detail15normal_iteratorINS8_7pointerIdNS8_11hip_rocprim5par_tENS8_11use_defaultESE_EEEENSA_INSB_IlSD_SE_SE_EEEEZNS1_13binary_searchIS3_S5_NSA_INS8_10device_ptrIdEEEESG_SI_NS1_21upper_bound_search_opENS9_16wrapped_functionINS8_6system6detail7generic6detail18binary_search_lessEbEEEE10hipError_tPvRmT1_T2_T3_mmT4_T5_P12ihipStream_tbEUlRKdE_EESV_SZ_S10_mS11_S14_bEUlT_E_NS1_11comp_targetILNS1_3genE10ELNS1_11target_archE1201ELNS1_3gpuE5ELNS1_3repE0EEENS1_30default_config_static_selectorELNS0_4arch9wavefront6targetE1EEEvSY_: ; @_ZN7rocprim17ROCPRIM_400000_NS6detail17trampoline_kernelINS0_14default_configENS1_27upper_bound_config_selectorIdlEEZNS1_14transform_implILb0ES3_S5_N6thrust23THRUST_200600_302600_NS6detail15normal_iteratorINS8_7pointerIdNS8_11hip_rocprim5par_tENS8_11use_defaultESE_EEEENSA_INSB_IlSD_SE_SE_EEEEZNS1_13binary_searchIS3_S5_NSA_INS8_10device_ptrIdEEEESG_SI_NS1_21upper_bound_search_opENS9_16wrapped_functionINS8_6system6detail7generic6detail18binary_search_lessEbEEEE10hipError_tPvRmT1_T2_T3_mmT4_T5_P12ihipStream_tbEUlRKdE_EESV_SZ_S10_mS11_S14_bEUlT_E_NS1_11comp_targetILNS1_3genE10ELNS1_11target_archE1201ELNS1_3gpuE5ELNS1_3repE0EEENS1_30default_config_static_selectorELNS0_4arch9wavefront6targetE1EEEvSY_
; %bb.0:
	.section	.rodata,"a",@progbits
	.p2align	6, 0x0
	.amdhsa_kernel _ZN7rocprim17ROCPRIM_400000_NS6detail17trampoline_kernelINS0_14default_configENS1_27upper_bound_config_selectorIdlEEZNS1_14transform_implILb0ES3_S5_N6thrust23THRUST_200600_302600_NS6detail15normal_iteratorINS8_7pointerIdNS8_11hip_rocprim5par_tENS8_11use_defaultESE_EEEENSA_INSB_IlSD_SE_SE_EEEEZNS1_13binary_searchIS3_S5_NSA_INS8_10device_ptrIdEEEESG_SI_NS1_21upper_bound_search_opENS9_16wrapped_functionINS8_6system6detail7generic6detail18binary_search_lessEbEEEE10hipError_tPvRmT1_T2_T3_mmT4_T5_P12ihipStream_tbEUlRKdE_EESV_SZ_S10_mS11_S14_bEUlT_E_NS1_11comp_targetILNS1_3genE10ELNS1_11target_archE1201ELNS1_3gpuE5ELNS1_3repE0EEENS1_30default_config_static_selectorELNS0_4arch9wavefront6targetE1EEEvSY_
		.amdhsa_group_segment_fixed_size 0
		.amdhsa_private_segment_fixed_size 0
		.amdhsa_kernarg_size 56
		.amdhsa_user_sgpr_count 6
		.amdhsa_user_sgpr_private_segment_buffer 1
		.amdhsa_user_sgpr_dispatch_ptr 0
		.amdhsa_user_sgpr_queue_ptr 0
		.amdhsa_user_sgpr_kernarg_segment_ptr 1
		.amdhsa_user_sgpr_dispatch_id 0
		.amdhsa_user_sgpr_flat_scratch_init 0
		.amdhsa_user_sgpr_private_segment_size 0
		.amdhsa_uses_dynamic_stack 0
		.amdhsa_system_sgpr_private_segment_wavefront_offset 0
		.amdhsa_system_sgpr_workgroup_id_x 1
		.amdhsa_system_sgpr_workgroup_id_y 0
		.amdhsa_system_sgpr_workgroup_id_z 0
		.amdhsa_system_sgpr_workgroup_info 0
		.amdhsa_system_vgpr_workitem_id 0
		.amdhsa_next_free_vgpr 1
		.amdhsa_next_free_sgpr 0
		.amdhsa_reserve_vcc 0
		.amdhsa_reserve_flat_scratch 0
		.amdhsa_float_round_mode_32 0
		.amdhsa_float_round_mode_16_64 0
		.amdhsa_float_denorm_mode_32 3
		.amdhsa_float_denorm_mode_16_64 3
		.amdhsa_dx10_clamp 1
		.amdhsa_ieee_mode 1
		.amdhsa_fp16_overflow 0
		.amdhsa_exception_fp_ieee_invalid_op 0
		.amdhsa_exception_fp_denorm_src 0
		.amdhsa_exception_fp_ieee_div_zero 0
		.amdhsa_exception_fp_ieee_overflow 0
		.amdhsa_exception_fp_ieee_underflow 0
		.amdhsa_exception_fp_ieee_inexact 0
		.amdhsa_exception_int_div_zero 0
	.end_amdhsa_kernel
	.section	.text._ZN7rocprim17ROCPRIM_400000_NS6detail17trampoline_kernelINS0_14default_configENS1_27upper_bound_config_selectorIdlEEZNS1_14transform_implILb0ES3_S5_N6thrust23THRUST_200600_302600_NS6detail15normal_iteratorINS8_7pointerIdNS8_11hip_rocprim5par_tENS8_11use_defaultESE_EEEENSA_INSB_IlSD_SE_SE_EEEEZNS1_13binary_searchIS3_S5_NSA_INS8_10device_ptrIdEEEESG_SI_NS1_21upper_bound_search_opENS9_16wrapped_functionINS8_6system6detail7generic6detail18binary_search_lessEbEEEE10hipError_tPvRmT1_T2_T3_mmT4_T5_P12ihipStream_tbEUlRKdE_EESV_SZ_S10_mS11_S14_bEUlT_E_NS1_11comp_targetILNS1_3genE10ELNS1_11target_archE1201ELNS1_3gpuE5ELNS1_3repE0EEENS1_30default_config_static_selectorELNS0_4arch9wavefront6targetE1EEEvSY_,"axG",@progbits,_ZN7rocprim17ROCPRIM_400000_NS6detail17trampoline_kernelINS0_14default_configENS1_27upper_bound_config_selectorIdlEEZNS1_14transform_implILb0ES3_S5_N6thrust23THRUST_200600_302600_NS6detail15normal_iteratorINS8_7pointerIdNS8_11hip_rocprim5par_tENS8_11use_defaultESE_EEEENSA_INSB_IlSD_SE_SE_EEEEZNS1_13binary_searchIS3_S5_NSA_INS8_10device_ptrIdEEEESG_SI_NS1_21upper_bound_search_opENS9_16wrapped_functionINS8_6system6detail7generic6detail18binary_search_lessEbEEEE10hipError_tPvRmT1_T2_T3_mmT4_T5_P12ihipStream_tbEUlRKdE_EESV_SZ_S10_mS11_S14_bEUlT_E_NS1_11comp_targetILNS1_3genE10ELNS1_11target_archE1201ELNS1_3gpuE5ELNS1_3repE0EEENS1_30default_config_static_selectorELNS0_4arch9wavefront6targetE1EEEvSY_,comdat
.Lfunc_end505:
	.size	_ZN7rocprim17ROCPRIM_400000_NS6detail17trampoline_kernelINS0_14default_configENS1_27upper_bound_config_selectorIdlEEZNS1_14transform_implILb0ES3_S5_N6thrust23THRUST_200600_302600_NS6detail15normal_iteratorINS8_7pointerIdNS8_11hip_rocprim5par_tENS8_11use_defaultESE_EEEENSA_INSB_IlSD_SE_SE_EEEEZNS1_13binary_searchIS3_S5_NSA_INS8_10device_ptrIdEEEESG_SI_NS1_21upper_bound_search_opENS9_16wrapped_functionINS8_6system6detail7generic6detail18binary_search_lessEbEEEE10hipError_tPvRmT1_T2_T3_mmT4_T5_P12ihipStream_tbEUlRKdE_EESV_SZ_S10_mS11_S14_bEUlT_E_NS1_11comp_targetILNS1_3genE10ELNS1_11target_archE1201ELNS1_3gpuE5ELNS1_3repE0EEENS1_30default_config_static_selectorELNS0_4arch9wavefront6targetE1EEEvSY_, .Lfunc_end505-_ZN7rocprim17ROCPRIM_400000_NS6detail17trampoline_kernelINS0_14default_configENS1_27upper_bound_config_selectorIdlEEZNS1_14transform_implILb0ES3_S5_N6thrust23THRUST_200600_302600_NS6detail15normal_iteratorINS8_7pointerIdNS8_11hip_rocprim5par_tENS8_11use_defaultESE_EEEENSA_INSB_IlSD_SE_SE_EEEEZNS1_13binary_searchIS3_S5_NSA_INS8_10device_ptrIdEEEESG_SI_NS1_21upper_bound_search_opENS9_16wrapped_functionINS8_6system6detail7generic6detail18binary_search_lessEbEEEE10hipError_tPvRmT1_T2_T3_mmT4_T5_P12ihipStream_tbEUlRKdE_EESV_SZ_S10_mS11_S14_bEUlT_E_NS1_11comp_targetILNS1_3genE10ELNS1_11target_archE1201ELNS1_3gpuE5ELNS1_3repE0EEENS1_30default_config_static_selectorELNS0_4arch9wavefront6targetE1EEEvSY_
                                        ; -- End function
	.set _ZN7rocprim17ROCPRIM_400000_NS6detail17trampoline_kernelINS0_14default_configENS1_27upper_bound_config_selectorIdlEEZNS1_14transform_implILb0ES3_S5_N6thrust23THRUST_200600_302600_NS6detail15normal_iteratorINS8_7pointerIdNS8_11hip_rocprim5par_tENS8_11use_defaultESE_EEEENSA_INSB_IlSD_SE_SE_EEEEZNS1_13binary_searchIS3_S5_NSA_INS8_10device_ptrIdEEEESG_SI_NS1_21upper_bound_search_opENS9_16wrapped_functionINS8_6system6detail7generic6detail18binary_search_lessEbEEEE10hipError_tPvRmT1_T2_T3_mmT4_T5_P12ihipStream_tbEUlRKdE_EESV_SZ_S10_mS11_S14_bEUlT_E_NS1_11comp_targetILNS1_3genE10ELNS1_11target_archE1201ELNS1_3gpuE5ELNS1_3repE0EEENS1_30default_config_static_selectorELNS0_4arch9wavefront6targetE1EEEvSY_.num_vgpr, 0
	.set _ZN7rocprim17ROCPRIM_400000_NS6detail17trampoline_kernelINS0_14default_configENS1_27upper_bound_config_selectorIdlEEZNS1_14transform_implILb0ES3_S5_N6thrust23THRUST_200600_302600_NS6detail15normal_iteratorINS8_7pointerIdNS8_11hip_rocprim5par_tENS8_11use_defaultESE_EEEENSA_INSB_IlSD_SE_SE_EEEEZNS1_13binary_searchIS3_S5_NSA_INS8_10device_ptrIdEEEESG_SI_NS1_21upper_bound_search_opENS9_16wrapped_functionINS8_6system6detail7generic6detail18binary_search_lessEbEEEE10hipError_tPvRmT1_T2_T3_mmT4_T5_P12ihipStream_tbEUlRKdE_EESV_SZ_S10_mS11_S14_bEUlT_E_NS1_11comp_targetILNS1_3genE10ELNS1_11target_archE1201ELNS1_3gpuE5ELNS1_3repE0EEENS1_30default_config_static_selectorELNS0_4arch9wavefront6targetE1EEEvSY_.num_agpr, 0
	.set _ZN7rocprim17ROCPRIM_400000_NS6detail17trampoline_kernelINS0_14default_configENS1_27upper_bound_config_selectorIdlEEZNS1_14transform_implILb0ES3_S5_N6thrust23THRUST_200600_302600_NS6detail15normal_iteratorINS8_7pointerIdNS8_11hip_rocprim5par_tENS8_11use_defaultESE_EEEENSA_INSB_IlSD_SE_SE_EEEEZNS1_13binary_searchIS3_S5_NSA_INS8_10device_ptrIdEEEESG_SI_NS1_21upper_bound_search_opENS9_16wrapped_functionINS8_6system6detail7generic6detail18binary_search_lessEbEEEE10hipError_tPvRmT1_T2_T3_mmT4_T5_P12ihipStream_tbEUlRKdE_EESV_SZ_S10_mS11_S14_bEUlT_E_NS1_11comp_targetILNS1_3genE10ELNS1_11target_archE1201ELNS1_3gpuE5ELNS1_3repE0EEENS1_30default_config_static_selectorELNS0_4arch9wavefront6targetE1EEEvSY_.numbered_sgpr, 0
	.set _ZN7rocprim17ROCPRIM_400000_NS6detail17trampoline_kernelINS0_14default_configENS1_27upper_bound_config_selectorIdlEEZNS1_14transform_implILb0ES3_S5_N6thrust23THRUST_200600_302600_NS6detail15normal_iteratorINS8_7pointerIdNS8_11hip_rocprim5par_tENS8_11use_defaultESE_EEEENSA_INSB_IlSD_SE_SE_EEEEZNS1_13binary_searchIS3_S5_NSA_INS8_10device_ptrIdEEEESG_SI_NS1_21upper_bound_search_opENS9_16wrapped_functionINS8_6system6detail7generic6detail18binary_search_lessEbEEEE10hipError_tPvRmT1_T2_T3_mmT4_T5_P12ihipStream_tbEUlRKdE_EESV_SZ_S10_mS11_S14_bEUlT_E_NS1_11comp_targetILNS1_3genE10ELNS1_11target_archE1201ELNS1_3gpuE5ELNS1_3repE0EEENS1_30default_config_static_selectorELNS0_4arch9wavefront6targetE1EEEvSY_.num_named_barrier, 0
	.set _ZN7rocprim17ROCPRIM_400000_NS6detail17trampoline_kernelINS0_14default_configENS1_27upper_bound_config_selectorIdlEEZNS1_14transform_implILb0ES3_S5_N6thrust23THRUST_200600_302600_NS6detail15normal_iteratorINS8_7pointerIdNS8_11hip_rocprim5par_tENS8_11use_defaultESE_EEEENSA_INSB_IlSD_SE_SE_EEEEZNS1_13binary_searchIS3_S5_NSA_INS8_10device_ptrIdEEEESG_SI_NS1_21upper_bound_search_opENS9_16wrapped_functionINS8_6system6detail7generic6detail18binary_search_lessEbEEEE10hipError_tPvRmT1_T2_T3_mmT4_T5_P12ihipStream_tbEUlRKdE_EESV_SZ_S10_mS11_S14_bEUlT_E_NS1_11comp_targetILNS1_3genE10ELNS1_11target_archE1201ELNS1_3gpuE5ELNS1_3repE0EEENS1_30default_config_static_selectorELNS0_4arch9wavefront6targetE1EEEvSY_.private_seg_size, 0
	.set _ZN7rocprim17ROCPRIM_400000_NS6detail17trampoline_kernelINS0_14default_configENS1_27upper_bound_config_selectorIdlEEZNS1_14transform_implILb0ES3_S5_N6thrust23THRUST_200600_302600_NS6detail15normal_iteratorINS8_7pointerIdNS8_11hip_rocprim5par_tENS8_11use_defaultESE_EEEENSA_INSB_IlSD_SE_SE_EEEEZNS1_13binary_searchIS3_S5_NSA_INS8_10device_ptrIdEEEESG_SI_NS1_21upper_bound_search_opENS9_16wrapped_functionINS8_6system6detail7generic6detail18binary_search_lessEbEEEE10hipError_tPvRmT1_T2_T3_mmT4_T5_P12ihipStream_tbEUlRKdE_EESV_SZ_S10_mS11_S14_bEUlT_E_NS1_11comp_targetILNS1_3genE10ELNS1_11target_archE1201ELNS1_3gpuE5ELNS1_3repE0EEENS1_30default_config_static_selectorELNS0_4arch9wavefront6targetE1EEEvSY_.uses_vcc, 0
	.set _ZN7rocprim17ROCPRIM_400000_NS6detail17trampoline_kernelINS0_14default_configENS1_27upper_bound_config_selectorIdlEEZNS1_14transform_implILb0ES3_S5_N6thrust23THRUST_200600_302600_NS6detail15normal_iteratorINS8_7pointerIdNS8_11hip_rocprim5par_tENS8_11use_defaultESE_EEEENSA_INSB_IlSD_SE_SE_EEEEZNS1_13binary_searchIS3_S5_NSA_INS8_10device_ptrIdEEEESG_SI_NS1_21upper_bound_search_opENS9_16wrapped_functionINS8_6system6detail7generic6detail18binary_search_lessEbEEEE10hipError_tPvRmT1_T2_T3_mmT4_T5_P12ihipStream_tbEUlRKdE_EESV_SZ_S10_mS11_S14_bEUlT_E_NS1_11comp_targetILNS1_3genE10ELNS1_11target_archE1201ELNS1_3gpuE5ELNS1_3repE0EEENS1_30default_config_static_selectorELNS0_4arch9wavefront6targetE1EEEvSY_.uses_flat_scratch, 0
	.set _ZN7rocprim17ROCPRIM_400000_NS6detail17trampoline_kernelINS0_14default_configENS1_27upper_bound_config_selectorIdlEEZNS1_14transform_implILb0ES3_S5_N6thrust23THRUST_200600_302600_NS6detail15normal_iteratorINS8_7pointerIdNS8_11hip_rocprim5par_tENS8_11use_defaultESE_EEEENSA_INSB_IlSD_SE_SE_EEEEZNS1_13binary_searchIS3_S5_NSA_INS8_10device_ptrIdEEEESG_SI_NS1_21upper_bound_search_opENS9_16wrapped_functionINS8_6system6detail7generic6detail18binary_search_lessEbEEEE10hipError_tPvRmT1_T2_T3_mmT4_T5_P12ihipStream_tbEUlRKdE_EESV_SZ_S10_mS11_S14_bEUlT_E_NS1_11comp_targetILNS1_3genE10ELNS1_11target_archE1201ELNS1_3gpuE5ELNS1_3repE0EEENS1_30default_config_static_selectorELNS0_4arch9wavefront6targetE1EEEvSY_.has_dyn_sized_stack, 0
	.set _ZN7rocprim17ROCPRIM_400000_NS6detail17trampoline_kernelINS0_14default_configENS1_27upper_bound_config_selectorIdlEEZNS1_14transform_implILb0ES3_S5_N6thrust23THRUST_200600_302600_NS6detail15normal_iteratorINS8_7pointerIdNS8_11hip_rocprim5par_tENS8_11use_defaultESE_EEEENSA_INSB_IlSD_SE_SE_EEEEZNS1_13binary_searchIS3_S5_NSA_INS8_10device_ptrIdEEEESG_SI_NS1_21upper_bound_search_opENS9_16wrapped_functionINS8_6system6detail7generic6detail18binary_search_lessEbEEEE10hipError_tPvRmT1_T2_T3_mmT4_T5_P12ihipStream_tbEUlRKdE_EESV_SZ_S10_mS11_S14_bEUlT_E_NS1_11comp_targetILNS1_3genE10ELNS1_11target_archE1201ELNS1_3gpuE5ELNS1_3repE0EEENS1_30default_config_static_selectorELNS0_4arch9wavefront6targetE1EEEvSY_.has_recursion, 0
	.set _ZN7rocprim17ROCPRIM_400000_NS6detail17trampoline_kernelINS0_14default_configENS1_27upper_bound_config_selectorIdlEEZNS1_14transform_implILb0ES3_S5_N6thrust23THRUST_200600_302600_NS6detail15normal_iteratorINS8_7pointerIdNS8_11hip_rocprim5par_tENS8_11use_defaultESE_EEEENSA_INSB_IlSD_SE_SE_EEEEZNS1_13binary_searchIS3_S5_NSA_INS8_10device_ptrIdEEEESG_SI_NS1_21upper_bound_search_opENS9_16wrapped_functionINS8_6system6detail7generic6detail18binary_search_lessEbEEEE10hipError_tPvRmT1_T2_T3_mmT4_T5_P12ihipStream_tbEUlRKdE_EESV_SZ_S10_mS11_S14_bEUlT_E_NS1_11comp_targetILNS1_3genE10ELNS1_11target_archE1201ELNS1_3gpuE5ELNS1_3repE0EEENS1_30default_config_static_selectorELNS0_4arch9wavefront6targetE1EEEvSY_.has_indirect_call, 0
	.section	.AMDGPU.csdata,"",@progbits
; Kernel info:
; codeLenInByte = 0
; TotalNumSgprs: 4
; NumVgprs: 0
; ScratchSize: 0
; MemoryBound: 0
; FloatMode: 240
; IeeeMode: 1
; LDSByteSize: 0 bytes/workgroup (compile time only)
; SGPRBlocks: 0
; VGPRBlocks: 0
; NumSGPRsForWavesPerEU: 4
; NumVGPRsForWavesPerEU: 1
; Occupancy: 10
; WaveLimiterHint : 0
; COMPUTE_PGM_RSRC2:SCRATCH_EN: 0
; COMPUTE_PGM_RSRC2:USER_SGPR: 6
; COMPUTE_PGM_RSRC2:TRAP_HANDLER: 0
; COMPUTE_PGM_RSRC2:TGID_X_EN: 1
; COMPUTE_PGM_RSRC2:TGID_Y_EN: 0
; COMPUTE_PGM_RSRC2:TGID_Z_EN: 0
; COMPUTE_PGM_RSRC2:TIDIG_COMP_CNT: 0
	.section	.text._ZN7rocprim17ROCPRIM_400000_NS6detail17trampoline_kernelINS0_14default_configENS1_27upper_bound_config_selectorIdlEEZNS1_14transform_implILb0ES3_S5_N6thrust23THRUST_200600_302600_NS6detail15normal_iteratorINS8_7pointerIdNS8_11hip_rocprim5par_tENS8_11use_defaultESE_EEEENSA_INSB_IlSD_SE_SE_EEEEZNS1_13binary_searchIS3_S5_NSA_INS8_10device_ptrIdEEEESG_SI_NS1_21upper_bound_search_opENS9_16wrapped_functionINS8_6system6detail7generic6detail18binary_search_lessEbEEEE10hipError_tPvRmT1_T2_T3_mmT4_T5_P12ihipStream_tbEUlRKdE_EESV_SZ_S10_mS11_S14_bEUlT_E_NS1_11comp_targetILNS1_3genE10ELNS1_11target_archE1200ELNS1_3gpuE4ELNS1_3repE0EEENS1_30default_config_static_selectorELNS0_4arch9wavefront6targetE1EEEvSY_,"axG",@progbits,_ZN7rocprim17ROCPRIM_400000_NS6detail17trampoline_kernelINS0_14default_configENS1_27upper_bound_config_selectorIdlEEZNS1_14transform_implILb0ES3_S5_N6thrust23THRUST_200600_302600_NS6detail15normal_iteratorINS8_7pointerIdNS8_11hip_rocprim5par_tENS8_11use_defaultESE_EEEENSA_INSB_IlSD_SE_SE_EEEEZNS1_13binary_searchIS3_S5_NSA_INS8_10device_ptrIdEEEESG_SI_NS1_21upper_bound_search_opENS9_16wrapped_functionINS8_6system6detail7generic6detail18binary_search_lessEbEEEE10hipError_tPvRmT1_T2_T3_mmT4_T5_P12ihipStream_tbEUlRKdE_EESV_SZ_S10_mS11_S14_bEUlT_E_NS1_11comp_targetILNS1_3genE10ELNS1_11target_archE1200ELNS1_3gpuE4ELNS1_3repE0EEENS1_30default_config_static_selectorELNS0_4arch9wavefront6targetE1EEEvSY_,comdat
	.protected	_ZN7rocprim17ROCPRIM_400000_NS6detail17trampoline_kernelINS0_14default_configENS1_27upper_bound_config_selectorIdlEEZNS1_14transform_implILb0ES3_S5_N6thrust23THRUST_200600_302600_NS6detail15normal_iteratorINS8_7pointerIdNS8_11hip_rocprim5par_tENS8_11use_defaultESE_EEEENSA_INSB_IlSD_SE_SE_EEEEZNS1_13binary_searchIS3_S5_NSA_INS8_10device_ptrIdEEEESG_SI_NS1_21upper_bound_search_opENS9_16wrapped_functionINS8_6system6detail7generic6detail18binary_search_lessEbEEEE10hipError_tPvRmT1_T2_T3_mmT4_T5_P12ihipStream_tbEUlRKdE_EESV_SZ_S10_mS11_S14_bEUlT_E_NS1_11comp_targetILNS1_3genE10ELNS1_11target_archE1200ELNS1_3gpuE4ELNS1_3repE0EEENS1_30default_config_static_selectorELNS0_4arch9wavefront6targetE1EEEvSY_ ; -- Begin function _ZN7rocprim17ROCPRIM_400000_NS6detail17trampoline_kernelINS0_14default_configENS1_27upper_bound_config_selectorIdlEEZNS1_14transform_implILb0ES3_S5_N6thrust23THRUST_200600_302600_NS6detail15normal_iteratorINS8_7pointerIdNS8_11hip_rocprim5par_tENS8_11use_defaultESE_EEEENSA_INSB_IlSD_SE_SE_EEEEZNS1_13binary_searchIS3_S5_NSA_INS8_10device_ptrIdEEEESG_SI_NS1_21upper_bound_search_opENS9_16wrapped_functionINS8_6system6detail7generic6detail18binary_search_lessEbEEEE10hipError_tPvRmT1_T2_T3_mmT4_T5_P12ihipStream_tbEUlRKdE_EESV_SZ_S10_mS11_S14_bEUlT_E_NS1_11comp_targetILNS1_3genE10ELNS1_11target_archE1200ELNS1_3gpuE4ELNS1_3repE0EEENS1_30default_config_static_selectorELNS0_4arch9wavefront6targetE1EEEvSY_
	.globl	_ZN7rocprim17ROCPRIM_400000_NS6detail17trampoline_kernelINS0_14default_configENS1_27upper_bound_config_selectorIdlEEZNS1_14transform_implILb0ES3_S5_N6thrust23THRUST_200600_302600_NS6detail15normal_iteratorINS8_7pointerIdNS8_11hip_rocprim5par_tENS8_11use_defaultESE_EEEENSA_INSB_IlSD_SE_SE_EEEEZNS1_13binary_searchIS3_S5_NSA_INS8_10device_ptrIdEEEESG_SI_NS1_21upper_bound_search_opENS9_16wrapped_functionINS8_6system6detail7generic6detail18binary_search_lessEbEEEE10hipError_tPvRmT1_T2_T3_mmT4_T5_P12ihipStream_tbEUlRKdE_EESV_SZ_S10_mS11_S14_bEUlT_E_NS1_11comp_targetILNS1_3genE10ELNS1_11target_archE1200ELNS1_3gpuE4ELNS1_3repE0EEENS1_30default_config_static_selectorELNS0_4arch9wavefront6targetE1EEEvSY_
	.p2align	8
	.type	_ZN7rocprim17ROCPRIM_400000_NS6detail17trampoline_kernelINS0_14default_configENS1_27upper_bound_config_selectorIdlEEZNS1_14transform_implILb0ES3_S5_N6thrust23THRUST_200600_302600_NS6detail15normal_iteratorINS8_7pointerIdNS8_11hip_rocprim5par_tENS8_11use_defaultESE_EEEENSA_INSB_IlSD_SE_SE_EEEEZNS1_13binary_searchIS3_S5_NSA_INS8_10device_ptrIdEEEESG_SI_NS1_21upper_bound_search_opENS9_16wrapped_functionINS8_6system6detail7generic6detail18binary_search_lessEbEEEE10hipError_tPvRmT1_T2_T3_mmT4_T5_P12ihipStream_tbEUlRKdE_EESV_SZ_S10_mS11_S14_bEUlT_E_NS1_11comp_targetILNS1_3genE10ELNS1_11target_archE1200ELNS1_3gpuE4ELNS1_3repE0EEENS1_30default_config_static_selectorELNS0_4arch9wavefront6targetE1EEEvSY_,@function
_ZN7rocprim17ROCPRIM_400000_NS6detail17trampoline_kernelINS0_14default_configENS1_27upper_bound_config_selectorIdlEEZNS1_14transform_implILb0ES3_S5_N6thrust23THRUST_200600_302600_NS6detail15normal_iteratorINS8_7pointerIdNS8_11hip_rocprim5par_tENS8_11use_defaultESE_EEEENSA_INSB_IlSD_SE_SE_EEEEZNS1_13binary_searchIS3_S5_NSA_INS8_10device_ptrIdEEEESG_SI_NS1_21upper_bound_search_opENS9_16wrapped_functionINS8_6system6detail7generic6detail18binary_search_lessEbEEEE10hipError_tPvRmT1_T2_T3_mmT4_T5_P12ihipStream_tbEUlRKdE_EESV_SZ_S10_mS11_S14_bEUlT_E_NS1_11comp_targetILNS1_3genE10ELNS1_11target_archE1200ELNS1_3gpuE4ELNS1_3repE0EEENS1_30default_config_static_selectorELNS0_4arch9wavefront6targetE1EEEvSY_: ; @_ZN7rocprim17ROCPRIM_400000_NS6detail17trampoline_kernelINS0_14default_configENS1_27upper_bound_config_selectorIdlEEZNS1_14transform_implILb0ES3_S5_N6thrust23THRUST_200600_302600_NS6detail15normal_iteratorINS8_7pointerIdNS8_11hip_rocprim5par_tENS8_11use_defaultESE_EEEENSA_INSB_IlSD_SE_SE_EEEEZNS1_13binary_searchIS3_S5_NSA_INS8_10device_ptrIdEEEESG_SI_NS1_21upper_bound_search_opENS9_16wrapped_functionINS8_6system6detail7generic6detail18binary_search_lessEbEEEE10hipError_tPvRmT1_T2_T3_mmT4_T5_P12ihipStream_tbEUlRKdE_EESV_SZ_S10_mS11_S14_bEUlT_E_NS1_11comp_targetILNS1_3genE10ELNS1_11target_archE1200ELNS1_3gpuE4ELNS1_3repE0EEENS1_30default_config_static_selectorELNS0_4arch9wavefront6targetE1EEEvSY_
; %bb.0:
	.section	.rodata,"a",@progbits
	.p2align	6, 0x0
	.amdhsa_kernel _ZN7rocprim17ROCPRIM_400000_NS6detail17trampoline_kernelINS0_14default_configENS1_27upper_bound_config_selectorIdlEEZNS1_14transform_implILb0ES3_S5_N6thrust23THRUST_200600_302600_NS6detail15normal_iteratorINS8_7pointerIdNS8_11hip_rocprim5par_tENS8_11use_defaultESE_EEEENSA_INSB_IlSD_SE_SE_EEEEZNS1_13binary_searchIS3_S5_NSA_INS8_10device_ptrIdEEEESG_SI_NS1_21upper_bound_search_opENS9_16wrapped_functionINS8_6system6detail7generic6detail18binary_search_lessEbEEEE10hipError_tPvRmT1_T2_T3_mmT4_T5_P12ihipStream_tbEUlRKdE_EESV_SZ_S10_mS11_S14_bEUlT_E_NS1_11comp_targetILNS1_3genE10ELNS1_11target_archE1200ELNS1_3gpuE4ELNS1_3repE0EEENS1_30default_config_static_selectorELNS0_4arch9wavefront6targetE1EEEvSY_
		.amdhsa_group_segment_fixed_size 0
		.amdhsa_private_segment_fixed_size 0
		.amdhsa_kernarg_size 56
		.amdhsa_user_sgpr_count 6
		.amdhsa_user_sgpr_private_segment_buffer 1
		.amdhsa_user_sgpr_dispatch_ptr 0
		.amdhsa_user_sgpr_queue_ptr 0
		.amdhsa_user_sgpr_kernarg_segment_ptr 1
		.amdhsa_user_sgpr_dispatch_id 0
		.amdhsa_user_sgpr_flat_scratch_init 0
		.amdhsa_user_sgpr_private_segment_size 0
		.amdhsa_uses_dynamic_stack 0
		.amdhsa_system_sgpr_private_segment_wavefront_offset 0
		.amdhsa_system_sgpr_workgroup_id_x 1
		.amdhsa_system_sgpr_workgroup_id_y 0
		.amdhsa_system_sgpr_workgroup_id_z 0
		.amdhsa_system_sgpr_workgroup_info 0
		.amdhsa_system_vgpr_workitem_id 0
		.amdhsa_next_free_vgpr 1
		.amdhsa_next_free_sgpr 0
		.amdhsa_reserve_vcc 0
		.amdhsa_reserve_flat_scratch 0
		.amdhsa_float_round_mode_32 0
		.amdhsa_float_round_mode_16_64 0
		.amdhsa_float_denorm_mode_32 3
		.amdhsa_float_denorm_mode_16_64 3
		.amdhsa_dx10_clamp 1
		.amdhsa_ieee_mode 1
		.amdhsa_fp16_overflow 0
		.amdhsa_exception_fp_ieee_invalid_op 0
		.amdhsa_exception_fp_denorm_src 0
		.amdhsa_exception_fp_ieee_div_zero 0
		.amdhsa_exception_fp_ieee_overflow 0
		.amdhsa_exception_fp_ieee_underflow 0
		.amdhsa_exception_fp_ieee_inexact 0
		.amdhsa_exception_int_div_zero 0
	.end_amdhsa_kernel
	.section	.text._ZN7rocprim17ROCPRIM_400000_NS6detail17trampoline_kernelINS0_14default_configENS1_27upper_bound_config_selectorIdlEEZNS1_14transform_implILb0ES3_S5_N6thrust23THRUST_200600_302600_NS6detail15normal_iteratorINS8_7pointerIdNS8_11hip_rocprim5par_tENS8_11use_defaultESE_EEEENSA_INSB_IlSD_SE_SE_EEEEZNS1_13binary_searchIS3_S5_NSA_INS8_10device_ptrIdEEEESG_SI_NS1_21upper_bound_search_opENS9_16wrapped_functionINS8_6system6detail7generic6detail18binary_search_lessEbEEEE10hipError_tPvRmT1_T2_T3_mmT4_T5_P12ihipStream_tbEUlRKdE_EESV_SZ_S10_mS11_S14_bEUlT_E_NS1_11comp_targetILNS1_3genE10ELNS1_11target_archE1200ELNS1_3gpuE4ELNS1_3repE0EEENS1_30default_config_static_selectorELNS0_4arch9wavefront6targetE1EEEvSY_,"axG",@progbits,_ZN7rocprim17ROCPRIM_400000_NS6detail17trampoline_kernelINS0_14default_configENS1_27upper_bound_config_selectorIdlEEZNS1_14transform_implILb0ES3_S5_N6thrust23THRUST_200600_302600_NS6detail15normal_iteratorINS8_7pointerIdNS8_11hip_rocprim5par_tENS8_11use_defaultESE_EEEENSA_INSB_IlSD_SE_SE_EEEEZNS1_13binary_searchIS3_S5_NSA_INS8_10device_ptrIdEEEESG_SI_NS1_21upper_bound_search_opENS9_16wrapped_functionINS8_6system6detail7generic6detail18binary_search_lessEbEEEE10hipError_tPvRmT1_T2_T3_mmT4_T5_P12ihipStream_tbEUlRKdE_EESV_SZ_S10_mS11_S14_bEUlT_E_NS1_11comp_targetILNS1_3genE10ELNS1_11target_archE1200ELNS1_3gpuE4ELNS1_3repE0EEENS1_30default_config_static_selectorELNS0_4arch9wavefront6targetE1EEEvSY_,comdat
.Lfunc_end506:
	.size	_ZN7rocprim17ROCPRIM_400000_NS6detail17trampoline_kernelINS0_14default_configENS1_27upper_bound_config_selectorIdlEEZNS1_14transform_implILb0ES3_S5_N6thrust23THRUST_200600_302600_NS6detail15normal_iteratorINS8_7pointerIdNS8_11hip_rocprim5par_tENS8_11use_defaultESE_EEEENSA_INSB_IlSD_SE_SE_EEEEZNS1_13binary_searchIS3_S5_NSA_INS8_10device_ptrIdEEEESG_SI_NS1_21upper_bound_search_opENS9_16wrapped_functionINS8_6system6detail7generic6detail18binary_search_lessEbEEEE10hipError_tPvRmT1_T2_T3_mmT4_T5_P12ihipStream_tbEUlRKdE_EESV_SZ_S10_mS11_S14_bEUlT_E_NS1_11comp_targetILNS1_3genE10ELNS1_11target_archE1200ELNS1_3gpuE4ELNS1_3repE0EEENS1_30default_config_static_selectorELNS0_4arch9wavefront6targetE1EEEvSY_, .Lfunc_end506-_ZN7rocprim17ROCPRIM_400000_NS6detail17trampoline_kernelINS0_14default_configENS1_27upper_bound_config_selectorIdlEEZNS1_14transform_implILb0ES3_S5_N6thrust23THRUST_200600_302600_NS6detail15normal_iteratorINS8_7pointerIdNS8_11hip_rocprim5par_tENS8_11use_defaultESE_EEEENSA_INSB_IlSD_SE_SE_EEEEZNS1_13binary_searchIS3_S5_NSA_INS8_10device_ptrIdEEEESG_SI_NS1_21upper_bound_search_opENS9_16wrapped_functionINS8_6system6detail7generic6detail18binary_search_lessEbEEEE10hipError_tPvRmT1_T2_T3_mmT4_T5_P12ihipStream_tbEUlRKdE_EESV_SZ_S10_mS11_S14_bEUlT_E_NS1_11comp_targetILNS1_3genE10ELNS1_11target_archE1200ELNS1_3gpuE4ELNS1_3repE0EEENS1_30default_config_static_selectorELNS0_4arch9wavefront6targetE1EEEvSY_
                                        ; -- End function
	.set _ZN7rocprim17ROCPRIM_400000_NS6detail17trampoline_kernelINS0_14default_configENS1_27upper_bound_config_selectorIdlEEZNS1_14transform_implILb0ES3_S5_N6thrust23THRUST_200600_302600_NS6detail15normal_iteratorINS8_7pointerIdNS8_11hip_rocprim5par_tENS8_11use_defaultESE_EEEENSA_INSB_IlSD_SE_SE_EEEEZNS1_13binary_searchIS3_S5_NSA_INS8_10device_ptrIdEEEESG_SI_NS1_21upper_bound_search_opENS9_16wrapped_functionINS8_6system6detail7generic6detail18binary_search_lessEbEEEE10hipError_tPvRmT1_T2_T3_mmT4_T5_P12ihipStream_tbEUlRKdE_EESV_SZ_S10_mS11_S14_bEUlT_E_NS1_11comp_targetILNS1_3genE10ELNS1_11target_archE1200ELNS1_3gpuE4ELNS1_3repE0EEENS1_30default_config_static_selectorELNS0_4arch9wavefront6targetE1EEEvSY_.num_vgpr, 0
	.set _ZN7rocprim17ROCPRIM_400000_NS6detail17trampoline_kernelINS0_14default_configENS1_27upper_bound_config_selectorIdlEEZNS1_14transform_implILb0ES3_S5_N6thrust23THRUST_200600_302600_NS6detail15normal_iteratorINS8_7pointerIdNS8_11hip_rocprim5par_tENS8_11use_defaultESE_EEEENSA_INSB_IlSD_SE_SE_EEEEZNS1_13binary_searchIS3_S5_NSA_INS8_10device_ptrIdEEEESG_SI_NS1_21upper_bound_search_opENS9_16wrapped_functionINS8_6system6detail7generic6detail18binary_search_lessEbEEEE10hipError_tPvRmT1_T2_T3_mmT4_T5_P12ihipStream_tbEUlRKdE_EESV_SZ_S10_mS11_S14_bEUlT_E_NS1_11comp_targetILNS1_3genE10ELNS1_11target_archE1200ELNS1_3gpuE4ELNS1_3repE0EEENS1_30default_config_static_selectorELNS0_4arch9wavefront6targetE1EEEvSY_.num_agpr, 0
	.set _ZN7rocprim17ROCPRIM_400000_NS6detail17trampoline_kernelINS0_14default_configENS1_27upper_bound_config_selectorIdlEEZNS1_14transform_implILb0ES3_S5_N6thrust23THRUST_200600_302600_NS6detail15normal_iteratorINS8_7pointerIdNS8_11hip_rocprim5par_tENS8_11use_defaultESE_EEEENSA_INSB_IlSD_SE_SE_EEEEZNS1_13binary_searchIS3_S5_NSA_INS8_10device_ptrIdEEEESG_SI_NS1_21upper_bound_search_opENS9_16wrapped_functionINS8_6system6detail7generic6detail18binary_search_lessEbEEEE10hipError_tPvRmT1_T2_T3_mmT4_T5_P12ihipStream_tbEUlRKdE_EESV_SZ_S10_mS11_S14_bEUlT_E_NS1_11comp_targetILNS1_3genE10ELNS1_11target_archE1200ELNS1_3gpuE4ELNS1_3repE0EEENS1_30default_config_static_selectorELNS0_4arch9wavefront6targetE1EEEvSY_.numbered_sgpr, 0
	.set _ZN7rocprim17ROCPRIM_400000_NS6detail17trampoline_kernelINS0_14default_configENS1_27upper_bound_config_selectorIdlEEZNS1_14transform_implILb0ES3_S5_N6thrust23THRUST_200600_302600_NS6detail15normal_iteratorINS8_7pointerIdNS8_11hip_rocprim5par_tENS8_11use_defaultESE_EEEENSA_INSB_IlSD_SE_SE_EEEEZNS1_13binary_searchIS3_S5_NSA_INS8_10device_ptrIdEEEESG_SI_NS1_21upper_bound_search_opENS9_16wrapped_functionINS8_6system6detail7generic6detail18binary_search_lessEbEEEE10hipError_tPvRmT1_T2_T3_mmT4_T5_P12ihipStream_tbEUlRKdE_EESV_SZ_S10_mS11_S14_bEUlT_E_NS1_11comp_targetILNS1_3genE10ELNS1_11target_archE1200ELNS1_3gpuE4ELNS1_3repE0EEENS1_30default_config_static_selectorELNS0_4arch9wavefront6targetE1EEEvSY_.num_named_barrier, 0
	.set _ZN7rocprim17ROCPRIM_400000_NS6detail17trampoline_kernelINS0_14default_configENS1_27upper_bound_config_selectorIdlEEZNS1_14transform_implILb0ES3_S5_N6thrust23THRUST_200600_302600_NS6detail15normal_iteratorINS8_7pointerIdNS8_11hip_rocprim5par_tENS8_11use_defaultESE_EEEENSA_INSB_IlSD_SE_SE_EEEEZNS1_13binary_searchIS3_S5_NSA_INS8_10device_ptrIdEEEESG_SI_NS1_21upper_bound_search_opENS9_16wrapped_functionINS8_6system6detail7generic6detail18binary_search_lessEbEEEE10hipError_tPvRmT1_T2_T3_mmT4_T5_P12ihipStream_tbEUlRKdE_EESV_SZ_S10_mS11_S14_bEUlT_E_NS1_11comp_targetILNS1_3genE10ELNS1_11target_archE1200ELNS1_3gpuE4ELNS1_3repE0EEENS1_30default_config_static_selectorELNS0_4arch9wavefront6targetE1EEEvSY_.private_seg_size, 0
	.set _ZN7rocprim17ROCPRIM_400000_NS6detail17trampoline_kernelINS0_14default_configENS1_27upper_bound_config_selectorIdlEEZNS1_14transform_implILb0ES3_S5_N6thrust23THRUST_200600_302600_NS6detail15normal_iteratorINS8_7pointerIdNS8_11hip_rocprim5par_tENS8_11use_defaultESE_EEEENSA_INSB_IlSD_SE_SE_EEEEZNS1_13binary_searchIS3_S5_NSA_INS8_10device_ptrIdEEEESG_SI_NS1_21upper_bound_search_opENS9_16wrapped_functionINS8_6system6detail7generic6detail18binary_search_lessEbEEEE10hipError_tPvRmT1_T2_T3_mmT4_T5_P12ihipStream_tbEUlRKdE_EESV_SZ_S10_mS11_S14_bEUlT_E_NS1_11comp_targetILNS1_3genE10ELNS1_11target_archE1200ELNS1_3gpuE4ELNS1_3repE0EEENS1_30default_config_static_selectorELNS0_4arch9wavefront6targetE1EEEvSY_.uses_vcc, 0
	.set _ZN7rocprim17ROCPRIM_400000_NS6detail17trampoline_kernelINS0_14default_configENS1_27upper_bound_config_selectorIdlEEZNS1_14transform_implILb0ES3_S5_N6thrust23THRUST_200600_302600_NS6detail15normal_iteratorINS8_7pointerIdNS8_11hip_rocprim5par_tENS8_11use_defaultESE_EEEENSA_INSB_IlSD_SE_SE_EEEEZNS1_13binary_searchIS3_S5_NSA_INS8_10device_ptrIdEEEESG_SI_NS1_21upper_bound_search_opENS9_16wrapped_functionINS8_6system6detail7generic6detail18binary_search_lessEbEEEE10hipError_tPvRmT1_T2_T3_mmT4_T5_P12ihipStream_tbEUlRKdE_EESV_SZ_S10_mS11_S14_bEUlT_E_NS1_11comp_targetILNS1_3genE10ELNS1_11target_archE1200ELNS1_3gpuE4ELNS1_3repE0EEENS1_30default_config_static_selectorELNS0_4arch9wavefront6targetE1EEEvSY_.uses_flat_scratch, 0
	.set _ZN7rocprim17ROCPRIM_400000_NS6detail17trampoline_kernelINS0_14default_configENS1_27upper_bound_config_selectorIdlEEZNS1_14transform_implILb0ES3_S5_N6thrust23THRUST_200600_302600_NS6detail15normal_iteratorINS8_7pointerIdNS8_11hip_rocprim5par_tENS8_11use_defaultESE_EEEENSA_INSB_IlSD_SE_SE_EEEEZNS1_13binary_searchIS3_S5_NSA_INS8_10device_ptrIdEEEESG_SI_NS1_21upper_bound_search_opENS9_16wrapped_functionINS8_6system6detail7generic6detail18binary_search_lessEbEEEE10hipError_tPvRmT1_T2_T3_mmT4_T5_P12ihipStream_tbEUlRKdE_EESV_SZ_S10_mS11_S14_bEUlT_E_NS1_11comp_targetILNS1_3genE10ELNS1_11target_archE1200ELNS1_3gpuE4ELNS1_3repE0EEENS1_30default_config_static_selectorELNS0_4arch9wavefront6targetE1EEEvSY_.has_dyn_sized_stack, 0
	.set _ZN7rocprim17ROCPRIM_400000_NS6detail17trampoline_kernelINS0_14default_configENS1_27upper_bound_config_selectorIdlEEZNS1_14transform_implILb0ES3_S5_N6thrust23THRUST_200600_302600_NS6detail15normal_iteratorINS8_7pointerIdNS8_11hip_rocprim5par_tENS8_11use_defaultESE_EEEENSA_INSB_IlSD_SE_SE_EEEEZNS1_13binary_searchIS3_S5_NSA_INS8_10device_ptrIdEEEESG_SI_NS1_21upper_bound_search_opENS9_16wrapped_functionINS8_6system6detail7generic6detail18binary_search_lessEbEEEE10hipError_tPvRmT1_T2_T3_mmT4_T5_P12ihipStream_tbEUlRKdE_EESV_SZ_S10_mS11_S14_bEUlT_E_NS1_11comp_targetILNS1_3genE10ELNS1_11target_archE1200ELNS1_3gpuE4ELNS1_3repE0EEENS1_30default_config_static_selectorELNS0_4arch9wavefront6targetE1EEEvSY_.has_recursion, 0
	.set _ZN7rocprim17ROCPRIM_400000_NS6detail17trampoline_kernelINS0_14default_configENS1_27upper_bound_config_selectorIdlEEZNS1_14transform_implILb0ES3_S5_N6thrust23THRUST_200600_302600_NS6detail15normal_iteratorINS8_7pointerIdNS8_11hip_rocprim5par_tENS8_11use_defaultESE_EEEENSA_INSB_IlSD_SE_SE_EEEEZNS1_13binary_searchIS3_S5_NSA_INS8_10device_ptrIdEEEESG_SI_NS1_21upper_bound_search_opENS9_16wrapped_functionINS8_6system6detail7generic6detail18binary_search_lessEbEEEE10hipError_tPvRmT1_T2_T3_mmT4_T5_P12ihipStream_tbEUlRKdE_EESV_SZ_S10_mS11_S14_bEUlT_E_NS1_11comp_targetILNS1_3genE10ELNS1_11target_archE1200ELNS1_3gpuE4ELNS1_3repE0EEENS1_30default_config_static_selectorELNS0_4arch9wavefront6targetE1EEEvSY_.has_indirect_call, 0
	.section	.AMDGPU.csdata,"",@progbits
; Kernel info:
; codeLenInByte = 0
; TotalNumSgprs: 4
; NumVgprs: 0
; ScratchSize: 0
; MemoryBound: 0
; FloatMode: 240
; IeeeMode: 1
; LDSByteSize: 0 bytes/workgroup (compile time only)
; SGPRBlocks: 0
; VGPRBlocks: 0
; NumSGPRsForWavesPerEU: 4
; NumVGPRsForWavesPerEU: 1
; Occupancy: 10
; WaveLimiterHint : 0
; COMPUTE_PGM_RSRC2:SCRATCH_EN: 0
; COMPUTE_PGM_RSRC2:USER_SGPR: 6
; COMPUTE_PGM_RSRC2:TRAP_HANDLER: 0
; COMPUTE_PGM_RSRC2:TGID_X_EN: 1
; COMPUTE_PGM_RSRC2:TGID_Y_EN: 0
; COMPUTE_PGM_RSRC2:TGID_Z_EN: 0
; COMPUTE_PGM_RSRC2:TIDIG_COMP_CNT: 0
	.section	.text._ZN7rocprim17ROCPRIM_400000_NS6detail17trampoline_kernelINS0_14default_configENS1_27upper_bound_config_selectorIdlEEZNS1_14transform_implILb0ES3_S5_N6thrust23THRUST_200600_302600_NS6detail15normal_iteratorINS8_7pointerIdNS8_11hip_rocprim5par_tENS8_11use_defaultESE_EEEENSA_INSB_IlSD_SE_SE_EEEEZNS1_13binary_searchIS3_S5_NSA_INS8_10device_ptrIdEEEESG_SI_NS1_21upper_bound_search_opENS9_16wrapped_functionINS8_6system6detail7generic6detail18binary_search_lessEbEEEE10hipError_tPvRmT1_T2_T3_mmT4_T5_P12ihipStream_tbEUlRKdE_EESV_SZ_S10_mS11_S14_bEUlT_E_NS1_11comp_targetILNS1_3genE9ELNS1_11target_archE1100ELNS1_3gpuE3ELNS1_3repE0EEENS1_30default_config_static_selectorELNS0_4arch9wavefront6targetE1EEEvSY_,"axG",@progbits,_ZN7rocprim17ROCPRIM_400000_NS6detail17trampoline_kernelINS0_14default_configENS1_27upper_bound_config_selectorIdlEEZNS1_14transform_implILb0ES3_S5_N6thrust23THRUST_200600_302600_NS6detail15normal_iteratorINS8_7pointerIdNS8_11hip_rocprim5par_tENS8_11use_defaultESE_EEEENSA_INSB_IlSD_SE_SE_EEEEZNS1_13binary_searchIS3_S5_NSA_INS8_10device_ptrIdEEEESG_SI_NS1_21upper_bound_search_opENS9_16wrapped_functionINS8_6system6detail7generic6detail18binary_search_lessEbEEEE10hipError_tPvRmT1_T2_T3_mmT4_T5_P12ihipStream_tbEUlRKdE_EESV_SZ_S10_mS11_S14_bEUlT_E_NS1_11comp_targetILNS1_3genE9ELNS1_11target_archE1100ELNS1_3gpuE3ELNS1_3repE0EEENS1_30default_config_static_selectorELNS0_4arch9wavefront6targetE1EEEvSY_,comdat
	.protected	_ZN7rocprim17ROCPRIM_400000_NS6detail17trampoline_kernelINS0_14default_configENS1_27upper_bound_config_selectorIdlEEZNS1_14transform_implILb0ES3_S5_N6thrust23THRUST_200600_302600_NS6detail15normal_iteratorINS8_7pointerIdNS8_11hip_rocprim5par_tENS8_11use_defaultESE_EEEENSA_INSB_IlSD_SE_SE_EEEEZNS1_13binary_searchIS3_S5_NSA_INS8_10device_ptrIdEEEESG_SI_NS1_21upper_bound_search_opENS9_16wrapped_functionINS8_6system6detail7generic6detail18binary_search_lessEbEEEE10hipError_tPvRmT1_T2_T3_mmT4_T5_P12ihipStream_tbEUlRKdE_EESV_SZ_S10_mS11_S14_bEUlT_E_NS1_11comp_targetILNS1_3genE9ELNS1_11target_archE1100ELNS1_3gpuE3ELNS1_3repE0EEENS1_30default_config_static_selectorELNS0_4arch9wavefront6targetE1EEEvSY_ ; -- Begin function _ZN7rocprim17ROCPRIM_400000_NS6detail17trampoline_kernelINS0_14default_configENS1_27upper_bound_config_selectorIdlEEZNS1_14transform_implILb0ES3_S5_N6thrust23THRUST_200600_302600_NS6detail15normal_iteratorINS8_7pointerIdNS8_11hip_rocprim5par_tENS8_11use_defaultESE_EEEENSA_INSB_IlSD_SE_SE_EEEEZNS1_13binary_searchIS3_S5_NSA_INS8_10device_ptrIdEEEESG_SI_NS1_21upper_bound_search_opENS9_16wrapped_functionINS8_6system6detail7generic6detail18binary_search_lessEbEEEE10hipError_tPvRmT1_T2_T3_mmT4_T5_P12ihipStream_tbEUlRKdE_EESV_SZ_S10_mS11_S14_bEUlT_E_NS1_11comp_targetILNS1_3genE9ELNS1_11target_archE1100ELNS1_3gpuE3ELNS1_3repE0EEENS1_30default_config_static_selectorELNS0_4arch9wavefront6targetE1EEEvSY_
	.globl	_ZN7rocprim17ROCPRIM_400000_NS6detail17trampoline_kernelINS0_14default_configENS1_27upper_bound_config_selectorIdlEEZNS1_14transform_implILb0ES3_S5_N6thrust23THRUST_200600_302600_NS6detail15normal_iteratorINS8_7pointerIdNS8_11hip_rocprim5par_tENS8_11use_defaultESE_EEEENSA_INSB_IlSD_SE_SE_EEEEZNS1_13binary_searchIS3_S5_NSA_INS8_10device_ptrIdEEEESG_SI_NS1_21upper_bound_search_opENS9_16wrapped_functionINS8_6system6detail7generic6detail18binary_search_lessEbEEEE10hipError_tPvRmT1_T2_T3_mmT4_T5_P12ihipStream_tbEUlRKdE_EESV_SZ_S10_mS11_S14_bEUlT_E_NS1_11comp_targetILNS1_3genE9ELNS1_11target_archE1100ELNS1_3gpuE3ELNS1_3repE0EEENS1_30default_config_static_selectorELNS0_4arch9wavefront6targetE1EEEvSY_
	.p2align	8
	.type	_ZN7rocprim17ROCPRIM_400000_NS6detail17trampoline_kernelINS0_14default_configENS1_27upper_bound_config_selectorIdlEEZNS1_14transform_implILb0ES3_S5_N6thrust23THRUST_200600_302600_NS6detail15normal_iteratorINS8_7pointerIdNS8_11hip_rocprim5par_tENS8_11use_defaultESE_EEEENSA_INSB_IlSD_SE_SE_EEEEZNS1_13binary_searchIS3_S5_NSA_INS8_10device_ptrIdEEEESG_SI_NS1_21upper_bound_search_opENS9_16wrapped_functionINS8_6system6detail7generic6detail18binary_search_lessEbEEEE10hipError_tPvRmT1_T2_T3_mmT4_T5_P12ihipStream_tbEUlRKdE_EESV_SZ_S10_mS11_S14_bEUlT_E_NS1_11comp_targetILNS1_3genE9ELNS1_11target_archE1100ELNS1_3gpuE3ELNS1_3repE0EEENS1_30default_config_static_selectorELNS0_4arch9wavefront6targetE1EEEvSY_,@function
_ZN7rocprim17ROCPRIM_400000_NS6detail17trampoline_kernelINS0_14default_configENS1_27upper_bound_config_selectorIdlEEZNS1_14transform_implILb0ES3_S5_N6thrust23THRUST_200600_302600_NS6detail15normal_iteratorINS8_7pointerIdNS8_11hip_rocprim5par_tENS8_11use_defaultESE_EEEENSA_INSB_IlSD_SE_SE_EEEEZNS1_13binary_searchIS3_S5_NSA_INS8_10device_ptrIdEEEESG_SI_NS1_21upper_bound_search_opENS9_16wrapped_functionINS8_6system6detail7generic6detail18binary_search_lessEbEEEE10hipError_tPvRmT1_T2_T3_mmT4_T5_P12ihipStream_tbEUlRKdE_EESV_SZ_S10_mS11_S14_bEUlT_E_NS1_11comp_targetILNS1_3genE9ELNS1_11target_archE1100ELNS1_3gpuE3ELNS1_3repE0EEENS1_30default_config_static_selectorELNS0_4arch9wavefront6targetE1EEEvSY_: ; @_ZN7rocprim17ROCPRIM_400000_NS6detail17trampoline_kernelINS0_14default_configENS1_27upper_bound_config_selectorIdlEEZNS1_14transform_implILb0ES3_S5_N6thrust23THRUST_200600_302600_NS6detail15normal_iteratorINS8_7pointerIdNS8_11hip_rocprim5par_tENS8_11use_defaultESE_EEEENSA_INSB_IlSD_SE_SE_EEEEZNS1_13binary_searchIS3_S5_NSA_INS8_10device_ptrIdEEEESG_SI_NS1_21upper_bound_search_opENS9_16wrapped_functionINS8_6system6detail7generic6detail18binary_search_lessEbEEEE10hipError_tPvRmT1_T2_T3_mmT4_T5_P12ihipStream_tbEUlRKdE_EESV_SZ_S10_mS11_S14_bEUlT_E_NS1_11comp_targetILNS1_3genE9ELNS1_11target_archE1100ELNS1_3gpuE3ELNS1_3repE0EEENS1_30default_config_static_selectorELNS0_4arch9wavefront6targetE1EEEvSY_
; %bb.0:
	.section	.rodata,"a",@progbits
	.p2align	6, 0x0
	.amdhsa_kernel _ZN7rocprim17ROCPRIM_400000_NS6detail17trampoline_kernelINS0_14default_configENS1_27upper_bound_config_selectorIdlEEZNS1_14transform_implILb0ES3_S5_N6thrust23THRUST_200600_302600_NS6detail15normal_iteratorINS8_7pointerIdNS8_11hip_rocprim5par_tENS8_11use_defaultESE_EEEENSA_INSB_IlSD_SE_SE_EEEEZNS1_13binary_searchIS3_S5_NSA_INS8_10device_ptrIdEEEESG_SI_NS1_21upper_bound_search_opENS9_16wrapped_functionINS8_6system6detail7generic6detail18binary_search_lessEbEEEE10hipError_tPvRmT1_T2_T3_mmT4_T5_P12ihipStream_tbEUlRKdE_EESV_SZ_S10_mS11_S14_bEUlT_E_NS1_11comp_targetILNS1_3genE9ELNS1_11target_archE1100ELNS1_3gpuE3ELNS1_3repE0EEENS1_30default_config_static_selectorELNS0_4arch9wavefront6targetE1EEEvSY_
		.amdhsa_group_segment_fixed_size 0
		.amdhsa_private_segment_fixed_size 0
		.amdhsa_kernarg_size 56
		.amdhsa_user_sgpr_count 6
		.amdhsa_user_sgpr_private_segment_buffer 1
		.amdhsa_user_sgpr_dispatch_ptr 0
		.amdhsa_user_sgpr_queue_ptr 0
		.amdhsa_user_sgpr_kernarg_segment_ptr 1
		.amdhsa_user_sgpr_dispatch_id 0
		.amdhsa_user_sgpr_flat_scratch_init 0
		.amdhsa_user_sgpr_private_segment_size 0
		.amdhsa_uses_dynamic_stack 0
		.amdhsa_system_sgpr_private_segment_wavefront_offset 0
		.amdhsa_system_sgpr_workgroup_id_x 1
		.amdhsa_system_sgpr_workgroup_id_y 0
		.amdhsa_system_sgpr_workgroup_id_z 0
		.amdhsa_system_sgpr_workgroup_info 0
		.amdhsa_system_vgpr_workitem_id 0
		.amdhsa_next_free_vgpr 1
		.amdhsa_next_free_sgpr 0
		.amdhsa_reserve_vcc 0
		.amdhsa_reserve_flat_scratch 0
		.amdhsa_float_round_mode_32 0
		.amdhsa_float_round_mode_16_64 0
		.amdhsa_float_denorm_mode_32 3
		.amdhsa_float_denorm_mode_16_64 3
		.amdhsa_dx10_clamp 1
		.amdhsa_ieee_mode 1
		.amdhsa_fp16_overflow 0
		.amdhsa_exception_fp_ieee_invalid_op 0
		.amdhsa_exception_fp_denorm_src 0
		.amdhsa_exception_fp_ieee_div_zero 0
		.amdhsa_exception_fp_ieee_overflow 0
		.amdhsa_exception_fp_ieee_underflow 0
		.amdhsa_exception_fp_ieee_inexact 0
		.amdhsa_exception_int_div_zero 0
	.end_amdhsa_kernel
	.section	.text._ZN7rocprim17ROCPRIM_400000_NS6detail17trampoline_kernelINS0_14default_configENS1_27upper_bound_config_selectorIdlEEZNS1_14transform_implILb0ES3_S5_N6thrust23THRUST_200600_302600_NS6detail15normal_iteratorINS8_7pointerIdNS8_11hip_rocprim5par_tENS8_11use_defaultESE_EEEENSA_INSB_IlSD_SE_SE_EEEEZNS1_13binary_searchIS3_S5_NSA_INS8_10device_ptrIdEEEESG_SI_NS1_21upper_bound_search_opENS9_16wrapped_functionINS8_6system6detail7generic6detail18binary_search_lessEbEEEE10hipError_tPvRmT1_T2_T3_mmT4_T5_P12ihipStream_tbEUlRKdE_EESV_SZ_S10_mS11_S14_bEUlT_E_NS1_11comp_targetILNS1_3genE9ELNS1_11target_archE1100ELNS1_3gpuE3ELNS1_3repE0EEENS1_30default_config_static_selectorELNS0_4arch9wavefront6targetE1EEEvSY_,"axG",@progbits,_ZN7rocprim17ROCPRIM_400000_NS6detail17trampoline_kernelINS0_14default_configENS1_27upper_bound_config_selectorIdlEEZNS1_14transform_implILb0ES3_S5_N6thrust23THRUST_200600_302600_NS6detail15normal_iteratorINS8_7pointerIdNS8_11hip_rocprim5par_tENS8_11use_defaultESE_EEEENSA_INSB_IlSD_SE_SE_EEEEZNS1_13binary_searchIS3_S5_NSA_INS8_10device_ptrIdEEEESG_SI_NS1_21upper_bound_search_opENS9_16wrapped_functionINS8_6system6detail7generic6detail18binary_search_lessEbEEEE10hipError_tPvRmT1_T2_T3_mmT4_T5_P12ihipStream_tbEUlRKdE_EESV_SZ_S10_mS11_S14_bEUlT_E_NS1_11comp_targetILNS1_3genE9ELNS1_11target_archE1100ELNS1_3gpuE3ELNS1_3repE0EEENS1_30default_config_static_selectorELNS0_4arch9wavefront6targetE1EEEvSY_,comdat
.Lfunc_end507:
	.size	_ZN7rocprim17ROCPRIM_400000_NS6detail17trampoline_kernelINS0_14default_configENS1_27upper_bound_config_selectorIdlEEZNS1_14transform_implILb0ES3_S5_N6thrust23THRUST_200600_302600_NS6detail15normal_iteratorINS8_7pointerIdNS8_11hip_rocprim5par_tENS8_11use_defaultESE_EEEENSA_INSB_IlSD_SE_SE_EEEEZNS1_13binary_searchIS3_S5_NSA_INS8_10device_ptrIdEEEESG_SI_NS1_21upper_bound_search_opENS9_16wrapped_functionINS8_6system6detail7generic6detail18binary_search_lessEbEEEE10hipError_tPvRmT1_T2_T3_mmT4_T5_P12ihipStream_tbEUlRKdE_EESV_SZ_S10_mS11_S14_bEUlT_E_NS1_11comp_targetILNS1_3genE9ELNS1_11target_archE1100ELNS1_3gpuE3ELNS1_3repE0EEENS1_30default_config_static_selectorELNS0_4arch9wavefront6targetE1EEEvSY_, .Lfunc_end507-_ZN7rocprim17ROCPRIM_400000_NS6detail17trampoline_kernelINS0_14default_configENS1_27upper_bound_config_selectorIdlEEZNS1_14transform_implILb0ES3_S5_N6thrust23THRUST_200600_302600_NS6detail15normal_iteratorINS8_7pointerIdNS8_11hip_rocprim5par_tENS8_11use_defaultESE_EEEENSA_INSB_IlSD_SE_SE_EEEEZNS1_13binary_searchIS3_S5_NSA_INS8_10device_ptrIdEEEESG_SI_NS1_21upper_bound_search_opENS9_16wrapped_functionINS8_6system6detail7generic6detail18binary_search_lessEbEEEE10hipError_tPvRmT1_T2_T3_mmT4_T5_P12ihipStream_tbEUlRKdE_EESV_SZ_S10_mS11_S14_bEUlT_E_NS1_11comp_targetILNS1_3genE9ELNS1_11target_archE1100ELNS1_3gpuE3ELNS1_3repE0EEENS1_30default_config_static_selectorELNS0_4arch9wavefront6targetE1EEEvSY_
                                        ; -- End function
	.set _ZN7rocprim17ROCPRIM_400000_NS6detail17trampoline_kernelINS0_14default_configENS1_27upper_bound_config_selectorIdlEEZNS1_14transform_implILb0ES3_S5_N6thrust23THRUST_200600_302600_NS6detail15normal_iteratorINS8_7pointerIdNS8_11hip_rocprim5par_tENS8_11use_defaultESE_EEEENSA_INSB_IlSD_SE_SE_EEEEZNS1_13binary_searchIS3_S5_NSA_INS8_10device_ptrIdEEEESG_SI_NS1_21upper_bound_search_opENS9_16wrapped_functionINS8_6system6detail7generic6detail18binary_search_lessEbEEEE10hipError_tPvRmT1_T2_T3_mmT4_T5_P12ihipStream_tbEUlRKdE_EESV_SZ_S10_mS11_S14_bEUlT_E_NS1_11comp_targetILNS1_3genE9ELNS1_11target_archE1100ELNS1_3gpuE3ELNS1_3repE0EEENS1_30default_config_static_selectorELNS0_4arch9wavefront6targetE1EEEvSY_.num_vgpr, 0
	.set _ZN7rocprim17ROCPRIM_400000_NS6detail17trampoline_kernelINS0_14default_configENS1_27upper_bound_config_selectorIdlEEZNS1_14transform_implILb0ES3_S5_N6thrust23THRUST_200600_302600_NS6detail15normal_iteratorINS8_7pointerIdNS8_11hip_rocprim5par_tENS8_11use_defaultESE_EEEENSA_INSB_IlSD_SE_SE_EEEEZNS1_13binary_searchIS3_S5_NSA_INS8_10device_ptrIdEEEESG_SI_NS1_21upper_bound_search_opENS9_16wrapped_functionINS8_6system6detail7generic6detail18binary_search_lessEbEEEE10hipError_tPvRmT1_T2_T3_mmT4_T5_P12ihipStream_tbEUlRKdE_EESV_SZ_S10_mS11_S14_bEUlT_E_NS1_11comp_targetILNS1_3genE9ELNS1_11target_archE1100ELNS1_3gpuE3ELNS1_3repE0EEENS1_30default_config_static_selectorELNS0_4arch9wavefront6targetE1EEEvSY_.num_agpr, 0
	.set _ZN7rocprim17ROCPRIM_400000_NS6detail17trampoline_kernelINS0_14default_configENS1_27upper_bound_config_selectorIdlEEZNS1_14transform_implILb0ES3_S5_N6thrust23THRUST_200600_302600_NS6detail15normal_iteratorINS8_7pointerIdNS8_11hip_rocprim5par_tENS8_11use_defaultESE_EEEENSA_INSB_IlSD_SE_SE_EEEEZNS1_13binary_searchIS3_S5_NSA_INS8_10device_ptrIdEEEESG_SI_NS1_21upper_bound_search_opENS9_16wrapped_functionINS8_6system6detail7generic6detail18binary_search_lessEbEEEE10hipError_tPvRmT1_T2_T3_mmT4_T5_P12ihipStream_tbEUlRKdE_EESV_SZ_S10_mS11_S14_bEUlT_E_NS1_11comp_targetILNS1_3genE9ELNS1_11target_archE1100ELNS1_3gpuE3ELNS1_3repE0EEENS1_30default_config_static_selectorELNS0_4arch9wavefront6targetE1EEEvSY_.numbered_sgpr, 0
	.set _ZN7rocprim17ROCPRIM_400000_NS6detail17trampoline_kernelINS0_14default_configENS1_27upper_bound_config_selectorIdlEEZNS1_14transform_implILb0ES3_S5_N6thrust23THRUST_200600_302600_NS6detail15normal_iteratorINS8_7pointerIdNS8_11hip_rocprim5par_tENS8_11use_defaultESE_EEEENSA_INSB_IlSD_SE_SE_EEEEZNS1_13binary_searchIS3_S5_NSA_INS8_10device_ptrIdEEEESG_SI_NS1_21upper_bound_search_opENS9_16wrapped_functionINS8_6system6detail7generic6detail18binary_search_lessEbEEEE10hipError_tPvRmT1_T2_T3_mmT4_T5_P12ihipStream_tbEUlRKdE_EESV_SZ_S10_mS11_S14_bEUlT_E_NS1_11comp_targetILNS1_3genE9ELNS1_11target_archE1100ELNS1_3gpuE3ELNS1_3repE0EEENS1_30default_config_static_selectorELNS0_4arch9wavefront6targetE1EEEvSY_.num_named_barrier, 0
	.set _ZN7rocprim17ROCPRIM_400000_NS6detail17trampoline_kernelINS0_14default_configENS1_27upper_bound_config_selectorIdlEEZNS1_14transform_implILb0ES3_S5_N6thrust23THRUST_200600_302600_NS6detail15normal_iteratorINS8_7pointerIdNS8_11hip_rocprim5par_tENS8_11use_defaultESE_EEEENSA_INSB_IlSD_SE_SE_EEEEZNS1_13binary_searchIS3_S5_NSA_INS8_10device_ptrIdEEEESG_SI_NS1_21upper_bound_search_opENS9_16wrapped_functionINS8_6system6detail7generic6detail18binary_search_lessEbEEEE10hipError_tPvRmT1_T2_T3_mmT4_T5_P12ihipStream_tbEUlRKdE_EESV_SZ_S10_mS11_S14_bEUlT_E_NS1_11comp_targetILNS1_3genE9ELNS1_11target_archE1100ELNS1_3gpuE3ELNS1_3repE0EEENS1_30default_config_static_selectorELNS0_4arch9wavefront6targetE1EEEvSY_.private_seg_size, 0
	.set _ZN7rocprim17ROCPRIM_400000_NS6detail17trampoline_kernelINS0_14default_configENS1_27upper_bound_config_selectorIdlEEZNS1_14transform_implILb0ES3_S5_N6thrust23THRUST_200600_302600_NS6detail15normal_iteratorINS8_7pointerIdNS8_11hip_rocprim5par_tENS8_11use_defaultESE_EEEENSA_INSB_IlSD_SE_SE_EEEEZNS1_13binary_searchIS3_S5_NSA_INS8_10device_ptrIdEEEESG_SI_NS1_21upper_bound_search_opENS9_16wrapped_functionINS8_6system6detail7generic6detail18binary_search_lessEbEEEE10hipError_tPvRmT1_T2_T3_mmT4_T5_P12ihipStream_tbEUlRKdE_EESV_SZ_S10_mS11_S14_bEUlT_E_NS1_11comp_targetILNS1_3genE9ELNS1_11target_archE1100ELNS1_3gpuE3ELNS1_3repE0EEENS1_30default_config_static_selectorELNS0_4arch9wavefront6targetE1EEEvSY_.uses_vcc, 0
	.set _ZN7rocprim17ROCPRIM_400000_NS6detail17trampoline_kernelINS0_14default_configENS1_27upper_bound_config_selectorIdlEEZNS1_14transform_implILb0ES3_S5_N6thrust23THRUST_200600_302600_NS6detail15normal_iteratorINS8_7pointerIdNS8_11hip_rocprim5par_tENS8_11use_defaultESE_EEEENSA_INSB_IlSD_SE_SE_EEEEZNS1_13binary_searchIS3_S5_NSA_INS8_10device_ptrIdEEEESG_SI_NS1_21upper_bound_search_opENS9_16wrapped_functionINS8_6system6detail7generic6detail18binary_search_lessEbEEEE10hipError_tPvRmT1_T2_T3_mmT4_T5_P12ihipStream_tbEUlRKdE_EESV_SZ_S10_mS11_S14_bEUlT_E_NS1_11comp_targetILNS1_3genE9ELNS1_11target_archE1100ELNS1_3gpuE3ELNS1_3repE0EEENS1_30default_config_static_selectorELNS0_4arch9wavefront6targetE1EEEvSY_.uses_flat_scratch, 0
	.set _ZN7rocprim17ROCPRIM_400000_NS6detail17trampoline_kernelINS0_14default_configENS1_27upper_bound_config_selectorIdlEEZNS1_14transform_implILb0ES3_S5_N6thrust23THRUST_200600_302600_NS6detail15normal_iteratorINS8_7pointerIdNS8_11hip_rocprim5par_tENS8_11use_defaultESE_EEEENSA_INSB_IlSD_SE_SE_EEEEZNS1_13binary_searchIS3_S5_NSA_INS8_10device_ptrIdEEEESG_SI_NS1_21upper_bound_search_opENS9_16wrapped_functionINS8_6system6detail7generic6detail18binary_search_lessEbEEEE10hipError_tPvRmT1_T2_T3_mmT4_T5_P12ihipStream_tbEUlRKdE_EESV_SZ_S10_mS11_S14_bEUlT_E_NS1_11comp_targetILNS1_3genE9ELNS1_11target_archE1100ELNS1_3gpuE3ELNS1_3repE0EEENS1_30default_config_static_selectorELNS0_4arch9wavefront6targetE1EEEvSY_.has_dyn_sized_stack, 0
	.set _ZN7rocprim17ROCPRIM_400000_NS6detail17trampoline_kernelINS0_14default_configENS1_27upper_bound_config_selectorIdlEEZNS1_14transform_implILb0ES3_S5_N6thrust23THRUST_200600_302600_NS6detail15normal_iteratorINS8_7pointerIdNS8_11hip_rocprim5par_tENS8_11use_defaultESE_EEEENSA_INSB_IlSD_SE_SE_EEEEZNS1_13binary_searchIS3_S5_NSA_INS8_10device_ptrIdEEEESG_SI_NS1_21upper_bound_search_opENS9_16wrapped_functionINS8_6system6detail7generic6detail18binary_search_lessEbEEEE10hipError_tPvRmT1_T2_T3_mmT4_T5_P12ihipStream_tbEUlRKdE_EESV_SZ_S10_mS11_S14_bEUlT_E_NS1_11comp_targetILNS1_3genE9ELNS1_11target_archE1100ELNS1_3gpuE3ELNS1_3repE0EEENS1_30default_config_static_selectorELNS0_4arch9wavefront6targetE1EEEvSY_.has_recursion, 0
	.set _ZN7rocprim17ROCPRIM_400000_NS6detail17trampoline_kernelINS0_14default_configENS1_27upper_bound_config_selectorIdlEEZNS1_14transform_implILb0ES3_S5_N6thrust23THRUST_200600_302600_NS6detail15normal_iteratorINS8_7pointerIdNS8_11hip_rocprim5par_tENS8_11use_defaultESE_EEEENSA_INSB_IlSD_SE_SE_EEEEZNS1_13binary_searchIS3_S5_NSA_INS8_10device_ptrIdEEEESG_SI_NS1_21upper_bound_search_opENS9_16wrapped_functionINS8_6system6detail7generic6detail18binary_search_lessEbEEEE10hipError_tPvRmT1_T2_T3_mmT4_T5_P12ihipStream_tbEUlRKdE_EESV_SZ_S10_mS11_S14_bEUlT_E_NS1_11comp_targetILNS1_3genE9ELNS1_11target_archE1100ELNS1_3gpuE3ELNS1_3repE0EEENS1_30default_config_static_selectorELNS0_4arch9wavefront6targetE1EEEvSY_.has_indirect_call, 0
	.section	.AMDGPU.csdata,"",@progbits
; Kernel info:
; codeLenInByte = 0
; TotalNumSgprs: 4
; NumVgprs: 0
; ScratchSize: 0
; MemoryBound: 0
; FloatMode: 240
; IeeeMode: 1
; LDSByteSize: 0 bytes/workgroup (compile time only)
; SGPRBlocks: 0
; VGPRBlocks: 0
; NumSGPRsForWavesPerEU: 4
; NumVGPRsForWavesPerEU: 1
; Occupancy: 10
; WaveLimiterHint : 0
; COMPUTE_PGM_RSRC2:SCRATCH_EN: 0
; COMPUTE_PGM_RSRC2:USER_SGPR: 6
; COMPUTE_PGM_RSRC2:TRAP_HANDLER: 0
; COMPUTE_PGM_RSRC2:TGID_X_EN: 1
; COMPUTE_PGM_RSRC2:TGID_Y_EN: 0
; COMPUTE_PGM_RSRC2:TGID_Z_EN: 0
; COMPUTE_PGM_RSRC2:TIDIG_COMP_CNT: 0
	.section	.text._ZN7rocprim17ROCPRIM_400000_NS6detail17trampoline_kernelINS0_14default_configENS1_27upper_bound_config_selectorIdlEEZNS1_14transform_implILb0ES3_S5_N6thrust23THRUST_200600_302600_NS6detail15normal_iteratorINS8_7pointerIdNS8_11hip_rocprim5par_tENS8_11use_defaultESE_EEEENSA_INSB_IlSD_SE_SE_EEEEZNS1_13binary_searchIS3_S5_NSA_INS8_10device_ptrIdEEEESG_SI_NS1_21upper_bound_search_opENS9_16wrapped_functionINS8_6system6detail7generic6detail18binary_search_lessEbEEEE10hipError_tPvRmT1_T2_T3_mmT4_T5_P12ihipStream_tbEUlRKdE_EESV_SZ_S10_mS11_S14_bEUlT_E_NS1_11comp_targetILNS1_3genE8ELNS1_11target_archE1030ELNS1_3gpuE2ELNS1_3repE0EEENS1_30default_config_static_selectorELNS0_4arch9wavefront6targetE1EEEvSY_,"axG",@progbits,_ZN7rocprim17ROCPRIM_400000_NS6detail17trampoline_kernelINS0_14default_configENS1_27upper_bound_config_selectorIdlEEZNS1_14transform_implILb0ES3_S5_N6thrust23THRUST_200600_302600_NS6detail15normal_iteratorINS8_7pointerIdNS8_11hip_rocprim5par_tENS8_11use_defaultESE_EEEENSA_INSB_IlSD_SE_SE_EEEEZNS1_13binary_searchIS3_S5_NSA_INS8_10device_ptrIdEEEESG_SI_NS1_21upper_bound_search_opENS9_16wrapped_functionINS8_6system6detail7generic6detail18binary_search_lessEbEEEE10hipError_tPvRmT1_T2_T3_mmT4_T5_P12ihipStream_tbEUlRKdE_EESV_SZ_S10_mS11_S14_bEUlT_E_NS1_11comp_targetILNS1_3genE8ELNS1_11target_archE1030ELNS1_3gpuE2ELNS1_3repE0EEENS1_30default_config_static_selectorELNS0_4arch9wavefront6targetE1EEEvSY_,comdat
	.protected	_ZN7rocprim17ROCPRIM_400000_NS6detail17trampoline_kernelINS0_14default_configENS1_27upper_bound_config_selectorIdlEEZNS1_14transform_implILb0ES3_S5_N6thrust23THRUST_200600_302600_NS6detail15normal_iteratorINS8_7pointerIdNS8_11hip_rocprim5par_tENS8_11use_defaultESE_EEEENSA_INSB_IlSD_SE_SE_EEEEZNS1_13binary_searchIS3_S5_NSA_INS8_10device_ptrIdEEEESG_SI_NS1_21upper_bound_search_opENS9_16wrapped_functionINS8_6system6detail7generic6detail18binary_search_lessEbEEEE10hipError_tPvRmT1_T2_T3_mmT4_T5_P12ihipStream_tbEUlRKdE_EESV_SZ_S10_mS11_S14_bEUlT_E_NS1_11comp_targetILNS1_3genE8ELNS1_11target_archE1030ELNS1_3gpuE2ELNS1_3repE0EEENS1_30default_config_static_selectorELNS0_4arch9wavefront6targetE1EEEvSY_ ; -- Begin function _ZN7rocprim17ROCPRIM_400000_NS6detail17trampoline_kernelINS0_14default_configENS1_27upper_bound_config_selectorIdlEEZNS1_14transform_implILb0ES3_S5_N6thrust23THRUST_200600_302600_NS6detail15normal_iteratorINS8_7pointerIdNS8_11hip_rocprim5par_tENS8_11use_defaultESE_EEEENSA_INSB_IlSD_SE_SE_EEEEZNS1_13binary_searchIS3_S5_NSA_INS8_10device_ptrIdEEEESG_SI_NS1_21upper_bound_search_opENS9_16wrapped_functionINS8_6system6detail7generic6detail18binary_search_lessEbEEEE10hipError_tPvRmT1_T2_T3_mmT4_T5_P12ihipStream_tbEUlRKdE_EESV_SZ_S10_mS11_S14_bEUlT_E_NS1_11comp_targetILNS1_3genE8ELNS1_11target_archE1030ELNS1_3gpuE2ELNS1_3repE0EEENS1_30default_config_static_selectorELNS0_4arch9wavefront6targetE1EEEvSY_
	.globl	_ZN7rocprim17ROCPRIM_400000_NS6detail17trampoline_kernelINS0_14default_configENS1_27upper_bound_config_selectorIdlEEZNS1_14transform_implILb0ES3_S5_N6thrust23THRUST_200600_302600_NS6detail15normal_iteratorINS8_7pointerIdNS8_11hip_rocprim5par_tENS8_11use_defaultESE_EEEENSA_INSB_IlSD_SE_SE_EEEEZNS1_13binary_searchIS3_S5_NSA_INS8_10device_ptrIdEEEESG_SI_NS1_21upper_bound_search_opENS9_16wrapped_functionINS8_6system6detail7generic6detail18binary_search_lessEbEEEE10hipError_tPvRmT1_T2_T3_mmT4_T5_P12ihipStream_tbEUlRKdE_EESV_SZ_S10_mS11_S14_bEUlT_E_NS1_11comp_targetILNS1_3genE8ELNS1_11target_archE1030ELNS1_3gpuE2ELNS1_3repE0EEENS1_30default_config_static_selectorELNS0_4arch9wavefront6targetE1EEEvSY_
	.p2align	8
	.type	_ZN7rocprim17ROCPRIM_400000_NS6detail17trampoline_kernelINS0_14default_configENS1_27upper_bound_config_selectorIdlEEZNS1_14transform_implILb0ES3_S5_N6thrust23THRUST_200600_302600_NS6detail15normal_iteratorINS8_7pointerIdNS8_11hip_rocprim5par_tENS8_11use_defaultESE_EEEENSA_INSB_IlSD_SE_SE_EEEEZNS1_13binary_searchIS3_S5_NSA_INS8_10device_ptrIdEEEESG_SI_NS1_21upper_bound_search_opENS9_16wrapped_functionINS8_6system6detail7generic6detail18binary_search_lessEbEEEE10hipError_tPvRmT1_T2_T3_mmT4_T5_P12ihipStream_tbEUlRKdE_EESV_SZ_S10_mS11_S14_bEUlT_E_NS1_11comp_targetILNS1_3genE8ELNS1_11target_archE1030ELNS1_3gpuE2ELNS1_3repE0EEENS1_30default_config_static_selectorELNS0_4arch9wavefront6targetE1EEEvSY_,@function
_ZN7rocprim17ROCPRIM_400000_NS6detail17trampoline_kernelINS0_14default_configENS1_27upper_bound_config_selectorIdlEEZNS1_14transform_implILb0ES3_S5_N6thrust23THRUST_200600_302600_NS6detail15normal_iteratorINS8_7pointerIdNS8_11hip_rocprim5par_tENS8_11use_defaultESE_EEEENSA_INSB_IlSD_SE_SE_EEEEZNS1_13binary_searchIS3_S5_NSA_INS8_10device_ptrIdEEEESG_SI_NS1_21upper_bound_search_opENS9_16wrapped_functionINS8_6system6detail7generic6detail18binary_search_lessEbEEEE10hipError_tPvRmT1_T2_T3_mmT4_T5_P12ihipStream_tbEUlRKdE_EESV_SZ_S10_mS11_S14_bEUlT_E_NS1_11comp_targetILNS1_3genE8ELNS1_11target_archE1030ELNS1_3gpuE2ELNS1_3repE0EEENS1_30default_config_static_selectorELNS0_4arch9wavefront6targetE1EEEvSY_: ; @_ZN7rocprim17ROCPRIM_400000_NS6detail17trampoline_kernelINS0_14default_configENS1_27upper_bound_config_selectorIdlEEZNS1_14transform_implILb0ES3_S5_N6thrust23THRUST_200600_302600_NS6detail15normal_iteratorINS8_7pointerIdNS8_11hip_rocprim5par_tENS8_11use_defaultESE_EEEENSA_INSB_IlSD_SE_SE_EEEEZNS1_13binary_searchIS3_S5_NSA_INS8_10device_ptrIdEEEESG_SI_NS1_21upper_bound_search_opENS9_16wrapped_functionINS8_6system6detail7generic6detail18binary_search_lessEbEEEE10hipError_tPvRmT1_T2_T3_mmT4_T5_P12ihipStream_tbEUlRKdE_EESV_SZ_S10_mS11_S14_bEUlT_E_NS1_11comp_targetILNS1_3genE8ELNS1_11target_archE1030ELNS1_3gpuE2ELNS1_3repE0EEENS1_30default_config_static_selectorELNS0_4arch9wavefront6targetE1EEEvSY_
; %bb.0:
	.section	.rodata,"a",@progbits
	.p2align	6, 0x0
	.amdhsa_kernel _ZN7rocprim17ROCPRIM_400000_NS6detail17trampoline_kernelINS0_14default_configENS1_27upper_bound_config_selectorIdlEEZNS1_14transform_implILb0ES3_S5_N6thrust23THRUST_200600_302600_NS6detail15normal_iteratorINS8_7pointerIdNS8_11hip_rocprim5par_tENS8_11use_defaultESE_EEEENSA_INSB_IlSD_SE_SE_EEEEZNS1_13binary_searchIS3_S5_NSA_INS8_10device_ptrIdEEEESG_SI_NS1_21upper_bound_search_opENS9_16wrapped_functionINS8_6system6detail7generic6detail18binary_search_lessEbEEEE10hipError_tPvRmT1_T2_T3_mmT4_T5_P12ihipStream_tbEUlRKdE_EESV_SZ_S10_mS11_S14_bEUlT_E_NS1_11comp_targetILNS1_3genE8ELNS1_11target_archE1030ELNS1_3gpuE2ELNS1_3repE0EEENS1_30default_config_static_selectorELNS0_4arch9wavefront6targetE1EEEvSY_
		.amdhsa_group_segment_fixed_size 0
		.amdhsa_private_segment_fixed_size 0
		.amdhsa_kernarg_size 56
		.amdhsa_user_sgpr_count 6
		.amdhsa_user_sgpr_private_segment_buffer 1
		.amdhsa_user_sgpr_dispatch_ptr 0
		.amdhsa_user_sgpr_queue_ptr 0
		.amdhsa_user_sgpr_kernarg_segment_ptr 1
		.amdhsa_user_sgpr_dispatch_id 0
		.amdhsa_user_sgpr_flat_scratch_init 0
		.amdhsa_user_sgpr_private_segment_size 0
		.amdhsa_uses_dynamic_stack 0
		.amdhsa_system_sgpr_private_segment_wavefront_offset 0
		.amdhsa_system_sgpr_workgroup_id_x 1
		.amdhsa_system_sgpr_workgroup_id_y 0
		.amdhsa_system_sgpr_workgroup_id_z 0
		.amdhsa_system_sgpr_workgroup_info 0
		.amdhsa_system_vgpr_workitem_id 0
		.amdhsa_next_free_vgpr 1
		.amdhsa_next_free_sgpr 0
		.amdhsa_reserve_vcc 0
		.amdhsa_reserve_flat_scratch 0
		.amdhsa_float_round_mode_32 0
		.amdhsa_float_round_mode_16_64 0
		.amdhsa_float_denorm_mode_32 3
		.amdhsa_float_denorm_mode_16_64 3
		.amdhsa_dx10_clamp 1
		.amdhsa_ieee_mode 1
		.amdhsa_fp16_overflow 0
		.amdhsa_exception_fp_ieee_invalid_op 0
		.amdhsa_exception_fp_denorm_src 0
		.amdhsa_exception_fp_ieee_div_zero 0
		.amdhsa_exception_fp_ieee_overflow 0
		.amdhsa_exception_fp_ieee_underflow 0
		.amdhsa_exception_fp_ieee_inexact 0
		.amdhsa_exception_int_div_zero 0
	.end_amdhsa_kernel
	.section	.text._ZN7rocprim17ROCPRIM_400000_NS6detail17trampoline_kernelINS0_14default_configENS1_27upper_bound_config_selectorIdlEEZNS1_14transform_implILb0ES3_S5_N6thrust23THRUST_200600_302600_NS6detail15normal_iteratorINS8_7pointerIdNS8_11hip_rocprim5par_tENS8_11use_defaultESE_EEEENSA_INSB_IlSD_SE_SE_EEEEZNS1_13binary_searchIS3_S5_NSA_INS8_10device_ptrIdEEEESG_SI_NS1_21upper_bound_search_opENS9_16wrapped_functionINS8_6system6detail7generic6detail18binary_search_lessEbEEEE10hipError_tPvRmT1_T2_T3_mmT4_T5_P12ihipStream_tbEUlRKdE_EESV_SZ_S10_mS11_S14_bEUlT_E_NS1_11comp_targetILNS1_3genE8ELNS1_11target_archE1030ELNS1_3gpuE2ELNS1_3repE0EEENS1_30default_config_static_selectorELNS0_4arch9wavefront6targetE1EEEvSY_,"axG",@progbits,_ZN7rocprim17ROCPRIM_400000_NS6detail17trampoline_kernelINS0_14default_configENS1_27upper_bound_config_selectorIdlEEZNS1_14transform_implILb0ES3_S5_N6thrust23THRUST_200600_302600_NS6detail15normal_iteratorINS8_7pointerIdNS8_11hip_rocprim5par_tENS8_11use_defaultESE_EEEENSA_INSB_IlSD_SE_SE_EEEEZNS1_13binary_searchIS3_S5_NSA_INS8_10device_ptrIdEEEESG_SI_NS1_21upper_bound_search_opENS9_16wrapped_functionINS8_6system6detail7generic6detail18binary_search_lessEbEEEE10hipError_tPvRmT1_T2_T3_mmT4_T5_P12ihipStream_tbEUlRKdE_EESV_SZ_S10_mS11_S14_bEUlT_E_NS1_11comp_targetILNS1_3genE8ELNS1_11target_archE1030ELNS1_3gpuE2ELNS1_3repE0EEENS1_30default_config_static_selectorELNS0_4arch9wavefront6targetE1EEEvSY_,comdat
.Lfunc_end508:
	.size	_ZN7rocprim17ROCPRIM_400000_NS6detail17trampoline_kernelINS0_14default_configENS1_27upper_bound_config_selectorIdlEEZNS1_14transform_implILb0ES3_S5_N6thrust23THRUST_200600_302600_NS6detail15normal_iteratorINS8_7pointerIdNS8_11hip_rocprim5par_tENS8_11use_defaultESE_EEEENSA_INSB_IlSD_SE_SE_EEEEZNS1_13binary_searchIS3_S5_NSA_INS8_10device_ptrIdEEEESG_SI_NS1_21upper_bound_search_opENS9_16wrapped_functionINS8_6system6detail7generic6detail18binary_search_lessEbEEEE10hipError_tPvRmT1_T2_T3_mmT4_T5_P12ihipStream_tbEUlRKdE_EESV_SZ_S10_mS11_S14_bEUlT_E_NS1_11comp_targetILNS1_3genE8ELNS1_11target_archE1030ELNS1_3gpuE2ELNS1_3repE0EEENS1_30default_config_static_selectorELNS0_4arch9wavefront6targetE1EEEvSY_, .Lfunc_end508-_ZN7rocprim17ROCPRIM_400000_NS6detail17trampoline_kernelINS0_14default_configENS1_27upper_bound_config_selectorIdlEEZNS1_14transform_implILb0ES3_S5_N6thrust23THRUST_200600_302600_NS6detail15normal_iteratorINS8_7pointerIdNS8_11hip_rocprim5par_tENS8_11use_defaultESE_EEEENSA_INSB_IlSD_SE_SE_EEEEZNS1_13binary_searchIS3_S5_NSA_INS8_10device_ptrIdEEEESG_SI_NS1_21upper_bound_search_opENS9_16wrapped_functionINS8_6system6detail7generic6detail18binary_search_lessEbEEEE10hipError_tPvRmT1_T2_T3_mmT4_T5_P12ihipStream_tbEUlRKdE_EESV_SZ_S10_mS11_S14_bEUlT_E_NS1_11comp_targetILNS1_3genE8ELNS1_11target_archE1030ELNS1_3gpuE2ELNS1_3repE0EEENS1_30default_config_static_selectorELNS0_4arch9wavefront6targetE1EEEvSY_
                                        ; -- End function
	.set _ZN7rocprim17ROCPRIM_400000_NS6detail17trampoline_kernelINS0_14default_configENS1_27upper_bound_config_selectorIdlEEZNS1_14transform_implILb0ES3_S5_N6thrust23THRUST_200600_302600_NS6detail15normal_iteratorINS8_7pointerIdNS8_11hip_rocprim5par_tENS8_11use_defaultESE_EEEENSA_INSB_IlSD_SE_SE_EEEEZNS1_13binary_searchIS3_S5_NSA_INS8_10device_ptrIdEEEESG_SI_NS1_21upper_bound_search_opENS9_16wrapped_functionINS8_6system6detail7generic6detail18binary_search_lessEbEEEE10hipError_tPvRmT1_T2_T3_mmT4_T5_P12ihipStream_tbEUlRKdE_EESV_SZ_S10_mS11_S14_bEUlT_E_NS1_11comp_targetILNS1_3genE8ELNS1_11target_archE1030ELNS1_3gpuE2ELNS1_3repE0EEENS1_30default_config_static_selectorELNS0_4arch9wavefront6targetE1EEEvSY_.num_vgpr, 0
	.set _ZN7rocprim17ROCPRIM_400000_NS6detail17trampoline_kernelINS0_14default_configENS1_27upper_bound_config_selectorIdlEEZNS1_14transform_implILb0ES3_S5_N6thrust23THRUST_200600_302600_NS6detail15normal_iteratorINS8_7pointerIdNS8_11hip_rocprim5par_tENS8_11use_defaultESE_EEEENSA_INSB_IlSD_SE_SE_EEEEZNS1_13binary_searchIS3_S5_NSA_INS8_10device_ptrIdEEEESG_SI_NS1_21upper_bound_search_opENS9_16wrapped_functionINS8_6system6detail7generic6detail18binary_search_lessEbEEEE10hipError_tPvRmT1_T2_T3_mmT4_T5_P12ihipStream_tbEUlRKdE_EESV_SZ_S10_mS11_S14_bEUlT_E_NS1_11comp_targetILNS1_3genE8ELNS1_11target_archE1030ELNS1_3gpuE2ELNS1_3repE0EEENS1_30default_config_static_selectorELNS0_4arch9wavefront6targetE1EEEvSY_.num_agpr, 0
	.set _ZN7rocprim17ROCPRIM_400000_NS6detail17trampoline_kernelINS0_14default_configENS1_27upper_bound_config_selectorIdlEEZNS1_14transform_implILb0ES3_S5_N6thrust23THRUST_200600_302600_NS6detail15normal_iteratorINS8_7pointerIdNS8_11hip_rocprim5par_tENS8_11use_defaultESE_EEEENSA_INSB_IlSD_SE_SE_EEEEZNS1_13binary_searchIS3_S5_NSA_INS8_10device_ptrIdEEEESG_SI_NS1_21upper_bound_search_opENS9_16wrapped_functionINS8_6system6detail7generic6detail18binary_search_lessEbEEEE10hipError_tPvRmT1_T2_T3_mmT4_T5_P12ihipStream_tbEUlRKdE_EESV_SZ_S10_mS11_S14_bEUlT_E_NS1_11comp_targetILNS1_3genE8ELNS1_11target_archE1030ELNS1_3gpuE2ELNS1_3repE0EEENS1_30default_config_static_selectorELNS0_4arch9wavefront6targetE1EEEvSY_.numbered_sgpr, 0
	.set _ZN7rocprim17ROCPRIM_400000_NS6detail17trampoline_kernelINS0_14default_configENS1_27upper_bound_config_selectorIdlEEZNS1_14transform_implILb0ES3_S5_N6thrust23THRUST_200600_302600_NS6detail15normal_iteratorINS8_7pointerIdNS8_11hip_rocprim5par_tENS8_11use_defaultESE_EEEENSA_INSB_IlSD_SE_SE_EEEEZNS1_13binary_searchIS3_S5_NSA_INS8_10device_ptrIdEEEESG_SI_NS1_21upper_bound_search_opENS9_16wrapped_functionINS8_6system6detail7generic6detail18binary_search_lessEbEEEE10hipError_tPvRmT1_T2_T3_mmT4_T5_P12ihipStream_tbEUlRKdE_EESV_SZ_S10_mS11_S14_bEUlT_E_NS1_11comp_targetILNS1_3genE8ELNS1_11target_archE1030ELNS1_3gpuE2ELNS1_3repE0EEENS1_30default_config_static_selectorELNS0_4arch9wavefront6targetE1EEEvSY_.num_named_barrier, 0
	.set _ZN7rocprim17ROCPRIM_400000_NS6detail17trampoline_kernelINS0_14default_configENS1_27upper_bound_config_selectorIdlEEZNS1_14transform_implILb0ES3_S5_N6thrust23THRUST_200600_302600_NS6detail15normal_iteratorINS8_7pointerIdNS8_11hip_rocprim5par_tENS8_11use_defaultESE_EEEENSA_INSB_IlSD_SE_SE_EEEEZNS1_13binary_searchIS3_S5_NSA_INS8_10device_ptrIdEEEESG_SI_NS1_21upper_bound_search_opENS9_16wrapped_functionINS8_6system6detail7generic6detail18binary_search_lessEbEEEE10hipError_tPvRmT1_T2_T3_mmT4_T5_P12ihipStream_tbEUlRKdE_EESV_SZ_S10_mS11_S14_bEUlT_E_NS1_11comp_targetILNS1_3genE8ELNS1_11target_archE1030ELNS1_3gpuE2ELNS1_3repE0EEENS1_30default_config_static_selectorELNS0_4arch9wavefront6targetE1EEEvSY_.private_seg_size, 0
	.set _ZN7rocprim17ROCPRIM_400000_NS6detail17trampoline_kernelINS0_14default_configENS1_27upper_bound_config_selectorIdlEEZNS1_14transform_implILb0ES3_S5_N6thrust23THRUST_200600_302600_NS6detail15normal_iteratorINS8_7pointerIdNS8_11hip_rocprim5par_tENS8_11use_defaultESE_EEEENSA_INSB_IlSD_SE_SE_EEEEZNS1_13binary_searchIS3_S5_NSA_INS8_10device_ptrIdEEEESG_SI_NS1_21upper_bound_search_opENS9_16wrapped_functionINS8_6system6detail7generic6detail18binary_search_lessEbEEEE10hipError_tPvRmT1_T2_T3_mmT4_T5_P12ihipStream_tbEUlRKdE_EESV_SZ_S10_mS11_S14_bEUlT_E_NS1_11comp_targetILNS1_3genE8ELNS1_11target_archE1030ELNS1_3gpuE2ELNS1_3repE0EEENS1_30default_config_static_selectorELNS0_4arch9wavefront6targetE1EEEvSY_.uses_vcc, 0
	.set _ZN7rocprim17ROCPRIM_400000_NS6detail17trampoline_kernelINS0_14default_configENS1_27upper_bound_config_selectorIdlEEZNS1_14transform_implILb0ES3_S5_N6thrust23THRUST_200600_302600_NS6detail15normal_iteratorINS8_7pointerIdNS8_11hip_rocprim5par_tENS8_11use_defaultESE_EEEENSA_INSB_IlSD_SE_SE_EEEEZNS1_13binary_searchIS3_S5_NSA_INS8_10device_ptrIdEEEESG_SI_NS1_21upper_bound_search_opENS9_16wrapped_functionINS8_6system6detail7generic6detail18binary_search_lessEbEEEE10hipError_tPvRmT1_T2_T3_mmT4_T5_P12ihipStream_tbEUlRKdE_EESV_SZ_S10_mS11_S14_bEUlT_E_NS1_11comp_targetILNS1_3genE8ELNS1_11target_archE1030ELNS1_3gpuE2ELNS1_3repE0EEENS1_30default_config_static_selectorELNS0_4arch9wavefront6targetE1EEEvSY_.uses_flat_scratch, 0
	.set _ZN7rocprim17ROCPRIM_400000_NS6detail17trampoline_kernelINS0_14default_configENS1_27upper_bound_config_selectorIdlEEZNS1_14transform_implILb0ES3_S5_N6thrust23THRUST_200600_302600_NS6detail15normal_iteratorINS8_7pointerIdNS8_11hip_rocprim5par_tENS8_11use_defaultESE_EEEENSA_INSB_IlSD_SE_SE_EEEEZNS1_13binary_searchIS3_S5_NSA_INS8_10device_ptrIdEEEESG_SI_NS1_21upper_bound_search_opENS9_16wrapped_functionINS8_6system6detail7generic6detail18binary_search_lessEbEEEE10hipError_tPvRmT1_T2_T3_mmT4_T5_P12ihipStream_tbEUlRKdE_EESV_SZ_S10_mS11_S14_bEUlT_E_NS1_11comp_targetILNS1_3genE8ELNS1_11target_archE1030ELNS1_3gpuE2ELNS1_3repE0EEENS1_30default_config_static_selectorELNS0_4arch9wavefront6targetE1EEEvSY_.has_dyn_sized_stack, 0
	.set _ZN7rocprim17ROCPRIM_400000_NS6detail17trampoline_kernelINS0_14default_configENS1_27upper_bound_config_selectorIdlEEZNS1_14transform_implILb0ES3_S5_N6thrust23THRUST_200600_302600_NS6detail15normal_iteratorINS8_7pointerIdNS8_11hip_rocprim5par_tENS8_11use_defaultESE_EEEENSA_INSB_IlSD_SE_SE_EEEEZNS1_13binary_searchIS3_S5_NSA_INS8_10device_ptrIdEEEESG_SI_NS1_21upper_bound_search_opENS9_16wrapped_functionINS8_6system6detail7generic6detail18binary_search_lessEbEEEE10hipError_tPvRmT1_T2_T3_mmT4_T5_P12ihipStream_tbEUlRKdE_EESV_SZ_S10_mS11_S14_bEUlT_E_NS1_11comp_targetILNS1_3genE8ELNS1_11target_archE1030ELNS1_3gpuE2ELNS1_3repE0EEENS1_30default_config_static_selectorELNS0_4arch9wavefront6targetE1EEEvSY_.has_recursion, 0
	.set _ZN7rocprim17ROCPRIM_400000_NS6detail17trampoline_kernelINS0_14default_configENS1_27upper_bound_config_selectorIdlEEZNS1_14transform_implILb0ES3_S5_N6thrust23THRUST_200600_302600_NS6detail15normal_iteratorINS8_7pointerIdNS8_11hip_rocprim5par_tENS8_11use_defaultESE_EEEENSA_INSB_IlSD_SE_SE_EEEEZNS1_13binary_searchIS3_S5_NSA_INS8_10device_ptrIdEEEESG_SI_NS1_21upper_bound_search_opENS9_16wrapped_functionINS8_6system6detail7generic6detail18binary_search_lessEbEEEE10hipError_tPvRmT1_T2_T3_mmT4_T5_P12ihipStream_tbEUlRKdE_EESV_SZ_S10_mS11_S14_bEUlT_E_NS1_11comp_targetILNS1_3genE8ELNS1_11target_archE1030ELNS1_3gpuE2ELNS1_3repE0EEENS1_30default_config_static_selectorELNS0_4arch9wavefront6targetE1EEEvSY_.has_indirect_call, 0
	.section	.AMDGPU.csdata,"",@progbits
; Kernel info:
; codeLenInByte = 0
; TotalNumSgprs: 4
; NumVgprs: 0
; ScratchSize: 0
; MemoryBound: 0
; FloatMode: 240
; IeeeMode: 1
; LDSByteSize: 0 bytes/workgroup (compile time only)
; SGPRBlocks: 0
; VGPRBlocks: 0
; NumSGPRsForWavesPerEU: 4
; NumVGPRsForWavesPerEU: 1
; Occupancy: 10
; WaveLimiterHint : 0
; COMPUTE_PGM_RSRC2:SCRATCH_EN: 0
; COMPUTE_PGM_RSRC2:USER_SGPR: 6
; COMPUTE_PGM_RSRC2:TRAP_HANDLER: 0
; COMPUTE_PGM_RSRC2:TGID_X_EN: 1
; COMPUTE_PGM_RSRC2:TGID_Y_EN: 0
; COMPUTE_PGM_RSRC2:TGID_Z_EN: 0
; COMPUTE_PGM_RSRC2:TIDIG_COMP_CNT: 0
	.section	.text._ZN7rocprim17ROCPRIM_400000_NS6detail17trampoline_kernelINS0_14default_configENS1_27upper_bound_config_selectorIflEEZNS1_14transform_implILb0ES3_S5_N6thrust23THRUST_200600_302600_NS6detail15normal_iteratorINS8_7pointerIfNS8_11hip_rocprim16par_det_nosync_tENS8_11use_defaultESE_EEEENSA_INSB_IlSD_SE_SE_EEEEZNS1_13binary_searchIS3_S5_NSA_INS8_10device_ptrIfEEEESG_SI_NS1_21upper_bound_search_opENS9_16wrapped_functionINS8_6system6detail7generic6detail18binary_search_lessEbEEEE10hipError_tPvRmT1_T2_T3_mmT4_T5_P12ihipStream_tbEUlRKfE_EESV_SZ_S10_mS11_S14_bEUlT_E_NS1_11comp_targetILNS1_3genE0ELNS1_11target_archE4294967295ELNS1_3gpuE0ELNS1_3repE0EEENS1_30default_config_static_selectorELNS0_4arch9wavefront6targetE1EEEvSY_,"axG",@progbits,_ZN7rocprim17ROCPRIM_400000_NS6detail17trampoline_kernelINS0_14default_configENS1_27upper_bound_config_selectorIflEEZNS1_14transform_implILb0ES3_S5_N6thrust23THRUST_200600_302600_NS6detail15normal_iteratorINS8_7pointerIfNS8_11hip_rocprim16par_det_nosync_tENS8_11use_defaultESE_EEEENSA_INSB_IlSD_SE_SE_EEEEZNS1_13binary_searchIS3_S5_NSA_INS8_10device_ptrIfEEEESG_SI_NS1_21upper_bound_search_opENS9_16wrapped_functionINS8_6system6detail7generic6detail18binary_search_lessEbEEEE10hipError_tPvRmT1_T2_T3_mmT4_T5_P12ihipStream_tbEUlRKfE_EESV_SZ_S10_mS11_S14_bEUlT_E_NS1_11comp_targetILNS1_3genE0ELNS1_11target_archE4294967295ELNS1_3gpuE0ELNS1_3repE0EEENS1_30default_config_static_selectorELNS0_4arch9wavefront6targetE1EEEvSY_,comdat
	.protected	_ZN7rocprim17ROCPRIM_400000_NS6detail17trampoline_kernelINS0_14default_configENS1_27upper_bound_config_selectorIflEEZNS1_14transform_implILb0ES3_S5_N6thrust23THRUST_200600_302600_NS6detail15normal_iteratorINS8_7pointerIfNS8_11hip_rocprim16par_det_nosync_tENS8_11use_defaultESE_EEEENSA_INSB_IlSD_SE_SE_EEEEZNS1_13binary_searchIS3_S5_NSA_INS8_10device_ptrIfEEEESG_SI_NS1_21upper_bound_search_opENS9_16wrapped_functionINS8_6system6detail7generic6detail18binary_search_lessEbEEEE10hipError_tPvRmT1_T2_T3_mmT4_T5_P12ihipStream_tbEUlRKfE_EESV_SZ_S10_mS11_S14_bEUlT_E_NS1_11comp_targetILNS1_3genE0ELNS1_11target_archE4294967295ELNS1_3gpuE0ELNS1_3repE0EEENS1_30default_config_static_selectorELNS0_4arch9wavefront6targetE1EEEvSY_ ; -- Begin function _ZN7rocprim17ROCPRIM_400000_NS6detail17trampoline_kernelINS0_14default_configENS1_27upper_bound_config_selectorIflEEZNS1_14transform_implILb0ES3_S5_N6thrust23THRUST_200600_302600_NS6detail15normal_iteratorINS8_7pointerIfNS8_11hip_rocprim16par_det_nosync_tENS8_11use_defaultESE_EEEENSA_INSB_IlSD_SE_SE_EEEEZNS1_13binary_searchIS3_S5_NSA_INS8_10device_ptrIfEEEESG_SI_NS1_21upper_bound_search_opENS9_16wrapped_functionINS8_6system6detail7generic6detail18binary_search_lessEbEEEE10hipError_tPvRmT1_T2_T3_mmT4_T5_P12ihipStream_tbEUlRKfE_EESV_SZ_S10_mS11_S14_bEUlT_E_NS1_11comp_targetILNS1_3genE0ELNS1_11target_archE4294967295ELNS1_3gpuE0ELNS1_3repE0EEENS1_30default_config_static_selectorELNS0_4arch9wavefront6targetE1EEEvSY_
	.globl	_ZN7rocprim17ROCPRIM_400000_NS6detail17trampoline_kernelINS0_14default_configENS1_27upper_bound_config_selectorIflEEZNS1_14transform_implILb0ES3_S5_N6thrust23THRUST_200600_302600_NS6detail15normal_iteratorINS8_7pointerIfNS8_11hip_rocprim16par_det_nosync_tENS8_11use_defaultESE_EEEENSA_INSB_IlSD_SE_SE_EEEEZNS1_13binary_searchIS3_S5_NSA_INS8_10device_ptrIfEEEESG_SI_NS1_21upper_bound_search_opENS9_16wrapped_functionINS8_6system6detail7generic6detail18binary_search_lessEbEEEE10hipError_tPvRmT1_T2_T3_mmT4_T5_P12ihipStream_tbEUlRKfE_EESV_SZ_S10_mS11_S14_bEUlT_E_NS1_11comp_targetILNS1_3genE0ELNS1_11target_archE4294967295ELNS1_3gpuE0ELNS1_3repE0EEENS1_30default_config_static_selectorELNS0_4arch9wavefront6targetE1EEEvSY_
	.p2align	8
	.type	_ZN7rocprim17ROCPRIM_400000_NS6detail17trampoline_kernelINS0_14default_configENS1_27upper_bound_config_selectorIflEEZNS1_14transform_implILb0ES3_S5_N6thrust23THRUST_200600_302600_NS6detail15normal_iteratorINS8_7pointerIfNS8_11hip_rocprim16par_det_nosync_tENS8_11use_defaultESE_EEEENSA_INSB_IlSD_SE_SE_EEEEZNS1_13binary_searchIS3_S5_NSA_INS8_10device_ptrIfEEEESG_SI_NS1_21upper_bound_search_opENS9_16wrapped_functionINS8_6system6detail7generic6detail18binary_search_lessEbEEEE10hipError_tPvRmT1_T2_T3_mmT4_T5_P12ihipStream_tbEUlRKfE_EESV_SZ_S10_mS11_S14_bEUlT_E_NS1_11comp_targetILNS1_3genE0ELNS1_11target_archE4294967295ELNS1_3gpuE0ELNS1_3repE0EEENS1_30default_config_static_selectorELNS0_4arch9wavefront6targetE1EEEvSY_,@function
_ZN7rocprim17ROCPRIM_400000_NS6detail17trampoline_kernelINS0_14default_configENS1_27upper_bound_config_selectorIflEEZNS1_14transform_implILb0ES3_S5_N6thrust23THRUST_200600_302600_NS6detail15normal_iteratorINS8_7pointerIfNS8_11hip_rocprim16par_det_nosync_tENS8_11use_defaultESE_EEEENSA_INSB_IlSD_SE_SE_EEEEZNS1_13binary_searchIS3_S5_NSA_INS8_10device_ptrIfEEEESG_SI_NS1_21upper_bound_search_opENS9_16wrapped_functionINS8_6system6detail7generic6detail18binary_search_lessEbEEEE10hipError_tPvRmT1_T2_T3_mmT4_T5_P12ihipStream_tbEUlRKfE_EESV_SZ_S10_mS11_S14_bEUlT_E_NS1_11comp_targetILNS1_3genE0ELNS1_11target_archE4294967295ELNS1_3gpuE0ELNS1_3repE0EEENS1_30default_config_static_selectorELNS0_4arch9wavefront6targetE1EEEvSY_: ; @_ZN7rocprim17ROCPRIM_400000_NS6detail17trampoline_kernelINS0_14default_configENS1_27upper_bound_config_selectorIflEEZNS1_14transform_implILb0ES3_S5_N6thrust23THRUST_200600_302600_NS6detail15normal_iteratorINS8_7pointerIfNS8_11hip_rocprim16par_det_nosync_tENS8_11use_defaultESE_EEEENSA_INSB_IlSD_SE_SE_EEEEZNS1_13binary_searchIS3_S5_NSA_INS8_10device_ptrIfEEEESG_SI_NS1_21upper_bound_search_opENS9_16wrapped_functionINS8_6system6detail7generic6detail18binary_search_lessEbEEEE10hipError_tPvRmT1_T2_T3_mmT4_T5_P12ihipStream_tbEUlRKfE_EESV_SZ_S10_mS11_S14_bEUlT_E_NS1_11comp_targetILNS1_3genE0ELNS1_11target_archE4294967295ELNS1_3gpuE0ELNS1_3repE0EEENS1_30default_config_static_selectorELNS0_4arch9wavefront6targetE1EEEvSY_
; %bb.0:
	.section	.rodata,"a",@progbits
	.p2align	6, 0x0
	.amdhsa_kernel _ZN7rocprim17ROCPRIM_400000_NS6detail17trampoline_kernelINS0_14default_configENS1_27upper_bound_config_selectorIflEEZNS1_14transform_implILb0ES3_S5_N6thrust23THRUST_200600_302600_NS6detail15normal_iteratorINS8_7pointerIfNS8_11hip_rocprim16par_det_nosync_tENS8_11use_defaultESE_EEEENSA_INSB_IlSD_SE_SE_EEEEZNS1_13binary_searchIS3_S5_NSA_INS8_10device_ptrIfEEEESG_SI_NS1_21upper_bound_search_opENS9_16wrapped_functionINS8_6system6detail7generic6detail18binary_search_lessEbEEEE10hipError_tPvRmT1_T2_T3_mmT4_T5_P12ihipStream_tbEUlRKfE_EESV_SZ_S10_mS11_S14_bEUlT_E_NS1_11comp_targetILNS1_3genE0ELNS1_11target_archE4294967295ELNS1_3gpuE0ELNS1_3repE0EEENS1_30default_config_static_selectorELNS0_4arch9wavefront6targetE1EEEvSY_
		.amdhsa_group_segment_fixed_size 0
		.amdhsa_private_segment_fixed_size 0
		.amdhsa_kernarg_size 56
		.amdhsa_user_sgpr_count 6
		.amdhsa_user_sgpr_private_segment_buffer 1
		.amdhsa_user_sgpr_dispatch_ptr 0
		.amdhsa_user_sgpr_queue_ptr 0
		.amdhsa_user_sgpr_kernarg_segment_ptr 1
		.amdhsa_user_sgpr_dispatch_id 0
		.amdhsa_user_sgpr_flat_scratch_init 0
		.amdhsa_user_sgpr_private_segment_size 0
		.amdhsa_uses_dynamic_stack 0
		.amdhsa_system_sgpr_private_segment_wavefront_offset 0
		.amdhsa_system_sgpr_workgroup_id_x 1
		.amdhsa_system_sgpr_workgroup_id_y 0
		.amdhsa_system_sgpr_workgroup_id_z 0
		.amdhsa_system_sgpr_workgroup_info 0
		.amdhsa_system_vgpr_workitem_id 0
		.amdhsa_next_free_vgpr 1
		.amdhsa_next_free_sgpr 0
		.amdhsa_reserve_vcc 0
		.amdhsa_reserve_flat_scratch 0
		.amdhsa_float_round_mode_32 0
		.amdhsa_float_round_mode_16_64 0
		.amdhsa_float_denorm_mode_32 3
		.amdhsa_float_denorm_mode_16_64 3
		.amdhsa_dx10_clamp 1
		.amdhsa_ieee_mode 1
		.amdhsa_fp16_overflow 0
		.amdhsa_exception_fp_ieee_invalid_op 0
		.amdhsa_exception_fp_denorm_src 0
		.amdhsa_exception_fp_ieee_div_zero 0
		.amdhsa_exception_fp_ieee_overflow 0
		.amdhsa_exception_fp_ieee_underflow 0
		.amdhsa_exception_fp_ieee_inexact 0
		.amdhsa_exception_int_div_zero 0
	.end_amdhsa_kernel
	.section	.text._ZN7rocprim17ROCPRIM_400000_NS6detail17trampoline_kernelINS0_14default_configENS1_27upper_bound_config_selectorIflEEZNS1_14transform_implILb0ES3_S5_N6thrust23THRUST_200600_302600_NS6detail15normal_iteratorINS8_7pointerIfNS8_11hip_rocprim16par_det_nosync_tENS8_11use_defaultESE_EEEENSA_INSB_IlSD_SE_SE_EEEEZNS1_13binary_searchIS3_S5_NSA_INS8_10device_ptrIfEEEESG_SI_NS1_21upper_bound_search_opENS9_16wrapped_functionINS8_6system6detail7generic6detail18binary_search_lessEbEEEE10hipError_tPvRmT1_T2_T3_mmT4_T5_P12ihipStream_tbEUlRKfE_EESV_SZ_S10_mS11_S14_bEUlT_E_NS1_11comp_targetILNS1_3genE0ELNS1_11target_archE4294967295ELNS1_3gpuE0ELNS1_3repE0EEENS1_30default_config_static_selectorELNS0_4arch9wavefront6targetE1EEEvSY_,"axG",@progbits,_ZN7rocprim17ROCPRIM_400000_NS6detail17trampoline_kernelINS0_14default_configENS1_27upper_bound_config_selectorIflEEZNS1_14transform_implILb0ES3_S5_N6thrust23THRUST_200600_302600_NS6detail15normal_iteratorINS8_7pointerIfNS8_11hip_rocprim16par_det_nosync_tENS8_11use_defaultESE_EEEENSA_INSB_IlSD_SE_SE_EEEEZNS1_13binary_searchIS3_S5_NSA_INS8_10device_ptrIfEEEESG_SI_NS1_21upper_bound_search_opENS9_16wrapped_functionINS8_6system6detail7generic6detail18binary_search_lessEbEEEE10hipError_tPvRmT1_T2_T3_mmT4_T5_P12ihipStream_tbEUlRKfE_EESV_SZ_S10_mS11_S14_bEUlT_E_NS1_11comp_targetILNS1_3genE0ELNS1_11target_archE4294967295ELNS1_3gpuE0ELNS1_3repE0EEENS1_30default_config_static_selectorELNS0_4arch9wavefront6targetE1EEEvSY_,comdat
.Lfunc_end509:
	.size	_ZN7rocprim17ROCPRIM_400000_NS6detail17trampoline_kernelINS0_14default_configENS1_27upper_bound_config_selectorIflEEZNS1_14transform_implILb0ES3_S5_N6thrust23THRUST_200600_302600_NS6detail15normal_iteratorINS8_7pointerIfNS8_11hip_rocprim16par_det_nosync_tENS8_11use_defaultESE_EEEENSA_INSB_IlSD_SE_SE_EEEEZNS1_13binary_searchIS3_S5_NSA_INS8_10device_ptrIfEEEESG_SI_NS1_21upper_bound_search_opENS9_16wrapped_functionINS8_6system6detail7generic6detail18binary_search_lessEbEEEE10hipError_tPvRmT1_T2_T3_mmT4_T5_P12ihipStream_tbEUlRKfE_EESV_SZ_S10_mS11_S14_bEUlT_E_NS1_11comp_targetILNS1_3genE0ELNS1_11target_archE4294967295ELNS1_3gpuE0ELNS1_3repE0EEENS1_30default_config_static_selectorELNS0_4arch9wavefront6targetE1EEEvSY_, .Lfunc_end509-_ZN7rocprim17ROCPRIM_400000_NS6detail17trampoline_kernelINS0_14default_configENS1_27upper_bound_config_selectorIflEEZNS1_14transform_implILb0ES3_S5_N6thrust23THRUST_200600_302600_NS6detail15normal_iteratorINS8_7pointerIfNS8_11hip_rocprim16par_det_nosync_tENS8_11use_defaultESE_EEEENSA_INSB_IlSD_SE_SE_EEEEZNS1_13binary_searchIS3_S5_NSA_INS8_10device_ptrIfEEEESG_SI_NS1_21upper_bound_search_opENS9_16wrapped_functionINS8_6system6detail7generic6detail18binary_search_lessEbEEEE10hipError_tPvRmT1_T2_T3_mmT4_T5_P12ihipStream_tbEUlRKfE_EESV_SZ_S10_mS11_S14_bEUlT_E_NS1_11comp_targetILNS1_3genE0ELNS1_11target_archE4294967295ELNS1_3gpuE0ELNS1_3repE0EEENS1_30default_config_static_selectorELNS0_4arch9wavefront6targetE1EEEvSY_
                                        ; -- End function
	.set _ZN7rocprim17ROCPRIM_400000_NS6detail17trampoline_kernelINS0_14default_configENS1_27upper_bound_config_selectorIflEEZNS1_14transform_implILb0ES3_S5_N6thrust23THRUST_200600_302600_NS6detail15normal_iteratorINS8_7pointerIfNS8_11hip_rocprim16par_det_nosync_tENS8_11use_defaultESE_EEEENSA_INSB_IlSD_SE_SE_EEEEZNS1_13binary_searchIS3_S5_NSA_INS8_10device_ptrIfEEEESG_SI_NS1_21upper_bound_search_opENS9_16wrapped_functionINS8_6system6detail7generic6detail18binary_search_lessEbEEEE10hipError_tPvRmT1_T2_T3_mmT4_T5_P12ihipStream_tbEUlRKfE_EESV_SZ_S10_mS11_S14_bEUlT_E_NS1_11comp_targetILNS1_3genE0ELNS1_11target_archE4294967295ELNS1_3gpuE0ELNS1_3repE0EEENS1_30default_config_static_selectorELNS0_4arch9wavefront6targetE1EEEvSY_.num_vgpr, 0
	.set _ZN7rocprim17ROCPRIM_400000_NS6detail17trampoline_kernelINS0_14default_configENS1_27upper_bound_config_selectorIflEEZNS1_14transform_implILb0ES3_S5_N6thrust23THRUST_200600_302600_NS6detail15normal_iteratorINS8_7pointerIfNS8_11hip_rocprim16par_det_nosync_tENS8_11use_defaultESE_EEEENSA_INSB_IlSD_SE_SE_EEEEZNS1_13binary_searchIS3_S5_NSA_INS8_10device_ptrIfEEEESG_SI_NS1_21upper_bound_search_opENS9_16wrapped_functionINS8_6system6detail7generic6detail18binary_search_lessEbEEEE10hipError_tPvRmT1_T2_T3_mmT4_T5_P12ihipStream_tbEUlRKfE_EESV_SZ_S10_mS11_S14_bEUlT_E_NS1_11comp_targetILNS1_3genE0ELNS1_11target_archE4294967295ELNS1_3gpuE0ELNS1_3repE0EEENS1_30default_config_static_selectorELNS0_4arch9wavefront6targetE1EEEvSY_.num_agpr, 0
	.set _ZN7rocprim17ROCPRIM_400000_NS6detail17trampoline_kernelINS0_14default_configENS1_27upper_bound_config_selectorIflEEZNS1_14transform_implILb0ES3_S5_N6thrust23THRUST_200600_302600_NS6detail15normal_iteratorINS8_7pointerIfNS8_11hip_rocprim16par_det_nosync_tENS8_11use_defaultESE_EEEENSA_INSB_IlSD_SE_SE_EEEEZNS1_13binary_searchIS3_S5_NSA_INS8_10device_ptrIfEEEESG_SI_NS1_21upper_bound_search_opENS9_16wrapped_functionINS8_6system6detail7generic6detail18binary_search_lessEbEEEE10hipError_tPvRmT1_T2_T3_mmT4_T5_P12ihipStream_tbEUlRKfE_EESV_SZ_S10_mS11_S14_bEUlT_E_NS1_11comp_targetILNS1_3genE0ELNS1_11target_archE4294967295ELNS1_3gpuE0ELNS1_3repE0EEENS1_30default_config_static_selectorELNS0_4arch9wavefront6targetE1EEEvSY_.numbered_sgpr, 0
	.set _ZN7rocprim17ROCPRIM_400000_NS6detail17trampoline_kernelINS0_14default_configENS1_27upper_bound_config_selectorIflEEZNS1_14transform_implILb0ES3_S5_N6thrust23THRUST_200600_302600_NS6detail15normal_iteratorINS8_7pointerIfNS8_11hip_rocprim16par_det_nosync_tENS8_11use_defaultESE_EEEENSA_INSB_IlSD_SE_SE_EEEEZNS1_13binary_searchIS3_S5_NSA_INS8_10device_ptrIfEEEESG_SI_NS1_21upper_bound_search_opENS9_16wrapped_functionINS8_6system6detail7generic6detail18binary_search_lessEbEEEE10hipError_tPvRmT1_T2_T3_mmT4_T5_P12ihipStream_tbEUlRKfE_EESV_SZ_S10_mS11_S14_bEUlT_E_NS1_11comp_targetILNS1_3genE0ELNS1_11target_archE4294967295ELNS1_3gpuE0ELNS1_3repE0EEENS1_30default_config_static_selectorELNS0_4arch9wavefront6targetE1EEEvSY_.num_named_barrier, 0
	.set _ZN7rocprim17ROCPRIM_400000_NS6detail17trampoline_kernelINS0_14default_configENS1_27upper_bound_config_selectorIflEEZNS1_14transform_implILb0ES3_S5_N6thrust23THRUST_200600_302600_NS6detail15normal_iteratorINS8_7pointerIfNS8_11hip_rocprim16par_det_nosync_tENS8_11use_defaultESE_EEEENSA_INSB_IlSD_SE_SE_EEEEZNS1_13binary_searchIS3_S5_NSA_INS8_10device_ptrIfEEEESG_SI_NS1_21upper_bound_search_opENS9_16wrapped_functionINS8_6system6detail7generic6detail18binary_search_lessEbEEEE10hipError_tPvRmT1_T2_T3_mmT4_T5_P12ihipStream_tbEUlRKfE_EESV_SZ_S10_mS11_S14_bEUlT_E_NS1_11comp_targetILNS1_3genE0ELNS1_11target_archE4294967295ELNS1_3gpuE0ELNS1_3repE0EEENS1_30default_config_static_selectorELNS0_4arch9wavefront6targetE1EEEvSY_.private_seg_size, 0
	.set _ZN7rocprim17ROCPRIM_400000_NS6detail17trampoline_kernelINS0_14default_configENS1_27upper_bound_config_selectorIflEEZNS1_14transform_implILb0ES3_S5_N6thrust23THRUST_200600_302600_NS6detail15normal_iteratorINS8_7pointerIfNS8_11hip_rocprim16par_det_nosync_tENS8_11use_defaultESE_EEEENSA_INSB_IlSD_SE_SE_EEEEZNS1_13binary_searchIS3_S5_NSA_INS8_10device_ptrIfEEEESG_SI_NS1_21upper_bound_search_opENS9_16wrapped_functionINS8_6system6detail7generic6detail18binary_search_lessEbEEEE10hipError_tPvRmT1_T2_T3_mmT4_T5_P12ihipStream_tbEUlRKfE_EESV_SZ_S10_mS11_S14_bEUlT_E_NS1_11comp_targetILNS1_3genE0ELNS1_11target_archE4294967295ELNS1_3gpuE0ELNS1_3repE0EEENS1_30default_config_static_selectorELNS0_4arch9wavefront6targetE1EEEvSY_.uses_vcc, 0
	.set _ZN7rocprim17ROCPRIM_400000_NS6detail17trampoline_kernelINS0_14default_configENS1_27upper_bound_config_selectorIflEEZNS1_14transform_implILb0ES3_S5_N6thrust23THRUST_200600_302600_NS6detail15normal_iteratorINS8_7pointerIfNS8_11hip_rocprim16par_det_nosync_tENS8_11use_defaultESE_EEEENSA_INSB_IlSD_SE_SE_EEEEZNS1_13binary_searchIS3_S5_NSA_INS8_10device_ptrIfEEEESG_SI_NS1_21upper_bound_search_opENS9_16wrapped_functionINS8_6system6detail7generic6detail18binary_search_lessEbEEEE10hipError_tPvRmT1_T2_T3_mmT4_T5_P12ihipStream_tbEUlRKfE_EESV_SZ_S10_mS11_S14_bEUlT_E_NS1_11comp_targetILNS1_3genE0ELNS1_11target_archE4294967295ELNS1_3gpuE0ELNS1_3repE0EEENS1_30default_config_static_selectorELNS0_4arch9wavefront6targetE1EEEvSY_.uses_flat_scratch, 0
	.set _ZN7rocprim17ROCPRIM_400000_NS6detail17trampoline_kernelINS0_14default_configENS1_27upper_bound_config_selectorIflEEZNS1_14transform_implILb0ES3_S5_N6thrust23THRUST_200600_302600_NS6detail15normal_iteratorINS8_7pointerIfNS8_11hip_rocprim16par_det_nosync_tENS8_11use_defaultESE_EEEENSA_INSB_IlSD_SE_SE_EEEEZNS1_13binary_searchIS3_S5_NSA_INS8_10device_ptrIfEEEESG_SI_NS1_21upper_bound_search_opENS9_16wrapped_functionINS8_6system6detail7generic6detail18binary_search_lessEbEEEE10hipError_tPvRmT1_T2_T3_mmT4_T5_P12ihipStream_tbEUlRKfE_EESV_SZ_S10_mS11_S14_bEUlT_E_NS1_11comp_targetILNS1_3genE0ELNS1_11target_archE4294967295ELNS1_3gpuE0ELNS1_3repE0EEENS1_30default_config_static_selectorELNS0_4arch9wavefront6targetE1EEEvSY_.has_dyn_sized_stack, 0
	.set _ZN7rocprim17ROCPRIM_400000_NS6detail17trampoline_kernelINS0_14default_configENS1_27upper_bound_config_selectorIflEEZNS1_14transform_implILb0ES3_S5_N6thrust23THRUST_200600_302600_NS6detail15normal_iteratorINS8_7pointerIfNS8_11hip_rocprim16par_det_nosync_tENS8_11use_defaultESE_EEEENSA_INSB_IlSD_SE_SE_EEEEZNS1_13binary_searchIS3_S5_NSA_INS8_10device_ptrIfEEEESG_SI_NS1_21upper_bound_search_opENS9_16wrapped_functionINS8_6system6detail7generic6detail18binary_search_lessEbEEEE10hipError_tPvRmT1_T2_T3_mmT4_T5_P12ihipStream_tbEUlRKfE_EESV_SZ_S10_mS11_S14_bEUlT_E_NS1_11comp_targetILNS1_3genE0ELNS1_11target_archE4294967295ELNS1_3gpuE0ELNS1_3repE0EEENS1_30default_config_static_selectorELNS0_4arch9wavefront6targetE1EEEvSY_.has_recursion, 0
	.set _ZN7rocprim17ROCPRIM_400000_NS6detail17trampoline_kernelINS0_14default_configENS1_27upper_bound_config_selectorIflEEZNS1_14transform_implILb0ES3_S5_N6thrust23THRUST_200600_302600_NS6detail15normal_iteratorINS8_7pointerIfNS8_11hip_rocprim16par_det_nosync_tENS8_11use_defaultESE_EEEENSA_INSB_IlSD_SE_SE_EEEEZNS1_13binary_searchIS3_S5_NSA_INS8_10device_ptrIfEEEESG_SI_NS1_21upper_bound_search_opENS9_16wrapped_functionINS8_6system6detail7generic6detail18binary_search_lessEbEEEE10hipError_tPvRmT1_T2_T3_mmT4_T5_P12ihipStream_tbEUlRKfE_EESV_SZ_S10_mS11_S14_bEUlT_E_NS1_11comp_targetILNS1_3genE0ELNS1_11target_archE4294967295ELNS1_3gpuE0ELNS1_3repE0EEENS1_30default_config_static_selectorELNS0_4arch9wavefront6targetE1EEEvSY_.has_indirect_call, 0
	.section	.AMDGPU.csdata,"",@progbits
; Kernel info:
; codeLenInByte = 0
; TotalNumSgprs: 4
; NumVgprs: 0
; ScratchSize: 0
; MemoryBound: 0
; FloatMode: 240
; IeeeMode: 1
; LDSByteSize: 0 bytes/workgroup (compile time only)
; SGPRBlocks: 0
; VGPRBlocks: 0
; NumSGPRsForWavesPerEU: 4
; NumVGPRsForWavesPerEU: 1
; Occupancy: 10
; WaveLimiterHint : 0
; COMPUTE_PGM_RSRC2:SCRATCH_EN: 0
; COMPUTE_PGM_RSRC2:USER_SGPR: 6
; COMPUTE_PGM_RSRC2:TRAP_HANDLER: 0
; COMPUTE_PGM_RSRC2:TGID_X_EN: 1
; COMPUTE_PGM_RSRC2:TGID_Y_EN: 0
; COMPUTE_PGM_RSRC2:TGID_Z_EN: 0
; COMPUTE_PGM_RSRC2:TIDIG_COMP_CNT: 0
	.section	.text._ZN7rocprim17ROCPRIM_400000_NS6detail17trampoline_kernelINS0_14default_configENS1_27upper_bound_config_selectorIflEEZNS1_14transform_implILb0ES3_S5_N6thrust23THRUST_200600_302600_NS6detail15normal_iteratorINS8_7pointerIfNS8_11hip_rocprim16par_det_nosync_tENS8_11use_defaultESE_EEEENSA_INSB_IlSD_SE_SE_EEEEZNS1_13binary_searchIS3_S5_NSA_INS8_10device_ptrIfEEEESG_SI_NS1_21upper_bound_search_opENS9_16wrapped_functionINS8_6system6detail7generic6detail18binary_search_lessEbEEEE10hipError_tPvRmT1_T2_T3_mmT4_T5_P12ihipStream_tbEUlRKfE_EESV_SZ_S10_mS11_S14_bEUlT_E_NS1_11comp_targetILNS1_3genE5ELNS1_11target_archE942ELNS1_3gpuE9ELNS1_3repE0EEENS1_30default_config_static_selectorELNS0_4arch9wavefront6targetE1EEEvSY_,"axG",@progbits,_ZN7rocprim17ROCPRIM_400000_NS6detail17trampoline_kernelINS0_14default_configENS1_27upper_bound_config_selectorIflEEZNS1_14transform_implILb0ES3_S5_N6thrust23THRUST_200600_302600_NS6detail15normal_iteratorINS8_7pointerIfNS8_11hip_rocprim16par_det_nosync_tENS8_11use_defaultESE_EEEENSA_INSB_IlSD_SE_SE_EEEEZNS1_13binary_searchIS3_S5_NSA_INS8_10device_ptrIfEEEESG_SI_NS1_21upper_bound_search_opENS9_16wrapped_functionINS8_6system6detail7generic6detail18binary_search_lessEbEEEE10hipError_tPvRmT1_T2_T3_mmT4_T5_P12ihipStream_tbEUlRKfE_EESV_SZ_S10_mS11_S14_bEUlT_E_NS1_11comp_targetILNS1_3genE5ELNS1_11target_archE942ELNS1_3gpuE9ELNS1_3repE0EEENS1_30default_config_static_selectorELNS0_4arch9wavefront6targetE1EEEvSY_,comdat
	.protected	_ZN7rocprim17ROCPRIM_400000_NS6detail17trampoline_kernelINS0_14default_configENS1_27upper_bound_config_selectorIflEEZNS1_14transform_implILb0ES3_S5_N6thrust23THRUST_200600_302600_NS6detail15normal_iteratorINS8_7pointerIfNS8_11hip_rocprim16par_det_nosync_tENS8_11use_defaultESE_EEEENSA_INSB_IlSD_SE_SE_EEEEZNS1_13binary_searchIS3_S5_NSA_INS8_10device_ptrIfEEEESG_SI_NS1_21upper_bound_search_opENS9_16wrapped_functionINS8_6system6detail7generic6detail18binary_search_lessEbEEEE10hipError_tPvRmT1_T2_T3_mmT4_T5_P12ihipStream_tbEUlRKfE_EESV_SZ_S10_mS11_S14_bEUlT_E_NS1_11comp_targetILNS1_3genE5ELNS1_11target_archE942ELNS1_3gpuE9ELNS1_3repE0EEENS1_30default_config_static_selectorELNS0_4arch9wavefront6targetE1EEEvSY_ ; -- Begin function _ZN7rocprim17ROCPRIM_400000_NS6detail17trampoline_kernelINS0_14default_configENS1_27upper_bound_config_selectorIflEEZNS1_14transform_implILb0ES3_S5_N6thrust23THRUST_200600_302600_NS6detail15normal_iteratorINS8_7pointerIfNS8_11hip_rocprim16par_det_nosync_tENS8_11use_defaultESE_EEEENSA_INSB_IlSD_SE_SE_EEEEZNS1_13binary_searchIS3_S5_NSA_INS8_10device_ptrIfEEEESG_SI_NS1_21upper_bound_search_opENS9_16wrapped_functionINS8_6system6detail7generic6detail18binary_search_lessEbEEEE10hipError_tPvRmT1_T2_T3_mmT4_T5_P12ihipStream_tbEUlRKfE_EESV_SZ_S10_mS11_S14_bEUlT_E_NS1_11comp_targetILNS1_3genE5ELNS1_11target_archE942ELNS1_3gpuE9ELNS1_3repE0EEENS1_30default_config_static_selectorELNS0_4arch9wavefront6targetE1EEEvSY_
	.globl	_ZN7rocprim17ROCPRIM_400000_NS6detail17trampoline_kernelINS0_14default_configENS1_27upper_bound_config_selectorIflEEZNS1_14transform_implILb0ES3_S5_N6thrust23THRUST_200600_302600_NS6detail15normal_iteratorINS8_7pointerIfNS8_11hip_rocprim16par_det_nosync_tENS8_11use_defaultESE_EEEENSA_INSB_IlSD_SE_SE_EEEEZNS1_13binary_searchIS3_S5_NSA_INS8_10device_ptrIfEEEESG_SI_NS1_21upper_bound_search_opENS9_16wrapped_functionINS8_6system6detail7generic6detail18binary_search_lessEbEEEE10hipError_tPvRmT1_T2_T3_mmT4_T5_P12ihipStream_tbEUlRKfE_EESV_SZ_S10_mS11_S14_bEUlT_E_NS1_11comp_targetILNS1_3genE5ELNS1_11target_archE942ELNS1_3gpuE9ELNS1_3repE0EEENS1_30default_config_static_selectorELNS0_4arch9wavefront6targetE1EEEvSY_
	.p2align	8
	.type	_ZN7rocprim17ROCPRIM_400000_NS6detail17trampoline_kernelINS0_14default_configENS1_27upper_bound_config_selectorIflEEZNS1_14transform_implILb0ES3_S5_N6thrust23THRUST_200600_302600_NS6detail15normal_iteratorINS8_7pointerIfNS8_11hip_rocprim16par_det_nosync_tENS8_11use_defaultESE_EEEENSA_INSB_IlSD_SE_SE_EEEEZNS1_13binary_searchIS3_S5_NSA_INS8_10device_ptrIfEEEESG_SI_NS1_21upper_bound_search_opENS9_16wrapped_functionINS8_6system6detail7generic6detail18binary_search_lessEbEEEE10hipError_tPvRmT1_T2_T3_mmT4_T5_P12ihipStream_tbEUlRKfE_EESV_SZ_S10_mS11_S14_bEUlT_E_NS1_11comp_targetILNS1_3genE5ELNS1_11target_archE942ELNS1_3gpuE9ELNS1_3repE0EEENS1_30default_config_static_selectorELNS0_4arch9wavefront6targetE1EEEvSY_,@function
_ZN7rocprim17ROCPRIM_400000_NS6detail17trampoline_kernelINS0_14default_configENS1_27upper_bound_config_selectorIflEEZNS1_14transform_implILb0ES3_S5_N6thrust23THRUST_200600_302600_NS6detail15normal_iteratorINS8_7pointerIfNS8_11hip_rocprim16par_det_nosync_tENS8_11use_defaultESE_EEEENSA_INSB_IlSD_SE_SE_EEEEZNS1_13binary_searchIS3_S5_NSA_INS8_10device_ptrIfEEEESG_SI_NS1_21upper_bound_search_opENS9_16wrapped_functionINS8_6system6detail7generic6detail18binary_search_lessEbEEEE10hipError_tPvRmT1_T2_T3_mmT4_T5_P12ihipStream_tbEUlRKfE_EESV_SZ_S10_mS11_S14_bEUlT_E_NS1_11comp_targetILNS1_3genE5ELNS1_11target_archE942ELNS1_3gpuE9ELNS1_3repE0EEENS1_30default_config_static_selectorELNS0_4arch9wavefront6targetE1EEEvSY_: ; @_ZN7rocprim17ROCPRIM_400000_NS6detail17trampoline_kernelINS0_14default_configENS1_27upper_bound_config_selectorIflEEZNS1_14transform_implILb0ES3_S5_N6thrust23THRUST_200600_302600_NS6detail15normal_iteratorINS8_7pointerIfNS8_11hip_rocprim16par_det_nosync_tENS8_11use_defaultESE_EEEENSA_INSB_IlSD_SE_SE_EEEEZNS1_13binary_searchIS3_S5_NSA_INS8_10device_ptrIfEEEESG_SI_NS1_21upper_bound_search_opENS9_16wrapped_functionINS8_6system6detail7generic6detail18binary_search_lessEbEEEE10hipError_tPvRmT1_T2_T3_mmT4_T5_P12ihipStream_tbEUlRKfE_EESV_SZ_S10_mS11_S14_bEUlT_E_NS1_11comp_targetILNS1_3genE5ELNS1_11target_archE942ELNS1_3gpuE9ELNS1_3repE0EEENS1_30default_config_static_selectorELNS0_4arch9wavefront6targetE1EEEvSY_
; %bb.0:
	.section	.rodata,"a",@progbits
	.p2align	6, 0x0
	.amdhsa_kernel _ZN7rocprim17ROCPRIM_400000_NS6detail17trampoline_kernelINS0_14default_configENS1_27upper_bound_config_selectorIflEEZNS1_14transform_implILb0ES3_S5_N6thrust23THRUST_200600_302600_NS6detail15normal_iteratorINS8_7pointerIfNS8_11hip_rocprim16par_det_nosync_tENS8_11use_defaultESE_EEEENSA_INSB_IlSD_SE_SE_EEEEZNS1_13binary_searchIS3_S5_NSA_INS8_10device_ptrIfEEEESG_SI_NS1_21upper_bound_search_opENS9_16wrapped_functionINS8_6system6detail7generic6detail18binary_search_lessEbEEEE10hipError_tPvRmT1_T2_T3_mmT4_T5_P12ihipStream_tbEUlRKfE_EESV_SZ_S10_mS11_S14_bEUlT_E_NS1_11comp_targetILNS1_3genE5ELNS1_11target_archE942ELNS1_3gpuE9ELNS1_3repE0EEENS1_30default_config_static_selectorELNS0_4arch9wavefront6targetE1EEEvSY_
		.amdhsa_group_segment_fixed_size 0
		.amdhsa_private_segment_fixed_size 0
		.amdhsa_kernarg_size 56
		.amdhsa_user_sgpr_count 6
		.amdhsa_user_sgpr_private_segment_buffer 1
		.amdhsa_user_sgpr_dispatch_ptr 0
		.amdhsa_user_sgpr_queue_ptr 0
		.amdhsa_user_sgpr_kernarg_segment_ptr 1
		.amdhsa_user_sgpr_dispatch_id 0
		.amdhsa_user_sgpr_flat_scratch_init 0
		.amdhsa_user_sgpr_private_segment_size 0
		.amdhsa_uses_dynamic_stack 0
		.amdhsa_system_sgpr_private_segment_wavefront_offset 0
		.amdhsa_system_sgpr_workgroup_id_x 1
		.amdhsa_system_sgpr_workgroup_id_y 0
		.amdhsa_system_sgpr_workgroup_id_z 0
		.amdhsa_system_sgpr_workgroup_info 0
		.amdhsa_system_vgpr_workitem_id 0
		.amdhsa_next_free_vgpr 1
		.amdhsa_next_free_sgpr 0
		.amdhsa_reserve_vcc 0
		.amdhsa_reserve_flat_scratch 0
		.amdhsa_float_round_mode_32 0
		.amdhsa_float_round_mode_16_64 0
		.amdhsa_float_denorm_mode_32 3
		.amdhsa_float_denorm_mode_16_64 3
		.amdhsa_dx10_clamp 1
		.amdhsa_ieee_mode 1
		.amdhsa_fp16_overflow 0
		.amdhsa_exception_fp_ieee_invalid_op 0
		.amdhsa_exception_fp_denorm_src 0
		.amdhsa_exception_fp_ieee_div_zero 0
		.amdhsa_exception_fp_ieee_overflow 0
		.amdhsa_exception_fp_ieee_underflow 0
		.amdhsa_exception_fp_ieee_inexact 0
		.amdhsa_exception_int_div_zero 0
	.end_amdhsa_kernel
	.section	.text._ZN7rocprim17ROCPRIM_400000_NS6detail17trampoline_kernelINS0_14default_configENS1_27upper_bound_config_selectorIflEEZNS1_14transform_implILb0ES3_S5_N6thrust23THRUST_200600_302600_NS6detail15normal_iteratorINS8_7pointerIfNS8_11hip_rocprim16par_det_nosync_tENS8_11use_defaultESE_EEEENSA_INSB_IlSD_SE_SE_EEEEZNS1_13binary_searchIS3_S5_NSA_INS8_10device_ptrIfEEEESG_SI_NS1_21upper_bound_search_opENS9_16wrapped_functionINS8_6system6detail7generic6detail18binary_search_lessEbEEEE10hipError_tPvRmT1_T2_T3_mmT4_T5_P12ihipStream_tbEUlRKfE_EESV_SZ_S10_mS11_S14_bEUlT_E_NS1_11comp_targetILNS1_3genE5ELNS1_11target_archE942ELNS1_3gpuE9ELNS1_3repE0EEENS1_30default_config_static_selectorELNS0_4arch9wavefront6targetE1EEEvSY_,"axG",@progbits,_ZN7rocprim17ROCPRIM_400000_NS6detail17trampoline_kernelINS0_14default_configENS1_27upper_bound_config_selectorIflEEZNS1_14transform_implILb0ES3_S5_N6thrust23THRUST_200600_302600_NS6detail15normal_iteratorINS8_7pointerIfNS8_11hip_rocprim16par_det_nosync_tENS8_11use_defaultESE_EEEENSA_INSB_IlSD_SE_SE_EEEEZNS1_13binary_searchIS3_S5_NSA_INS8_10device_ptrIfEEEESG_SI_NS1_21upper_bound_search_opENS9_16wrapped_functionINS8_6system6detail7generic6detail18binary_search_lessEbEEEE10hipError_tPvRmT1_T2_T3_mmT4_T5_P12ihipStream_tbEUlRKfE_EESV_SZ_S10_mS11_S14_bEUlT_E_NS1_11comp_targetILNS1_3genE5ELNS1_11target_archE942ELNS1_3gpuE9ELNS1_3repE0EEENS1_30default_config_static_selectorELNS0_4arch9wavefront6targetE1EEEvSY_,comdat
.Lfunc_end510:
	.size	_ZN7rocprim17ROCPRIM_400000_NS6detail17trampoline_kernelINS0_14default_configENS1_27upper_bound_config_selectorIflEEZNS1_14transform_implILb0ES3_S5_N6thrust23THRUST_200600_302600_NS6detail15normal_iteratorINS8_7pointerIfNS8_11hip_rocprim16par_det_nosync_tENS8_11use_defaultESE_EEEENSA_INSB_IlSD_SE_SE_EEEEZNS1_13binary_searchIS3_S5_NSA_INS8_10device_ptrIfEEEESG_SI_NS1_21upper_bound_search_opENS9_16wrapped_functionINS8_6system6detail7generic6detail18binary_search_lessEbEEEE10hipError_tPvRmT1_T2_T3_mmT4_T5_P12ihipStream_tbEUlRKfE_EESV_SZ_S10_mS11_S14_bEUlT_E_NS1_11comp_targetILNS1_3genE5ELNS1_11target_archE942ELNS1_3gpuE9ELNS1_3repE0EEENS1_30default_config_static_selectorELNS0_4arch9wavefront6targetE1EEEvSY_, .Lfunc_end510-_ZN7rocprim17ROCPRIM_400000_NS6detail17trampoline_kernelINS0_14default_configENS1_27upper_bound_config_selectorIflEEZNS1_14transform_implILb0ES3_S5_N6thrust23THRUST_200600_302600_NS6detail15normal_iteratorINS8_7pointerIfNS8_11hip_rocprim16par_det_nosync_tENS8_11use_defaultESE_EEEENSA_INSB_IlSD_SE_SE_EEEEZNS1_13binary_searchIS3_S5_NSA_INS8_10device_ptrIfEEEESG_SI_NS1_21upper_bound_search_opENS9_16wrapped_functionINS8_6system6detail7generic6detail18binary_search_lessEbEEEE10hipError_tPvRmT1_T2_T3_mmT4_T5_P12ihipStream_tbEUlRKfE_EESV_SZ_S10_mS11_S14_bEUlT_E_NS1_11comp_targetILNS1_3genE5ELNS1_11target_archE942ELNS1_3gpuE9ELNS1_3repE0EEENS1_30default_config_static_selectorELNS0_4arch9wavefront6targetE1EEEvSY_
                                        ; -- End function
	.set _ZN7rocprim17ROCPRIM_400000_NS6detail17trampoline_kernelINS0_14default_configENS1_27upper_bound_config_selectorIflEEZNS1_14transform_implILb0ES3_S5_N6thrust23THRUST_200600_302600_NS6detail15normal_iteratorINS8_7pointerIfNS8_11hip_rocprim16par_det_nosync_tENS8_11use_defaultESE_EEEENSA_INSB_IlSD_SE_SE_EEEEZNS1_13binary_searchIS3_S5_NSA_INS8_10device_ptrIfEEEESG_SI_NS1_21upper_bound_search_opENS9_16wrapped_functionINS8_6system6detail7generic6detail18binary_search_lessEbEEEE10hipError_tPvRmT1_T2_T3_mmT4_T5_P12ihipStream_tbEUlRKfE_EESV_SZ_S10_mS11_S14_bEUlT_E_NS1_11comp_targetILNS1_3genE5ELNS1_11target_archE942ELNS1_3gpuE9ELNS1_3repE0EEENS1_30default_config_static_selectorELNS0_4arch9wavefront6targetE1EEEvSY_.num_vgpr, 0
	.set _ZN7rocprim17ROCPRIM_400000_NS6detail17trampoline_kernelINS0_14default_configENS1_27upper_bound_config_selectorIflEEZNS1_14transform_implILb0ES3_S5_N6thrust23THRUST_200600_302600_NS6detail15normal_iteratorINS8_7pointerIfNS8_11hip_rocprim16par_det_nosync_tENS8_11use_defaultESE_EEEENSA_INSB_IlSD_SE_SE_EEEEZNS1_13binary_searchIS3_S5_NSA_INS8_10device_ptrIfEEEESG_SI_NS1_21upper_bound_search_opENS9_16wrapped_functionINS8_6system6detail7generic6detail18binary_search_lessEbEEEE10hipError_tPvRmT1_T2_T3_mmT4_T5_P12ihipStream_tbEUlRKfE_EESV_SZ_S10_mS11_S14_bEUlT_E_NS1_11comp_targetILNS1_3genE5ELNS1_11target_archE942ELNS1_3gpuE9ELNS1_3repE0EEENS1_30default_config_static_selectorELNS0_4arch9wavefront6targetE1EEEvSY_.num_agpr, 0
	.set _ZN7rocprim17ROCPRIM_400000_NS6detail17trampoline_kernelINS0_14default_configENS1_27upper_bound_config_selectorIflEEZNS1_14transform_implILb0ES3_S5_N6thrust23THRUST_200600_302600_NS6detail15normal_iteratorINS8_7pointerIfNS8_11hip_rocprim16par_det_nosync_tENS8_11use_defaultESE_EEEENSA_INSB_IlSD_SE_SE_EEEEZNS1_13binary_searchIS3_S5_NSA_INS8_10device_ptrIfEEEESG_SI_NS1_21upper_bound_search_opENS9_16wrapped_functionINS8_6system6detail7generic6detail18binary_search_lessEbEEEE10hipError_tPvRmT1_T2_T3_mmT4_T5_P12ihipStream_tbEUlRKfE_EESV_SZ_S10_mS11_S14_bEUlT_E_NS1_11comp_targetILNS1_3genE5ELNS1_11target_archE942ELNS1_3gpuE9ELNS1_3repE0EEENS1_30default_config_static_selectorELNS0_4arch9wavefront6targetE1EEEvSY_.numbered_sgpr, 0
	.set _ZN7rocprim17ROCPRIM_400000_NS6detail17trampoline_kernelINS0_14default_configENS1_27upper_bound_config_selectorIflEEZNS1_14transform_implILb0ES3_S5_N6thrust23THRUST_200600_302600_NS6detail15normal_iteratorINS8_7pointerIfNS8_11hip_rocprim16par_det_nosync_tENS8_11use_defaultESE_EEEENSA_INSB_IlSD_SE_SE_EEEEZNS1_13binary_searchIS3_S5_NSA_INS8_10device_ptrIfEEEESG_SI_NS1_21upper_bound_search_opENS9_16wrapped_functionINS8_6system6detail7generic6detail18binary_search_lessEbEEEE10hipError_tPvRmT1_T2_T3_mmT4_T5_P12ihipStream_tbEUlRKfE_EESV_SZ_S10_mS11_S14_bEUlT_E_NS1_11comp_targetILNS1_3genE5ELNS1_11target_archE942ELNS1_3gpuE9ELNS1_3repE0EEENS1_30default_config_static_selectorELNS0_4arch9wavefront6targetE1EEEvSY_.num_named_barrier, 0
	.set _ZN7rocprim17ROCPRIM_400000_NS6detail17trampoline_kernelINS0_14default_configENS1_27upper_bound_config_selectorIflEEZNS1_14transform_implILb0ES3_S5_N6thrust23THRUST_200600_302600_NS6detail15normal_iteratorINS8_7pointerIfNS8_11hip_rocprim16par_det_nosync_tENS8_11use_defaultESE_EEEENSA_INSB_IlSD_SE_SE_EEEEZNS1_13binary_searchIS3_S5_NSA_INS8_10device_ptrIfEEEESG_SI_NS1_21upper_bound_search_opENS9_16wrapped_functionINS8_6system6detail7generic6detail18binary_search_lessEbEEEE10hipError_tPvRmT1_T2_T3_mmT4_T5_P12ihipStream_tbEUlRKfE_EESV_SZ_S10_mS11_S14_bEUlT_E_NS1_11comp_targetILNS1_3genE5ELNS1_11target_archE942ELNS1_3gpuE9ELNS1_3repE0EEENS1_30default_config_static_selectorELNS0_4arch9wavefront6targetE1EEEvSY_.private_seg_size, 0
	.set _ZN7rocprim17ROCPRIM_400000_NS6detail17trampoline_kernelINS0_14default_configENS1_27upper_bound_config_selectorIflEEZNS1_14transform_implILb0ES3_S5_N6thrust23THRUST_200600_302600_NS6detail15normal_iteratorINS8_7pointerIfNS8_11hip_rocprim16par_det_nosync_tENS8_11use_defaultESE_EEEENSA_INSB_IlSD_SE_SE_EEEEZNS1_13binary_searchIS3_S5_NSA_INS8_10device_ptrIfEEEESG_SI_NS1_21upper_bound_search_opENS9_16wrapped_functionINS8_6system6detail7generic6detail18binary_search_lessEbEEEE10hipError_tPvRmT1_T2_T3_mmT4_T5_P12ihipStream_tbEUlRKfE_EESV_SZ_S10_mS11_S14_bEUlT_E_NS1_11comp_targetILNS1_3genE5ELNS1_11target_archE942ELNS1_3gpuE9ELNS1_3repE0EEENS1_30default_config_static_selectorELNS0_4arch9wavefront6targetE1EEEvSY_.uses_vcc, 0
	.set _ZN7rocprim17ROCPRIM_400000_NS6detail17trampoline_kernelINS0_14default_configENS1_27upper_bound_config_selectorIflEEZNS1_14transform_implILb0ES3_S5_N6thrust23THRUST_200600_302600_NS6detail15normal_iteratorINS8_7pointerIfNS8_11hip_rocprim16par_det_nosync_tENS8_11use_defaultESE_EEEENSA_INSB_IlSD_SE_SE_EEEEZNS1_13binary_searchIS3_S5_NSA_INS8_10device_ptrIfEEEESG_SI_NS1_21upper_bound_search_opENS9_16wrapped_functionINS8_6system6detail7generic6detail18binary_search_lessEbEEEE10hipError_tPvRmT1_T2_T3_mmT4_T5_P12ihipStream_tbEUlRKfE_EESV_SZ_S10_mS11_S14_bEUlT_E_NS1_11comp_targetILNS1_3genE5ELNS1_11target_archE942ELNS1_3gpuE9ELNS1_3repE0EEENS1_30default_config_static_selectorELNS0_4arch9wavefront6targetE1EEEvSY_.uses_flat_scratch, 0
	.set _ZN7rocprim17ROCPRIM_400000_NS6detail17trampoline_kernelINS0_14default_configENS1_27upper_bound_config_selectorIflEEZNS1_14transform_implILb0ES3_S5_N6thrust23THRUST_200600_302600_NS6detail15normal_iteratorINS8_7pointerIfNS8_11hip_rocprim16par_det_nosync_tENS8_11use_defaultESE_EEEENSA_INSB_IlSD_SE_SE_EEEEZNS1_13binary_searchIS3_S5_NSA_INS8_10device_ptrIfEEEESG_SI_NS1_21upper_bound_search_opENS9_16wrapped_functionINS8_6system6detail7generic6detail18binary_search_lessEbEEEE10hipError_tPvRmT1_T2_T3_mmT4_T5_P12ihipStream_tbEUlRKfE_EESV_SZ_S10_mS11_S14_bEUlT_E_NS1_11comp_targetILNS1_3genE5ELNS1_11target_archE942ELNS1_3gpuE9ELNS1_3repE0EEENS1_30default_config_static_selectorELNS0_4arch9wavefront6targetE1EEEvSY_.has_dyn_sized_stack, 0
	.set _ZN7rocprim17ROCPRIM_400000_NS6detail17trampoline_kernelINS0_14default_configENS1_27upper_bound_config_selectorIflEEZNS1_14transform_implILb0ES3_S5_N6thrust23THRUST_200600_302600_NS6detail15normal_iteratorINS8_7pointerIfNS8_11hip_rocprim16par_det_nosync_tENS8_11use_defaultESE_EEEENSA_INSB_IlSD_SE_SE_EEEEZNS1_13binary_searchIS3_S5_NSA_INS8_10device_ptrIfEEEESG_SI_NS1_21upper_bound_search_opENS9_16wrapped_functionINS8_6system6detail7generic6detail18binary_search_lessEbEEEE10hipError_tPvRmT1_T2_T3_mmT4_T5_P12ihipStream_tbEUlRKfE_EESV_SZ_S10_mS11_S14_bEUlT_E_NS1_11comp_targetILNS1_3genE5ELNS1_11target_archE942ELNS1_3gpuE9ELNS1_3repE0EEENS1_30default_config_static_selectorELNS0_4arch9wavefront6targetE1EEEvSY_.has_recursion, 0
	.set _ZN7rocprim17ROCPRIM_400000_NS6detail17trampoline_kernelINS0_14default_configENS1_27upper_bound_config_selectorIflEEZNS1_14transform_implILb0ES3_S5_N6thrust23THRUST_200600_302600_NS6detail15normal_iteratorINS8_7pointerIfNS8_11hip_rocprim16par_det_nosync_tENS8_11use_defaultESE_EEEENSA_INSB_IlSD_SE_SE_EEEEZNS1_13binary_searchIS3_S5_NSA_INS8_10device_ptrIfEEEESG_SI_NS1_21upper_bound_search_opENS9_16wrapped_functionINS8_6system6detail7generic6detail18binary_search_lessEbEEEE10hipError_tPvRmT1_T2_T3_mmT4_T5_P12ihipStream_tbEUlRKfE_EESV_SZ_S10_mS11_S14_bEUlT_E_NS1_11comp_targetILNS1_3genE5ELNS1_11target_archE942ELNS1_3gpuE9ELNS1_3repE0EEENS1_30default_config_static_selectorELNS0_4arch9wavefront6targetE1EEEvSY_.has_indirect_call, 0
	.section	.AMDGPU.csdata,"",@progbits
; Kernel info:
; codeLenInByte = 0
; TotalNumSgprs: 4
; NumVgprs: 0
; ScratchSize: 0
; MemoryBound: 0
; FloatMode: 240
; IeeeMode: 1
; LDSByteSize: 0 bytes/workgroup (compile time only)
; SGPRBlocks: 0
; VGPRBlocks: 0
; NumSGPRsForWavesPerEU: 4
; NumVGPRsForWavesPerEU: 1
; Occupancy: 10
; WaveLimiterHint : 0
; COMPUTE_PGM_RSRC2:SCRATCH_EN: 0
; COMPUTE_PGM_RSRC2:USER_SGPR: 6
; COMPUTE_PGM_RSRC2:TRAP_HANDLER: 0
; COMPUTE_PGM_RSRC2:TGID_X_EN: 1
; COMPUTE_PGM_RSRC2:TGID_Y_EN: 0
; COMPUTE_PGM_RSRC2:TGID_Z_EN: 0
; COMPUTE_PGM_RSRC2:TIDIG_COMP_CNT: 0
	.section	.text._ZN7rocprim17ROCPRIM_400000_NS6detail17trampoline_kernelINS0_14default_configENS1_27upper_bound_config_selectorIflEEZNS1_14transform_implILb0ES3_S5_N6thrust23THRUST_200600_302600_NS6detail15normal_iteratorINS8_7pointerIfNS8_11hip_rocprim16par_det_nosync_tENS8_11use_defaultESE_EEEENSA_INSB_IlSD_SE_SE_EEEEZNS1_13binary_searchIS3_S5_NSA_INS8_10device_ptrIfEEEESG_SI_NS1_21upper_bound_search_opENS9_16wrapped_functionINS8_6system6detail7generic6detail18binary_search_lessEbEEEE10hipError_tPvRmT1_T2_T3_mmT4_T5_P12ihipStream_tbEUlRKfE_EESV_SZ_S10_mS11_S14_bEUlT_E_NS1_11comp_targetILNS1_3genE4ELNS1_11target_archE910ELNS1_3gpuE8ELNS1_3repE0EEENS1_30default_config_static_selectorELNS0_4arch9wavefront6targetE1EEEvSY_,"axG",@progbits,_ZN7rocprim17ROCPRIM_400000_NS6detail17trampoline_kernelINS0_14default_configENS1_27upper_bound_config_selectorIflEEZNS1_14transform_implILb0ES3_S5_N6thrust23THRUST_200600_302600_NS6detail15normal_iteratorINS8_7pointerIfNS8_11hip_rocprim16par_det_nosync_tENS8_11use_defaultESE_EEEENSA_INSB_IlSD_SE_SE_EEEEZNS1_13binary_searchIS3_S5_NSA_INS8_10device_ptrIfEEEESG_SI_NS1_21upper_bound_search_opENS9_16wrapped_functionINS8_6system6detail7generic6detail18binary_search_lessEbEEEE10hipError_tPvRmT1_T2_T3_mmT4_T5_P12ihipStream_tbEUlRKfE_EESV_SZ_S10_mS11_S14_bEUlT_E_NS1_11comp_targetILNS1_3genE4ELNS1_11target_archE910ELNS1_3gpuE8ELNS1_3repE0EEENS1_30default_config_static_selectorELNS0_4arch9wavefront6targetE1EEEvSY_,comdat
	.protected	_ZN7rocprim17ROCPRIM_400000_NS6detail17trampoline_kernelINS0_14default_configENS1_27upper_bound_config_selectorIflEEZNS1_14transform_implILb0ES3_S5_N6thrust23THRUST_200600_302600_NS6detail15normal_iteratorINS8_7pointerIfNS8_11hip_rocprim16par_det_nosync_tENS8_11use_defaultESE_EEEENSA_INSB_IlSD_SE_SE_EEEEZNS1_13binary_searchIS3_S5_NSA_INS8_10device_ptrIfEEEESG_SI_NS1_21upper_bound_search_opENS9_16wrapped_functionINS8_6system6detail7generic6detail18binary_search_lessEbEEEE10hipError_tPvRmT1_T2_T3_mmT4_T5_P12ihipStream_tbEUlRKfE_EESV_SZ_S10_mS11_S14_bEUlT_E_NS1_11comp_targetILNS1_3genE4ELNS1_11target_archE910ELNS1_3gpuE8ELNS1_3repE0EEENS1_30default_config_static_selectorELNS0_4arch9wavefront6targetE1EEEvSY_ ; -- Begin function _ZN7rocprim17ROCPRIM_400000_NS6detail17trampoline_kernelINS0_14default_configENS1_27upper_bound_config_selectorIflEEZNS1_14transform_implILb0ES3_S5_N6thrust23THRUST_200600_302600_NS6detail15normal_iteratorINS8_7pointerIfNS8_11hip_rocprim16par_det_nosync_tENS8_11use_defaultESE_EEEENSA_INSB_IlSD_SE_SE_EEEEZNS1_13binary_searchIS3_S5_NSA_INS8_10device_ptrIfEEEESG_SI_NS1_21upper_bound_search_opENS9_16wrapped_functionINS8_6system6detail7generic6detail18binary_search_lessEbEEEE10hipError_tPvRmT1_T2_T3_mmT4_T5_P12ihipStream_tbEUlRKfE_EESV_SZ_S10_mS11_S14_bEUlT_E_NS1_11comp_targetILNS1_3genE4ELNS1_11target_archE910ELNS1_3gpuE8ELNS1_3repE0EEENS1_30default_config_static_selectorELNS0_4arch9wavefront6targetE1EEEvSY_
	.globl	_ZN7rocprim17ROCPRIM_400000_NS6detail17trampoline_kernelINS0_14default_configENS1_27upper_bound_config_selectorIflEEZNS1_14transform_implILb0ES3_S5_N6thrust23THRUST_200600_302600_NS6detail15normal_iteratorINS8_7pointerIfNS8_11hip_rocprim16par_det_nosync_tENS8_11use_defaultESE_EEEENSA_INSB_IlSD_SE_SE_EEEEZNS1_13binary_searchIS3_S5_NSA_INS8_10device_ptrIfEEEESG_SI_NS1_21upper_bound_search_opENS9_16wrapped_functionINS8_6system6detail7generic6detail18binary_search_lessEbEEEE10hipError_tPvRmT1_T2_T3_mmT4_T5_P12ihipStream_tbEUlRKfE_EESV_SZ_S10_mS11_S14_bEUlT_E_NS1_11comp_targetILNS1_3genE4ELNS1_11target_archE910ELNS1_3gpuE8ELNS1_3repE0EEENS1_30default_config_static_selectorELNS0_4arch9wavefront6targetE1EEEvSY_
	.p2align	8
	.type	_ZN7rocprim17ROCPRIM_400000_NS6detail17trampoline_kernelINS0_14default_configENS1_27upper_bound_config_selectorIflEEZNS1_14transform_implILb0ES3_S5_N6thrust23THRUST_200600_302600_NS6detail15normal_iteratorINS8_7pointerIfNS8_11hip_rocprim16par_det_nosync_tENS8_11use_defaultESE_EEEENSA_INSB_IlSD_SE_SE_EEEEZNS1_13binary_searchIS3_S5_NSA_INS8_10device_ptrIfEEEESG_SI_NS1_21upper_bound_search_opENS9_16wrapped_functionINS8_6system6detail7generic6detail18binary_search_lessEbEEEE10hipError_tPvRmT1_T2_T3_mmT4_T5_P12ihipStream_tbEUlRKfE_EESV_SZ_S10_mS11_S14_bEUlT_E_NS1_11comp_targetILNS1_3genE4ELNS1_11target_archE910ELNS1_3gpuE8ELNS1_3repE0EEENS1_30default_config_static_selectorELNS0_4arch9wavefront6targetE1EEEvSY_,@function
_ZN7rocprim17ROCPRIM_400000_NS6detail17trampoline_kernelINS0_14default_configENS1_27upper_bound_config_selectorIflEEZNS1_14transform_implILb0ES3_S5_N6thrust23THRUST_200600_302600_NS6detail15normal_iteratorINS8_7pointerIfNS8_11hip_rocprim16par_det_nosync_tENS8_11use_defaultESE_EEEENSA_INSB_IlSD_SE_SE_EEEEZNS1_13binary_searchIS3_S5_NSA_INS8_10device_ptrIfEEEESG_SI_NS1_21upper_bound_search_opENS9_16wrapped_functionINS8_6system6detail7generic6detail18binary_search_lessEbEEEE10hipError_tPvRmT1_T2_T3_mmT4_T5_P12ihipStream_tbEUlRKfE_EESV_SZ_S10_mS11_S14_bEUlT_E_NS1_11comp_targetILNS1_3genE4ELNS1_11target_archE910ELNS1_3gpuE8ELNS1_3repE0EEENS1_30default_config_static_selectorELNS0_4arch9wavefront6targetE1EEEvSY_: ; @_ZN7rocprim17ROCPRIM_400000_NS6detail17trampoline_kernelINS0_14default_configENS1_27upper_bound_config_selectorIflEEZNS1_14transform_implILb0ES3_S5_N6thrust23THRUST_200600_302600_NS6detail15normal_iteratorINS8_7pointerIfNS8_11hip_rocprim16par_det_nosync_tENS8_11use_defaultESE_EEEENSA_INSB_IlSD_SE_SE_EEEEZNS1_13binary_searchIS3_S5_NSA_INS8_10device_ptrIfEEEESG_SI_NS1_21upper_bound_search_opENS9_16wrapped_functionINS8_6system6detail7generic6detail18binary_search_lessEbEEEE10hipError_tPvRmT1_T2_T3_mmT4_T5_P12ihipStream_tbEUlRKfE_EESV_SZ_S10_mS11_S14_bEUlT_E_NS1_11comp_targetILNS1_3genE4ELNS1_11target_archE910ELNS1_3gpuE8ELNS1_3repE0EEENS1_30default_config_static_selectorELNS0_4arch9wavefront6targetE1EEEvSY_
; %bb.0:
	.section	.rodata,"a",@progbits
	.p2align	6, 0x0
	.amdhsa_kernel _ZN7rocprim17ROCPRIM_400000_NS6detail17trampoline_kernelINS0_14default_configENS1_27upper_bound_config_selectorIflEEZNS1_14transform_implILb0ES3_S5_N6thrust23THRUST_200600_302600_NS6detail15normal_iteratorINS8_7pointerIfNS8_11hip_rocprim16par_det_nosync_tENS8_11use_defaultESE_EEEENSA_INSB_IlSD_SE_SE_EEEEZNS1_13binary_searchIS3_S5_NSA_INS8_10device_ptrIfEEEESG_SI_NS1_21upper_bound_search_opENS9_16wrapped_functionINS8_6system6detail7generic6detail18binary_search_lessEbEEEE10hipError_tPvRmT1_T2_T3_mmT4_T5_P12ihipStream_tbEUlRKfE_EESV_SZ_S10_mS11_S14_bEUlT_E_NS1_11comp_targetILNS1_3genE4ELNS1_11target_archE910ELNS1_3gpuE8ELNS1_3repE0EEENS1_30default_config_static_selectorELNS0_4arch9wavefront6targetE1EEEvSY_
		.amdhsa_group_segment_fixed_size 0
		.amdhsa_private_segment_fixed_size 0
		.amdhsa_kernarg_size 56
		.amdhsa_user_sgpr_count 6
		.amdhsa_user_sgpr_private_segment_buffer 1
		.amdhsa_user_sgpr_dispatch_ptr 0
		.amdhsa_user_sgpr_queue_ptr 0
		.amdhsa_user_sgpr_kernarg_segment_ptr 1
		.amdhsa_user_sgpr_dispatch_id 0
		.amdhsa_user_sgpr_flat_scratch_init 0
		.amdhsa_user_sgpr_private_segment_size 0
		.amdhsa_uses_dynamic_stack 0
		.amdhsa_system_sgpr_private_segment_wavefront_offset 0
		.amdhsa_system_sgpr_workgroup_id_x 1
		.amdhsa_system_sgpr_workgroup_id_y 0
		.amdhsa_system_sgpr_workgroup_id_z 0
		.amdhsa_system_sgpr_workgroup_info 0
		.amdhsa_system_vgpr_workitem_id 0
		.amdhsa_next_free_vgpr 1
		.amdhsa_next_free_sgpr 0
		.amdhsa_reserve_vcc 0
		.amdhsa_reserve_flat_scratch 0
		.amdhsa_float_round_mode_32 0
		.amdhsa_float_round_mode_16_64 0
		.amdhsa_float_denorm_mode_32 3
		.amdhsa_float_denorm_mode_16_64 3
		.amdhsa_dx10_clamp 1
		.amdhsa_ieee_mode 1
		.amdhsa_fp16_overflow 0
		.amdhsa_exception_fp_ieee_invalid_op 0
		.amdhsa_exception_fp_denorm_src 0
		.amdhsa_exception_fp_ieee_div_zero 0
		.amdhsa_exception_fp_ieee_overflow 0
		.amdhsa_exception_fp_ieee_underflow 0
		.amdhsa_exception_fp_ieee_inexact 0
		.amdhsa_exception_int_div_zero 0
	.end_amdhsa_kernel
	.section	.text._ZN7rocprim17ROCPRIM_400000_NS6detail17trampoline_kernelINS0_14default_configENS1_27upper_bound_config_selectorIflEEZNS1_14transform_implILb0ES3_S5_N6thrust23THRUST_200600_302600_NS6detail15normal_iteratorINS8_7pointerIfNS8_11hip_rocprim16par_det_nosync_tENS8_11use_defaultESE_EEEENSA_INSB_IlSD_SE_SE_EEEEZNS1_13binary_searchIS3_S5_NSA_INS8_10device_ptrIfEEEESG_SI_NS1_21upper_bound_search_opENS9_16wrapped_functionINS8_6system6detail7generic6detail18binary_search_lessEbEEEE10hipError_tPvRmT1_T2_T3_mmT4_T5_P12ihipStream_tbEUlRKfE_EESV_SZ_S10_mS11_S14_bEUlT_E_NS1_11comp_targetILNS1_3genE4ELNS1_11target_archE910ELNS1_3gpuE8ELNS1_3repE0EEENS1_30default_config_static_selectorELNS0_4arch9wavefront6targetE1EEEvSY_,"axG",@progbits,_ZN7rocprim17ROCPRIM_400000_NS6detail17trampoline_kernelINS0_14default_configENS1_27upper_bound_config_selectorIflEEZNS1_14transform_implILb0ES3_S5_N6thrust23THRUST_200600_302600_NS6detail15normal_iteratorINS8_7pointerIfNS8_11hip_rocprim16par_det_nosync_tENS8_11use_defaultESE_EEEENSA_INSB_IlSD_SE_SE_EEEEZNS1_13binary_searchIS3_S5_NSA_INS8_10device_ptrIfEEEESG_SI_NS1_21upper_bound_search_opENS9_16wrapped_functionINS8_6system6detail7generic6detail18binary_search_lessEbEEEE10hipError_tPvRmT1_T2_T3_mmT4_T5_P12ihipStream_tbEUlRKfE_EESV_SZ_S10_mS11_S14_bEUlT_E_NS1_11comp_targetILNS1_3genE4ELNS1_11target_archE910ELNS1_3gpuE8ELNS1_3repE0EEENS1_30default_config_static_selectorELNS0_4arch9wavefront6targetE1EEEvSY_,comdat
.Lfunc_end511:
	.size	_ZN7rocprim17ROCPRIM_400000_NS6detail17trampoline_kernelINS0_14default_configENS1_27upper_bound_config_selectorIflEEZNS1_14transform_implILb0ES3_S5_N6thrust23THRUST_200600_302600_NS6detail15normal_iteratorINS8_7pointerIfNS8_11hip_rocprim16par_det_nosync_tENS8_11use_defaultESE_EEEENSA_INSB_IlSD_SE_SE_EEEEZNS1_13binary_searchIS3_S5_NSA_INS8_10device_ptrIfEEEESG_SI_NS1_21upper_bound_search_opENS9_16wrapped_functionINS8_6system6detail7generic6detail18binary_search_lessEbEEEE10hipError_tPvRmT1_T2_T3_mmT4_T5_P12ihipStream_tbEUlRKfE_EESV_SZ_S10_mS11_S14_bEUlT_E_NS1_11comp_targetILNS1_3genE4ELNS1_11target_archE910ELNS1_3gpuE8ELNS1_3repE0EEENS1_30default_config_static_selectorELNS0_4arch9wavefront6targetE1EEEvSY_, .Lfunc_end511-_ZN7rocprim17ROCPRIM_400000_NS6detail17trampoline_kernelINS0_14default_configENS1_27upper_bound_config_selectorIflEEZNS1_14transform_implILb0ES3_S5_N6thrust23THRUST_200600_302600_NS6detail15normal_iteratorINS8_7pointerIfNS8_11hip_rocprim16par_det_nosync_tENS8_11use_defaultESE_EEEENSA_INSB_IlSD_SE_SE_EEEEZNS1_13binary_searchIS3_S5_NSA_INS8_10device_ptrIfEEEESG_SI_NS1_21upper_bound_search_opENS9_16wrapped_functionINS8_6system6detail7generic6detail18binary_search_lessEbEEEE10hipError_tPvRmT1_T2_T3_mmT4_T5_P12ihipStream_tbEUlRKfE_EESV_SZ_S10_mS11_S14_bEUlT_E_NS1_11comp_targetILNS1_3genE4ELNS1_11target_archE910ELNS1_3gpuE8ELNS1_3repE0EEENS1_30default_config_static_selectorELNS0_4arch9wavefront6targetE1EEEvSY_
                                        ; -- End function
	.set _ZN7rocprim17ROCPRIM_400000_NS6detail17trampoline_kernelINS0_14default_configENS1_27upper_bound_config_selectorIflEEZNS1_14transform_implILb0ES3_S5_N6thrust23THRUST_200600_302600_NS6detail15normal_iteratorINS8_7pointerIfNS8_11hip_rocprim16par_det_nosync_tENS8_11use_defaultESE_EEEENSA_INSB_IlSD_SE_SE_EEEEZNS1_13binary_searchIS3_S5_NSA_INS8_10device_ptrIfEEEESG_SI_NS1_21upper_bound_search_opENS9_16wrapped_functionINS8_6system6detail7generic6detail18binary_search_lessEbEEEE10hipError_tPvRmT1_T2_T3_mmT4_T5_P12ihipStream_tbEUlRKfE_EESV_SZ_S10_mS11_S14_bEUlT_E_NS1_11comp_targetILNS1_3genE4ELNS1_11target_archE910ELNS1_3gpuE8ELNS1_3repE0EEENS1_30default_config_static_selectorELNS0_4arch9wavefront6targetE1EEEvSY_.num_vgpr, 0
	.set _ZN7rocprim17ROCPRIM_400000_NS6detail17trampoline_kernelINS0_14default_configENS1_27upper_bound_config_selectorIflEEZNS1_14transform_implILb0ES3_S5_N6thrust23THRUST_200600_302600_NS6detail15normal_iteratorINS8_7pointerIfNS8_11hip_rocprim16par_det_nosync_tENS8_11use_defaultESE_EEEENSA_INSB_IlSD_SE_SE_EEEEZNS1_13binary_searchIS3_S5_NSA_INS8_10device_ptrIfEEEESG_SI_NS1_21upper_bound_search_opENS9_16wrapped_functionINS8_6system6detail7generic6detail18binary_search_lessEbEEEE10hipError_tPvRmT1_T2_T3_mmT4_T5_P12ihipStream_tbEUlRKfE_EESV_SZ_S10_mS11_S14_bEUlT_E_NS1_11comp_targetILNS1_3genE4ELNS1_11target_archE910ELNS1_3gpuE8ELNS1_3repE0EEENS1_30default_config_static_selectorELNS0_4arch9wavefront6targetE1EEEvSY_.num_agpr, 0
	.set _ZN7rocprim17ROCPRIM_400000_NS6detail17trampoline_kernelINS0_14default_configENS1_27upper_bound_config_selectorIflEEZNS1_14transform_implILb0ES3_S5_N6thrust23THRUST_200600_302600_NS6detail15normal_iteratorINS8_7pointerIfNS8_11hip_rocprim16par_det_nosync_tENS8_11use_defaultESE_EEEENSA_INSB_IlSD_SE_SE_EEEEZNS1_13binary_searchIS3_S5_NSA_INS8_10device_ptrIfEEEESG_SI_NS1_21upper_bound_search_opENS9_16wrapped_functionINS8_6system6detail7generic6detail18binary_search_lessEbEEEE10hipError_tPvRmT1_T2_T3_mmT4_T5_P12ihipStream_tbEUlRKfE_EESV_SZ_S10_mS11_S14_bEUlT_E_NS1_11comp_targetILNS1_3genE4ELNS1_11target_archE910ELNS1_3gpuE8ELNS1_3repE0EEENS1_30default_config_static_selectorELNS0_4arch9wavefront6targetE1EEEvSY_.numbered_sgpr, 0
	.set _ZN7rocprim17ROCPRIM_400000_NS6detail17trampoline_kernelINS0_14default_configENS1_27upper_bound_config_selectorIflEEZNS1_14transform_implILb0ES3_S5_N6thrust23THRUST_200600_302600_NS6detail15normal_iteratorINS8_7pointerIfNS8_11hip_rocprim16par_det_nosync_tENS8_11use_defaultESE_EEEENSA_INSB_IlSD_SE_SE_EEEEZNS1_13binary_searchIS3_S5_NSA_INS8_10device_ptrIfEEEESG_SI_NS1_21upper_bound_search_opENS9_16wrapped_functionINS8_6system6detail7generic6detail18binary_search_lessEbEEEE10hipError_tPvRmT1_T2_T3_mmT4_T5_P12ihipStream_tbEUlRKfE_EESV_SZ_S10_mS11_S14_bEUlT_E_NS1_11comp_targetILNS1_3genE4ELNS1_11target_archE910ELNS1_3gpuE8ELNS1_3repE0EEENS1_30default_config_static_selectorELNS0_4arch9wavefront6targetE1EEEvSY_.num_named_barrier, 0
	.set _ZN7rocprim17ROCPRIM_400000_NS6detail17trampoline_kernelINS0_14default_configENS1_27upper_bound_config_selectorIflEEZNS1_14transform_implILb0ES3_S5_N6thrust23THRUST_200600_302600_NS6detail15normal_iteratorINS8_7pointerIfNS8_11hip_rocprim16par_det_nosync_tENS8_11use_defaultESE_EEEENSA_INSB_IlSD_SE_SE_EEEEZNS1_13binary_searchIS3_S5_NSA_INS8_10device_ptrIfEEEESG_SI_NS1_21upper_bound_search_opENS9_16wrapped_functionINS8_6system6detail7generic6detail18binary_search_lessEbEEEE10hipError_tPvRmT1_T2_T3_mmT4_T5_P12ihipStream_tbEUlRKfE_EESV_SZ_S10_mS11_S14_bEUlT_E_NS1_11comp_targetILNS1_3genE4ELNS1_11target_archE910ELNS1_3gpuE8ELNS1_3repE0EEENS1_30default_config_static_selectorELNS0_4arch9wavefront6targetE1EEEvSY_.private_seg_size, 0
	.set _ZN7rocprim17ROCPRIM_400000_NS6detail17trampoline_kernelINS0_14default_configENS1_27upper_bound_config_selectorIflEEZNS1_14transform_implILb0ES3_S5_N6thrust23THRUST_200600_302600_NS6detail15normal_iteratorINS8_7pointerIfNS8_11hip_rocprim16par_det_nosync_tENS8_11use_defaultESE_EEEENSA_INSB_IlSD_SE_SE_EEEEZNS1_13binary_searchIS3_S5_NSA_INS8_10device_ptrIfEEEESG_SI_NS1_21upper_bound_search_opENS9_16wrapped_functionINS8_6system6detail7generic6detail18binary_search_lessEbEEEE10hipError_tPvRmT1_T2_T3_mmT4_T5_P12ihipStream_tbEUlRKfE_EESV_SZ_S10_mS11_S14_bEUlT_E_NS1_11comp_targetILNS1_3genE4ELNS1_11target_archE910ELNS1_3gpuE8ELNS1_3repE0EEENS1_30default_config_static_selectorELNS0_4arch9wavefront6targetE1EEEvSY_.uses_vcc, 0
	.set _ZN7rocprim17ROCPRIM_400000_NS6detail17trampoline_kernelINS0_14default_configENS1_27upper_bound_config_selectorIflEEZNS1_14transform_implILb0ES3_S5_N6thrust23THRUST_200600_302600_NS6detail15normal_iteratorINS8_7pointerIfNS8_11hip_rocprim16par_det_nosync_tENS8_11use_defaultESE_EEEENSA_INSB_IlSD_SE_SE_EEEEZNS1_13binary_searchIS3_S5_NSA_INS8_10device_ptrIfEEEESG_SI_NS1_21upper_bound_search_opENS9_16wrapped_functionINS8_6system6detail7generic6detail18binary_search_lessEbEEEE10hipError_tPvRmT1_T2_T3_mmT4_T5_P12ihipStream_tbEUlRKfE_EESV_SZ_S10_mS11_S14_bEUlT_E_NS1_11comp_targetILNS1_3genE4ELNS1_11target_archE910ELNS1_3gpuE8ELNS1_3repE0EEENS1_30default_config_static_selectorELNS0_4arch9wavefront6targetE1EEEvSY_.uses_flat_scratch, 0
	.set _ZN7rocprim17ROCPRIM_400000_NS6detail17trampoline_kernelINS0_14default_configENS1_27upper_bound_config_selectorIflEEZNS1_14transform_implILb0ES3_S5_N6thrust23THRUST_200600_302600_NS6detail15normal_iteratorINS8_7pointerIfNS8_11hip_rocprim16par_det_nosync_tENS8_11use_defaultESE_EEEENSA_INSB_IlSD_SE_SE_EEEEZNS1_13binary_searchIS3_S5_NSA_INS8_10device_ptrIfEEEESG_SI_NS1_21upper_bound_search_opENS9_16wrapped_functionINS8_6system6detail7generic6detail18binary_search_lessEbEEEE10hipError_tPvRmT1_T2_T3_mmT4_T5_P12ihipStream_tbEUlRKfE_EESV_SZ_S10_mS11_S14_bEUlT_E_NS1_11comp_targetILNS1_3genE4ELNS1_11target_archE910ELNS1_3gpuE8ELNS1_3repE0EEENS1_30default_config_static_selectorELNS0_4arch9wavefront6targetE1EEEvSY_.has_dyn_sized_stack, 0
	.set _ZN7rocprim17ROCPRIM_400000_NS6detail17trampoline_kernelINS0_14default_configENS1_27upper_bound_config_selectorIflEEZNS1_14transform_implILb0ES3_S5_N6thrust23THRUST_200600_302600_NS6detail15normal_iteratorINS8_7pointerIfNS8_11hip_rocprim16par_det_nosync_tENS8_11use_defaultESE_EEEENSA_INSB_IlSD_SE_SE_EEEEZNS1_13binary_searchIS3_S5_NSA_INS8_10device_ptrIfEEEESG_SI_NS1_21upper_bound_search_opENS9_16wrapped_functionINS8_6system6detail7generic6detail18binary_search_lessEbEEEE10hipError_tPvRmT1_T2_T3_mmT4_T5_P12ihipStream_tbEUlRKfE_EESV_SZ_S10_mS11_S14_bEUlT_E_NS1_11comp_targetILNS1_3genE4ELNS1_11target_archE910ELNS1_3gpuE8ELNS1_3repE0EEENS1_30default_config_static_selectorELNS0_4arch9wavefront6targetE1EEEvSY_.has_recursion, 0
	.set _ZN7rocprim17ROCPRIM_400000_NS6detail17trampoline_kernelINS0_14default_configENS1_27upper_bound_config_selectorIflEEZNS1_14transform_implILb0ES3_S5_N6thrust23THRUST_200600_302600_NS6detail15normal_iteratorINS8_7pointerIfNS8_11hip_rocprim16par_det_nosync_tENS8_11use_defaultESE_EEEENSA_INSB_IlSD_SE_SE_EEEEZNS1_13binary_searchIS3_S5_NSA_INS8_10device_ptrIfEEEESG_SI_NS1_21upper_bound_search_opENS9_16wrapped_functionINS8_6system6detail7generic6detail18binary_search_lessEbEEEE10hipError_tPvRmT1_T2_T3_mmT4_T5_P12ihipStream_tbEUlRKfE_EESV_SZ_S10_mS11_S14_bEUlT_E_NS1_11comp_targetILNS1_3genE4ELNS1_11target_archE910ELNS1_3gpuE8ELNS1_3repE0EEENS1_30default_config_static_selectorELNS0_4arch9wavefront6targetE1EEEvSY_.has_indirect_call, 0
	.section	.AMDGPU.csdata,"",@progbits
; Kernel info:
; codeLenInByte = 0
; TotalNumSgprs: 4
; NumVgprs: 0
; ScratchSize: 0
; MemoryBound: 0
; FloatMode: 240
; IeeeMode: 1
; LDSByteSize: 0 bytes/workgroup (compile time only)
; SGPRBlocks: 0
; VGPRBlocks: 0
; NumSGPRsForWavesPerEU: 4
; NumVGPRsForWavesPerEU: 1
; Occupancy: 10
; WaveLimiterHint : 0
; COMPUTE_PGM_RSRC2:SCRATCH_EN: 0
; COMPUTE_PGM_RSRC2:USER_SGPR: 6
; COMPUTE_PGM_RSRC2:TRAP_HANDLER: 0
; COMPUTE_PGM_RSRC2:TGID_X_EN: 1
; COMPUTE_PGM_RSRC2:TGID_Y_EN: 0
; COMPUTE_PGM_RSRC2:TGID_Z_EN: 0
; COMPUTE_PGM_RSRC2:TIDIG_COMP_CNT: 0
	.section	.text._ZN7rocprim17ROCPRIM_400000_NS6detail17trampoline_kernelINS0_14default_configENS1_27upper_bound_config_selectorIflEEZNS1_14transform_implILb0ES3_S5_N6thrust23THRUST_200600_302600_NS6detail15normal_iteratorINS8_7pointerIfNS8_11hip_rocprim16par_det_nosync_tENS8_11use_defaultESE_EEEENSA_INSB_IlSD_SE_SE_EEEEZNS1_13binary_searchIS3_S5_NSA_INS8_10device_ptrIfEEEESG_SI_NS1_21upper_bound_search_opENS9_16wrapped_functionINS8_6system6detail7generic6detail18binary_search_lessEbEEEE10hipError_tPvRmT1_T2_T3_mmT4_T5_P12ihipStream_tbEUlRKfE_EESV_SZ_S10_mS11_S14_bEUlT_E_NS1_11comp_targetILNS1_3genE3ELNS1_11target_archE908ELNS1_3gpuE7ELNS1_3repE0EEENS1_30default_config_static_selectorELNS0_4arch9wavefront6targetE1EEEvSY_,"axG",@progbits,_ZN7rocprim17ROCPRIM_400000_NS6detail17trampoline_kernelINS0_14default_configENS1_27upper_bound_config_selectorIflEEZNS1_14transform_implILb0ES3_S5_N6thrust23THRUST_200600_302600_NS6detail15normal_iteratorINS8_7pointerIfNS8_11hip_rocprim16par_det_nosync_tENS8_11use_defaultESE_EEEENSA_INSB_IlSD_SE_SE_EEEEZNS1_13binary_searchIS3_S5_NSA_INS8_10device_ptrIfEEEESG_SI_NS1_21upper_bound_search_opENS9_16wrapped_functionINS8_6system6detail7generic6detail18binary_search_lessEbEEEE10hipError_tPvRmT1_T2_T3_mmT4_T5_P12ihipStream_tbEUlRKfE_EESV_SZ_S10_mS11_S14_bEUlT_E_NS1_11comp_targetILNS1_3genE3ELNS1_11target_archE908ELNS1_3gpuE7ELNS1_3repE0EEENS1_30default_config_static_selectorELNS0_4arch9wavefront6targetE1EEEvSY_,comdat
	.protected	_ZN7rocprim17ROCPRIM_400000_NS6detail17trampoline_kernelINS0_14default_configENS1_27upper_bound_config_selectorIflEEZNS1_14transform_implILb0ES3_S5_N6thrust23THRUST_200600_302600_NS6detail15normal_iteratorINS8_7pointerIfNS8_11hip_rocprim16par_det_nosync_tENS8_11use_defaultESE_EEEENSA_INSB_IlSD_SE_SE_EEEEZNS1_13binary_searchIS3_S5_NSA_INS8_10device_ptrIfEEEESG_SI_NS1_21upper_bound_search_opENS9_16wrapped_functionINS8_6system6detail7generic6detail18binary_search_lessEbEEEE10hipError_tPvRmT1_T2_T3_mmT4_T5_P12ihipStream_tbEUlRKfE_EESV_SZ_S10_mS11_S14_bEUlT_E_NS1_11comp_targetILNS1_3genE3ELNS1_11target_archE908ELNS1_3gpuE7ELNS1_3repE0EEENS1_30default_config_static_selectorELNS0_4arch9wavefront6targetE1EEEvSY_ ; -- Begin function _ZN7rocprim17ROCPRIM_400000_NS6detail17trampoline_kernelINS0_14default_configENS1_27upper_bound_config_selectorIflEEZNS1_14transform_implILb0ES3_S5_N6thrust23THRUST_200600_302600_NS6detail15normal_iteratorINS8_7pointerIfNS8_11hip_rocprim16par_det_nosync_tENS8_11use_defaultESE_EEEENSA_INSB_IlSD_SE_SE_EEEEZNS1_13binary_searchIS3_S5_NSA_INS8_10device_ptrIfEEEESG_SI_NS1_21upper_bound_search_opENS9_16wrapped_functionINS8_6system6detail7generic6detail18binary_search_lessEbEEEE10hipError_tPvRmT1_T2_T3_mmT4_T5_P12ihipStream_tbEUlRKfE_EESV_SZ_S10_mS11_S14_bEUlT_E_NS1_11comp_targetILNS1_3genE3ELNS1_11target_archE908ELNS1_3gpuE7ELNS1_3repE0EEENS1_30default_config_static_selectorELNS0_4arch9wavefront6targetE1EEEvSY_
	.globl	_ZN7rocprim17ROCPRIM_400000_NS6detail17trampoline_kernelINS0_14default_configENS1_27upper_bound_config_selectorIflEEZNS1_14transform_implILb0ES3_S5_N6thrust23THRUST_200600_302600_NS6detail15normal_iteratorINS8_7pointerIfNS8_11hip_rocprim16par_det_nosync_tENS8_11use_defaultESE_EEEENSA_INSB_IlSD_SE_SE_EEEEZNS1_13binary_searchIS3_S5_NSA_INS8_10device_ptrIfEEEESG_SI_NS1_21upper_bound_search_opENS9_16wrapped_functionINS8_6system6detail7generic6detail18binary_search_lessEbEEEE10hipError_tPvRmT1_T2_T3_mmT4_T5_P12ihipStream_tbEUlRKfE_EESV_SZ_S10_mS11_S14_bEUlT_E_NS1_11comp_targetILNS1_3genE3ELNS1_11target_archE908ELNS1_3gpuE7ELNS1_3repE0EEENS1_30default_config_static_selectorELNS0_4arch9wavefront6targetE1EEEvSY_
	.p2align	8
	.type	_ZN7rocprim17ROCPRIM_400000_NS6detail17trampoline_kernelINS0_14default_configENS1_27upper_bound_config_selectorIflEEZNS1_14transform_implILb0ES3_S5_N6thrust23THRUST_200600_302600_NS6detail15normal_iteratorINS8_7pointerIfNS8_11hip_rocprim16par_det_nosync_tENS8_11use_defaultESE_EEEENSA_INSB_IlSD_SE_SE_EEEEZNS1_13binary_searchIS3_S5_NSA_INS8_10device_ptrIfEEEESG_SI_NS1_21upper_bound_search_opENS9_16wrapped_functionINS8_6system6detail7generic6detail18binary_search_lessEbEEEE10hipError_tPvRmT1_T2_T3_mmT4_T5_P12ihipStream_tbEUlRKfE_EESV_SZ_S10_mS11_S14_bEUlT_E_NS1_11comp_targetILNS1_3genE3ELNS1_11target_archE908ELNS1_3gpuE7ELNS1_3repE0EEENS1_30default_config_static_selectorELNS0_4arch9wavefront6targetE1EEEvSY_,@function
_ZN7rocprim17ROCPRIM_400000_NS6detail17trampoline_kernelINS0_14default_configENS1_27upper_bound_config_selectorIflEEZNS1_14transform_implILb0ES3_S5_N6thrust23THRUST_200600_302600_NS6detail15normal_iteratorINS8_7pointerIfNS8_11hip_rocprim16par_det_nosync_tENS8_11use_defaultESE_EEEENSA_INSB_IlSD_SE_SE_EEEEZNS1_13binary_searchIS3_S5_NSA_INS8_10device_ptrIfEEEESG_SI_NS1_21upper_bound_search_opENS9_16wrapped_functionINS8_6system6detail7generic6detail18binary_search_lessEbEEEE10hipError_tPvRmT1_T2_T3_mmT4_T5_P12ihipStream_tbEUlRKfE_EESV_SZ_S10_mS11_S14_bEUlT_E_NS1_11comp_targetILNS1_3genE3ELNS1_11target_archE908ELNS1_3gpuE7ELNS1_3repE0EEENS1_30default_config_static_selectorELNS0_4arch9wavefront6targetE1EEEvSY_: ; @_ZN7rocprim17ROCPRIM_400000_NS6detail17trampoline_kernelINS0_14default_configENS1_27upper_bound_config_selectorIflEEZNS1_14transform_implILb0ES3_S5_N6thrust23THRUST_200600_302600_NS6detail15normal_iteratorINS8_7pointerIfNS8_11hip_rocprim16par_det_nosync_tENS8_11use_defaultESE_EEEENSA_INSB_IlSD_SE_SE_EEEEZNS1_13binary_searchIS3_S5_NSA_INS8_10device_ptrIfEEEESG_SI_NS1_21upper_bound_search_opENS9_16wrapped_functionINS8_6system6detail7generic6detail18binary_search_lessEbEEEE10hipError_tPvRmT1_T2_T3_mmT4_T5_P12ihipStream_tbEUlRKfE_EESV_SZ_S10_mS11_S14_bEUlT_E_NS1_11comp_targetILNS1_3genE3ELNS1_11target_archE908ELNS1_3gpuE7ELNS1_3repE0EEENS1_30default_config_static_selectorELNS0_4arch9wavefront6targetE1EEEvSY_
; %bb.0:
	.section	.rodata,"a",@progbits
	.p2align	6, 0x0
	.amdhsa_kernel _ZN7rocprim17ROCPRIM_400000_NS6detail17trampoline_kernelINS0_14default_configENS1_27upper_bound_config_selectorIflEEZNS1_14transform_implILb0ES3_S5_N6thrust23THRUST_200600_302600_NS6detail15normal_iteratorINS8_7pointerIfNS8_11hip_rocprim16par_det_nosync_tENS8_11use_defaultESE_EEEENSA_INSB_IlSD_SE_SE_EEEEZNS1_13binary_searchIS3_S5_NSA_INS8_10device_ptrIfEEEESG_SI_NS1_21upper_bound_search_opENS9_16wrapped_functionINS8_6system6detail7generic6detail18binary_search_lessEbEEEE10hipError_tPvRmT1_T2_T3_mmT4_T5_P12ihipStream_tbEUlRKfE_EESV_SZ_S10_mS11_S14_bEUlT_E_NS1_11comp_targetILNS1_3genE3ELNS1_11target_archE908ELNS1_3gpuE7ELNS1_3repE0EEENS1_30default_config_static_selectorELNS0_4arch9wavefront6targetE1EEEvSY_
		.amdhsa_group_segment_fixed_size 0
		.amdhsa_private_segment_fixed_size 0
		.amdhsa_kernarg_size 56
		.amdhsa_user_sgpr_count 6
		.amdhsa_user_sgpr_private_segment_buffer 1
		.amdhsa_user_sgpr_dispatch_ptr 0
		.amdhsa_user_sgpr_queue_ptr 0
		.amdhsa_user_sgpr_kernarg_segment_ptr 1
		.amdhsa_user_sgpr_dispatch_id 0
		.amdhsa_user_sgpr_flat_scratch_init 0
		.amdhsa_user_sgpr_private_segment_size 0
		.amdhsa_uses_dynamic_stack 0
		.amdhsa_system_sgpr_private_segment_wavefront_offset 0
		.amdhsa_system_sgpr_workgroup_id_x 1
		.amdhsa_system_sgpr_workgroup_id_y 0
		.amdhsa_system_sgpr_workgroup_id_z 0
		.amdhsa_system_sgpr_workgroup_info 0
		.amdhsa_system_vgpr_workitem_id 0
		.amdhsa_next_free_vgpr 1
		.amdhsa_next_free_sgpr 0
		.amdhsa_reserve_vcc 0
		.amdhsa_reserve_flat_scratch 0
		.amdhsa_float_round_mode_32 0
		.amdhsa_float_round_mode_16_64 0
		.amdhsa_float_denorm_mode_32 3
		.amdhsa_float_denorm_mode_16_64 3
		.amdhsa_dx10_clamp 1
		.amdhsa_ieee_mode 1
		.amdhsa_fp16_overflow 0
		.amdhsa_exception_fp_ieee_invalid_op 0
		.amdhsa_exception_fp_denorm_src 0
		.amdhsa_exception_fp_ieee_div_zero 0
		.amdhsa_exception_fp_ieee_overflow 0
		.amdhsa_exception_fp_ieee_underflow 0
		.amdhsa_exception_fp_ieee_inexact 0
		.amdhsa_exception_int_div_zero 0
	.end_amdhsa_kernel
	.section	.text._ZN7rocprim17ROCPRIM_400000_NS6detail17trampoline_kernelINS0_14default_configENS1_27upper_bound_config_selectorIflEEZNS1_14transform_implILb0ES3_S5_N6thrust23THRUST_200600_302600_NS6detail15normal_iteratorINS8_7pointerIfNS8_11hip_rocprim16par_det_nosync_tENS8_11use_defaultESE_EEEENSA_INSB_IlSD_SE_SE_EEEEZNS1_13binary_searchIS3_S5_NSA_INS8_10device_ptrIfEEEESG_SI_NS1_21upper_bound_search_opENS9_16wrapped_functionINS8_6system6detail7generic6detail18binary_search_lessEbEEEE10hipError_tPvRmT1_T2_T3_mmT4_T5_P12ihipStream_tbEUlRKfE_EESV_SZ_S10_mS11_S14_bEUlT_E_NS1_11comp_targetILNS1_3genE3ELNS1_11target_archE908ELNS1_3gpuE7ELNS1_3repE0EEENS1_30default_config_static_selectorELNS0_4arch9wavefront6targetE1EEEvSY_,"axG",@progbits,_ZN7rocprim17ROCPRIM_400000_NS6detail17trampoline_kernelINS0_14default_configENS1_27upper_bound_config_selectorIflEEZNS1_14transform_implILb0ES3_S5_N6thrust23THRUST_200600_302600_NS6detail15normal_iteratorINS8_7pointerIfNS8_11hip_rocprim16par_det_nosync_tENS8_11use_defaultESE_EEEENSA_INSB_IlSD_SE_SE_EEEEZNS1_13binary_searchIS3_S5_NSA_INS8_10device_ptrIfEEEESG_SI_NS1_21upper_bound_search_opENS9_16wrapped_functionINS8_6system6detail7generic6detail18binary_search_lessEbEEEE10hipError_tPvRmT1_T2_T3_mmT4_T5_P12ihipStream_tbEUlRKfE_EESV_SZ_S10_mS11_S14_bEUlT_E_NS1_11comp_targetILNS1_3genE3ELNS1_11target_archE908ELNS1_3gpuE7ELNS1_3repE0EEENS1_30default_config_static_selectorELNS0_4arch9wavefront6targetE1EEEvSY_,comdat
.Lfunc_end512:
	.size	_ZN7rocprim17ROCPRIM_400000_NS6detail17trampoline_kernelINS0_14default_configENS1_27upper_bound_config_selectorIflEEZNS1_14transform_implILb0ES3_S5_N6thrust23THRUST_200600_302600_NS6detail15normal_iteratorINS8_7pointerIfNS8_11hip_rocprim16par_det_nosync_tENS8_11use_defaultESE_EEEENSA_INSB_IlSD_SE_SE_EEEEZNS1_13binary_searchIS3_S5_NSA_INS8_10device_ptrIfEEEESG_SI_NS1_21upper_bound_search_opENS9_16wrapped_functionINS8_6system6detail7generic6detail18binary_search_lessEbEEEE10hipError_tPvRmT1_T2_T3_mmT4_T5_P12ihipStream_tbEUlRKfE_EESV_SZ_S10_mS11_S14_bEUlT_E_NS1_11comp_targetILNS1_3genE3ELNS1_11target_archE908ELNS1_3gpuE7ELNS1_3repE0EEENS1_30default_config_static_selectorELNS0_4arch9wavefront6targetE1EEEvSY_, .Lfunc_end512-_ZN7rocprim17ROCPRIM_400000_NS6detail17trampoline_kernelINS0_14default_configENS1_27upper_bound_config_selectorIflEEZNS1_14transform_implILb0ES3_S5_N6thrust23THRUST_200600_302600_NS6detail15normal_iteratorINS8_7pointerIfNS8_11hip_rocprim16par_det_nosync_tENS8_11use_defaultESE_EEEENSA_INSB_IlSD_SE_SE_EEEEZNS1_13binary_searchIS3_S5_NSA_INS8_10device_ptrIfEEEESG_SI_NS1_21upper_bound_search_opENS9_16wrapped_functionINS8_6system6detail7generic6detail18binary_search_lessEbEEEE10hipError_tPvRmT1_T2_T3_mmT4_T5_P12ihipStream_tbEUlRKfE_EESV_SZ_S10_mS11_S14_bEUlT_E_NS1_11comp_targetILNS1_3genE3ELNS1_11target_archE908ELNS1_3gpuE7ELNS1_3repE0EEENS1_30default_config_static_selectorELNS0_4arch9wavefront6targetE1EEEvSY_
                                        ; -- End function
	.set _ZN7rocprim17ROCPRIM_400000_NS6detail17trampoline_kernelINS0_14default_configENS1_27upper_bound_config_selectorIflEEZNS1_14transform_implILb0ES3_S5_N6thrust23THRUST_200600_302600_NS6detail15normal_iteratorINS8_7pointerIfNS8_11hip_rocprim16par_det_nosync_tENS8_11use_defaultESE_EEEENSA_INSB_IlSD_SE_SE_EEEEZNS1_13binary_searchIS3_S5_NSA_INS8_10device_ptrIfEEEESG_SI_NS1_21upper_bound_search_opENS9_16wrapped_functionINS8_6system6detail7generic6detail18binary_search_lessEbEEEE10hipError_tPvRmT1_T2_T3_mmT4_T5_P12ihipStream_tbEUlRKfE_EESV_SZ_S10_mS11_S14_bEUlT_E_NS1_11comp_targetILNS1_3genE3ELNS1_11target_archE908ELNS1_3gpuE7ELNS1_3repE0EEENS1_30default_config_static_selectorELNS0_4arch9wavefront6targetE1EEEvSY_.num_vgpr, 0
	.set _ZN7rocprim17ROCPRIM_400000_NS6detail17trampoline_kernelINS0_14default_configENS1_27upper_bound_config_selectorIflEEZNS1_14transform_implILb0ES3_S5_N6thrust23THRUST_200600_302600_NS6detail15normal_iteratorINS8_7pointerIfNS8_11hip_rocprim16par_det_nosync_tENS8_11use_defaultESE_EEEENSA_INSB_IlSD_SE_SE_EEEEZNS1_13binary_searchIS3_S5_NSA_INS8_10device_ptrIfEEEESG_SI_NS1_21upper_bound_search_opENS9_16wrapped_functionINS8_6system6detail7generic6detail18binary_search_lessEbEEEE10hipError_tPvRmT1_T2_T3_mmT4_T5_P12ihipStream_tbEUlRKfE_EESV_SZ_S10_mS11_S14_bEUlT_E_NS1_11comp_targetILNS1_3genE3ELNS1_11target_archE908ELNS1_3gpuE7ELNS1_3repE0EEENS1_30default_config_static_selectorELNS0_4arch9wavefront6targetE1EEEvSY_.num_agpr, 0
	.set _ZN7rocprim17ROCPRIM_400000_NS6detail17trampoline_kernelINS0_14default_configENS1_27upper_bound_config_selectorIflEEZNS1_14transform_implILb0ES3_S5_N6thrust23THRUST_200600_302600_NS6detail15normal_iteratorINS8_7pointerIfNS8_11hip_rocprim16par_det_nosync_tENS8_11use_defaultESE_EEEENSA_INSB_IlSD_SE_SE_EEEEZNS1_13binary_searchIS3_S5_NSA_INS8_10device_ptrIfEEEESG_SI_NS1_21upper_bound_search_opENS9_16wrapped_functionINS8_6system6detail7generic6detail18binary_search_lessEbEEEE10hipError_tPvRmT1_T2_T3_mmT4_T5_P12ihipStream_tbEUlRKfE_EESV_SZ_S10_mS11_S14_bEUlT_E_NS1_11comp_targetILNS1_3genE3ELNS1_11target_archE908ELNS1_3gpuE7ELNS1_3repE0EEENS1_30default_config_static_selectorELNS0_4arch9wavefront6targetE1EEEvSY_.numbered_sgpr, 0
	.set _ZN7rocprim17ROCPRIM_400000_NS6detail17trampoline_kernelINS0_14default_configENS1_27upper_bound_config_selectorIflEEZNS1_14transform_implILb0ES3_S5_N6thrust23THRUST_200600_302600_NS6detail15normal_iteratorINS8_7pointerIfNS8_11hip_rocprim16par_det_nosync_tENS8_11use_defaultESE_EEEENSA_INSB_IlSD_SE_SE_EEEEZNS1_13binary_searchIS3_S5_NSA_INS8_10device_ptrIfEEEESG_SI_NS1_21upper_bound_search_opENS9_16wrapped_functionINS8_6system6detail7generic6detail18binary_search_lessEbEEEE10hipError_tPvRmT1_T2_T3_mmT4_T5_P12ihipStream_tbEUlRKfE_EESV_SZ_S10_mS11_S14_bEUlT_E_NS1_11comp_targetILNS1_3genE3ELNS1_11target_archE908ELNS1_3gpuE7ELNS1_3repE0EEENS1_30default_config_static_selectorELNS0_4arch9wavefront6targetE1EEEvSY_.num_named_barrier, 0
	.set _ZN7rocprim17ROCPRIM_400000_NS6detail17trampoline_kernelINS0_14default_configENS1_27upper_bound_config_selectorIflEEZNS1_14transform_implILb0ES3_S5_N6thrust23THRUST_200600_302600_NS6detail15normal_iteratorINS8_7pointerIfNS8_11hip_rocprim16par_det_nosync_tENS8_11use_defaultESE_EEEENSA_INSB_IlSD_SE_SE_EEEEZNS1_13binary_searchIS3_S5_NSA_INS8_10device_ptrIfEEEESG_SI_NS1_21upper_bound_search_opENS9_16wrapped_functionINS8_6system6detail7generic6detail18binary_search_lessEbEEEE10hipError_tPvRmT1_T2_T3_mmT4_T5_P12ihipStream_tbEUlRKfE_EESV_SZ_S10_mS11_S14_bEUlT_E_NS1_11comp_targetILNS1_3genE3ELNS1_11target_archE908ELNS1_3gpuE7ELNS1_3repE0EEENS1_30default_config_static_selectorELNS0_4arch9wavefront6targetE1EEEvSY_.private_seg_size, 0
	.set _ZN7rocprim17ROCPRIM_400000_NS6detail17trampoline_kernelINS0_14default_configENS1_27upper_bound_config_selectorIflEEZNS1_14transform_implILb0ES3_S5_N6thrust23THRUST_200600_302600_NS6detail15normal_iteratorINS8_7pointerIfNS8_11hip_rocprim16par_det_nosync_tENS8_11use_defaultESE_EEEENSA_INSB_IlSD_SE_SE_EEEEZNS1_13binary_searchIS3_S5_NSA_INS8_10device_ptrIfEEEESG_SI_NS1_21upper_bound_search_opENS9_16wrapped_functionINS8_6system6detail7generic6detail18binary_search_lessEbEEEE10hipError_tPvRmT1_T2_T3_mmT4_T5_P12ihipStream_tbEUlRKfE_EESV_SZ_S10_mS11_S14_bEUlT_E_NS1_11comp_targetILNS1_3genE3ELNS1_11target_archE908ELNS1_3gpuE7ELNS1_3repE0EEENS1_30default_config_static_selectorELNS0_4arch9wavefront6targetE1EEEvSY_.uses_vcc, 0
	.set _ZN7rocprim17ROCPRIM_400000_NS6detail17trampoline_kernelINS0_14default_configENS1_27upper_bound_config_selectorIflEEZNS1_14transform_implILb0ES3_S5_N6thrust23THRUST_200600_302600_NS6detail15normal_iteratorINS8_7pointerIfNS8_11hip_rocprim16par_det_nosync_tENS8_11use_defaultESE_EEEENSA_INSB_IlSD_SE_SE_EEEEZNS1_13binary_searchIS3_S5_NSA_INS8_10device_ptrIfEEEESG_SI_NS1_21upper_bound_search_opENS9_16wrapped_functionINS8_6system6detail7generic6detail18binary_search_lessEbEEEE10hipError_tPvRmT1_T2_T3_mmT4_T5_P12ihipStream_tbEUlRKfE_EESV_SZ_S10_mS11_S14_bEUlT_E_NS1_11comp_targetILNS1_3genE3ELNS1_11target_archE908ELNS1_3gpuE7ELNS1_3repE0EEENS1_30default_config_static_selectorELNS0_4arch9wavefront6targetE1EEEvSY_.uses_flat_scratch, 0
	.set _ZN7rocprim17ROCPRIM_400000_NS6detail17trampoline_kernelINS0_14default_configENS1_27upper_bound_config_selectorIflEEZNS1_14transform_implILb0ES3_S5_N6thrust23THRUST_200600_302600_NS6detail15normal_iteratorINS8_7pointerIfNS8_11hip_rocprim16par_det_nosync_tENS8_11use_defaultESE_EEEENSA_INSB_IlSD_SE_SE_EEEEZNS1_13binary_searchIS3_S5_NSA_INS8_10device_ptrIfEEEESG_SI_NS1_21upper_bound_search_opENS9_16wrapped_functionINS8_6system6detail7generic6detail18binary_search_lessEbEEEE10hipError_tPvRmT1_T2_T3_mmT4_T5_P12ihipStream_tbEUlRKfE_EESV_SZ_S10_mS11_S14_bEUlT_E_NS1_11comp_targetILNS1_3genE3ELNS1_11target_archE908ELNS1_3gpuE7ELNS1_3repE0EEENS1_30default_config_static_selectorELNS0_4arch9wavefront6targetE1EEEvSY_.has_dyn_sized_stack, 0
	.set _ZN7rocprim17ROCPRIM_400000_NS6detail17trampoline_kernelINS0_14default_configENS1_27upper_bound_config_selectorIflEEZNS1_14transform_implILb0ES3_S5_N6thrust23THRUST_200600_302600_NS6detail15normal_iteratorINS8_7pointerIfNS8_11hip_rocprim16par_det_nosync_tENS8_11use_defaultESE_EEEENSA_INSB_IlSD_SE_SE_EEEEZNS1_13binary_searchIS3_S5_NSA_INS8_10device_ptrIfEEEESG_SI_NS1_21upper_bound_search_opENS9_16wrapped_functionINS8_6system6detail7generic6detail18binary_search_lessEbEEEE10hipError_tPvRmT1_T2_T3_mmT4_T5_P12ihipStream_tbEUlRKfE_EESV_SZ_S10_mS11_S14_bEUlT_E_NS1_11comp_targetILNS1_3genE3ELNS1_11target_archE908ELNS1_3gpuE7ELNS1_3repE0EEENS1_30default_config_static_selectorELNS0_4arch9wavefront6targetE1EEEvSY_.has_recursion, 0
	.set _ZN7rocprim17ROCPRIM_400000_NS6detail17trampoline_kernelINS0_14default_configENS1_27upper_bound_config_selectorIflEEZNS1_14transform_implILb0ES3_S5_N6thrust23THRUST_200600_302600_NS6detail15normal_iteratorINS8_7pointerIfNS8_11hip_rocprim16par_det_nosync_tENS8_11use_defaultESE_EEEENSA_INSB_IlSD_SE_SE_EEEEZNS1_13binary_searchIS3_S5_NSA_INS8_10device_ptrIfEEEESG_SI_NS1_21upper_bound_search_opENS9_16wrapped_functionINS8_6system6detail7generic6detail18binary_search_lessEbEEEE10hipError_tPvRmT1_T2_T3_mmT4_T5_P12ihipStream_tbEUlRKfE_EESV_SZ_S10_mS11_S14_bEUlT_E_NS1_11comp_targetILNS1_3genE3ELNS1_11target_archE908ELNS1_3gpuE7ELNS1_3repE0EEENS1_30default_config_static_selectorELNS0_4arch9wavefront6targetE1EEEvSY_.has_indirect_call, 0
	.section	.AMDGPU.csdata,"",@progbits
; Kernel info:
; codeLenInByte = 0
; TotalNumSgprs: 4
; NumVgprs: 0
; ScratchSize: 0
; MemoryBound: 0
; FloatMode: 240
; IeeeMode: 1
; LDSByteSize: 0 bytes/workgroup (compile time only)
; SGPRBlocks: 0
; VGPRBlocks: 0
; NumSGPRsForWavesPerEU: 4
; NumVGPRsForWavesPerEU: 1
; Occupancy: 10
; WaveLimiterHint : 0
; COMPUTE_PGM_RSRC2:SCRATCH_EN: 0
; COMPUTE_PGM_RSRC2:USER_SGPR: 6
; COMPUTE_PGM_RSRC2:TRAP_HANDLER: 0
; COMPUTE_PGM_RSRC2:TGID_X_EN: 1
; COMPUTE_PGM_RSRC2:TGID_Y_EN: 0
; COMPUTE_PGM_RSRC2:TGID_Z_EN: 0
; COMPUTE_PGM_RSRC2:TIDIG_COMP_CNT: 0
	.section	.text._ZN7rocprim17ROCPRIM_400000_NS6detail17trampoline_kernelINS0_14default_configENS1_27upper_bound_config_selectorIflEEZNS1_14transform_implILb0ES3_S5_N6thrust23THRUST_200600_302600_NS6detail15normal_iteratorINS8_7pointerIfNS8_11hip_rocprim16par_det_nosync_tENS8_11use_defaultESE_EEEENSA_INSB_IlSD_SE_SE_EEEEZNS1_13binary_searchIS3_S5_NSA_INS8_10device_ptrIfEEEESG_SI_NS1_21upper_bound_search_opENS9_16wrapped_functionINS8_6system6detail7generic6detail18binary_search_lessEbEEEE10hipError_tPvRmT1_T2_T3_mmT4_T5_P12ihipStream_tbEUlRKfE_EESV_SZ_S10_mS11_S14_bEUlT_E_NS1_11comp_targetILNS1_3genE2ELNS1_11target_archE906ELNS1_3gpuE6ELNS1_3repE0EEENS1_30default_config_static_selectorELNS0_4arch9wavefront6targetE1EEEvSY_,"axG",@progbits,_ZN7rocprim17ROCPRIM_400000_NS6detail17trampoline_kernelINS0_14default_configENS1_27upper_bound_config_selectorIflEEZNS1_14transform_implILb0ES3_S5_N6thrust23THRUST_200600_302600_NS6detail15normal_iteratorINS8_7pointerIfNS8_11hip_rocprim16par_det_nosync_tENS8_11use_defaultESE_EEEENSA_INSB_IlSD_SE_SE_EEEEZNS1_13binary_searchIS3_S5_NSA_INS8_10device_ptrIfEEEESG_SI_NS1_21upper_bound_search_opENS9_16wrapped_functionINS8_6system6detail7generic6detail18binary_search_lessEbEEEE10hipError_tPvRmT1_T2_T3_mmT4_T5_P12ihipStream_tbEUlRKfE_EESV_SZ_S10_mS11_S14_bEUlT_E_NS1_11comp_targetILNS1_3genE2ELNS1_11target_archE906ELNS1_3gpuE6ELNS1_3repE0EEENS1_30default_config_static_selectorELNS0_4arch9wavefront6targetE1EEEvSY_,comdat
	.protected	_ZN7rocprim17ROCPRIM_400000_NS6detail17trampoline_kernelINS0_14default_configENS1_27upper_bound_config_selectorIflEEZNS1_14transform_implILb0ES3_S5_N6thrust23THRUST_200600_302600_NS6detail15normal_iteratorINS8_7pointerIfNS8_11hip_rocprim16par_det_nosync_tENS8_11use_defaultESE_EEEENSA_INSB_IlSD_SE_SE_EEEEZNS1_13binary_searchIS3_S5_NSA_INS8_10device_ptrIfEEEESG_SI_NS1_21upper_bound_search_opENS9_16wrapped_functionINS8_6system6detail7generic6detail18binary_search_lessEbEEEE10hipError_tPvRmT1_T2_T3_mmT4_T5_P12ihipStream_tbEUlRKfE_EESV_SZ_S10_mS11_S14_bEUlT_E_NS1_11comp_targetILNS1_3genE2ELNS1_11target_archE906ELNS1_3gpuE6ELNS1_3repE0EEENS1_30default_config_static_selectorELNS0_4arch9wavefront6targetE1EEEvSY_ ; -- Begin function _ZN7rocprim17ROCPRIM_400000_NS6detail17trampoline_kernelINS0_14default_configENS1_27upper_bound_config_selectorIflEEZNS1_14transform_implILb0ES3_S5_N6thrust23THRUST_200600_302600_NS6detail15normal_iteratorINS8_7pointerIfNS8_11hip_rocprim16par_det_nosync_tENS8_11use_defaultESE_EEEENSA_INSB_IlSD_SE_SE_EEEEZNS1_13binary_searchIS3_S5_NSA_INS8_10device_ptrIfEEEESG_SI_NS1_21upper_bound_search_opENS9_16wrapped_functionINS8_6system6detail7generic6detail18binary_search_lessEbEEEE10hipError_tPvRmT1_T2_T3_mmT4_T5_P12ihipStream_tbEUlRKfE_EESV_SZ_S10_mS11_S14_bEUlT_E_NS1_11comp_targetILNS1_3genE2ELNS1_11target_archE906ELNS1_3gpuE6ELNS1_3repE0EEENS1_30default_config_static_selectorELNS0_4arch9wavefront6targetE1EEEvSY_
	.globl	_ZN7rocprim17ROCPRIM_400000_NS6detail17trampoline_kernelINS0_14default_configENS1_27upper_bound_config_selectorIflEEZNS1_14transform_implILb0ES3_S5_N6thrust23THRUST_200600_302600_NS6detail15normal_iteratorINS8_7pointerIfNS8_11hip_rocprim16par_det_nosync_tENS8_11use_defaultESE_EEEENSA_INSB_IlSD_SE_SE_EEEEZNS1_13binary_searchIS3_S5_NSA_INS8_10device_ptrIfEEEESG_SI_NS1_21upper_bound_search_opENS9_16wrapped_functionINS8_6system6detail7generic6detail18binary_search_lessEbEEEE10hipError_tPvRmT1_T2_T3_mmT4_T5_P12ihipStream_tbEUlRKfE_EESV_SZ_S10_mS11_S14_bEUlT_E_NS1_11comp_targetILNS1_3genE2ELNS1_11target_archE906ELNS1_3gpuE6ELNS1_3repE0EEENS1_30default_config_static_selectorELNS0_4arch9wavefront6targetE1EEEvSY_
	.p2align	8
	.type	_ZN7rocprim17ROCPRIM_400000_NS6detail17trampoline_kernelINS0_14default_configENS1_27upper_bound_config_selectorIflEEZNS1_14transform_implILb0ES3_S5_N6thrust23THRUST_200600_302600_NS6detail15normal_iteratorINS8_7pointerIfNS8_11hip_rocprim16par_det_nosync_tENS8_11use_defaultESE_EEEENSA_INSB_IlSD_SE_SE_EEEEZNS1_13binary_searchIS3_S5_NSA_INS8_10device_ptrIfEEEESG_SI_NS1_21upper_bound_search_opENS9_16wrapped_functionINS8_6system6detail7generic6detail18binary_search_lessEbEEEE10hipError_tPvRmT1_T2_T3_mmT4_T5_P12ihipStream_tbEUlRKfE_EESV_SZ_S10_mS11_S14_bEUlT_E_NS1_11comp_targetILNS1_3genE2ELNS1_11target_archE906ELNS1_3gpuE6ELNS1_3repE0EEENS1_30default_config_static_selectorELNS0_4arch9wavefront6targetE1EEEvSY_,@function
_ZN7rocprim17ROCPRIM_400000_NS6detail17trampoline_kernelINS0_14default_configENS1_27upper_bound_config_selectorIflEEZNS1_14transform_implILb0ES3_S5_N6thrust23THRUST_200600_302600_NS6detail15normal_iteratorINS8_7pointerIfNS8_11hip_rocprim16par_det_nosync_tENS8_11use_defaultESE_EEEENSA_INSB_IlSD_SE_SE_EEEEZNS1_13binary_searchIS3_S5_NSA_INS8_10device_ptrIfEEEESG_SI_NS1_21upper_bound_search_opENS9_16wrapped_functionINS8_6system6detail7generic6detail18binary_search_lessEbEEEE10hipError_tPvRmT1_T2_T3_mmT4_T5_P12ihipStream_tbEUlRKfE_EESV_SZ_S10_mS11_S14_bEUlT_E_NS1_11comp_targetILNS1_3genE2ELNS1_11target_archE906ELNS1_3gpuE6ELNS1_3repE0EEENS1_30default_config_static_selectorELNS0_4arch9wavefront6targetE1EEEvSY_: ; @_ZN7rocprim17ROCPRIM_400000_NS6detail17trampoline_kernelINS0_14default_configENS1_27upper_bound_config_selectorIflEEZNS1_14transform_implILb0ES3_S5_N6thrust23THRUST_200600_302600_NS6detail15normal_iteratorINS8_7pointerIfNS8_11hip_rocprim16par_det_nosync_tENS8_11use_defaultESE_EEEENSA_INSB_IlSD_SE_SE_EEEEZNS1_13binary_searchIS3_S5_NSA_INS8_10device_ptrIfEEEESG_SI_NS1_21upper_bound_search_opENS9_16wrapped_functionINS8_6system6detail7generic6detail18binary_search_lessEbEEEE10hipError_tPvRmT1_T2_T3_mmT4_T5_P12ihipStream_tbEUlRKfE_EESV_SZ_S10_mS11_S14_bEUlT_E_NS1_11comp_targetILNS1_3genE2ELNS1_11target_archE906ELNS1_3gpuE6ELNS1_3repE0EEENS1_30default_config_static_selectorELNS0_4arch9wavefront6targetE1EEEvSY_
; %bb.0:
	s_load_dwordx4 s[16:19], s[4:5], 0x0
	s_load_dwordx4 s[8:11], s[4:5], 0x18
	s_load_dwordx2 s[12:13], s[4:5], 0x28
	s_load_dword s15, s[4:5], 0x38
	s_waitcnt lgkmcnt(0)
	s_lshl_b64 s[0:1], s[18:19], 2
	s_add_u32 s2, s16, s0
	s_addc_u32 s3, s17, s1
	s_lshl_b64 s[0:1], s[18:19], 3
	s_add_u32 s7, s8, s0
	s_addc_u32 s14, s9, s1
	s_lshl_b32 s8, s6, 8
	s_add_i32 s15, s15, -1
	s_mov_b32 s9, 0
	s_cmp_lg_u32 s6, s15
	s_mov_b64 s[0:1], -1
	s_cbranch_scc0 .LBB513_7
; %bb.1:
	s_cmp_eq_u64 s[12:13], 0
	s_mov_b64 s[0:1], 0
	s_cbranch_scc1 .LBB513_5
; %bb.2:
	s_lshl_b64 s[16:17], s[8:9], 2
	s_add_u32 s6, s2, s16
	s_addc_u32 s15, s3, s17
	v_lshlrev_b32_e32 v1, 2, v0
	v_mov_b32_e32 v2, s15
	v_add_co_u32_e32 v1, vcc, s6, v1
	v_addc_co_u32_e32 v2, vcc, 0, v2, vcc
	flat_load_dword v5, v[1:2]
	v_mov_b32_e32 v1, 0
	v_mov_b32_e32 v3, s12
	;; [unrolled: 1-line block ×5, first 2 shown]
.LBB513_3:                              ; =>This Inner Loop Header: Depth=1
	v_sub_co_u32_e32 v7, vcc, v3, v1
	v_subb_co_u32_e32 v8, vcc, v4, v2, vcc
	v_lshrrev_b64 v[9:10], 1, v[7:8]
	v_lshrrev_b64 v[7:8], 6, v[7:8]
	v_add_co_u32_e32 v9, vcc, v9, v1
	v_addc_co_u32_e32 v10, vcc, v10, v2, vcc
	v_add_co_u32_e32 v7, vcc, v9, v7
	v_addc_co_u32_e32 v8, vcc, v10, v8, vcc
	v_lshlrev_b64 v[9:10], 2, v[7:8]
	v_add_co_u32_e32 v9, vcc, s10, v9
	v_addc_co_u32_e32 v10, vcc, v6, v10, vcc
	global_load_dword v9, v[9:10], off
	v_add_co_u32_e32 v10, vcc, 1, v7
	v_addc_co_u32_e32 v11, vcc, 0, v8, vcc
	s_waitcnt vmcnt(0) lgkmcnt(0)
	v_cmp_lt_f32_e32 vcc, v5, v9
	v_cndmask_b32_e32 v4, v4, v8, vcc
	v_cndmask_b32_e32 v3, v3, v7, vcc
	;; [unrolled: 1-line block ×4, first 2 shown]
	v_cmp_ge_u64_e32 vcc, v[1:2], v[3:4]
	s_or_b64 s[0:1], vcc, s[0:1]
	s_andn2_b64 exec, exec, s[0:1]
	s_cbranch_execnz .LBB513_3
; %bb.4:
	s_or_b64 exec, exec, s[0:1]
	s_branch .LBB513_6
.LBB513_5:
	v_mov_b32_e32 v1, 0
	v_mov_b32_e32 v2, 0
.LBB513_6:
	s_lshl_b64 s[0:1], s[8:9], 3
	s_add_u32 s0, s7, s0
	s_addc_u32 s1, s14, s1
	v_lshlrev_b32_e32 v3, 3, v0
	v_mov_b32_e32 v4, s1
	v_add_co_u32_e32 v3, vcc, s0, v3
	v_addc_co_u32_e32 v4, vcc, 0, v4, vcc
	s_mov_b64 s[0:1], 0
	flat_store_dwordx2 v[3:4], v[1:2]
.LBB513_7:
	s_and_b64 vcc, exec, s[0:1]
	s_cbranch_vccz .LBB513_16
; %bb.8:
	s_load_dword s0, s[4:5], 0x10
                                        ; implicit-def: $vgpr5
	s_waitcnt lgkmcnt(0)
	s_sub_i32 s4, s0, s8
	v_cmp_le_u32_e64 s[0:1], s4, v0
	v_cmp_gt_u32_e32 vcc, s4, v0
	s_and_saveexec_b64 s[4:5], vcc
	s_cbranch_execz .LBB513_10
; %bb.9:
	s_lshl_b64 s[16:17], s[8:9], 2
	s_add_u32 s2, s2, s16
	s_addc_u32 s3, s3, s17
	v_lshlrev_b32_e32 v1, 2, v0
	v_mov_b32_e32 v2, s3
	v_add_co_u32_e64 v1, s[2:3], s2, v1
	v_addc_co_u32_e64 v2, s[2:3], 0, v2, s[2:3]
	flat_load_dword v5, v[1:2]
.LBB513_10:
	s_or_b64 exec, exec, s[4:5]
	s_cmp_lg_u64 s[12:13], 0
	s_cselect_b64 s[4:5], -1, 0
	s_xor_b64 s[0:1], s[0:1], -1
	v_mov_b32_e32 v1, 0
	s_mov_b64 s[2:3], 0
	v_mov_b32_e32 v2, 0
	s_and_b64 s[0:1], s[0:1], s[4:5]
	s_and_saveexec_b64 s[4:5], s[0:1]
	s_cbranch_execz .LBB513_14
; %bb.11:
	v_mov_b32_e32 v1, 0
	v_mov_b32_e32 v3, s12
	;; [unrolled: 1-line block ×5, first 2 shown]
.LBB513_12:                             ; =>This Inner Loop Header: Depth=1
	v_sub_co_u32_e64 v7, s[0:1], v3, v1
	v_subb_co_u32_e64 v8, s[0:1], v4, v2, s[0:1]
	v_lshrrev_b64 v[9:10], 1, v[7:8]
	v_lshrrev_b64 v[7:8], 6, v[7:8]
	v_add_co_u32_e64 v9, s[0:1], v9, v1
	v_addc_co_u32_e64 v10, s[0:1], v10, v2, s[0:1]
	v_add_co_u32_e64 v7, s[0:1], v9, v7
	v_addc_co_u32_e64 v8, s[0:1], v10, v8, s[0:1]
	v_lshlrev_b64 v[9:10], 2, v[7:8]
	v_add_co_u32_e64 v9, s[0:1], s10, v9
	v_addc_co_u32_e64 v10, s[0:1], v6, v10, s[0:1]
	global_load_dword v9, v[9:10], off
	v_add_co_u32_e64 v10, s[0:1], 1, v7
	v_addc_co_u32_e64 v11, s[0:1], 0, v8, s[0:1]
	s_waitcnt vmcnt(0) lgkmcnt(0)
	v_cmp_lt_f32_e64 s[0:1], v5, v9
	v_cndmask_b32_e64 v4, v4, v8, s[0:1]
	v_cndmask_b32_e64 v3, v3, v7, s[0:1]
	;; [unrolled: 1-line block ×4, first 2 shown]
	v_cmp_ge_u64_e64 s[0:1], v[1:2], v[3:4]
	s_or_b64 s[2:3], s[0:1], s[2:3]
	s_andn2_b64 exec, exec, s[2:3]
	s_cbranch_execnz .LBB513_12
; %bb.13:
	s_or_b64 exec, exec, s[2:3]
.LBB513_14:
	s_or_b64 exec, exec, s[4:5]
	s_and_saveexec_b64 s[0:1], vcc
	s_cbranch_execz .LBB513_16
; %bb.15:
	s_lshl_b64 s[0:1], s[8:9], 3
	s_add_u32 s0, s7, s0
	s_addc_u32 s1, s14, s1
	v_lshlrev_b32_e32 v0, 3, v0
	v_mov_b32_e32 v4, s1
	v_add_co_u32_e32 v3, vcc, s0, v0
	v_addc_co_u32_e32 v4, vcc, 0, v4, vcc
	flat_store_dwordx2 v[3:4], v[1:2]
.LBB513_16:
	s_endpgm
	.section	.rodata,"a",@progbits
	.p2align	6, 0x0
	.amdhsa_kernel _ZN7rocprim17ROCPRIM_400000_NS6detail17trampoline_kernelINS0_14default_configENS1_27upper_bound_config_selectorIflEEZNS1_14transform_implILb0ES3_S5_N6thrust23THRUST_200600_302600_NS6detail15normal_iteratorINS8_7pointerIfNS8_11hip_rocprim16par_det_nosync_tENS8_11use_defaultESE_EEEENSA_INSB_IlSD_SE_SE_EEEEZNS1_13binary_searchIS3_S5_NSA_INS8_10device_ptrIfEEEESG_SI_NS1_21upper_bound_search_opENS9_16wrapped_functionINS8_6system6detail7generic6detail18binary_search_lessEbEEEE10hipError_tPvRmT1_T2_T3_mmT4_T5_P12ihipStream_tbEUlRKfE_EESV_SZ_S10_mS11_S14_bEUlT_E_NS1_11comp_targetILNS1_3genE2ELNS1_11target_archE906ELNS1_3gpuE6ELNS1_3repE0EEENS1_30default_config_static_selectorELNS0_4arch9wavefront6targetE1EEEvSY_
		.amdhsa_group_segment_fixed_size 0
		.amdhsa_private_segment_fixed_size 0
		.amdhsa_kernarg_size 312
		.amdhsa_user_sgpr_count 6
		.amdhsa_user_sgpr_private_segment_buffer 1
		.amdhsa_user_sgpr_dispatch_ptr 0
		.amdhsa_user_sgpr_queue_ptr 0
		.amdhsa_user_sgpr_kernarg_segment_ptr 1
		.amdhsa_user_sgpr_dispatch_id 0
		.amdhsa_user_sgpr_flat_scratch_init 0
		.amdhsa_user_sgpr_private_segment_size 0
		.amdhsa_uses_dynamic_stack 0
		.amdhsa_system_sgpr_private_segment_wavefront_offset 0
		.amdhsa_system_sgpr_workgroup_id_x 1
		.amdhsa_system_sgpr_workgroup_id_y 0
		.amdhsa_system_sgpr_workgroup_id_z 0
		.amdhsa_system_sgpr_workgroup_info 0
		.amdhsa_system_vgpr_workitem_id 0
		.amdhsa_next_free_vgpr 12
		.amdhsa_next_free_sgpr 20
		.amdhsa_reserve_vcc 1
		.amdhsa_reserve_flat_scratch 0
		.amdhsa_float_round_mode_32 0
		.amdhsa_float_round_mode_16_64 0
		.amdhsa_float_denorm_mode_32 3
		.amdhsa_float_denorm_mode_16_64 3
		.amdhsa_dx10_clamp 1
		.amdhsa_ieee_mode 1
		.amdhsa_fp16_overflow 0
		.amdhsa_exception_fp_ieee_invalid_op 0
		.amdhsa_exception_fp_denorm_src 0
		.amdhsa_exception_fp_ieee_div_zero 0
		.amdhsa_exception_fp_ieee_overflow 0
		.amdhsa_exception_fp_ieee_underflow 0
		.amdhsa_exception_fp_ieee_inexact 0
		.amdhsa_exception_int_div_zero 0
	.end_amdhsa_kernel
	.section	.text._ZN7rocprim17ROCPRIM_400000_NS6detail17trampoline_kernelINS0_14default_configENS1_27upper_bound_config_selectorIflEEZNS1_14transform_implILb0ES3_S5_N6thrust23THRUST_200600_302600_NS6detail15normal_iteratorINS8_7pointerIfNS8_11hip_rocprim16par_det_nosync_tENS8_11use_defaultESE_EEEENSA_INSB_IlSD_SE_SE_EEEEZNS1_13binary_searchIS3_S5_NSA_INS8_10device_ptrIfEEEESG_SI_NS1_21upper_bound_search_opENS9_16wrapped_functionINS8_6system6detail7generic6detail18binary_search_lessEbEEEE10hipError_tPvRmT1_T2_T3_mmT4_T5_P12ihipStream_tbEUlRKfE_EESV_SZ_S10_mS11_S14_bEUlT_E_NS1_11comp_targetILNS1_3genE2ELNS1_11target_archE906ELNS1_3gpuE6ELNS1_3repE0EEENS1_30default_config_static_selectorELNS0_4arch9wavefront6targetE1EEEvSY_,"axG",@progbits,_ZN7rocprim17ROCPRIM_400000_NS6detail17trampoline_kernelINS0_14default_configENS1_27upper_bound_config_selectorIflEEZNS1_14transform_implILb0ES3_S5_N6thrust23THRUST_200600_302600_NS6detail15normal_iteratorINS8_7pointerIfNS8_11hip_rocprim16par_det_nosync_tENS8_11use_defaultESE_EEEENSA_INSB_IlSD_SE_SE_EEEEZNS1_13binary_searchIS3_S5_NSA_INS8_10device_ptrIfEEEESG_SI_NS1_21upper_bound_search_opENS9_16wrapped_functionINS8_6system6detail7generic6detail18binary_search_lessEbEEEE10hipError_tPvRmT1_T2_T3_mmT4_T5_P12ihipStream_tbEUlRKfE_EESV_SZ_S10_mS11_S14_bEUlT_E_NS1_11comp_targetILNS1_3genE2ELNS1_11target_archE906ELNS1_3gpuE6ELNS1_3repE0EEENS1_30default_config_static_selectorELNS0_4arch9wavefront6targetE1EEEvSY_,comdat
.Lfunc_end513:
	.size	_ZN7rocprim17ROCPRIM_400000_NS6detail17trampoline_kernelINS0_14default_configENS1_27upper_bound_config_selectorIflEEZNS1_14transform_implILb0ES3_S5_N6thrust23THRUST_200600_302600_NS6detail15normal_iteratorINS8_7pointerIfNS8_11hip_rocprim16par_det_nosync_tENS8_11use_defaultESE_EEEENSA_INSB_IlSD_SE_SE_EEEEZNS1_13binary_searchIS3_S5_NSA_INS8_10device_ptrIfEEEESG_SI_NS1_21upper_bound_search_opENS9_16wrapped_functionINS8_6system6detail7generic6detail18binary_search_lessEbEEEE10hipError_tPvRmT1_T2_T3_mmT4_T5_P12ihipStream_tbEUlRKfE_EESV_SZ_S10_mS11_S14_bEUlT_E_NS1_11comp_targetILNS1_3genE2ELNS1_11target_archE906ELNS1_3gpuE6ELNS1_3repE0EEENS1_30default_config_static_selectorELNS0_4arch9wavefront6targetE1EEEvSY_, .Lfunc_end513-_ZN7rocprim17ROCPRIM_400000_NS6detail17trampoline_kernelINS0_14default_configENS1_27upper_bound_config_selectorIflEEZNS1_14transform_implILb0ES3_S5_N6thrust23THRUST_200600_302600_NS6detail15normal_iteratorINS8_7pointerIfNS8_11hip_rocprim16par_det_nosync_tENS8_11use_defaultESE_EEEENSA_INSB_IlSD_SE_SE_EEEEZNS1_13binary_searchIS3_S5_NSA_INS8_10device_ptrIfEEEESG_SI_NS1_21upper_bound_search_opENS9_16wrapped_functionINS8_6system6detail7generic6detail18binary_search_lessEbEEEE10hipError_tPvRmT1_T2_T3_mmT4_T5_P12ihipStream_tbEUlRKfE_EESV_SZ_S10_mS11_S14_bEUlT_E_NS1_11comp_targetILNS1_3genE2ELNS1_11target_archE906ELNS1_3gpuE6ELNS1_3repE0EEENS1_30default_config_static_selectorELNS0_4arch9wavefront6targetE1EEEvSY_
                                        ; -- End function
	.set _ZN7rocprim17ROCPRIM_400000_NS6detail17trampoline_kernelINS0_14default_configENS1_27upper_bound_config_selectorIflEEZNS1_14transform_implILb0ES3_S5_N6thrust23THRUST_200600_302600_NS6detail15normal_iteratorINS8_7pointerIfNS8_11hip_rocprim16par_det_nosync_tENS8_11use_defaultESE_EEEENSA_INSB_IlSD_SE_SE_EEEEZNS1_13binary_searchIS3_S5_NSA_INS8_10device_ptrIfEEEESG_SI_NS1_21upper_bound_search_opENS9_16wrapped_functionINS8_6system6detail7generic6detail18binary_search_lessEbEEEE10hipError_tPvRmT1_T2_T3_mmT4_T5_P12ihipStream_tbEUlRKfE_EESV_SZ_S10_mS11_S14_bEUlT_E_NS1_11comp_targetILNS1_3genE2ELNS1_11target_archE906ELNS1_3gpuE6ELNS1_3repE0EEENS1_30default_config_static_selectorELNS0_4arch9wavefront6targetE1EEEvSY_.num_vgpr, 12
	.set _ZN7rocprim17ROCPRIM_400000_NS6detail17trampoline_kernelINS0_14default_configENS1_27upper_bound_config_selectorIflEEZNS1_14transform_implILb0ES3_S5_N6thrust23THRUST_200600_302600_NS6detail15normal_iteratorINS8_7pointerIfNS8_11hip_rocprim16par_det_nosync_tENS8_11use_defaultESE_EEEENSA_INSB_IlSD_SE_SE_EEEEZNS1_13binary_searchIS3_S5_NSA_INS8_10device_ptrIfEEEESG_SI_NS1_21upper_bound_search_opENS9_16wrapped_functionINS8_6system6detail7generic6detail18binary_search_lessEbEEEE10hipError_tPvRmT1_T2_T3_mmT4_T5_P12ihipStream_tbEUlRKfE_EESV_SZ_S10_mS11_S14_bEUlT_E_NS1_11comp_targetILNS1_3genE2ELNS1_11target_archE906ELNS1_3gpuE6ELNS1_3repE0EEENS1_30default_config_static_selectorELNS0_4arch9wavefront6targetE1EEEvSY_.num_agpr, 0
	.set _ZN7rocprim17ROCPRIM_400000_NS6detail17trampoline_kernelINS0_14default_configENS1_27upper_bound_config_selectorIflEEZNS1_14transform_implILb0ES3_S5_N6thrust23THRUST_200600_302600_NS6detail15normal_iteratorINS8_7pointerIfNS8_11hip_rocprim16par_det_nosync_tENS8_11use_defaultESE_EEEENSA_INSB_IlSD_SE_SE_EEEEZNS1_13binary_searchIS3_S5_NSA_INS8_10device_ptrIfEEEESG_SI_NS1_21upper_bound_search_opENS9_16wrapped_functionINS8_6system6detail7generic6detail18binary_search_lessEbEEEE10hipError_tPvRmT1_T2_T3_mmT4_T5_P12ihipStream_tbEUlRKfE_EESV_SZ_S10_mS11_S14_bEUlT_E_NS1_11comp_targetILNS1_3genE2ELNS1_11target_archE906ELNS1_3gpuE6ELNS1_3repE0EEENS1_30default_config_static_selectorELNS0_4arch9wavefront6targetE1EEEvSY_.numbered_sgpr, 20
	.set _ZN7rocprim17ROCPRIM_400000_NS6detail17trampoline_kernelINS0_14default_configENS1_27upper_bound_config_selectorIflEEZNS1_14transform_implILb0ES3_S5_N6thrust23THRUST_200600_302600_NS6detail15normal_iteratorINS8_7pointerIfNS8_11hip_rocprim16par_det_nosync_tENS8_11use_defaultESE_EEEENSA_INSB_IlSD_SE_SE_EEEEZNS1_13binary_searchIS3_S5_NSA_INS8_10device_ptrIfEEEESG_SI_NS1_21upper_bound_search_opENS9_16wrapped_functionINS8_6system6detail7generic6detail18binary_search_lessEbEEEE10hipError_tPvRmT1_T2_T3_mmT4_T5_P12ihipStream_tbEUlRKfE_EESV_SZ_S10_mS11_S14_bEUlT_E_NS1_11comp_targetILNS1_3genE2ELNS1_11target_archE906ELNS1_3gpuE6ELNS1_3repE0EEENS1_30default_config_static_selectorELNS0_4arch9wavefront6targetE1EEEvSY_.num_named_barrier, 0
	.set _ZN7rocprim17ROCPRIM_400000_NS6detail17trampoline_kernelINS0_14default_configENS1_27upper_bound_config_selectorIflEEZNS1_14transform_implILb0ES3_S5_N6thrust23THRUST_200600_302600_NS6detail15normal_iteratorINS8_7pointerIfNS8_11hip_rocprim16par_det_nosync_tENS8_11use_defaultESE_EEEENSA_INSB_IlSD_SE_SE_EEEEZNS1_13binary_searchIS3_S5_NSA_INS8_10device_ptrIfEEEESG_SI_NS1_21upper_bound_search_opENS9_16wrapped_functionINS8_6system6detail7generic6detail18binary_search_lessEbEEEE10hipError_tPvRmT1_T2_T3_mmT4_T5_P12ihipStream_tbEUlRKfE_EESV_SZ_S10_mS11_S14_bEUlT_E_NS1_11comp_targetILNS1_3genE2ELNS1_11target_archE906ELNS1_3gpuE6ELNS1_3repE0EEENS1_30default_config_static_selectorELNS0_4arch9wavefront6targetE1EEEvSY_.private_seg_size, 0
	.set _ZN7rocprim17ROCPRIM_400000_NS6detail17trampoline_kernelINS0_14default_configENS1_27upper_bound_config_selectorIflEEZNS1_14transform_implILb0ES3_S5_N6thrust23THRUST_200600_302600_NS6detail15normal_iteratorINS8_7pointerIfNS8_11hip_rocprim16par_det_nosync_tENS8_11use_defaultESE_EEEENSA_INSB_IlSD_SE_SE_EEEEZNS1_13binary_searchIS3_S5_NSA_INS8_10device_ptrIfEEEESG_SI_NS1_21upper_bound_search_opENS9_16wrapped_functionINS8_6system6detail7generic6detail18binary_search_lessEbEEEE10hipError_tPvRmT1_T2_T3_mmT4_T5_P12ihipStream_tbEUlRKfE_EESV_SZ_S10_mS11_S14_bEUlT_E_NS1_11comp_targetILNS1_3genE2ELNS1_11target_archE906ELNS1_3gpuE6ELNS1_3repE0EEENS1_30default_config_static_selectorELNS0_4arch9wavefront6targetE1EEEvSY_.uses_vcc, 1
	.set _ZN7rocprim17ROCPRIM_400000_NS6detail17trampoline_kernelINS0_14default_configENS1_27upper_bound_config_selectorIflEEZNS1_14transform_implILb0ES3_S5_N6thrust23THRUST_200600_302600_NS6detail15normal_iteratorINS8_7pointerIfNS8_11hip_rocprim16par_det_nosync_tENS8_11use_defaultESE_EEEENSA_INSB_IlSD_SE_SE_EEEEZNS1_13binary_searchIS3_S5_NSA_INS8_10device_ptrIfEEEESG_SI_NS1_21upper_bound_search_opENS9_16wrapped_functionINS8_6system6detail7generic6detail18binary_search_lessEbEEEE10hipError_tPvRmT1_T2_T3_mmT4_T5_P12ihipStream_tbEUlRKfE_EESV_SZ_S10_mS11_S14_bEUlT_E_NS1_11comp_targetILNS1_3genE2ELNS1_11target_archE906ELNS1_3gpuE6ELNS1_3repE0EEENS1_30default_config_static_selectorELNS0_4arch9wavefront6targetE1EEEvSY_.uses_flat_scratch, 0
	.set _ZN7rocprim17ROCPRIM_400000_NS6detail17trampoline_kernelINS0_14default_configENS1_27upper_bound_config_selectorIflEEZNS1_14transform_implILb0ES3_S5_N6thrust23THRUST_200600_302600_NS6detail15normal_iteratorINS8_7pointerIfNS8_11hip_rocprim16par_det_nosync_tENS8_11use_defaultESE_EEEENSA_INSB_IlSD_SE_SE_EEEEZNS1_13binary_searchIS3_S5_NSA_INS8_10device_ptrIfEEEESG_SI_NS1_21upper_bound_search_opENS9_16wrapped_functionINS8_6system6detail7generic6detail18binary_search_lessEbEEEE10hipError_tPvRmT1_T2_T3_mmT4_T5_P12ihipStream_tbEUlRKfE_EESV_SZ_S10_mS11_S14_bEUlT_E_NS1_11comp_targetILNS1_3genE2ELNS1_11target_archE906ELNS1_3gpuE6ELNS1_3repE0EEENS1_30default_config_static_selectorELNS0_4arch9wavefront6targetE1EEEvSY_.has_dyn_sized_stack, 0
	.set _ZN7rocprim17ROCPRIM_400000_NS6detail17trampoline_kernelINS0_14default_configENS1_27upper_bound_config_selectorIflEEZNS1_14transform_implILb0ES3_S5_N6thrust23THRUST_200600_302600_NS6detail15normal_iteratorINS8_7pointerIfNS8_11hip_rocprim16par_det_nosync_tENS8_11use_defaultESE_EEEENSA_INSB_IlSD_SE_SE_EEEEZNS1_13binary_searchIS3_S5_NSA_INS8_10device_ptrIfEEEESG_SI_NS1_21upper_bound_search_opENS9_16wrapped_functionINS8_6system6detail7generic6detail18binary_search_lessEbEEEE10hipError_tPvRmT1_T2_T3_mmT4_T5_P12ihipStream_tbEUlRKfE_EESV_SZ_S10_mS11_S14_bEUlT_E_NS1_11comp_targetILNS1_3genE2ELNS1_11target_archE906ELNS1_3gpuE6ELNS1_3repE0EEENS1_30default_config_static_selectorELNS0_4arch9wavefront6targetE1EEEvSY_.has_recursion, 0
	.set _ZN7rocprim17ROCPRIM_400000_NS6detail17trampoline_kernelINS0_14default_configENS1_27upper_bound_config_selectorIflEEZNS1_14transform_implILb0ES3_S5_N6thrust23THRUST_200600_302600_NS6detail15normal_iteratorINS8_7pointerIfNS8_11hip_rocprim16par_det_nosync_tENS8_11use_defaultESE_EEEENSA_INSB_IlSD_SE_SE_EEEEZNS1_13binary_searchIS3_S5_NSA_INS8_10device_ptrIfEEEESG_SI_NS1_21upper_bound_search_opENS9_16wrapped_functionINS8_6system6detail7generic6detail18binary_search_lessEbEEEE10hipError_tPvRmT1_T2_T3_mmT4_T5_P12ihipStream_tbEUlRKfE_EESV_SZ_S10_mS11_S14_bEUlT_E_NS1_11comp_targetILNS1_3genE2ELNS1_11target_archE906ELNS1_3gpuE6ELNS1_3repE0EEENS1_30default_config_static_selectorELNS0_4arch9wavefront6targetE1EEEvSY_.has_indirect_call, 0
	.section	.AMDGPU.csdata,"",@progbits
; Kernel info:
; codeLenInByte = 700
; TotalNumSgprs: 24
; NumVgprs: 12
; ScratchSize: 0
; MemoryBound: 0
; FloatMode: 240
; IeeeMode: 1
; LDSByteSize: 0 bytes/workgroup (compile time only)
; SGPRBlocks: 2
; VGPRBlocks: 2
; NumSGPRsForWavesPerEU: 24
; NumVGPRsForWavesPerEU: 12
; Occupancy: 10
; WaveLimiterHint : 0
; COMPUTE_PGM_RSRC2:SCRATCH_EN: 0
; COMPUTE_PGM_RSRC2:USER_SGPR: 6
; COMPUTE_PGM_RSRC2:TRAP_HANDLER: 0
; COMPUTE_PGM_RSRC2:TGID_X_EN: 1
; COMPUTE_PGM_RSRC2:TGID_Y_EN: 0
; COMPUTE_PGM_RSRC2:TGID_Z_EN: 0
; COMPUTE_PGM_RSRC2:TIDIG_COMP_CNT: 0
	.section	.text._ZN7rocprim17ROCPRIM_400000_NS6detail17trampoline_kernelINS0_14default_configENS1_27upper_bound_config_selectorIflEEZNS1_14transform_implILb0ES3_S5_N6thrust23THRUST_200600_302600_NS6detail15normal_iteratorINS8_7pointerIfNS8_11hip_rocprim16par_det_nosync_tENS8_11use_defaultESE_EEEENSA_INSB_IlSD_SE_SE_EEEEZNS1_13binary_searchIS3_S5_NSA_INS8_10device_ptrIfEEEESG_SI_NS1_21upper_bound_search_opENS9_16wrapped_functionINS8_6system6detail7generic6detail18binary_search_lessEbEEEE10hipError_tPvRmT1_T2_T3_mmT4_T5_P12ihipStream_tbEUlRKfE_EESV_SZ_S10_mS11_S14_bEUlT_E_NS1_11comp_targetILNS1_3genE10ELNS1_11target_archE1201ELNS1_3gpuE5ELNS1_3repE0EEENS1_30default_config_static_selectorELNS0_4arch9wavefront6targetE1EEEvSY_,"axG",@progbits,_ZN7rocprim17ROCPRIM_400000_NS6detail17trampoline_kernelINS0_14default_configENS1_27upper_bound_config_selectorIflEEZNS1_14transform_implILb0ES3_S5_N6thrust23THRUST_200600_302600_NS6detail15normal_iteratorINS8_7pointerIfNS8_11hip_rocprim16par_det_nosync_tENS8_11use_defaultESE_EEEENSA_INSB_IlSD_SE_SE_EEEEZNS1_13binary_searchIS3_S5_NSA_INS8_10device_ptrIfEEEESG_SI_NS1_21upper_bound_search_opENS9_16wrapped_functionINS8_6system6detail7generic6detail18binary_search_lessEbEEEE10hipError_tPvRmT1_T2_T3_mmT4_T5_P12ihipStream_tbEUlRKfE_EESV_SZ_S10_mS11_S14_bEUlT_E_NS1_11comp_targetILNS1_3genE10ELNS1_11target_archE1201ELNS1_3gpuE5ELNS1_3repE0EEENS1_30default_config_static_selectorELNS0_4arch9wavefront6targetE1EEEvSY_,comdat
	.protected	_ZN7rocprim17ROCPRIM_400000_NS6detail17trampoline_kernelINS0_14default_configENS1_27upper_bound_config_selectorIflEEZNS1_14transform_implILb0ES3_S5_N6thrust23THRUST_200600_302600_NS6detail15normal_iteratorINS8_7pointerIfNS8_11hip_rocprim16par_det_nosync_tENS8_11use_defaultESE_EEEENSA_INSB_IlSD_SE_SE_EEEEZNS1_13binary_searchIS3_S5_NSA_INS8_10device_ptrIfEEEESG_SI_NS1_21upper_bound_search_opENS9_16wrapped_functionINS8_6system6detail7generic6detail18binary_search_lessEbEEEE10hipError_tPvRmT1_T2_T3_mmT4_T5_P12ihipStream_tbEUlRKfE_EESV_SZ_S10_mS11_S14_bEUlT_E_NS1_11comp_targetILNS1_3genE10ELNS1_11target_archE1201ELNS1_3gpuE5ELNS1_3repE0EEENS1_30default_config_static_selectorELNS0_4arch9wavefront6targetE1EEEvSY_ ; -- Begin function _ZN7rocprim17ROCPRIM_400000_NS6detail17trampoline_kernelINS0_14default_configENS1_27upper_bound_config_selectorIflEEZNS1_14transform_implILb0ES3_S5_N6thrust23THRUST_200600_302600_NS6detail15normal_iteratorINS8_7pointerIfNS8_11hip_rocprim16par_det_nosync_tENS8_11use_defaultESE_EEEENSA_INSB_IlSD_SE_SE_EEEEZNS1_13binary_searchIS3_S5_NSA_INS8_10device_ptrIfEEEESG_SI_NS1_21upper_bound_search_opENS9_16wrapped_functionINS8_6system6detail7generic6detail18binary_search_lessEbEEEE10hipError_tPvRmT1_T2_T3_mmT4_T5_P12ihipStream_tbEUlRKfE_EESV_SZ_S10_mS11_S14_bEUlT_E_NS1_11comp_targetILNS1_3genE10ELNS1_11target_archE1201ELNS1_3gpuE5ELNS1_3repE0EEENS1_30default_config_static_selectorELNS0_4arch9wavefront6targetE1EEEvSY_
	.globl	_ZN7rocprim17ROCPRIM_400000_NS6detail17trampoline_kernelINS0_14default_configENS1_27upper_bound_config_selectorIflEEZNS1_14transform_implILb0ES3_S5_N6thrust23THRUST_200600_302600_NS6detail15normal_iteratorINS8_7pointerIfNS8_11hip_rocprim16par_det_nosync_tENS8_11use_defaultESE_EEEENSA_INSB_IlSD_SE_SE_EEEEZNS1_13binary_searchIS3_S5_NSA_INS8_10device_ptrIfEEEESG_SI_NS1_21upper_bound_search_opENS9_16wrapped_functionINS8_6system6detail7generic6detail18binary_search_lessEbEEEE10hipError_tPvRmT1_T2_T3_mmT4_T5_P12ihipStream_tbEUlRKfE_EESV_SZ_S10_mS11_S14_bEUlT_E_NS1_11comp_targetILNS1_3genE10ELNS1_11target_archE1201ELNS1_3gpuE5ELNS1_3repE0EEENS1_30default_config_static_selectorELNS0_4arch9wavefront6targetE1EEEvSY_
	.p2align	8
	.type	_ZN7rocprim17ROCPRIM_400000_NS6detail17trampoline_kernelINS0_14default_configENS1_27upper_bound_config_selectorIflEEZNS1_14transform_implILb0ES3_S5_N6thrust23THRUST_200600_302600_NS6detail15normal_iteratorINS8_7pointerIfNS8_11hip_rocprim16par_det_nosync_tENS8_11use_defaultESE_EEEENSA_INSB_IlSD_SE_SE_EEEEZNS1_13binary_searchIS3_S5_NSA_INS8_10device_ptrIfEEEESG_SI_NS1_21upper_bound_search_opENS9_16wrapped_functionINS8_6system6detail7generic6detail18binary_search_lessEbEEEE10hipError_tPvRmT1_T2_T3_mmT4_T5_P12ihipStream_tbEUlRKfE_EESV_SZ_S10_mS11_S14_bEUlT_E_NS1_11comp_targetILNS1_3genE10ELNS1_11target_archE1201ELNS1_3gpuE5ELNS1_3repE0EEENS1_30default_config_static_selectorELNS0_4arch9wavefront6targetE1EEEvSY_,@function
_ZN7rocprim17ROCPRIM_400000_NS6detail17trampoline_kernelINS0_14default_configENS1_27upper_bound_config_selectorIflEEZNS1_14transform_implILb0ES3_S5_N6thrust23THRUST_200600_302600_NS6detail15normal_iteratorINS8_7pointerIfNS8_11hip_rocprim16par_det_nosync_tENS8_11use_defaultESE_EEEENSA_INSB_IlSD_SE_SE_EEEEZNS1_13binary_searchIS3_S5_NSA_INS8_10device_ptrIfEEEESG_SI_NS1_21upper_bound_search_opENS9_16wrapped_functionINS8_6system6detail7generic6detail18binary_search_lessEbEEEE10hipError_tPvRmT1_T2_T3_mmT4_T5_P12ihipStream_tbEUlRKfE_EESV_SZ_S10_mS11_S14_bEUlT_E_NS1_11comp_targetILNS1_3genE10ELNS1_11target_archE1201ELNS1_3gpuE5ELNS1_3repE0EEENS1_30default_config_static_selectorELNS0_4arch9wavefront6targetE1EEEvSY_: ; @_ZN7rocprim17ROCPRIM_400000_NS6detail17trampoline_kernelINS0_14default_configENS1_27upper_bound_config_selectorIflEEZNS1_14transform_implILb0ES3_S5_N6thrust23THRUST_200600_302600_NS6detail15normal_iteratorINS8_7pointerIfNS8_11hip_rocprim16par_det_nosync_tENS8_11use_defaultESE_EEEENSA_INSB_IlSD_SE_SE_EEEEZNS1_13binary_searchIS3_S5_NSA_INS8_10device_ptrIfEEEESG_SI_NS1_21upper_bound_search_opENS9_16wrapped_functionINS8_6system6detail7generic6detail18binary_search_lessEbEEEE10hipError_tPvRmT1_T2_T3_mmT4_T5_P12ihipStream_tbEUlRKfE_EESV_SZ_S10_mS11_S14_bEUlT_E_NS1_11comp_targetILNS1_3genE10ELNS1_11target_archE1201ELNS1_3gpuE5ELNS1_3repE0EEENS1_30default_config_static_selectorELNS0_4arch9wavefront6targetE1EEEvSY_
; %bb.0:
	.section	.rodata,"a",@progbits
	.p2align	6, 0x0
	.amdhsa_kernel _ZN7rocprim17ROCPRIM_400000_NS6detail17trampoline_kernelINS0_14default_configENS1_27upper_bound_config_selectorIflEEZNS1_14transform_implILb0ES3_S5_N6thrust23THRUST_200600_302600_NS6detail15normal_iteratorINS8_7pointerIfNS8_11hip_rocprim16par_det_nosync_tENS8_11use_defaultESE_EEEENSA_INSB_IlSD_SE_SE_EEEEZNS1_13binary_searchIS3_S5_NSA_INS8_10device_ptrIfEEEESG_SI_NS1_21upper_bound_search_opENS9_16wrapped_functionINS8_6system6detail7generic6detail18binary_search_lessEbEEEE10hipError_tPvRmT1_T2_T3_mmT4_T5_P12ihipStream_tbEUlRKfE_EESV_SZ_S10_mS11_S14_bEUlT_E_NS1_11comp_targetILNS1_3genE10ELNS1_11target_archE1201ELNS1_3gpuE5ELNS1_3repE0EEENS1_30default_config_static_selectorELNS0_4arch9wavefront6targetE1EEEvSY_
		.amdhsa_group_segment_fixed_size 0
		.amdhsa_private_segment_fixed_size 0
		.amdhsa_kernarg_size 56
		.amdhsa_user_sgpr_count 6
		.amdhsa_user_sgpr_private_segment_buffer 1
		.amdhsa_user_sgpr_dispatch_ptr 0
		.amdhsa_user_sgpr_queue_ptr 0
		.amdhsa_user_sgpr_kernarg_segment_ptr 1
		.amdhsa_user_sgpr_dispatch_id 0
		.amdhsa_user_sgpr_flat_scratch_init 0
		.amdhsa_user_sgpr_private_segment_size 0
		.amdhsa_uses_dynamic_stack 0
		.amdhsa_system_sgpr_private_segment_wavefront_offset 0
		.amdhsa_system_sgpr_workgroup_id_x 1
		.amdhsa_system_sgpr_workgroup_id_y 0
		.amdhsa_system_sgpr_workgroup_id_z 0
		.amdhsa_system_sgpr_workgroup_info 0
		.amdhsa_system_vgpr_workitem_id 0
		.amdhsa_next_free_vgpr 1
		.amdhsa_next_free_sgpr 0
		.amdhsa_reserve_vcc 0
		.amdhsa_reserve_flat_scratch 0
		.amdhsa_float_round_mode_32 0
		.amdhsa_float_round_mode_16_64 0
		.amdhsa_float_denorm_mode_32 3
		.amdhsa_float_denorm_mode_16_64 3
		.amdhsa_dx10_clamp 1
		.amdhsa_ieee_mode 1
		.amdhsa_fp16_overflow 0
		.amdhsa_exception_fp_ieee_invalid_op 0
		.amdhsa_exception_fp_denorm_src 0
		.amdhsa_exception_fp_ieee_div_zero 0
		.amdhsa_exception_fp_ieee_overflow 0
		.amdhsa_exception_fp_ieee_underflow 0
		.amdhsa_exception_fp_ieee_inexact 0
		.amdhsa_exception_int_div_zero 0
	.end_amdhsa_kernel
	.section	.text._ZN7rocprim17ROCPRIM_400000_NS6detail17trampoline_kernelINS0_14default_configENS1_27upper_bound_config_selectorIflEEZNS1_14transform_implILb0ES3_S5_N6thrust23THRUST_200600_302600_NS6detail15normal_iteratorINS8_7pointerIfNS8_11hip_rocprim16par_det_nosync_tENS8_11use_defaultESE_EEEENSA_INSB_IlSD_SE_SE_EEEEZNS1_13binary_searchIS3_S5_NSA_INS8_10device_ptrIfEEEESG_SI_NS1_21upper_bound_search_opENS9_16wrapped_functionINS8_6system6detail7generic6detail18binary_search_lessEbEEEE10hipError_tPvRmT1_T2_T3_mmT4_T5_P12ihipStream_tbEUlRKfE_EESV_SZ_S10_mS11_S14_bEUlT_E_NS1_11comp_targetILNS1_3genE10ELNS1_11target_archE1201ELNS1_3gpuE5ELNS1_3repE0EEENS1_30default_config_static_selectorELNS0_4arch9wavefront6targetE1EEEvSY_,"axG",@progbits,_ZN7rocprim17ROCPRIM_400000_NS6detail17trampoline_kernelINS0_14default_configENS1_27upper_bound_config_selectorIflEEZNS1_14transform_implILb0ES3_S5_N6thrust23THRUST_200600_302600_NS6detail15normal_iteratorINS8_7pointerIfNS8_11hip_rocprim16par_det_nosync_tENS8_11use_defaultESE_EEEENSA_INSB_IlSD_SE_SE_EEEEZNS1_13binary_searchIS3_S5_NSA_INS8_10device_ptrIfEEEESG_SI_NS1_21upper_bound_search_opENS9_16wrapped_functionINS8_6system6detail7generic6detail18binary_search_lessEbEEEE10hipError_tPvRmT1_T2_T3_mmT4_T5_P12ihipStream_tbEUlRKfE_EESV_SZ_S10_mS11_S14_bEUlT_E_NS1_11comp_targetILNS1_3genE10ELNS1_11target_archE1201ELNS1_3gpuE5ELNS1_3repE0EEENS1_30default_config_static_selectorELNS0_4arch9wavefront6targetE1EEEvSY_,comdat
.Lfunc_end514:
	.size	_ZN7rocprim17ROCPRIM_400000_NS6detail17trampoline_kernelINS0_14default_configENS1_27upper_bound_config_selectorIflEEZNS1_14transform_implILb0ES3_S5_N6thrust23THRUST_200600_302600_NS6detail15normal_iteratorINS8_7pointerIfNS8_11hip_rocprim16par_det_nosync_tENS8_11use_defaultESE_EEEENSA_INSB_IlSD_SE_SE_EEEEZNS1_13binary_searchIS3_S5_NSA_INS8_10device_ptrIfEEEESG_SI_NS1_21upper_bound_search_opENS9_16wrapped_functionINS8_6system6detail7generic6detail18binary_search_lessEbEEEE10hipError_tPvRmT1_T2_T3_mmT4_T5_P12ihipStream_tbEUlRKfE_EESV_SZ_S10_mS11_S14_bEUlT_E_NS1_11comp_targetILNS1_3genE10ELNS1_11target_archE1201ELNS1_3gpuE5ELNS1_3repE0EEENS1_30default_config_static_selectorELNS0_4arch9wavefront6targetE1EEEvSY_, .Lfunc_end514-_ZN7rocprim17ROCPRIM_400000_NS6detail17trampoline_kernelINS0_14default_configENS1_27upper_bound_config_selectorIflEEZNS1_14transform_implILb0ES3_S5_N6thrust23THRUST_200600_302600_NS6detail15normal_iteratorINS8_7pointerIfNS8_11hip_rocprim16par_det_nosync_tENS8_11use_defaultESE_EEEENSA_INSB_IlSD_SE_SE_EEEEZNS1_13binary_searchIS3_S5_NSA_INS8_10device_ptrIfEEEESG_SI_NS1_21upper_bound_search_opENS9_16wrapped_functionINS8_6system6detail7generic6detail18binary_search_lessEbEEEE10hipError_tPvRmT1_T2_T3_mmT4_T5_P12ihipStream_tbEUlRKfE_EESV_SZ_S10_mS11_S14_bEUlT_E_NS1_11comp_targetILNS1_3genE10ELNS1_11target_archE1201ELNS1_3gpuE5ELNS1_3repE0EEENS1_30default_config_static_selectorELNS0_4arch9wavefront6targetE1EEEvSY_
                                        ; -- End function
	.set _ZN7rocprim17ROCPRIM_400000_NS6detail17trampoline_kernelINS0_14default_configENS1_27upper_bound_config_selectorIflEEZNS1_14transform_implILb0ES3_S5_N6thrust23THRUST_200600_302600_NS6detail15normal_iteratorINS8_7pointerIfNS8_11hip_rocprim16par_det_nosync_tENS8_11use_defaultESE_EEEENSA_INSB_IlSD_SE_SE_EEEEZNS1_13binary_searchIS3_S5_NSA_INS8_10device_ptrIfEEEESG_SI_NS1_21upper_bound_search_opENS9_16wrapped_functionINS8_6system6detail7generic6detail18binary_search_lessEbEEEE10hipError_tPvRmT1_T2_T3_mmT4_T5_P12ihipStream_tbEUlRKfE_EESV_SZ_S10_mS11_S14_bEUlT_E_NS1_11comp_targetILNS1_3genE10ELNS1_11target_archE1201ELNS1_3gpuE5ELNS1_3repE0EEENS1_30default_config_static_selectorELNS0_4arch9wavefront6targetE1EEEvSY_.num_vgpr, 0
	.set _ZN7rocprim17ROCPRIM_400000_NS6detail17trampoline_kernelINS0_14default_configENS1_27upper_bound_config_selectorIflEEZNS1_14transform_implILb0ES3_S5_N6thrust23THRUST_200600_302600_NS6detail15normal_iteratorINS8_7pointerIfNS8_11hip_rocprim16par_det_nosync_tENS8_11use_defaultESE_EEEENSA_INSB_IlSD_SE_SE_EEEEZNS1_13binary_searchIS3_S5_NSA_INS8_10device_ptrIfEEEESG_SI_NS1_21upper_bound_search_opENS9_16wrapped_functionINS8_6system6detail7generic6detail18binary_search_lessEbEEEE10hipError_tPvRmT1_T2_T3_mmT4_T5_P12ihipStream_tbEUlRKfE_EESV_SZ_S10_mS11_S14_bEUlT_E_NS1_11comp_targetILNS1_3genE10ELNS1_11target_archE1201ELNS1_3gpuE5ELNS1_3repE0EEENS1_30default_config_static_selectorELNS0_4arch9wavefront6targetE1EEEvSY_.num_agpr, 0
	.set _ZN7rocprim17ROCPRIM_400000_NS6detail17trampoline_kernelINS0_14default_configENS1_27upper_bound_config_selectorIflEEZNS1_14transform_implILb0ES3_S5_N6thrust23THRUST_200600_302600_NS6detail15normal_iteratorINS8_7pointerIfNS8_11hip_rocprim16par_det_nosync_tENS8_11use_defaultESE_EEEENSA_INSB_IlSD_SE_SE_EEEEZNS1_13binary_searchIS3_S5_NSA_INS8_10device_ptrIfEEEESG_SI_NS1_21upper_bound_search_opENS9_16wrapped_functionINS8_6system6detail7generic6detail18binary_search_lessEbEEEE10hipError_tPvRmT1_T2_T3_mmT4_T5_P12ihipStream_tbEUlRKfE_EESV_SZ_S10_mS11_S14_bEUlT_E_NS1_11comp_targetILNS1_3genE10ELNS1_11target_archE1201ELNS1_3gpuE5ELNS1_3repE0EEENS1_30default_config_static_selectorELNS0_4arch9wavefront6targetE1EEEvSY_.numbered_sgpr, 0
	.set _ZN7rocprim17ROCPRIM_400000_NS6detail17trampoline_kernelINS0_14default_configENS1_27upper_bound_config_selectorIflEEZNS1_14transform_implILb0ES3_S5_N6thrust23THRUST_200600_302600_NS6detail15normal_iteratorINS8_7pointerIfNS8_11hip_rocprim16par_det_nosync_tENS8_11use_defaultESE_EEEENSA_INSB_IlSD_SE_SE_EEEEZNS1_13binary_searchIS3_S5_NSA_INS8_10device_ptrIfEEEESG_SI_NS1_21upper_bound_search_opENS9_16wrapped_functionINS8_6system6detail7generic6detail18binary_search_lessEbEEEE10hipError_tPvRmT1_T2_T3_mmT4_T5_P12ihipStream_tbEUlRKfE_EESV_SZ_S10_mS11_S14_bEUlT_E_NS1_11comp_targetILNS1_3genE10ELNS1_11target_archE1201ELNS1_3gpuE5ELNS1_3repE0EEENS1_30default_config_static_selectorELNS0_4arch9wavefront6targetE1EEEvSY_.num_named_barrier, 0
	.set _ZN7rocprim17ROCPRIM_400000_NS6detail17trampoline_kernelINS0_14default_configENS1_27upper_bound_config_selectorIflEEZNS1_14transform_implILb0ES3_S5_N6thrust23THRUST_200600_302600_NS6detail15normal_iteratorINS8_7pointerIfNS8_11hip_rocprim16par_det_nosync_tENS8_11use_defaultESE_EEEENSA_INSB_IlSD_SE_SE_EEEEZNS1_13binary_searchIS3_S5_NSA_INS8_10device_ptrIfEEEESG_SI_NS1_21upper_bound_search_opENS9_16wrapped_functionINS8_6system6detail7generic6detail18binary_search_lessEbEEEE10hipError_tPvRmT1_T2_T3_mmT4_T5_P12ihipStream_tbEUlRKfE_EESV_SZ_S10_mS11_S14_bEUlT_E_NS1_11comp_targetILNS1_3genE10ELNS1_11target_archE1201ELNS1_3gpuE5ELNS1_3repE0EEENS1_30default_config_static_selectorELNS0_4arch9wavefront6targetE1EEEvSY_.private_seg_size, 0
	.set _ZN7rocprim17ROCPRIM_400000_NS6detail17trampoline_kernelINS0_14default_configENS1_27upper_bound_config_selectorIflEEZNS1_14transform_implILb0ES3_S5_N6thrust23THRUST_200600_302600_NS6detail15normal_iteratorINS8_7pointerIfNS8_11hip_rocprim16par_det_nosync_tENS8_11use_defaultESE_EEEENSA_INSB_IlSD_SE_SE_EEEEZNS1_13binary_searchIS3_S5_NSA_INS8_10device_ptrIfEEEESG_SI_NS1_21upper_bound_search_opENS9_16wrapped_functionINS8_6system6detail7generic6detail18binary_search_lessEbEEEE10hipError_tPvRmT1_T2_T3_mmT4_T5_P12ihipStream_tbEUlRKfE_EESV_SZ_S10_mS11_S14_bEUlT_E_NS1_11comp_targetILNS1_3genE10ELNS1_11target_archE1201ELNS1_3gpuE5ELNS1_3repE0EEENS1_30default_config_static_selectorELNS0_4arch9wavefront6targetE1EEEvSY_.uses_vcc, 0
	.set _ZN7rocprim17ROCPRIM_400000_NS6detail17trampoline_kernelINS0_14default_configENS1_27upper_bound_config_selectorIflEEZNS1_14transform_implILb0ES3_S5_N6thrust23THRUST_200600_302600_NS6detail15normal_iteratorINS8_7pointerIfNS8_11hip_rocprim16par_det_nosync_tENS8_11use_defaultESE_EEEENSA_INSB_IlSD_SE_SE_EEEEZNS1_13binary_searchIS3_S5_NSA_INS8_10device_ptrIfEEEESG_SI_NS1_21upper_bound_search_opENS9_16wrapped_functionINS8_6system6detail7generic6detail18binary_search_lessEbEEEE10hipError_tPvRmT1_T2_T3_mmT4_T5_P12ihipStream_tbEUlRKfE_EESV_SZ_S10_mS11_S14_bEUlT_E_NS1_11comp_targetILNS1_3genE10ELNS1_11target_archE1201ELNS1_3gpuE5ELNS1_3repE0EEENS1_30default_config_static_selectorELNS0_4arch9wavefront6targetE1EEEvSY_.uses_flat_scratch, 0
	.set _ZN7rocprim17ROCPRIM_400000_NS6detail17trampoline_kernelINS0_14default_configENS1_27upper_bound_config_selectorIflEEZNS1_14transform_implILb0ES3_S5_N6thrust23THRUST_200600_302600_NS6detail15normal_iteratorINS8_7pointerIfNS8_11hip_rocprim16par_det_nosync_tENS8_11use_defaultESE_EEEENSA_INSB_IlSD_SE_SE_EEEEZNS1_13binary_searchIS3_S5_NSA_INS8_10device_ptrIfEEEESG_SI_NS1_21upper_bound_search_opENS9_16wrapped_functionINS8_6system6detail7generic6detail18binary_search_lessEbEEEE10hipError_tPvRmT1_T2_T3_mmT4_T5_P12ihipStream_tbEUlRKfE_EESV_SZ_S10_mS11_S14_bEUlT_E_NS1_11comp_targetILNS1_3genE10ELNS1_11target_archE1201ELNS1_3gpuE5ELNS1_3repE0EEENS1_30default_config_static_selectorELNS0_4arch9wavefront6targetE1EEEvSY_.has_dyn_sized_stack, 0
	.set _ZN7rocprim17ROCPRIM_400000_NS6detail17trampoline_kernelINS0_14default_configENS1_27upper_bound_config_selectorIflEEZNS1_14transform_implILb0ES3_S5_N6thrust23THRUST_200600_302600_NS6detail15normal_iteratorINS8_7pointerIfNS8_11hip_rocprim16par_det_nosync_tENS8_11use_defaultESE_EEEENSA_INSB_IlSD_SE_SE_EEEEZNS1_13binary_searchIS3_S5_NSA_INS8_10device_ptrIfEEEESG_SI_NS1_21upper_bound_search_opENS9_16wrapped_functionINS8_6system6detail7generic6detail18binary_search_lessEbEEEE10hipError_tPvRmT1_T2_T3_mmT4_T5_P12ihipStream_tbEUlRKfE_EESV_SZ_S10_mS11_S14_bEUlT_E_NS1_11comp_targetILNS1_3genE10ELNS1_11target_archE1201ELNS1_3gpuE5ELNS1_3repE0EEENS1_30default_config_static_selectorELNS0_4arch9wavefront6targetE1EEEvSY_.has_recursion, 0
	.set _ZN7rocprim17ROCPRIM_400000_NS6detail17trampoline_kernelINS0_14default_configENS1_27upper_bound_config_selectorIflEEZNS1_14transform_implILb0ES3_S5_N6thrust23THRUST_200600_302600_NS6detail15normal_iteratorINS8_7pointerIfNS8_11hip_rocprim16par_det_nosync_tENS8_11use_defaultESE_EEEENSA_INSB_IlSD_SE_SE_EEEEZNS1_13binary_searchIS3_S5_NSA_INS8_10device_ptrIfEEEESG_SI_NS1_21upper_bound_search_opENS9_16wrapped_functionINS8_6system6detail7generic6detail18binary_search_lessEbEEEE10hipError_tPvRmT1_T2_T3_mmT4_T5_P12ihipStream_tbEUlRKfE_EESV_SZ_S10_mS11_S14_bEUlT_E_NS1_11comp_targetILNS1_3genE10ELNS1_11target_archE1201ELNS1_3gpuE5ELNS1_3repE0EEENS1_30default_config_static_selectorELNS0_4arch9wavefront6targetE1EEEvSY_.has_indirect_call, 0
	.section	.AMDGPU.csdata,"",@progbits
; Kernel info:
; codeLenInByte = 0
; TotalNumSgprs: 4
; NumVgprs: 0
; ScratchSize: 0
; MemoryBound: 0
; FloatMode: 240
; IeeeMode: 1
; LDSByteSize: 0 bytes/workgroup (compile time only)
; SGPRBlocks: 0
; VGPRBlocks: 0
; NumSGPRsForWavesPerEU: 4
; NumVGPRsForWavesPerEU: 1
; Occupancy: 10
; WaveLimiterHint : 0
; COMPUTE_PGM_RSRC2:SCRATCH_EN: 0
; COMPUTE_PGM_RSRC2:USER_SGPR: 6
; COMPUTE_PGM_RSRC2:TRAP_HANDLER: 0
; COMPUTE_PGM_RSRC2:TGID_X_EN: 1
; COMPUTE_PGM_RSRC2:TGID_Y_EN: 0
; COMPUTE_PGM_RSRC2:TGID_Z_EN: 0
; COMPUTE_PGM_RSRC2:TIDIG_COMP_CNT: 0
	.section	.text._ZN7rocprim17ROCPRIM_400000_NS6detail17trampoline_kernelINS0_14default_configENS1_27upper_bound_config_selectorIflEEZNS1_14transform_implILb0ES3_S5_N6thrust23THRUST_200600_302600_NS6detail15normal_iteratorINS8_7pointerIfNS8_11hip_rocprim16par_det_nosync_tENS8_11use_defaultESE_EEEENSA_INSB_IlSD_SE_SE_EEEEZNS1_13binary_searchIS3_S5_NSA_INS8_10device_ptrIfEEEESG_SI_NS1_21upper_bound_search_opENS9_16wrapped_functionINS8_6system6detail7generic6detail18binary_search_lessEbEEEE10hipError_tPvRmT1_T2_T3_mmT4_T5_P12ihipStream_tbEUlRKfE_EESV_SZ_S10_mS11_S14_bEUlT_E_NS1_11comp_targetILNS1_3genE10ELNS1_11target_archE1200ELNS1_3gpuE4ELNS1_3repE0EEENS1_30default_config_static_selectorELNS0_4arch9wavefront6targetE1EEEvSY_,"axG",@progbits,_ZN7rocprim17ROCPRIM_400000_NS6detail17trampoline_kernelINS0_14default_configENS1_27upper_bound_config_selectorIflEEZNS1_14transform_implILb0ES3_S5_N6thrust23THRUST_200600_302600_NS6detail15normal_iteratorINS8_7pointerIfNS8_11hip_rocprim16par_det_nosync_tENS8_11use_defaultESE_EEEENSA_INSB_IlSD_SE_SE_EEEEZNS1_13binary_searchIS3_S5_NSA_INS8_10device_ptrIfEEEESG_SI_NS1_21upper_bound_search_opENS9_16wrapped_functionINS8_6system6detail7generic6detail18binary_search_lessEbEEEE10hipError_tPvRmT1_T2_T3_mmT4_T5_P12ihipStream_tbEUlRKfE_EESV_SZ_S10_mS11_S14_bEUlT_E_NS1_11comp_targetILNS1_3genE10ELNS1_11target_archE1200ELNS1_3gpuE4ELNS1_3repE0EEENS1_30default_config_static_selectorELNS0_4arch9wavefront6targetE1EEEvSY_,comdat
	.protected	_ZN7rocprim17ROCPRIM_400000_NS6detail17trampoline_kernelINS0_14default_configENS1_27upper_bound_config_selectorIflEEZNS1_14transform_implILb0ES3_S5_N6thrust23THRUST_200600_302600_NS6detail15normal_iteratorINS8_7pointerIfNS8_11hip_rocprim16par_det_nosync_tENS8_11use_defaultESE_EEEENSA_INSB_IlSD_SE_SE_EEEEZNS1_13binary_searchIS3_S5_NSA_INS8_10device_ptrIfEEEESG_SI_NS1_21upper_bound_search_opENS9_16wrapped_functionINS8_6system6detail7generic6detail18binary_search_lessEbEEEE10hipError_tPvRmT1_T2_T3_mmT4_T5_P12ihipStream_tbEUlRKfE_EESV_SZ_S10_mS11_S14_bEUlT_E_NS1_11comp_targetILNS1_3genE10ELNS1_11target_archE1200ELNS1_3gpuE4ELNS1_3repE0EEENS1_30default_config_static_selectorELNS0_4arch9wavefront6targetE1EEEvSY_ ; -- Begin function _ZN7rocprim17ROCPRIM_400000_NS6detail17trampoline_kernelINS0_14default_configENS1_27upper_bound_config_selectorIflEEZNS1_14transform_implILb0ES3_S5_N6thrust23THRUST_200600_302600_NS6detail15normal_iteratorINS8_7pointerIfNS8_11hip_rocprim16par_det_nosync_tENS8_11use_defaultESE_EEEENSA_INSB_IlSD_SE_SE_EEEEZNS1_13binary_searchIS3_S5_NSA_INS8_10device_ptrIfEEEESG_SI_NS1_21upper_bound_search_opENS9_16wrapped_functionINS8_6system6detail7generic6detail18binary_search_lessEbEEEE10hipError_tPvRmT1_T2_T3_mmT4_T5_P12ihipStream_tbEUlRKfE_EESV_SZ_S10_mS11_S14_bEUlT_E_NS1_11comp_targetILNS1_3genE10ELNS1_11target_archE1200ELNS1_3gpuE4ELNS1_3repE0EEENS1_30default_config_static_selectorELNS0_4arch9wavefront6targetE1EEEvSY_
	.globl	_ZN7rocprim17ROCPRIM_400000_NS6detail17trampoline_kernelINS0_14default_configENS1_27upper_bound_config_selectorIflEEZNS1_14transform_implILb0ES3_S5_N6thrust23THRUST_200600_302600_NS6detail15normal_iteratorINS8_7pointerIfNS8_11hip_rocprim16par_det_nosync_tENS8_11use_defaultESE_EEEENSA_INSB_IlSD_SE_SE_EEEEZNS1_13binary_searchIS3_S5_NSA_INS8_10device_ptrIfEEEESG_SI_NS1_21upper_bound_search_opENS9_16wrapped_functionINS8_6system6detail7generic6detail18binary_search_lessEbEEEE10hipError_tPvRmT1_T2_T3_mmT4_T5_P12ihipStream_tbEUlRKfE_EESV_SZ_S10_mS11_S14_bEUlT_E_NS1_11comp_targetILNS1_3genE10ELNS1_11target_archE1200ELNS1_3gpuE4ELNS1_3repE0EEENS1_30default_config_static_selectorELNS0_4arch9wavefront6targetE1EEEvSY_
	.p2align	8
	.type	_ZN7rocprim17ROCPRIM_400000_NS6detail17trampoline_kernelINS0_14default_configENS1_27upper_bound_config_selectorIflEEZNS1_14transform_implILb0ES3_S5_N6thrust23THRUST_200600_302600_NS6detail15normal_iteratorINS8_7pointerIfNS8_11hip_rocprim16par_det_nosync_tENS8_11use_defaultESE_EEEENSA_INSB_IlSD_SE_SE_EEEEZNS1_13binary_searchIS3_S5_NSA_INS8_10device_ptrIfEEEESG_SI_NS1_21upper_bound_search_opENS9_16wrapped_functionINS8_6system6detail7generic6detail18binary_search_lessEbEEEE10hipError_tPvRmT1_T2_T3_mmT4_T5_P12ihipStream_tbEUlRKfE_EESV_SZ_S10_mS11_S14_bEUlT_E_NS1_11comp_targetILNS1_3genE10ELNS1_11target_archE1200ELNS1_3gpuE4ELNS1_3repE0EEENS1_30default_config_static_selectorELNS0_4arch9wavefront6targetE1EEEvSY_,@function
_ZN7rocprim17ROCPRIM_400000_NS6detail17trampoline_kernelINS0_14default_configENS1_27upper_bound_config_selectorIflEEZNS1_14transform_implILb0ES3_S5_N6thrust23THRUST_200600_302600_NS6detail15normal_iteratorINS8_7pointerIfNS8_11hip_rocprim16par_det_nosync_tENS8_11use_defaultESE_EEEENSA_INSB_IlSD_SE_SE_EEEEZNS1_13binary_searchIS3_S5_NSA_INS8_10device_ptrIfEEEESG_SI_NS1_21upper_bound_search_opENS9_16wrapped_functionINS8_6system6detail7generic6detail18binary_search_lessEbEEEE10hipError_tPvRmT1_T2_T3_mmT4_T5_P12ihipStream_tbEUlRKfE_EESV_SZ_S10_mS11_S14_bEUlT_E_NS1_11comp_targetILNS1_3genE10ELNS1_11target_archE1200ELNS1_3gpuE4ELNS1_3repE0EEENS1_30default_config_static_selectorELNS0_4arch9wavefront6targetE1EEEvSY_: ; @_ZN7rocprim17ROCPRIM_400000_NS6detail17trampoline_kernelINS0_14default_configENS1_27upper_bound_config_selectorIflEEZNS1_14transform_implILb0ES3_S5_N6thrust23THRUST_200600_302600_NS6detail15normal_iteratorINS8_7pointerIfNS8_11hip_rocprim16par_det_nosync_tENS8_11use_defaultESE_EEEENSA_INSB_IlSD_SE_SE_EEEEZNS1_13binary_searchIS3_S5_NSA_INS8_10device_ptrIfEEEESG_SI_NS1_21upper_bound_search_opENS9_16wrapped_functionINS8_6system6detail7generic6detail18binary_search_lessEbEEEE10hipError_tPvRmT1_T2_T3_mmT4_T5_P12ihipStream_tbEUlRKfE_EESV_SZ_S10_mS11_S14_bEUlT_E_NS1_11comp_targetILNS1_3genE10ELNS1_11target_archE1200ELNS1_3gpuE4ELNS1_3repE0EEENS1_30default_config_static_selectorELNS0_4arch9wavefront6targetE1EEEvSY_
; %bb.0:
	.section	.rodata,"a",@progbits
	.p2align	6, 0x0
	.amdhsa_kernel _ZN7rocprim17ROCPRIM_400000_NS6detail17trampoline_kernelINS0_14default_configENS1_27upper_bound_config_selectorIflEEZNS1_14transform_implILb0ES3_S5_N6thrust23THRUST_200600_302600_NS6detail15normal_iteratorINS8_7pointerIfNS8_11hip_rocprim16par_det_nosync_tENS8_11use_defaultESE_EEEENSA_INSB_IlSD_SE_SE_EEEEZNS1_13binary_searchIS3_S5_NSA_INS8_10device_ptrIfEEEESG_SI_NS1_21upper_bound_search_opENS9_16wrapped_functionINS8_6system6detail7generic6detail18binary_search_lessEbEEEE10hipError_tPvRmT1_T2_T3_mmT4_T5_P12ihipStream_tbEUlRKfE_EESV_SZ_S10_mS11_S14_bEUlT_E_NS1_11comp_targetILNS1_3genE10ELNS1_11target_archE1200ELNS1_3gpuE4ELNS1_3repE0EEENS1_30default_config_static_selectorELNS0_4arch9wavefront6targetE1EEEvSY_
		.amdhsa_group_segment_fixed_size 0
		.amdhsa_private_segment_fixed_size 0
		.amdhsa_kernarg_size 56
		.amdhsa_user_sgpr_count 6
		.amdhsa_user_sgpr_private_segment_buffer 1
		.amdhsa_user_sgpr_dispatch_ptr 0
		.amdhsa_user_sgpr_queue_ptr 0
		.amdhsa_user_sgpr_kernarg_segment_ptr 1
		.amdhsa_user_sgpr_dispatch_id 0
		.amdhsa_user_sgpr_flat_scratch_init 0
		.amdhsa_user_sgpr_private_segment_size 0
		.amdhsa_uses_dynamic_stack 0
		.amdhsa_system_sgpr_private_segment_wavefront_offset 0
		.amdhsa_system_sgpr_workgroup_id_x 1
		.amdhsa_system_sgpr_workgroup_id_y 0
		.amdhsa_system_sgpr_workgroup_id_z 0
		.amdhsa_system_sgpr_workgroup_info 0
		.amdhsa_system_vgpr_workitem_id 0
		.amdhsa_next_free_vgpr 1
		.amdhsa_next_free_sgpr 0
		.amdhsa_reserve_vcc 0
		.amdhsa_reserve_flat_scratch 0
		.amdhsa_float_round_mode_32 0
		.amdhsa_float_round_mode_16_64 0
		.amdhsa_float_denorm_mode_32 3
		.amdhsa_float_denorm_mode_16_64 3
		.amdhsa_dx10_clamp 1
		.amdhsa_ieee_mode 1
		.amdhsa_fp16_overflow 0
		.amdhsa_exception_fp_ieee_invalid_op 0
		.amdhsa_exception_fp_denorm_src 0
		.amdhsa_exception_fp_ieee_div_zero 0
		.amdhsa_exception_fp_ieee_overflow 0
		.amdhsa_exception_fp_ieee_underflow 0
		.amdhsa_exception_fp_ieee_inexact 0
		.amdhsa_exception_int_div_zero 0
	.end_amdhsa_kernel
	.section	.text._ZN7rocprim17ROCPRIM_400000_NS6detail17trampoline_kernelINS0_14default_configENS1_27upper_bound_config_selectorIflEEZNS1_14transform_implILb0ES3_S5_N6thrust23THRUST_200600_302600_NS6detail15normal_iteratorINS8_7pointerIfNS8_11hip_rocprim16par_det_nosync_tENS8_11use_defaultESE_EEEENSA_INSB_IlSD_SE_SE_EEEEZNS1_13binary_searchIS3_S5_NSA_INS8_10device_ptrIfEEEESG_SI_NS1_21upper_bound_search_opENS9_16wrapped_functionINS8_6system6detail7generic6detail18binary_search_lessEbEEEE10hipError_tPvRmT1_T2_T3_mmT4_T5_P12ihipStream_tbEUlRKfE_EESV_SZ_S10_mS11_S14_bEUlT_E_NS1_11comp_targetILNS1_3genE10ELNS1_11target_archE1200ELNS1_3gpuE4ELNS1_3repE0EEENS1_30default_config_static_selectorELNS0_4arch9wavefront6targetE1EEEvSY_,"axG",@progbits,_ZN7rocprim17ROCPRIM_400000_NS6detail17trampoline_kernelINS0_14default_configENS1_27upper_bound_config_selectorIflEEZNS1_14transform_implILb0ES3_S5_N6thrust23THRUST_200600_302600_NS6detail15normal_iteratorINS8_7pointerIfNS8_11hip_rocprim16par_det_nosync_tENS8_11use_defaultESE_EEEENSA_INSB_IlSD_SE_SE_EEEEZNS1_13binary_searchIS3_S5_NSA_INS8_10device_ptrIfEEEESG_SI_NS1_21upper_bound_search_opENS9_16wrapped_functionINS8_6system6detail7generic6detail18binary_search_lessEbEEEE10hipError_tPvRmT1_T2_T3_mmT4_T5_P12ihipStream_tbEUlRKfE_EESV_SZ_S10_mS11_S14_bEUlT_E_NS1_11comp_targetILNS1_3genE10ELNS1_11target_archE1200ELNS1_3gpuE4ELNS1_3repE0EEENS1_30default_config_static_selectorELNS0_4arch9wavefront6targetE1EEEvSY_,comdat
.Lfunc_end515:
	.size	_ZN7rocprim17ROCPRIM_400000_NS6detail17trampoline_kernelINS0_14default_configENS1_27upper_bound_config_selectorIflEEZNS1_14transform_implILb0ES3_S5_N6thrust23THRUST_200600_302600_NS6detail15normal_iteratorINS8_7pointerIfNS8_11hip_rocprim16par_det_nosync_tENS8_11use_defaultESE_EEEENSA_INSB_IlSD_SE_SE_EEEEZNS1_13binary_searchIS3_S5_NSA_INS8_10device_ptrIfEEEESG_SI_NS1_21upper_bound_search_opENS9_16wrapped_functionINS8_6system6detail7generic6detail18binary_search_lessEbEEEE10hipError_tPvRmT1_T2_T3_mmT4_T5_P12ihipStream_tbEUlRKfE_EESV_SZ_S10_mS11_S14_bEUlT_E_NS1_11comp_targetILNS1_3genE10ELNS1_11target_archE1200ELNS1_3gpuE4ELNS1_3repE0EEENS1_30default_config_static_selectorELNS0_4arch9wavefront6targetE1EEEvSY_, .Lfunc_end515-_ZN7rocprim17ROCPRIM_400000_NS6detail17trampoline_kernelINS0_14default_configENS1_27upper_bound_config_selectorIflEEZNS1_14transform_implILb0ES3_S5_N6thrust23THRUST_200600_302600_NS6detail15normal_iteratorINS8_7pointerIfNS8_11hip_rocprim16par_det_nosync_tENS8_11use_defaultESE_EEEENSA_INSB_IlSD_SE_SE_EEEEZNS1_13binary_searchIS3_S5_NSA_INS8_10device_ptrIfEEEESG_SI_NS1_21upper_bound_search_opENS9_16wrapped_functionINS8_6system6detail7generic6detail18binary_search_lessEbEEEE10hipError_tPvRmT1_T2_T3_mmT4_T5_P12ihipStream_tbEUlRKfE_EESV_SZ_S10_mS11_S14_bEUlT_E_NS1_11comp_targetILNS1_3genE10ELNS1_11target_archE1200ELNS1_3gpuE4ELNS1_3repE0EEENS1_30default_config_static_selectorELNS0_4arch9wavefront6targetE1EEEvSY_
                                        ; -- End function
	.set _ZN7rocprim17ROCPRIM_400000_NS6detail17trampoline_kernelINS0_14default_configENS1_27upper_bound_config_selectorIflEEZNS1_14transform_implILb0ES3_S5_N6thrust23THRUST_200600_302600_NS6detail15normal_iteratorINS8_7pointerIfNS8_11hip_rocprim16par_det_nosync_tENS8_11use_defaultESE_EEEENSA_INSB_IlSD_SE_SE_EEEEZNS1_13binary_searchIS3_S5_NSA_INS8_10device_ptrIfEEEESG_SI_NS1_21upper_bound_search_opENS9_16wrapped_functionINS8_6system6detail7generic6detail18binary_search_lessEbEEEE10hipError_tPvRmT1_T2_T3_mmT4_T5_P12ihipStream_tbEUlRKfE_EESV_SZ_S10_mS11_S14_bEUlT_E_NS1_11comp_targetILNS1_3genE10ELNS1_11target_archE1200ELNS1_3gpuE4ELNS1_3repE0EEENS1_30default_config_static_selectorELNS0_4arch9wavefront6targetE1EEEvSY_.num_vgpr, 0
	.set _ZN7rocprim17ROCPRIM_400000_NS6detail17trampoline_kernelINS0_14default_configENS1_27upper_bound_config_selectorIflEEZNS1_14transform_implILb0ES3_S5_N6thrust23THRUST_200600_302600_NS6detail15normal_iteratorINS8_7pointerIfNS8_11hip_rocprim16par_det_nosync_tENS8_11use_defaultESE_EEEENSA_INSB_IlSD_SE_SE_EEEEZNS1_13binary_searchIS3_S5_NSA_INS8_10device_ptrIfEEEESG_SI_NS1_21upper_bound_search_opENS9_16wrapped_functionINS8_6system6detail7generic6detail18binary_search_lessEbEEEE10hipError_tPvRmT1_T2_T3_mmT4_T5_P12ihipStream_tbEUlRKfE_EESV_SZ_S10_mS11_S14_bEUlT_E_NS1_11comp_targetILNS1_3genE10ELNS1_11target_archE1200ELNS1_3gpuE4ELNS1_3repE0EEENS1_30default_config_static_selectorELNS0_4arch9wavefront6targetE1EEEvSY_.num_agpr, 0
	.set _ZN7rocprim17ROCPRIM_400000_NS6detail17trampoline_kernelINS0_14default_configENS1_27upper_bound_config_selectorIflEEZNS1_14transform_implILb0ES3_S5_N6thrust23THRUST_200600_302600_NS6detail15normal_iteratorINS8_7pointerIfNS8_11hip_rocprim16par_det_nosync_tENS8_11use_defaultESE_EEEENSA_INSB_IlSD_SE_SE_EEEEZNS1_13binary_searchIS3_S5_NSA_INS8_10device_ptrIfEEEESG_SI_NS1_21upper_bound_search_opENS9_16wrapped_functionINS8_6system6detail7generic6detail18binary_search_lessEbEEEE10hipError_tPvRmT1_T2_T3_mmT4_T5_P12ihipStream_tbEUlRKfE_EESV_SZ_S10_mS11_S14_bEUlT_E_NS1_11comp_targetILNS1_3genE10ELNS1_11target_archE1200ELNS1_3gpuE4ELNS1_3repE0EEENS1_30default_config_static_selectorELNS0_4arch9wavefront6targetE1EEEvSY_.numbered_sgpr, 0
	.set _ZN7rocprim17ROCPRIM_400000_NS6detail17trampoline_kernelINS0_14default_configENS1_27upper_bound_config_selectorIflEEZNS1_14transform_implILb0ES3_S5_N6thrust23THRUST_200600_302600_NS6detail15normal_iteratorINS8_7pointerIfNS8_11hip_rocprim16par_det_nosync_tENS8_11use_defaultESE_EEEENSA_INSB_IlSD_SE_SE_EEEEZNS1_13binary_searchIS3_S5_NSA_INS8_10device_ptrIfEEEESG_SI_NS1_21upper_bound_search_opENS9_16wrapped_functionINS8_6system6detail7generic6detail18binary_search_lessEbEEEE10hipError_tPvRmT1_T2_T3_mmT4_T5_P12ihipStream_tbEUlRKfE_EESV_SZ_S10_mS11_S14_bEUlT_E_NS1_11comp_targetILNS1_3genE10ELNS1_11target_archE1200ELNS1_3gpuE4ELNS1_3repE0EEENS1_30default_config_static_selectorELNS0_4arch9wavefront6targetE1EEEvSY_.num_named_barrier, 0
	.set _ZN7rocprim17ROCPRIM_400000_NS6detail17trampoline_kernelINS0_14default_configENS1_27upper_bound_config_selectorIflEEZNS1_14transform_implILb0ES3_S5_N6thrust23THRUST_200600_302600_NS6detail15normal_iteratorINS8_7pointerIfNS8_11hip_rocprim16par_det_nosync_tENS8_11use_defaultESE_EEEENSA_INSB_IlSD_SE_SE_EEEEZNS1_13binary_searchIS3_S5_NSA_INS8_10device_ptrIfEEEESG_SI_NS1_21upper_bound_search_opENS9_16wrapped_functionINS8_6system6detail7generic6detail18binary_search_lessEbEEEE10hipError_tPvRmT1_T2_T3_mmT4_T5_P12ihipStream_tbEUlRKfE_EESV_SZ_S10_mS11_S14_bEUlT_E_NS1_11comp_targetILNS1_3genE10ELNS1_11target_archE1200ELNS1_3gpuE4ELNS1_3repE0EEENS1_30default_config_static_selectorELNS0_4arch9wavefront6targetE1EEEvSY_.private_seg_size, 0
	.set _ZN7rocprim17ROCPRIM_400000_NS6detail17trampoline_kernelINS0_14default_configENS1_27upper_bound_config_selectorIflEEZNS1_14transform_implILb0ES3_S5_N6thrust23THRUST_200600_302600_NS6detail15normal_iteratorINS8_7pointerIfNS8_11hip_rocprim16par_det_nosync_tENS8_11use_defaultESE_EEEENSA_INSB_IlSD_SE_SE_EEEEZNS1_13binary_searchIS3_S5_NSA_INS8_10device_ptrIfEEEESG_SI_NS1_21upper_bound_search_opENS9_16wrapped_functionINS8_6system6detail7generic6detail18binary_search_lessEbEEEE10hipError_tPvRmT1_T2_T3_mmT4_T5_P12ihipStream_tbEUlRKfE_EESV_SZ_S10_mS11_S14_bEUlT_E_NS1_11comp_targetILNS1_3genE10ELNS1_11target_archE1200ELNS1_3gpuE4ELNS1_3repE0EEENS1_30default_config_static_selectorELNS0_4arch9wavefront6targetE1EEEvSY_.uses_vcc, 0
	.set _ZN7rocprim17ROCPRIM_400000_NS6detail17trampoline_kernelINS0_14default_configENS1_27upper_bound_config_selectorIflEEZNS1_14transform_implILb0ES3_S5_N6thrust23THRUST_200600_302600_NS6detail15normal_iteratorINS8_7pointerIfNS8_11hip_rocprim16par_det_nosync_tENS8_11use_defaultESE_EEEENSA_INSB_IlSD_SE_SE_EEEEZNS1_13binary_searchIS3_S5_NSA_INS8_10device_ptrIfEEEESG_SI_NS1_21upper_bound_search_opENS9_16wrapped_functionINS8_6system6detail7generic6detail18binary_search_lessEbEEEE10hipError_tPvRmT1_T2_T3_mmT4_T5_P12ihipStream_tbEUlRKfE_EESV_SZ_S10_mS11_S14_bEUlT_E_NS1_11comp_targetILNS1_3genE10ELNS1_11target_archE1200ELNS1_3gpuE4ELNS1_3repE0EEENS1_30default_config_static_selectorELNS0_4arch9wavefront6targetE1EEEvSY_.uses_flat_scratch, 0
	.set _ZN7rocprim17ROCPRIM_400000_NS6detail17trampoline_kernelINS0_14default_configENS1_27upper_bound_config_selectorIflEEZNS1_14transform_implILb0ES3_S5_N6thrust23THRUST_200600_302600_NS6detail15normal_iteratorINS8_7pointerIfNS8_11hip_rocprim16par_det_nosync_tENS8_11use_defaultESE_EEEENSA_INSB_IlSD_SE_SE_EEEEZNS1_13binary_searchIS3_S5_NSA_INS8_10device_ptrIfEEEESG_SI_NS1_21upper_bound_search_opENS9_16wrapped_functionINS8_6system6detail7generic6detail18binary_search_lessEbEEEE10hipError_tPvRmT1_T2_T3_mmT4_T5_P12ihipStream_tbEUlRKfE_EESV_SZ_S10_mS11_S14_bEUlT_E_NS1_11comp_targetILNS1_3genE10ELNS1_11target_archE1200ELNS1_3gpuE4ELNS1_3repE0EEENS1_30default_config_static_selectorELNS0_4arch9wavefront6targetE1EEEvSY_.has_dyn_sized_stack, 0
	.set _ZN7rocprim17ROCPRIM_400000_NS6detail17trampoline_kernelINS0_14default_configENS1_27upper_bound_config_selectorIflEEZNS1_14transform_implILb0ES3_S5_N6thrust23THRUST_200600_302600_NS6detail15normal_iteratorINS8_7pointerIfNS8_11hip_rocprim16par_det_nosync_tENS8_11use_defaultESE_EEEENSA_INSB_IlSD_SE_SE_EEEEZNS1_13binary_searchIS3_S5_NSA_INS8_10device_ptrIfEEEESG_SI_NS1_21upper_bound_search_opENS9_16wrapped_functionINS8_6system6detail7generic6detail18binary_search_lessEbEEEE10hipError_tPvRmT1_T2_T3_mmT4_T5_P12ihipStream_tbEUlRKfE_EESV_SZ_S10_mS11_S14_bEUlT_E_NS1_11comp_targetILNS1_3genE10ELNS1_11target_archE1200ELNS1_3gpuE4ELNS1_3repE0EEENS1_30default_config_static_selectorELNS0_4arch9wavefront6targetE1EEEvSY_.has_recursion, 0
	.set _ZN7rocprim17ROCPRIM_400000_NS6detail17trampoline_kernelINS0_14default_configENS1_27upper_bound_config_selectorIflEEZNS1_14transform_implILb0ES3_S5_N6thrust23THRUST_200600_302600_NS6detail15normal_iteratorINS8_7pointerIfNS8_11hip_rocprim16par_det_nosync_tENS8_11use_defaultESE_EEEENSA_INSB_IlSD_SE_SE_EEEEZNS1_13binary_searchIS3_S5_NSA_INS8_10device_ptrIfEEEESG_SI_NS1_21upper_bound_search_opENS9_16wrapped_functionINS8_6system6detail7generic6detail18binary_search_lessEbEEEE10hipError_tPvRmT1_T2_T3_mmT4_T5_P12ihipStream_tbEUlRKfE_EESV_SZ_S10_mS11_S14_bEUlT_E_NS1_11comp_targetILNS1_3genE10ELNS1_11target_archE1200ELNS1_3gpuE4ELNS1_3repE0EEENS1_30default_config_static_selectorELNS0_4arch9wavefront6targetE1EEEvSY_.has_indirect_call, 0
	.section	.AMDGPU.csdata,"",@progbits
; Kernel info:
; codeLenInByte = 0
; TotalNumSgprs: 4
; NumVgprs: 0
; ScratchSize: 0
; MemoryBound: 0
; FloatMode: 240
; IeeeMode: 1
; LDSByteSize: 0 bytes/workgroup (compile time only)
; SGPRBlocks: 0
; VGPRBlocks: 0
; NumSGPRsForWavesPerEU: 4
; NumVGPRsForWavesPerEU: 1
; Occupancy: 10
; WaveLimiterHint : 0
; COMPUTE_PGM_RSRC2:SCRATCH_EN: 0
; COMPUTE_PGM_RSRC2:USER_SGPR: 6
; COMPUTE_PGM_RSRC2:TRAP_HANDLER: 0
; COMPUTE_PGM_RSRC2:TGID_X_EN: 1
; COMPUTE_PGM_RSRC2:TGID_Y_EN: 0
; COMPUTE_PGM_RSRC2:TGID_Z_EN: 0
; COMPUTE_PGM_RSRC2:TIDIG_COMP_CNT: 0
	.section	.text._ZN7rocprim17ROCPRIM_400000_NS6detail17trampoline_kernelINS0_14default_configENS1_27upper_bound_config_selectorIflEEZNS1_14transform_implILb0ES3_S5_N6thrust23THRUST_200600_302600_NS6detail15normal_iteratorINS8_7pointerIfNS8_11hip_rocprim16par_det_nosync_tENS8_11use_defaultESE_EEEENSA_INSB_IlSD_SE_SE_EEEEZNS1_13binary_searchIS3_S5_NSA_INS8_10device_ptrIfEEEESG_SI_NS1_21upper_bound_search_opENS9_16wrapped_functionINS8_6system6detail7generic6detail18binary_search_lessEbEEEE10hipError_tPvRmT1_T2_T3_mmT4_T5_P12ihipStream_tbEUlRKfE_EESV_SZ_S10_mS11_S14_bEUlT_E_NS1_11comp_targetILNS1_3genE9ELNS1_11target_archE1100ELNS1_3gpuE3ELNS1_3repE0EEENS1_30default_config_static_selectorELNS0_4arch9wavefront6targetE1EEEvSY_,"axG",@progbits,_ZN7rocprim17ROCPRIM_400000_NS6detail17trampoline_kernelINS0_14default_configENS1_27upper_bound_config_selectorIflEEZNS1_14transform_implILb0ES3_S5_N6thrust23THRUST_200600_302600_NS6detail15normal_iteratorINS8_7pointerIfNS8_11hip_rocprim16par_det_nosync_tENS8_11use_defaultESE_EEEENSA_INSB_IlSD_SE_SE_EEEEZNS1_13binary_searchIS3_S5_NSA_INS8_10device_ptrIfEEEESG_SI_NS1_21upper_bound_search_opENS9_16wrapped_functionINS8_6system6detail7generic6detail18binary_search_lessEbEEEE10hipError_tPvRmT1_T2_T3_mmT4_T5_P12ihipStream_tbEUlRKfE_EESV_SZ_S10_mS11_S14_bEUlT_E_NS1_11comp_targetILNS1_3genE9ELNS1_11target_archE1100ELNS1_3gpuE3ELNS1_3repE0EEENS1_30default_config_static_selectorELNS0_4arch9wavefront6targetE1EEEvSY_,comdat
	.protected	_ZN7rocprim17ROCPRIM_400000_NS6detail17trampoline_kernelINS0_14default_configENS1_27upper_bound_config_selectorIflEEZNS1_14transform_implILb0ES3_S5_N6thrust23THRUST_200600_302600_NS6detail15normal_iteratorINS8_7pointerIfNS8_11hip_rocprim16par_det_nosync_tENS8_11use_defaultESE_EEEENSA_INSB_IlSD_SE_SE_EEEEZNS1_13binary_searchIS3_S5_NSA_INS8_10device_ptrIfEEEESG_SI_NS1_21upper_bound_search_opENS9_16wrapped_functionINS8_6system6detail7generic6detail18binary_search_lessEbEEEE10hipError_tPvRmT1_T2_T3_mmT4_T5_P12ihipStream_tbEUlRKfE_EESV_SZ_S10_mS11_S14_bEUlT_E_NS1_11comp_targetILNS1_3genE9ELNS1_11target_archE1100ELNS1_3gpuE3ELNS1_3repE0EEENS1_30default_config_static_selectorELNS0_4arch9wavefront6targetE1EEEvSY_ ; -- Begin function _ZN7rocprim17ROCPRIM_400000_NS6detail17trampoline_kernelINS0_14default_configENS1_27upper_bound_config_selectorIflEEZNS1_14transform_implILb0ES3_S5_N6thrust23THRUST_200600_302600_NS6detail15normal_iteratorINS8_7pointerIfNS8_11hip_rocprim16par_det_nosync_tENS8_11use_defaultESE_EEEENSA_INSB_IlSD_SE_SE_EEEEZNS1_13binary_searchIS3_S5_NSA_INS8_10device_ptrIfEEEESG_SI_NS1_21upper_bound_search_opENS9_16wrapped_functionINS8_6system6detail7generic6detail18binary_search_lessEbEEEE10hipError_tPvRmT1_T2_T3_mmT4_T5_P12ihipStream_tbEUlRKfE_EESV_SZ_S10_mS11_S14_bEUlT_E_NS1_11comp_targetILNS1_3genE9ELNS1_11target_archE1100ELNS1_3gpuE3ELNS1_3repE0EEENS1_30default_config_static_selectorELNS0_4arch9wavefront6targetE1EEEvSY_
	.globl	_ZN7rocprim17ROCPRIM_400000_NS6detail17trampoline_kernelINS0_14default_configENS1_27upper_bound_config_selectorIflEEZNS1_14transform_implILb0ES3_S5_N6thrust23THRUST_200600_302600_NS6detail15normal_iteratorINS8_7pointerIfNS8_11hip_rocprim16par_det_nosync_tENS8_11use_defaultESE_EEEENSA_INSB_IlSD_SE_SE_EEEEZNS1_13binary_searchIS3_S5_NSA_INS8_10device_ptrIfEEEESG_SI_NS1_21upper_bound_search_opENS9_16wrapped_functionINS8_6system6detail7generic6detail18binary_search_lessEbEEEE10hipError_tPvRmT1_T2_T3_mmT4_T5_P12ihipStream_tbEUlRKfE_EESV_SZ_S10_mS11_S14_bEUlT_E_NS1_11comp_targetILNS1_3genE9ELNS1_11target_archE1100ELNS1_3gpuE3ELNS1_3repE0EEENS1_30default_config_static_selectorELNS0_4arch9wavefront6targetE1EEEvSY_
	.p2align	8
	.type	_ZN7rocprim17ROCPRIM_400000_NS6detail17trampoline_kernelINS0_14default_configENS1_27upper_bound_config_selectorIflEEZNS1_14transform_implILb0ES3_S5_N6thrust23THRUST_200600_302600_NS6detail15normal_iteratorINS8_7pointerIfNS8_11hip_rocprim16par_det_nosync_tENS8_11use_defaultESE_EEEENSA_INSB_IlSD_SE_SE_EEEEZNS1_13binary_searchIS3_S5_NSA_INS8_10device_ptrIfEEEESG_SI_NS1_21upper_bound_search_opENS9_16wrapped_functionINS8_6system6detail7generic6detail18binary_search_lessEbEEEE10hipError_tPvRmT1_T2_T3_mmT4_T5_P12ihipStream_tbEUlRKfE_EESV_SZ_S10_mS11_S14_bEUlT_E_NS1_11comp_targetILNS1_3genE9ELNS1_11target_archE1100ELNS1_3gpuE3ELNS1_3repE0EEENS1_30default_config_static_selectorELNS0_4arch9wavefront6targetE1EEEvSY_,@function
_ZN7rocprim17ROCPRIM_400000_NS6detail17trampoline_kernelINS0_14default_configENS1_27upper_bound_config_selectorIflEEZNS1_14transform_implILb0ES3_S5_N6thrust23THRUST_200600_302600_NS6detail15normal_iteratorINS8_7pointerIfNS8_11hip_rocprim16par_det_nosync_tENS8_11use_defaultESE_EEEENSA_INSB_IlSD_SE_SE_EEEEZNS1_13binary_searchIS3_S5_NSA_INS8_10device_ptrIfEEEESG_SI_NS1_21upper_bound_search_opENS9_16wrapped_functionINS8_6system6detail7generic6detail18binary_search_lessEbEEEE10hipError_tPvRmT1_T2_T3_mmT4_T5_P12ihipStream_tbEUlRKfE_EESV_SZ_S10_mS11_S14_bEUlT_E_NS1_11comp_targetILNS1_3genE9ELNS1_11target_archE1100ELNS1_3gpuE3ELNS1_3repE0EEENS1_30default_config_static_selectorELNS0_4arch9wavefront6targetE1EEEvSY_: ; @_ZN7rocprim17ROCPRIM_400000_NS6detail17trampoline_kernelINS0_14default_configENS1_27upper_bound_config_selectorIflEEZNS1_14transform_implILb0ES3_S5_N6thrust23THRUST_200600_302600_NS6detail15normal_iteratorINS8_7pointerIfNS8_11hip_rocprim16par_det_nosync_tENS8_11use_defaultESE_EEEENSA_INSB_IlSD_SE_SE_EEEEZNS1_13binary_searchIS3_S5_NSA_INS8_10device_ptrIfEEEESG_SI_NS1_21upper_bound_search_opENS9_16wrapped_functionINS8_6system6detail7generic6detail18binary_search_lessEbEEEE10hipError_tPvRmT1_T2_T3_mmT4_T5_P12ihipStream_tbEUlRKfE_EESV_SZ_S10_mS11_S14_bEUlT_E_NS1_11comp_targetILNS1_3genE9ELNS1_11target_archE1100ELNS1_3gpuE3ELNS1_3repE0EEENS1_30default_config_static_selectorELNS0_4arch9wavefront6targetE1EEEvSY_
; %bb.0:
	.section	.rodata,"a",@progbits
	.p2align	6, 0x0
	.amdhsa_kernel _ZN7rocprim17ROCPRIM_400000_NS6detail17trampoline_kernelINS0_14default_configENS1_27upper_bound_config_selectorIflEEZNS1_14transform_implILb0ES3_S5_N6thrust23THRUST_200600_302600_NS6detail15normal_iteratorINS8_7pointerIfNS8_11hip_rocprim16par_det_nosync_tENS8_11use_defaultESE_EEEENSA_INSB_IlSD_SE_SE_EEEEZNS1_13binary_searchIS3_S5_NSA_INS8_10device_ptrIfEEEESG_SI_NS1_21upper_bound_search_opENS9_16wrapped_functionINS8_6system6detail7generic6detail18binary_search_lessEbEEEE10hipError_tPvRmT1_T2_T3_mmT4_T5_P12ihipStream_tbEUlRKfE_EESV_SZ_S10_mS11_S14_bEUlT_E_NS1_11comp_targetILNS1_3genE9ELNS1_11target_archE1100ELNS1_3gpuE3ELNS1_3repE0EEENS1_30default_config_static_selectorELNS0_4arch9wavefront6targetE1EEEvSY_
		.amdhsa_group_segment_fixed_size 0
		.amdhsa_private_segment_fixed_size 0
		.amdhsa_kernarg_size 56
		.amdhsa_user_sgpr_count 6
		.amdhsa_user_sgpr_private_segment_buffer 1
		.amdhsa_user_sgpr_dispatch_ptr 0
		.amdhsa_user_sgpr_queue_ptr 0
		.amdhsa_user_sgpr_kernarg_segment_ptr 1
		.amdhsa_user_sgpr_dispatch_id 0
		.amdhsa_user_sgpr_flat_scratch_init 0
		.amdhsa_user_sgpr_private_segment_size 0
		.amdhsa_uses_dynamic_stack 0
		.amdhsa_system_sgpr_private_segment_wavefront_offset 0
		.amdhsa_system_sgpr_workgroup_id_x 1
		.amdhsa_system_sgpr_workgroup_id_y 0
		.amdhsa_system_sgpr_workgroup_id_z 0
		.amdhsa_system_sgpr_workgroup_info 0
		.amdhsa_system_vgpr_workitem_id 0
		.amdhsa_next_free_vgpr 1
		.amdhsa_next_free_sgpr 0
		.amdhsa_reserve_vcc 0
		.amdhsa_reserve_flat_scratch 0
		.amdhsa_float_round_mode_32 0
		.amdhsa_float_round_mode_16_64 0
		.amdhsa_float_denorm_mode_32 3
		.amdhsa_float_denorm_mode_16_64 3
		.amdhsa_dx10_clamp 1
		.amdhsa_ieee_mode 1
		.amdhsa_fp16_overflow 0
		.amdhsa_exception_fp_ieee_invalid_op 0
		.amdhsa_exception_fp_denorm_src 0
		.amdhsa_exception_fp_ieee_div_zero 0
		.amdhsa_exception_fp_ieee_overflow 0
		.amdhsa_exception_fp_ieee_underflow 0
		.amdhsa_exception_fp_ieee_inexact 0
		.amdhsa_exception_int_div_zero 0
	.end_amdhsa_kernel
	.section	.text._ZN7rocprim17ROCPRIM_400000_NS6detail17trampoline_kernelINS0_14default_configENS1_27upper_bound_config_selectorIflEEZNS1_14transform_implILb0ES3_S5_N6thrust23THRUST_200600_302600_NS6detail15normal_iteratorINS8_7pointerIfNS8_11hip_rocprim16par_det_nosync_tENS8_11use_defaultESE_EEEENSA_INSB_IlSD_SE_SE_EEEEZNS1_13binary_searchIS3_S5_NSA_INS8_10device_ptrIfEEEESG_SI_NS1_21upper_bound_search_opENS9_16wrapped_functionINS8_6system6detail7generic6detail18binary_search_lessEbEEEE10hipError_tPvRmT1_T2_T3_mmT4_T5_P12ihipStream_tbEUlRKfE_EESV_SZ_S10_mS11_S14_bEUlT_E_NS1_11comp_targetILNS1_3genE9ELNS1_11target_archE1100ELNS1_3gpuE3ELNS1_3repE0EEENS1_30default_config_static_selectorELNS0_4arch9wavefront6targetE1EEEvSY_,"axG",@progbits,_ZN7rocprim17ROCPRIM_400000_NS6detail17trampoline_kernelINS0_14default_configENS1_27upper_bound_config_selectorIflEEZNS1_14transform_implILb0ES3_S5_N6thrust23THRUST_200600_302600_NS6detail15normal_iteratorINS8_7pointerIfNS8_11hip_rocprim16par_det_nosync_tENS8_11use_defaultESE_EEEENSA_INSB_IlSD_SE_SE_EEEEZNS1_13binary_searchIS3_S5_NSA_INS8_10device_ptrIfEEEESG_SI_NS1_21upper_bound_search_opENS9_16wrapped_functionINS8_6system6detail7generic6detail18binary_search_lessEbEEEE10hipError_tPvRmT1_T2_T3_mmT4_T5_P12ihipStream_tbEUlRKfE_EESV_SZ_S10_mS11_S14_bEUlT_E_NS1_11comp_targetILNS1_3genE9ELNS1_11target_archE1100ELNS1_3gpuE3ELNS1_3repE0EEENS1_30default_config_static_selectorELNS0_4arch9wavefront6targetE1EEEvSY_,comdat
.Lfunc_end516:
	.size	_ZN7rocprim17ROCPRIM_400000_NS6detail17trampoline_kernelINS0_14default_configENS1_27upper_bound_config_selectorIflEEZNS1_14transform_implILb0ES3_S5_N6thrust23THRUST_200600_302600_NS6detail15normal_iteratorINS8_7pointerIfNS8_11hip_rocprim16par_det_nosync_tENS8_11use_defaultESE_EEEENSA_INSB_IlSD_SE_SE_EEEEZNS1_13binary_searchIS3_S5_NSA_INS8_10device_ptrIfEEEESG_SI_NS1_21upper_bound_search_opENS9_16wrapped_functionINS8_6system6detail7generic6detail18binary_search_lessEbEEEE10hipError_tPvRmT1_T2_T3_mmT4_T5_P12ihipStream_tbEUlRKfE_EESV_SZ_S10_mS11_S14_bEUlT_E_NS1_11comp_targetILNS1_3genE9ELNS1_11target_archE1100ELNS1_3gpuE3ELNS1_3repE0EEENS1_30default_config_static_selectorELNS0_4arch9wavefront6targetE1EEEvSY_, .Lfunc_end516-_ZN7rocprim17ROCPRIM_400000_NS6detail17trampoline_kernelINS0_14default_configENS1_27upper_bound_config_selectorIflEEZNS1_14transform_implILb0ES3_S5_N6thrust23THRUST_200600_302600_NS6detail15normal_iteratorINS8_7pointerIfNS8_11hip_rocprim16par_det_nosync_tENS8_11use_defaultESE_EEEENSA_INSB_IlSD_SE_SE_EEEEZNS1_13binary_searchIS3_S5_NSA_INS8_10device_ptrIfEEEESG_SI_NS1_21upper_bound_search_opENS9_16wrapped_functionINS8_6system6detail7generic6detail18binary_search_lessEbEEEE10hipError_tPvRmT1_T2_T3_mmT4_T5_P12ihipStream_tbEUlRKfE_EESV_SZ_S10_mS11_S14_bEUlT_E_NS1_11comp_targetILNS1_3genE9ELNS1_11target_archE1100ELNS1_3gpuE3ELNS1_3repE0EEENS1_30default_config_static_selectorELNS0_4arch9wavefront6targetE1EEEvSY_
                                        ; -- End function
	.set _ZN7rocprim17ROCPRIM_400000_NS6detail17trampoline_kernelINS0_14default_configENS1_27upper_bound_config_selectorIflEEZNS1_14transform_implILb0ES3_S5_N6thrust23THRUST_200600_302600_NS6detail15normal_iteratorINS8_7pointerIfNS8_11hip_rocprim16par_det_nosync_tENS8_11use_defaultESE_EEEENSA_INSB_IlSD_SE_SE_EEEEZNS1_13binary_searchIS3_S5_NSA_INS8_10device_ptrIfEEEESG_SI_NS1_21upper_bound_search_opENS9_16wrapped_functionINS8_6system6detail7generic6detail18binary_search_lessEbEEEE10hipError_tPvRmT1_T2_T3_mmT4_T5_P12ihipStream_tbEUlRKfE_EESV_SZ_S10_mS11_S14_bEUlT_E_NS1_11comp_targetILNS1_3genE9ELNS1_11target_archE1100ELNS1_3gpuE3ELNS1_3repE0EEENS1_30default_config_static_selectorELNS0_4arch9wavefront6targetE1EEEvSY_.num_vgpr, 0
	.set _ZN7rocprim17ROCPRIM_400000_NS6detail17trampoline_kernelINS0_14default_configENS1_27upper_bound_config_selectorIflEEZNS1_14transform_implILb0ES3_S5_N6thrust23THRUST_200600_302600_NS6detail15normal_iteratorINS8_7pointerIfNS8_11hip_rocprim16par_det_nosync_tENS8_11use_defaultESE_EEEENSA_INSB_IlSD_SE_SE_EEEEZNS1_13binary_searchIS3_S5_NSA_INS8_10device_ptrIfEEEESG_SI_NS1_21upper_bound_search_opENS9_16wrapped_functionINS8_6system6detail7generic6detail18binary_search_lessEbEEEE10hipError_tPvRmT1_T2_T3_mmT4_T5_P12ihipStream_tbEUlRKfE_EESV_SZ_S10_mS11_S14_bEUlT_E_NS1_11comp_targetILNS1_3genE9ELNS1_11target_archE1100ELNS1_3gpuE3ELNS1_3repE0EEENS1_30default_config_static_selectorELNS0_4arch9wavefront6targetE1EEEvSY_.num_agpr, 0
	.set _ZN7rocprim17ROCPRIM_400000_NS6detail17trampoline_kernelINS0_14default_configENS1_27upper_bound_config_selectorIflEEZNS1_14transform_implILb0ES3_S5_N6thrust23THRUST_200600_302600_NS6detail15normal_iteratorINS8_7pointerIfNS8_11hip_rocprim16par_det_nosync_tENS8_11use_defaultESE_EEEENSA_INSB_IlSD_SE_SE_EEEEZNS1_13binary_searchIS3_S5_NSA_INS8_10device_ptrIfEEEESG_SI_NS1_21upper_bound_search_opENS9_16wrapped_functionINS8_6system6detail7generic6detail18binary_search_lessEbEEEE10hipError_tPvRmT1_T2_T3_mmT4_T5_P12ihipStream_tbEUlRKfE_EESV_SZ_S10_mS11_S14_bEUlT_E_NS1_11comp_targetILNS1_3genE9ELNS1_11target_archE1100ELNS1_3gpuE3ELNS1_3repE0EEENS1_30default_config_static_selectorELNS0_4arch9wavefront6targetE1EEEvSY_.numbered_sgpr, 0
	.set _ZN7rocprim17ROCPRIM_400000_NS6detail17trampoline_kernelINS0_14default_configENS1_27upper_bound_config_selectorIflEEZNS1_14transform_implILb0ES3_S5_N6thrust23THRUST_200600_302600_NS6detail15normal_iteratorINS8_7pointerIfNS8_11hip_rocprim16par_det_nosync_tENS8_11use_defaultESE_EEEENSA_INSB_IlSD_SE_SE_EEEEZNS1_13binary_searchIS3_S5_NSA_INS8_10device_ptrIfEEEESG_SI_NS1_21upper_bound_search_opENS9_16wrapped_functionINS8_6system6detail7generic6detail18binary_search_lessEbEEEE10hipError_tPvRmT1_T2_T3_mmT4_T5_P12ihipStream_tbEUlRKfE_EESV_SZ_S10_mS11_S14_bEUlT_E_NS1_11comp_targetILNS1_3genE9ELNS1_11target_archE1100ELNS1_3gpuE3ELNS1_3repE0EEENS1_30default_config_static_selectorELNS0_4arch9wavefront6targetE1EEEvSY_.num_named_barrier, 0
	.set _ZN7rocprim17ROCPRIM_400000_NS6detail17trampoline_kernelINS0_14default_configENS1_27upper_bound_config_selectorIflEEZNS1_14transform_implILb0ES3_S5_N6thrust23THRUST_200600_302600_NS6detail15normal_iteratorINS8_7pointerIfNS8_11hip_rocprim16par_det_nosync_tENS8_11use_defaultESE_EEEENSA_INSB_IlSD_SE_SE_EEEEZNS1_13binary_searchIS3_S5_NSA_INS8_10device_ptrIfEEEESG_SI_NS1_21upper_bound_search_opENS9_16wrapped_functionINS8_6system6detail7generic6detail18binary_search_lessEbEEEE10hipError_tPvRmT1_T2_T3_mmT4_T5_P12ihipStream_tbEUlRKfE_EESV_SZ_S10_mS11_S14_bEUlT_E_NS1_11comp_targetILNS1_3genE9ELNS1_11target_archE1100ELNS1_3gpuE3ELNS1_3repE0EEENS1_30default_config_static_selectorELNS0_4arch9wavefront6targetE1EEEvSY_.private_seg_size, 0
	.set _ZN7rocprim17ROCPRIM_400000_NS6detail17trampoline_kernelINS0_14default_configENS1_27upper_bound_config_selectorIflEEZNS1_14transform_implILb0ES3_S5_N6thrust23THRUST_200600_302600_NS6detail15normal_iteratorINS8_7pointerIfNS8_11hip_rocprim16par_det_nosync_tENS8_11use_defaultESE_EEEENSA_INSB_IlSD_SE_SE_EEEEZNS1_13binary_searchIS3_S5_NSA_INS8_10device_ptrIfEEEESG_SI_NS1_21upper_bound_search_opENS9_16wrapped_functionINS8_6system6detail7generic6detail18binary_search_lessEbEEEE10hipError_tPvRmT1_T2_T3_mmT4_T5_P12ihipStream_tbEUlRKfE_EESV_SZ_S10_mS11_S14_bEUlT_E_NS1_11comp_targetILNS1_3genE9ELNS1_11target_archE1100ELNS1_3gpuE3ELNS1_3repE0EEENS1_30default_config_static_selectorELNS0_4arch9wavefront6targetE1EEEvSY_.uses_vcc, 0
	.set _ZN7rocprim17ROCPRIM_400000_NS6detail17trampoline_kernelINS0_14default_configENS1_27upper_bound_config_selectorIflEEZNS1_14transform_implILb0ES3_S5_N6thrust23THRUST_200600_302600_NS6detail15normal_iteratorINS8_7pointerIfNS8_11hip_rocprim16par_det_nosync_tENS8_11use_defaultESE_EEEENSA_INSB_IlSD_SE_SE_EEEEZNS1_13binary_searchIS3_S5_NSA_INS8_10device_ptrIfEEEESG_SI_NS1_21upper_bound_search_opENS9_16wrapped_functionINS8_6system6detail7generic6detail18binary_search_lessEbEEEE10hipError_tPvRmT1_T2_T3_mmT4_T5_P12ihipStream_tbEUlRKfE_EESV_SZ_S10_mS11_S14_bEUlT_E_NS1_11comp_targetILNS1_3genE9ELNS1_11target_archE1100ELNS1_3gpuE3ELNS1_3repE0EEENS1_30default_config_static_selectorELNS0_4arch9wavefront6targetE1EEEvSY_.uses_flat_scratch, 0
	.set _ZN7rocprim17ROCPRIM_400000_NS6detail17trampoline_kernelINS0_14default_configENS1_27upper_bound_config_selectorIflEEZNS1_14transform_implILb0ES3_S5_N6thrust23THRUST_200600_302600_NS6detail15normal_iteratorINS8_7pointerIfNS8_11hip_rocprim16par_det_nosync_tENS8_11use_defaultESE_EEEENSA_INSB_IlSD_SE_SE_EEEEZNS1_13binary_searchIS3_S5_NSA_INS8_10device_ptrIfEEEESG_SI_NS1_21upper_bound_search_opENS9_16wrapped_functionINS8_6system6detail7generic6detail18binary_search_lessEbEEEE10hipError_tPvRmT1_T2_T3_mmT4_T5_P12ihipStream_tbEUlRKfE_EESV_SZ_S10_mS11_S14_bEUlT_E_NS1_11comp_targetILNS1_3genE9ELNS1_11target_archE1100ELNS1_3gpuE3ELNS1_3repE0EEENS1_30default_config_static_selectorELNS0_4arch9wavefront6targetE1EEEvSY_.has_dyn_sized_stack, 0
	.set _ZN7rocprim17ROCPRIM_400000_NS6detail17trampoline_kernelINS0_14default_configENS1_27upper_bound_config_selectorIflEEZNS1_14transform_implILb0ES3_S5_N6thrust23THRUST_200600_302600_NS6detail15normal_iteratorINS8_7pointerIfNS8_11hip_rocprim16par_det_nosync_tENS8_11use_defaultESE_EEEENSA_INSB_IlSD_SE_SE_EEEEZNS1_13binary_searchIS3_S5_NSA_INS8_10device_ptrIfEEEESG_SI_NS1_21upper_bound_search_opENS9_16wrapped_functionINS8_6system6detail7generic6detail18binary_search_lessEbEEEE10hipError_tPvRmT1_T2_T3_mmT4_T5_P12ihipStream_tbEUlRKfE_EESV_SZ_S10_mS11_S14_bEUlT_E_NS1_11comp_targetILNS1_3genE9ELNS1_11target_archE1100ELNS1_3gpuE3ELNS1_3repE0EEENS1_30default_config_static_selectorELNS0_4arch9wavefront6targetE1EEEvSY_.has_recursion, 0
	.set _ZN7rocprim17ROCPRIM_400000_NS6detail17trampoline_kernelINS0_14default_configENS1_27upper_bound_config_selectorIflEEZNS1_14transform_implILb0ES3_S5_N6thrust23THRUST_200600_302600_NS6detail15normal_iteratorINS8_7pointerIfNS8_11hip_rocprim16par_det_nosync_tENS8_11use_defaultESE_EEEENSA_INSB_IlSD_SE_SE_EEEEZNS1_13binary_searchIS3_S5_NSA_INS8_10device_ptrIfEEEESG_SI_NS1_21upper_bound_search_opENS9_16wrapped_functionINS8_6system6detail7generic6detail18binary_search_lessEbEEEE10hipError_tPvRmT1_T2_T3_mmT4_T5_P12ihipStream_tbEUlRKfE_EESV_SZ_S10_mS11_S14_bEUlT_E_NS1_11comp_targetILNS1_3genE9ELNS1_11target_archE1100ELNS1_3gpuE3ELNS1_3repE0EEENS1_30default_config_static_selectorELNS0_4arch9wavefront6targetE1EEEvSY_.has_indirect_call, 0
	.section	.AMDGPU.csdata,"",@progbits
; Kernel info:
; codeLenInByte = 0
; TotalNumSgprs: 4
; NumVgprs: 0
; ScratchSize: 0
; MemoryBound: 0
; FloatMode: 240
; IeeeMode: 1
; LDSByteSize: 0 bytes/workgroup (compile time only)
; SGPRBlocks: 0
; VGPRBlocks: 0
; NumSGPRsForWavesPerEU: 4
; NumVGPRsForWavesPerEU: 1
; Occupancy: 10
; WaveLimiterHint : 0
; COMPUTE_PGM_RSRC2:SCRATCH_EN: 0
; COMPUTE_PGM_RSRC2:USER_SGPR: 6
; COMPUTE_PGM_RSRC2:TRAP_HANDLER: 0
; COMPUTE_PGM_RSRC2:TGID_X_EN: 1
; COMPUTE_PGM_RSRC2:TGID_Y_EN: 0
; COMPUTE_PGM_RSRC2:TGID_Z_EN: 0
; COMPUTE_PGM_RSRC2:TIDIG_COMP_CNT: 0
	.section	.text._ZN7rocprim17ROCPRIM_400000_NS6detail17trampoline_kernelINS0_14default_configENS1_27upper_bound_config_selectorIflEEZNS1_14transform_implILb0ES3_S5_N6thrust23THRUST_200600_302600_NS6detail15normal_iteratorINS8_7pointerIfNS8_11hip_rocprim16par_det_nosync_tENS8_11use_defaultESE_EEEENSA_INSB_IlSD_SE_SE_EEEEZNS1_13binary_searchIS3_S5_NSA_INS8_10device_ptrIfEEEESG_SI_NS1_21upper_bound_search_opENS9_16wrapped_functionINS8_6system6detail7generic6detail18binary_search_lessEbEEEE10hipError_tPvRmT1_T2_T3_mmT4_T5_P12ihipStream_tbEUlRKfE_EESV_SZ_S10_mS11_S14_bEUlT_E_NS1_11comp_targetILNS1_3genE8ELNS1_11target_archE1030ELNS1_3gpuE2ELNS1_3repE0EEENS1_30default_config_static_selectorELNS0_4arch9wavefront6targetE1EEEvSY_,"axG",@progbits,_ZN7rocprim17ROCPRIM_400000_NS6detail17trampoline_kernelINS0_14default_configENS1_27upper_bound_config_selectorIflEEZNS1_14transform_implILb0ES3_S5_N6thrust23THRUST_200600_302600_NS6detail15normal_iteratorINS8_7pointerIfNS8_11hip_rocprim16par_det_nosync_tENS8_11use_defaultESE_EEEENSA_INSB_IlSD_SE_SE_EEEEZNS1_13binary_searchIS3_S5_NSA_INS8_10device_ptrIfEEEESG_SI_NS1_21upper_bound_search_opENS9_16wrapped_functionINS8_6system6detail7generic6detail18binary_search_lessEbEEEE10hipError_tPvRmT1_T2_T3_mmT4_T5_P12ihipStream_tbEUlRKfE_EESV_SZ_S10_mS11_S14_bEUlT_E_NS1_11comp_targetILNS1_3genE8ELNS1_11target_archE1030ELNS1_3gpuE2ELNS1_3repE0EEENS1_30default_config_static_selectorELNS0_4arch9wavefront6targetE1EEEvSY_,comdat
	.protected	_ZN7rocprim17ROCPRIM_400000_NS6detail17trampoline_kernelINS0_14default_configENS1_27upper_bound_config_selectorIflEEZNS1_14transform_implILb0ES3_S5_N6thrust23THRUST_200600_302600_NS6detail15normal_iteratorINS8_7pointerIfNS8_11hip_rocprim16par_det_nosync_tENS8_11use_defaultESE_EEEENSA_INSB_IlSD_SE_SE_EEEEZNS1_13binary_searchIS3_S5_NSA_INS8_10device_ptrIfEEEESG_SI_NS1_21upper_bound_search_opENS9_16wrapped_functionINS8_6system6detail7generic6detail18binary_search_lessEbEEEE10hipError_tPvRmT1_T2_T3_mmT4_T5_P12ihipStream_tbEUlRKfE_EESV_SZ_S10_mS11_S14_bEUlT_E_NS1_11comp_targetILNS1_3genE8ELNS1_11target_archE1030ELNS1_3gpuE2ELNS1_3repE0EEENS1_30default_config_static_selectorELNS0_4arch9wavefront6targetE1EEEvSY_ ; -- Begin function _ZN7rocprim17ROCPRIM_400000_NS6detail17trampoline_kernelINS0_14default_configENS1_27upper_bound_config_selectorIflEEZNS1_14transform_implILb0ES3_S5_N6thrust23THRUST_200600_302600_NS6detail15normal_iteratorINS8_7pointerIfNS8_11hip_rocprim16par_det_nosync_tENS8_11use_defaultESE_EEEENSA_INSB_IlSD_SE_SE_EEEEZNS1_13binary_searchIS3_S5_NSA_INS8_10device_ptrIfEEEESG_SI_NS1_21upper_bound_search_opENS9_16wrapped_functionINS8_6system6detail7generic6detail18binary_search_lessEbEEEE10hipError_tPvRmT1_T2_T3_mmT4_T5_P12ihipStream_tbEUlRKfE_EESV_SZ_S10_mS11_S14_bEUlT_E_NS1_11comp_targetILNS1_3genE8ELNS1_11target_archE1030ELNS1_3gpuE2ELNS1_3repE0EEENS1_30default_config_static_selectorELNS0_4arch9wavefront6targetE1EEEvSY_
	.globl	_ZN7rocprim17ROCPRIM_400000_NS6detail17trampoline_kernelINS0_14default_configENS1_27upper_bound_config_selectorIflEEZNS1_14transform_implILb0ES3_S5_N6thrust23THRUST_200600_302600_NS6detail15normal_iteratorINS8_7pointerIfNS8_11hip_rocprim16par_det_nosync_tENS8_11use_defaultESE_EEEENSA_INSB_IlSD_SE_SE_EEEEZNS1_13binary_searchIS3_S5_NSA_INS8_10device_ptrIfEEEESG_SI_NS1_21upper_bound_search_opENS9_16wrapped_functionINS8_6system6detail7generic6detail18binary_search_lessEbEEEE10hipError_tPvRmT1_T2_T3_mmT4_T5_P12ihipStream_tbEUlRKfE_EESV_SZ_S10_mS11_S14_bEUlT_E_NS1_11comp_targetILNS1_3genE8ELNS1_11target_archE1030ELNS1_3gpuE2ELNS1_3repE0EEENS1_30default_config_static_selectorELNS0_4arch9wavefront6targetE1EEEvSY_
	.p2align	8
	.type	_ZN7rocprim17ROCPRIM_400000_NS6detail17trampoline_kernelINS0_14default_configENS1_27upper_bound_config_selectorIflEEZNS1_14transform_implILb0ES3_S5_N6thrust23THRUST_200600_302600_NS6detail15normal_iteratorINS8_7pointerIfNS8_11hip_rocprim16par_det_nosync_tENS8_11use_defaultESE_EEEENSA_INSB_IlSD_SE_SE_EEEEZNS1_13binary_searchIS3_S5_NSA_INS8_10device_ptrIfEEEESG_SI_NS1_21upper_bound_search_opENS9_16wrapped_functionINS8_6system6detail7generic6detail18binary_search_lessEbEEEE10hipError_tPvRmT1_T2_T3_mmT4_T5_P12ihipStream_tbEUlRKfE_EESV_SZ_S10_mS11_S14_bEUlT_E_NS1_11comp_targetILNS1_3genE8ELNS1_11target_archE1030ELNS1_3gpuE2ELNS1_3repE0EEENS1_30default_config_static_selectorELNS0_4arch9wavefront6targetE1EEEvSY_,@function
_ZN7rocprim17ROCPRIM_400000_NS6detail17trampoline_kernelINS0_14default_configENS1_27upper_bound_config_selectorIflEEZNS1_14transform_implILb0ES3_S5_N6thrust23THRUST_200600_302600_NS6detail15normal_iteratorINS8_7pointerIfNS8_11hip_rocprim16par_det_nosync_tENS8_11use_defaultESE_EEEENSA_INSB_IlSD_SE_SE_EEEEZNS1_13binary_searchIS3_S5_NSA_INS8_10device_ptrIfEEEESG_SI_NS1_21upper_bound_search_opENS9_16wrapped_functionINS8_6system6detail7generic6detail18binary_search_lessEbEEEE10hipError_tPvRmT1_T2_T3_mmT4_T5_P12ihipStream_tbEUlRKfE_EESV_SZ_S10_mS11_S14_bEUlT_E_NS1_11comp_targetILNS1_3genE8ELNS1_11target_archE1030ELNS1_3gpuE2ELNS1_3repE0EEENS1_30default_config_static_selectorELNS0_4arch9wavefront6targetE1EEEvSY_: ; @_ZN7rocprim17ROCPRIM_400000_NS6detail17trampoline_kernelINS0_14default_configENS1_27upper_bound_config_selectorIflEEZNS1_14transform_implILb0ES3_S5_N6thrust23THRUST_200600_302600_NS6detail15normal_iteratorINS8_7pointerIfNS8_11hip_rocprim16par_det_nosync_tENS8_11use_defaultESE_EEEENSA_INSB_IlSD_SE_SE_EEEEZNS1_13binary_searchIS3_S5_NSA_INS8_10device_ptrIfEEEESG_SI_NS1_21upper_bound_search_opENS9_16wrapped_functionINS8_6system6detail7generic6detail18binary_search_lessEbEEEE10hipError_tPvRmT1_T2_T3_mmT4_T5_P12ihipStream_tbEUlRKfE_EESV_SZ_S10_mS11_S14_bEUlT_E_NS1_11comp_targetILNS1_3genE8ELNS1_11target_archE1030ELNS1_3gpuE2ELNS1_3repE0EEENS1_30default_config_static_selectorELNS0_4arch9wavefront6targetE1EEEvSY_
; %bb.0:
	.section	.rodata,"a",@progbits
	.p2align	6, 0x0
	.amdhsa_kernel _ZN7rocprim17ROCPRIM_400000_NS6detail17trampoline_kernelINS0_14default_configENS1_27upper_bound_config_selectorIflEEZNS1_14transform_implILb0ES3_S5_N6thrust23THRUST_200600_302600_NS6detail15normal_iteratorINS8_7pointerIfNS8_11hip_rocprim16par_det_nosync_tENS8_11use_defaultESE_EEEENSA_INSB_IlSD_SE_SE_EEEEZNS1_13binary_searchIS3_S5_NSA_INS8_10device_ptrIfEEEESG_SI_NS1_21upper_bound_search_opENS9_16wrapped_functionINS8_6system6detail7generic6detail18binary_search_lessEbEEEE10hipError_tPvRmT1_T2_T3_mmT4_T5_P12ihipStream_tbEUlRKfE_EESV_SZ_S10_mS11_S14_bEUlT_E_NS1_11comp_targetILNS1_3genE8ELNS1_11target_archE1030ELNS1_3gpuE2ELNS1_3repE0EEENS1_30default_config_static_selectorELNS0_4arch9wavefront6targetE1EEEvSY_
		.amdhsa_group_segment_fixed_size 0
		.amdhsa_private_segment_fixed_size 0
		.amdhsa_kernarg_size 56
		.amdhsa_user_sgpr_count 6
		.amdhsa_user_sgpr_private_segment_buffer 1
		.amdhsa_user_sgpr_dispatch_ptr 0
		.amdhsa_user_sgpr_queue_ptr 0
		.amdhsa_user_sgpr_kernarg_segment_ptr 1
		.amdhsa_user_sgpr_dispatch_id 0
		.amdhsa_user_sgpr_flat_scratch_init 0
		.amdhsa_user_sgpr_private_segment_size 0
		.amdhsa_uses_dynamic_stack 0
		.amdhsa_system_sgpr_private_segment_wavefront_offset 0
		.amdhsa_system_sgpr_workgroup_id_x 1
		.amdhsa_system_sgpr_workgroup_id_y 0
		.amdhsa_system_sgpr_workgroup_id_z 0
		.amdhsa_system_sgpr_workgroup_info 0
		.amdhsa_system_vgpr_workitem_id 0
		.amdhsa_next_free_vgpr 1
		.amdhsa_next_free_sgpr 0
		.amdhsa_reserve_vcc 0
		.amdhsa_reserve_flat_scratch 0
		.amdhsa_float_round_mode_32 0
		.amdhsa_float_round_mode_16_64 0
		.amdhsa_float_denorm_mode_32 3
		.amdhsa_float_denorm_mode_16_64 3
		.amdhsa_dx10_clamp 1
		.amdhsa_ieee_mode 1
		.amdhsa_fp16_overflow 0
		.amdhsa_exception_fp_ieee_invalid_op 0
		.amdhsa_exception_fp_denorm_src 0
		.amdhsa_exception_fp_ieee_div_zero 0
		.amdhsa_exception_fp_ieee_overflow 0
		.amdhsa_exception_fp_ieee_underflow 0
		.amdhsa_exception_fp_ieee_inexact 0
		.amdhsa_exception_int_div_zero 0
	.end_amdhsa_kernel
	.section	.text._ZN7rocprim17ROCPRIM_400000_NS6detail17trampoline_kernelINS0_14default_configENS1_27upper_bound_config_selectorIflEEZNS1_14transform_implILb0ES3_S5_N6thrust23THRUST_200600_302600_NS6detail15normal_iteratorINS8_7pointerIfNS8_11hip_rocprim16par_det_nosync_tENS8_11use_defaultESE_EEEENSA_INSB_IlSD_SE_SE_EEEEZNS1_13binary_searchIS3_S5_NSA_INS8_10device_ptrIfEEEESG_SI_NS1_21upper_bound_search_opENS9_16wrapped_functionINS8_6system6detail7generic6detail18binary_search_lessEbEEEE10hipError_tPvRmT1_T2_T3_mmT4_T5_P12ihipStream_tbEUlRKfE_EESV_SZ_S10_mS11_S14_bEUlT_E_NS1_11comp_targetILNS1_3genE8ELNS1_11target_archE1030ELNS1_3gpuE2ELNS1_3repE0EEENS1_30default_config_static_selectorELNS0_4arch9wavefront6targetE1EEEvSY_,"axG",@progbits,_ZN7rocprim17ROCPRIM_400000_NS6detail17trampoline_kernelINS0_14default_configENS1_27upper_bound_config_selectorIflEEZNS1_14transform_implILb0ES3_S5_N6thrust23THRUST_200600_302600_NS6detail15normal_iteratorINS8_7pointerIfNS8_11hip_rocprim16par_det_nosync_tENS8_11use_defaultESE_EEEENSA_INSB_IlSD_SE_SE_EEEEZNS1_13binary_searchIS3_S5_NSA_INS8_10device_ptrIfEEEESG_SI_NS1_21upper_bound_search_opENS9_16wrapped_functionINS8_6system6detail7generic6detail18binary_search_lessEbEEEE10hipError_tPvRmT1_T2_T3_mmT4_T5_P12ihipStream_tbEUlRKfE_EESV_SZ_S10_mS11_S14_bEUlT_E_NS1_11comp_targetILNS1_3genE8ELNS1_11target_archE1030ELNS1_3gpuE2ELNS1_3repE0EEENS1_30default_config_static_selectorELNS0_4arch9wavefront6targetE1EEEvSY_,comdat
.Lfunc_end517:
	.size	_ZN7rocprim17ROCPRIM_400000_NS6detail17trampoline_kernelINS0_14default_configENS1_27upper_bound_config_selectorIflEEZNS1_14transform_implILb0ES3_S5_N6thrust23THRUST_200600_302600_NS6detail15normal_iteratorINS8_7pointerIfNS8_11hip_rocprim16par_det_nosync_tENS8_11use_defaultESE_EEEENSA_INSB_IlSD_SE_SE_EEEEZNS1_13binary_searchIS3_S5_NSA_INS8_10device_ptrIfEEEESG_SI_NS1_21upper_bound_search_opENS9_16wrapped_functionINS8_6system6detail7generic6detail18binary_search_lessEbEEEE10hipError_tPvRmT1_T2_T3_mmT4_T5_P12ihipStream_tbEUlRKfE_EESV_SZ_S10_mS11_S14_bEUlT_E_NS1_11comp_targetILNS1_3genE8ELNS1_11target_archE1030ELNS1_3gpuE2ELNS1_3repE0EEENS1_30default_config_static_selectorELNS0_4arch9wavefront6targetE1EEEvSY_, .Lfunc_end517-_ZN7rocprim17ROCPRIM_400000_NS6detail17trampoline_kernelINS0_14default_configENS1_27upper_bound_config_selectorIflEEZNS1_14transform_implILb0ES3_S5_N6thrust23THRUST_200600_302600_NS6detail15normal_iteratorINS8_7pointerIfNS8_11hip_rocprim16par_det_nosync_tENS8_11use_defaultESE_EEEENSA_INSB_IlSD_SE_SE_EEEEZNS1_13binary_searchIS3_S5_NSA_INS8_10device_ptrIfEEEESG_SI_NS1_21upper_bound_search_opENS9_16wrapped_functionINS8_6system6detail7generic6detail18binary_search_lessEbEEEE10hipError_tPvRmT1_T2_T3_mmT4_T5_P12ihipStream_tbEUlRKfE_EESV_SZ_S10_mS11_S14_bEUlT_E_NS1_11comp_targetILNS1_3genE8ELNS1_11target_archE1030ELNS1_3gpuE2ELNS1_3repE0EEENS1_30default_config_static_selectorELNS0_4arch9wavefront6targetE1EEEvSY_
                                        ; -- End function
	.set _ZN7rocprim17ROCPRIM_400000_NS6detail17trampoline_kernelINS0_14default_configENS1_27upper_bound_config_selectorIflEEZNS1_14transform_implILb0ES3_S5_N6thrust23THRUST_200600_302600_NS6detail15normal_iteratorINS8_7pointerIfNS8_11hip_rocprim16par_det_nosync_tENS8_11use_defaultESE_EEEENSA_INSB_IlSD_SE_SE_EEEEZNS1_13binary_searchIS3_S5_NSA_INS8_10device_ptrIfEEEESG_SI_NS1_21upper_bound_search_opENS9_16wrapped_functionINS8_6system6detail7generic6detail18binary_search_lessEbEEEE10hipError_tPvRmT1_T2_T3_mmT4_T5_P12ihipStream_tbEUlRKfE_EESV_SZ_S10_mS11_S14_bEUlT_E_NS1_11comp_targetILNS1_3genE8ELNS1_11target_archE1030ELNS1_3gpuE2ELNS1_3repE0EEENS1_30default_config_static_selectorELNS0_4arch9wavefront6targetE1EEEvSY_.num_vgpr, 0
	.set _ZN7rocprim17ROCPRIM_400000_NS6detail17trampoline_kernelINS0_14default_configENS1_27upper_bound_config_selectorIflEEZNS1_14transform_implILb0ES3_S5_N6thrust23THRUST_200600_302600_NS6detail15normal_iteratorINS8_7pointerIfNS8_11hip_rocprim16par_det_nosync_tENS8_11use_defaultESE_EEEENSA_INSB_IlSD_SE_SE_EEEEZNS1_13binary_searchIS3_S5_NSA_INS8_10device_ptrIfEEEESG_SI_NS1_21upper_bound_search_opENS9_16wrapped_functionINS8_6system6detail7generic6detail18binary_search_lessEbEEEE10hipError_tPvRmT1_T2_T3_mmT4_T5_P12ihipStream_tbEUlRKfE_EESV_SZ_S10_mS11_S14_bEUlT_E_NS1_11comp_targetILNS1_3genE8ELNS1_11target_archE1030ELNS1_3gpuE2ELNS1_3repE0EEENS1_30default_config_static_selectorELNS0_4arch9wavefront6targetE1EEEvSY_.num_agpr, 0
	.set _ZN7rocprim17ROCPRIM_400000_NS6detail17trampoline_kernelINS0_14default_configENS1_27upper_bound_config_selectorIflEEZNS1_14transform_implILb0ES3_S5_N6thrust23THRUST_200600_302600_NS6detail15normal_iteratorINS8_7pointerIfNS8_11hip_rocprim16par_det_nosync_tENS8_11use_defaultESE_EEEENSA_INSB_IlSD_SE_SE_EEEEZNS1_13binary_searchIS3_S5_NSA_INS8_10device_ptrIfEEEESG_SI_NS1_21upper_bound_search_opENS9_16wrapped_functionINS8_6system6detail7generic6detail18binary_search_lessEbEEEE10hipError_tPvRmT1_T2_T3_mmT4_T5_P12ihipStream_tbEUlRKfE_EESV_SZ_S10_mS11_S14_bEUlT_E_NS1_11comp_targetILNS1_3genE8ELNS1_11target_archE1030ELNS1_3gpuE2ELNS1_3repE0EEENS1_30default_config_static_selectorELNS0_4arch9wavefront6targetE1EEEvSY_.numbered_sgpr, 0
	.set _ZN7rocprim17ROCPRIM_400000_NS6detail17trampoline_kernelINS0_14default_configENS1_27upper_bound_config_selectorIflEEZNS1_14transform_implILb0ES3_S5_N6thrust23THRUST_200600_302600_NS6detail15normal_iteratorINS8_7pointerIfNS8_11hip_rocprim16par_det_nosync_tENS8_11use_defaultESE_EEEENSA_INSB_IlSD_SE_SE_EEEEZNS1_13binary_searchIS3_S5_NSA_INS8_10device_ptrIfEEEESG_SI_NS1_21upper_bound_search_opENS9_16wrapped_functionINS8_6system6detail7generic6detail18binary_search_lessEbEEEE10hipError_tPvRmT1_T2_T3_mmT4_T5_P12ihipStream_tbEUlRKfE_EESV_SZ_S10_mS11_S14_bEUlT_E_NS1_11comp_targetILNS1_3genE8ELNS1_11target_archE1030ELNS1_3gpuE2ELNS1_3repE0EEENS1_30default_config_static_selectorELNS0_4arch9wavefront6targetE1EEEvSY_.num_named_barrier, 0
	.set _ZN7rocprim17ROCPRIM_400000_NS6detail17trampoline_kernelINS0_14default_configENS1_27upper_bound_config_selectorIflEEZNS1_14transform_implILb0ES3_S5_N6thrust23THRUST_200600_302600_NS6detail15normal_iteratorINS8_7pointerIfNS8_11hip_rocprim16par_det_nosync_tENS8_11use_defaultESE_EEEENSA_INSB_IlSD_SE_SE_EEEEZNS1_13binary_searchIS3_S5_NSA_INS8_10device_ptrIfEEEESG_SI_NS1_21upper_bound_search_opENS9_16wrapped_functionINS8_6system6detail7generic6detail18binary_search_lessEbEEEE10hipError_tPvRmT1_T2_T3_mmT4_T5_P12ihipStream_tbEUlRKfE_EESV_SZ_S10_mS11_S14_bEUlT_E_NS1_11comp_targetILNS1_3genE8ELNS1_11target_archE1030ELNS1_3gpuE2ELNS1_3repE0EEENS1_30default_config_static_selectorELNS0_4arch9wavefront6targetE1EEEvSY_.private_seg_size, 0
	.set _ZN7rocprim17ROCPRIM_400000_NS6detail17trampoline_kernelINS0_14default_configENS1_27upper_bound_config_selectorIflEEZNS1_14transform_implILb0ES3_S5_N6thrust23THRUST_200600_302600_NS6detail15normal_iteratorINS8_7pointerIfNS8_11hip_rocprim16par_det_nosync_tENS8_11use_defaultESE_EEEENSA_INSB_IlSD_SE_SE_EEEEZNS1_13binary_searchIS3_S5_NSA_INS8_10device_ptrIfEEEESG_SI_NS1_21upper_bound_search_opENS9_16wrapped_functionINS8_6system6detail7generic6detail18binary_search_lessEbEEEE10hipError_tPvRmT1_T2_T3_mmT4_T5_P12ihipStream_tbEUlRKfE_EESV_SZ_S10_mS11_S14_bEUlT_E_NS1_11comp_targetILNS1_3genE8ELNS1_11target_archE1030ELNS1_3gpuE2ELNS1_3repE0EEENS1_30default_config_static_selectorELNS0_4arch9wavefront6targetE1EEEvSY_.uses_vcc, 0
	.set _ZN7rocprim17ROCPRIM_400000_NS6detail17trampoline_kernelINS0_14default_configENS1_27upper_bound_config_selectorIflEEZNS1_14transform_implILb0ES3_S5_N6thrust23THRUST_200600_302600_NS6detail15normal_iteratorINS8_7pointerIfNS8_11hip_rocprim16par_det_nosync_tENS8_11use_defaultESE_EEEENSA_INSB_IlSD_SE_SE_EEEEZNS1_13binary_searchIS3_S5_NSA_INS8_10device_ptrIfEEEESG_SI_NS1_21upper_bound_search_opENS9_16wrapped_functionINS8_6system6detail7generic6detail18binary_search_lessEbEEEE10hipError_tPvRmT1_T2_T3_mmT4_T5_P12ihipStream_tbEUlRKfE_EESV_SZ_S10_mS11_S14_bEUlT_E_NS1_11comp_targetILNS1_3genE8ELNS1_11target_archE1030ELNS1_3gpuE2ELNS1_3repE0EEENS1_30default_config_static_selectorELNS0_4arch9wavefront6targetE1EEEvSY_.uses_flat_scratch, 0
	.set _ZN7rocprim17ROCPRIM_400000_NS6detail17trampoline_kernelINS0_14default_configENS1_27upper_bound_config_selectorIflEEZNS1_14transform_implILb0ES3_S5_N6thrust23THRUST_200600_302600_NS6detail15normal_iteratorINS8_7pointerIfNS8_11hip_rocprim16par_det_nosync_tENS8_11use_defaultESE_EEEENSA_INSB_IlSD_SE_SE_EEEEZNS1_13binary_searchIS3_S5_NSA_INS8_10device_ptrIfEEEESG_SI_NS1_21upper_bound_search_opENS9_16wrapped_functionINS8_6system6detail7generic6detail18binary_search_lessEbEEEE10hipError_tPvRmT1_T2_T3_mmT4_T5_P12ihipStream_tbEUlRKfE_EESV_SZ_S10_mS11_S14_bEUlT_E_NS1_11comp_targetILNS1_3genE8ELNS1_11target_archE1030ELNS1_3gpuE2ELNS1_3repE0EEENS1_30default_config_static_selectorELNS0_4arch9wavefront6targetE1EEEvSY_.has_dyn_sized_stack, 0
	.set _ZN7rocprim17ROCPRIM_400000_NS6detail17trampoline_kernelINS0_14default_configENS1_27upper_bound_config_selectorIflEEZNS1_14transform_implILb0ES3_S5_N6thrust23THRUST_200600_302600_NS6detail15normal_iteratorINS8_7pointerIfNS8_11hip_rocprim16par_det_nosync_tENS8_11use_defaultESE_EEEENSA_INSB_IlSD_SE_SE_EEEEZNS1_13binary_searchIS3_S5_NSA_INS8_10device_ptrIfEEEESG_SI_NS1_21upper_bound_search_opENS9_16wrapped_functionINS8_6system6detail7generic6detail18binary_search_lessEbEEEE10hipError_tPvRmT1_T2_T3_mmT4_T5_P12ihipStream_tbEUlRKfE_EESV_SZ_S10_mS11_S14_bEUlT_E_NS1_11comp_targetILNS1_3genE8ELNS1_11target_archE1030ELNS1_3gpuE2ELNS1_3repE0EEENS1_30default_config_static_selectorELNS0_4arch9wavefront6targetE1EEEvSY_.has_recursion, 0
	.set _ZN7rocprim17ROCPRIM_400000_NS6detail17trampoline_kernelINS0_14default_configENS1_27upper_bound_config_selectorIflEEZNS1_14transform_implILb0ES3_S5_N6thrust23THRUST_200600_302600_NS6detail15normal_iteratorINS8_7pointerIfNS8_11hip_rocprim16par_det_nosync_tENS8_11use_defaultESE_EEEENSA_INSB_IlSD_SE_SE_EEEEZNS1_13binary_searchIS3_S5_NSA_INS8_10device_ptrIfEEEESG_SI_NS1_21upper_bound_search_opENS9_16wrapped_functionINS8_6system6detail7generic6detail18binary_search_lessEbEEEE10hipError_tPvRmT1_T2_T3_mmT4_T5_P12ihipStream_tbEUlRKfE_EESV_SZ_S10_mS11_S14_bEUlT_E_NS1_11comp_targetILNS1_3genE8ELNS1_11target_archE1030ELNS1_3gpuE2ELNS1_3repE0EEENS1_30default_config_static_selectorELNS0_4arch9wavefront6targetE1EEEvSY_.has_indirect_call, 0
	.section	.AMDGPU.csdata,"",@progbits
; Kernel info:
; codeLenInByte = 0
; TotalNumSgprs: 4
; NumVgprs: 0
; ScratchSize: 0
; MemoryBound: 0
; FloatMode: 240
; IeeeMode: 1
; LDSByteSize: 0 bytes/workgroup (compile time only)
; SGPRBlocks: 0
; VGPRBlocks: 0
; NumSGPRsForWavesPerEU: 4
; NumVGPRsForWavesPerEU: 1
; Occupancy: 10
; WaveLimiterHint : 0
; COMPUTE_PGM_RSRC2:SCRATCH_EN: 0
; COMPUTE_PGM_RSRC2:USER_SGPR: 6
; COMPUTE_PGM_RSRC2:TRAP_HANDLER: 0
; COMPUTE_PGM_RSRC2:TGID_X_EN: 1
; COMPUTE_PGM_RSRC2:TGID_Y_EN: 0
; COMPUTE_PGM_RSRC2:TGID_Z_EN: 0
; COMPUTE_PGM_RSRC2:TIDIG_COMP_CNT: 0
	.section	.text._ZN7rocprim17ROCPRIM_400000_NS6detail17trampoline_kernelINS0_14default_configENS1_27upper_bound_config_selectorIflEEZNS1_14transform_implILb0ES3_S5_N6thrust23THRUST_200600_302600_NS6detail15normal_iteratorINS8_7pointerIfNS8_11hip_rocprim9par_det_tENS8_11use_defaultESE_EEEENSA_INSB_IlSD_SE_SE_EEEEZNS1_13binary_searchIS3_S5_NSA_INS8_10device_ptrIfEEEESG_SI_NS1_21upper_bound_search_opENS9_16wrapped_functionINS8_6system6detail7generic6detail18binary_search_lessEbEEEE10hipError_tPvRmT1_T2_T3_mmT4_T5_P12ihipStream_tbEUlRKfE_EESV_SZ_S10_mS11_S14_bEUlT_E_NS1_11comp_targetILNS1_3genE0ELNS1_11target_archE4294967295ELNS1_3gpuE0ELNS1_3repE0EEENS1_30default_config_static_selectorELNS0_4arch9wavefront6targetE1EEEvSY_,"axG",@progbits,_ZN7rocprim17ROCPRIM_400000_NS6detail17trampoline_kernelINS0_14default_configENS1_27upper_bound_config_selectorIflEEZNS1_14transform_implILb0ES3_S5_N6thrust23THRUST_200600_302600_NS6detail15normal_iteratorINS8_7pointerIfNS8_11hip_rocprim9par_det_tENS8_11use_defaultESE_EEEENSA_INSB_IlSD_SE_SE_EEEEZNS1_13binary_searchIS3_S5_NSA_INS8_10device_ptrIfEEEESG_SI_NS1_21upper_bound_search_opENS9_16wrapped_functionINS8_6system6detail7generic6detail18binary_search_lessEbEEEE10hipError_tPvRmT1_T2_T3_mmT4_T5_P12ihipStream_tbEUlRKfE_EESV_SZ_S10_mS11_S14_bEUlT_E_NS1_11comp_targetILNS1_3genE0ELNS1_11target_archE4294967295ELNS1_3gpuE0ELNS1_3repE0EEENS1_30default_config_static_selectorELNS0_4arch9wavefront6targetE1EEEvSY_,comdat
	.protected	_ZN7rocprim17ROCPRIM_400000_NS6detail17trampoline_kernelINS0_14default_configENS1_27upper_bound_config_selectorIflEEZNS1_14transform_implILb0ES3_S5_N6thrust23THRUST_200600_302600_NS6detail15normal_iteratorINS8_7pointerIfNS8_11hip_rocprim9par_det_tENS8_11use_defaultESE_EEEENSA_INSB_IlSD_SE_SE_EEEEZNS1_13binary_searchIS3_S5_NSA_INS8_10device_ptrIfEEEESG_SI_NS1_21upper_bound_search_opENS9_16wrapped_functionINS8_6system6detail7generic6detail18binary_search_lessEbEEEE10hipError_tPvRmT1_T2_T3_mmT4_T5_P12ihipStream_tbEUlRKfE_EESV_SZ_S10_mS11_S14_bEUlT_E_NS1_11comp_targetILNS1_3genE0ELNS1_11target_archE4294967295ELNS1_3gpuE0ELNS1_3repE0EEENS1_30default_config_static_selectorELNS0_4arch9wavefront6targetE1EEEvSY_ ; -- Begin function _ZN7rocprim17ROCPRIM_400000_NS6detail17trampoline_kernelINS0_14default_configENS1_27upper_bound_config_selectorIflEEZNS1_14transform_implILb0ES3_S5_N6thrust23THRUST_200600_302600_NS6detail15normal_iteratorINS8_7pointerIfNS8_11hip_rocprim9par_det_tENS8_11use_defaultESE_EEEENSA_INSB_IlSD_SE_SE_EEEEZNS1_13binary_searchIS3_S5_NSA_INS8_10device_ptrIfEEEESG_SI_NS1_21upper_bound_search_opENS9_16wrapped_functionINS8_6system6detail7generic6detail18binary_search_lessEbEEEE10hipError_tPvRmT1_T2_T3_mmT4_T5_P12ihipStream_tbEUlRKfE_EESV_SZ_S10_mS11_S14_bEUlT_E_NS1_11comp_targetILNS1_3genE0ELNS1_11target_archE4294967295ELNS1_3gpuE0ELNS1_3repE0EEENS1_30default_config_static_selectorELNS0_4arch9wavefront6targetE1EEEvSY_
	.globl	_ZN7rocprim17ROCPRIM_400000_NS6detail17trampoline_kernelINS0_14default_configENS1_27upper_bound_config_selectorIflEEZNS1_14transform_implILb0ES3_S5_N6thrust23THRUST_200600_302600_NS6detail15normal_iteratorINS8_7pointerIfNS8_11hip_rocprim9par_det_tENS8_11use_defaultESE_EEEENSA_INSB_IlSD_SE_SE_EEEEZNS1_13binary_searchIS3_S5_NSA_INS8_10device_ptrIfEEEESG_SI_NS1_21upper_bound_search_opENS9_16wrapped_functionINS8_6system6detail7generic6detail18binary_search_lessEbEEEE10hipError_tPvRmT1_T2_T3_mmT4_T5_P12ihipStream_tbEUlRKfE_EESV_SZ_S10_mS11_S14_bEUlT_E_NS1_11comp_targetILNS1_3genE0ELNS1_11target_archE4294967295ELNS1_3gpuE0ELNS1_3repE0EEENS1_30default_config_static_selectorELNS0_4arch9wavefront6targetE1EEEvSY_
	.p2align	8
	.type	_ZN7rocprim17ROCPRIM_400000_NS6detail17trampoline_kernelINS0_14default_configENS1_27upper_bound_config_selectorIflEEZNS1_14transform_implILb0ES3_S5_N6thrust23THRUST_200600_302600_NS6detail15normal_iteratorINS8_7pointerIfNS8_11hip_rocprim9par_det_tENS8_11use_defaultESE_EEEENSA_INSB_IlSD_SE_SE_EEEEZNS1_13binary_searchIS3_S5_NSA_INS8_10device_ptrIfEEEESG_SI_NS1_21upper_bound_search_opENS9_16wrapped_functionINS8_6system6detail7generic6detail18binary_search_lessEbEEEE10hipError_tPvRmT1_T2_T3_mmT4_T5_P12ihipStream_tbEUlRKfE_EESV_SZ_S10_mS11_S14_bEUlT_E_NS1_11comp_targetILNS1_3genE0ELNS1_11target_archE4294967295ELNS1_3gpuE0ELNS1_3repE0EEENS1_30default_config_static_selectorELNS0_4arch9wavefront6targetE1EEEvSY_,@function
_ZN7rocprim17ROCPRIM_400000_NS6detail17trampoline_kernelINS0_14default_configENS1_27upper_bound_config_selectorIflEEZNS1_14transform_implILb0ES3_S5_N6thrust23THRUST_200600_302600_NS6detail15normal_iteratorINS8_7pointerIfNS8_11hip_rocprim9par_det_tENS8_11use_defaultESE_EEEENSA_INSB_IlSD_SE_SE_EEEEZNS1_13binary_searchIS3_S5_NSA_INS8_10device_ptrIfEEEESG_SI_NS1_21upper_bound_search_opENS9_16wrapped_functionINS8_6system6detail7generic6detail18binary_search_lessEbEEEE10hipError_tPvRmT1_T2_T3_mmT4_T5_P12ihipStream_tbEUlRKfE_EESV_SZ_S10_mS11_S14_bEUlT_E_NS1_11comp_targetILNS1_3genE0ELNS1_11target_archE4294967295ELNS1_3gpuE0ELNS1_3repE0EEENS1_30default_config_static_selectorELNS0_4arch9wavefront6targetE1EEEvSY_: ; @_ZN7rocprim17ROCPRIM_400000_NS6detail17trampoline_kernelINS0_14default_configENS1_27upper_bound_config_selectorIflEEZNS1_14transform_implILb0ES3_S5_N6thrust23THRUST_200600_302600_NS6detail15normal_iteratorINS8_7pointerIfNS8_11hip_rocprim9par_det_tENS8_11use_defaultESE_EEEENSA_INSB_IlSD_SE_SE_EEEEZNS1_13binary_searchIS3_S5_NSA_INS8_10device_ptrIfEEEESG_SI_NS1_21upper_bound_search_opENS9_16wrapped_functionINS8_6system6detail7generic6detail18binary_search_lessEbEEEE10hipError_tPvRmT1_T2_T3_mmT4_T5_P12ihipStream_tbEUlRKfE_EESV_SZ_S10_mS11_S14_bEUlT_E_NS1_11comp_targetILNS1_3genE0ELNS1_11target_archE4294967295ELNS1_3gpuE0ELNS1_3repE0EEENS1_30default_config_static_selectorELNS0_4arch9wavefront6targetE1EEEvSY_
; %bb.0:
	.section	.rodata,"a",@progbits
	.p2align	6, 0x0
	.amdhsa_kernel _ZN7rocprim17ROCPRIM_400000_NS6detail17trampoline_kernelINS0_14default_configENS1_27upper_bound_config_selectorIflEEZNS1_14transform_implILb0ES3_S5_N6thrust23THRUST_200600_302600_NS6detail15normal_iteratorINS8_7pointerIfNS8_11hip_rocprim9par_det_tENS8_11use_defaultESE_EEEENSA_INSB_IlSD_SE_SE_EEEEZNS1_13binary_searchIS3_S5_NSA_INS8_10device_ptrIfEEEESG_SI_NS1_21upper_bound_search_opENS9_16wrapped_functionINS8_6system6detail7generic6detail18binary_search_lessEbEEEE10hipError_tPvRmT1_T2_T3_mmT4_T5_P12ihipStream_tbEUlRKfE_EESV_SZ_S10_mS11_S14_bEUlT_E_NS1_11comp_targetILNS1_3genE0ELNS1_11target_archE4294967295ELNS1_3gpuE0ELNS1_3repE0EEENS1_30default_config_static_selectorELNS0_4arch9wavefront6targetE1EEEvSY_
		.amdhsa_group_segment_fixed_size 0
		.amdhsa_private_segment_fixed_size 0
		.amdhsa_kernarg_size 56
		.amdhsa_user_sgpr_count 6
		.amdhsa_user_sgpr_private_segment_buffer 1
		.amdhsa_user_sgpr_dispatch_ptr 0
		.amdhsa_user_sgpr_queue_ptr 0
		.amdhsa_user_sgpr_kernarg_segment_ptr 1
		.amdhsa_user_sgpr_dispatch_id 0
		.amdhsa_user_sgpr_flat_scratch_init 0
		.amdhsa_user_sgpr_private_segment_size 0
		.amdhsa_uses_dynamic_stack 0
		.amdhsa_system_sgpr_private_segment_wavefront_offset 0
		.amdhsa_system_sgpr_workgroup_id_x 1
		.amdhsa_system_sgpr_workgroup_id_y 0
		.amdhsa_system_sgpr_workgroup_id_z 0
		.amdhsa_system_sgpr_workgroup_info 0
		.amdhsa_system_vgpr_workitem_id 0
		.amdhsa_next_free_vgpr 1
		.amdhsa_next_free_sgpr 0
		.amdhsa_reserve_vcc 0
		.amdhsa_reserve_flat_scratch 0
		.amdhsa_float_round_mode_32 0
		.amdhsa_float_round_mode_16_64 0
		.amdhsa_float_denorm_mode_32 3
		.amdhsa_float_denorm_mode_16_64 3
		.amdhsa_dx10_clamp 1
		.amdhsa_ieee_mode 1
		.amdhsa_fp16_overflow 0
		.amdhsa_exception_fp_ieee_invalid_op 0
		.amdhsa_exception_fp_denorm_src 0
		.amdhsa_exception_fp_ieee_div_zero 0
		.amdhsa_exception_fp_ieee_overflow 0
		.amdhsa_exception_fp_ieee_underflow 0
		.amdhsa_exception_fp_ieee_inexact 0
		.amdhsa_exception_int_div_zero 0
	.end_amdhsa_kernel
	.section	.text._ZN7rocprim17ROCPRIM_400000_NS6detail17trampoline_kernelINS0_14default_configENS1_27upper_bound_config_selectorIflEEZNS1_14transform_implILb0ES3_S5_N6thrust23THRUST_200600_302600_NS6detail15normal_iteratorINS8_7pointerIfNS8_11hip_rocprim9par_det_tENS8_11use_defaultESE_EEEENSA_INSB_IlSD_SE_SE_EEEEZNS1_13binary_searchIS3_S5_NSA_INS8_10device_ptrIfEEEESG_SI_NS1_21upper_bound_search_opENS9_16wrapped_functionINS8_6system6detail7generic6detail18binary_search_lessEbEEEE10hipError_tPvRmT1_T2_T3_mmT4_T5_P12ihipStream_tbEUlRKfE_EESV_SZ_S10_mS11_S14_bEUlT_E_NS1_11comp_targetILNS1_3genE0ELNS1_11target_archE4294967295ELNS1_3gpuE0ELNS1_3repE0EEENS1_30default_config_static_selectorELNS0_4arch9wavefront6targetE1EEEvSY_,"axG",@progbits,_ZN7rocprim17ROCPRIM_400000_NS6detail17trampoline_kernelINS0_14default_configENS1_27upper_bound_config_selectorIflEEZNS1_14transform_implILb0ES3_S5_N6thrust23THRUST_200600_302600_NS6detail15normal_iteratorINS8_7pointerIfNS8_11hip_rocprim9par_det_tENS8_11use_defaultESE_EEEENSA_INSB_IlSD_SE_SE_EEEEZNS1_13binary_searchIS3_S5_NSA_INS8_10device_ptrIfEEEESG_SI_NS1_21upper_bound_search_opENS9_16wrapped_functionINS8_6system6detail7generic6detail18binary_search_lessEbEEEE10hipError_tPvRmT1_T2_T3_mmT4_T5_P12ihipStream_tbEUlRKfE_EESV_SZ_S10_mS11_S14_bEUlT_E_NS1_11comp_targetILNS1_3genE0ELNS1_11target_archE4294967295ELNS1_3gpuE0ELNS1_3repE0EEENS1_30default_config_static_selectorELNS0_4arch9wavefront6targetE1EEEvSY_,comdat
.Lfunc_end518:
	.size	_ZN7rocprim17ROCPRIM_400000_NS6detail17trampoline_kernelINS0_14default_configENS1_27upper_bound_config_selectorIflEEZNS1_14transform_implILb0ES3_S5_N6thrust23THRUST_200600_302600_NS6detail15normal_iteratorINS8_7pointerIfNS8_11hip_rocprim9par_det_tENS8_11use_defaultESE_EEEENSA_INSB_IlSD_SE_SE_EEEEZNS1_13binary_searchIS3_S5_NSA_INS8_10device_ptrIfEEEESG_SI_NS1_21upper_bound_search_opENS9_16wrapped_functionINS8_6system6detail7generic6detail18binary_search_lessEbEEEE10hipError_tPvRmT1_T2_T3_mmT4_T5_P12ihipStream_tbEUlRKfE_EESV_SZ_S10_mS11_S14_bEUlT_E_NS1_11comp_targetILNS1_3genE0ELNS1_11target_archE4294967295ELNS1_3gpuE0ELNS1_3repE0EEENS1_30default_config_static_selectorELNS0_4arch9wavefront6targetE1EEEvSY_, .Lfunc_end518-_ZN7rocprim17ROCPRIM_400000_NS6detail17trampoline_kernelINS0_14default_configENS1_27upper_bound_config_selectorIflEEZNS1_14transform_implILb0ES3_S5_N6thrust23THRUST_200600_302600_NS6detail15normal_iteratorINS8_7pointerIfNS8_11hip_rocprim9par_det_tENS8_11use_defaultESE_EEEENSA_INSB_IlSD_SE_SE_EEEEZNS1_13binary_searchIS3_S5_NSA_INS8_10device_ptrIfEEEESG_SI_NS1_21upper_bound_search_opENS9_16wrapped_functionINS8_6system6detail7generic6detail18binary_search_lessEbEEEE10hipError_tPvRmT1_T2_T3_mmT4_T5_P12ihipStream_tbEUlRKfE_EESV_SZ_S10_mS11_S14_bEUlT_E_NS1_11comp_targetILNS1_3genE0ELNS1_11target_archE4294967295ELNS1_3gpuE0ELNS1_3repE0EEENS1_30default_config_static_selectorELNS0_4arch9wavefront6targetE1EEEvSY_
                                        ; -- End function
	.set _ZN7rocprim17ROCPRIM_400000_NS6detail17trampoline_kernelINS0_14default_configENS1_27upper_bound_config_selectorIflEEZNS1_14transform_implILb0ES3_S5_N6thrust23THRUST_200600_302600_NS6detail15normal_iteratorINS8_7pointerIfNS8_11hip_rocprim9par_det_tENS8_11use_defaultESE_EEEENSA_INSB_IlSD_SE_SE_EEEEZNS1_13binary_searchIS3_S5_NSA_INS8_10device_ptrIfEEEESG_SI_NS1_21upper_bound_search_opENS9_16wrapped_functionINS8_6system6detail7generic6detail18binary_search_lessEbEEEE10hipError_tPvRmT1_T2_T3_mmT4_T5_P12ihipStream_tbEUlRKfE_EESV_SZ_S10_mS11_S14_bEUlT_E_NS1_11comp_targetILNS1_3genE0ELNS1_11target_archE4294967295ELNS1_3gpuE0ELNS1_3repE0EEENS1_30default_config_static_selectorELNS0_4arch9wavefront6targetE1EEEvSY_.num_vgpr, 0
	.set _ZN7rocprim17ROCPRIM_400000_NS6detail17trampoline_kernelINS0_14default_configENS1_27upper_bound_config_selectorIflEEZNS1_14transform_implILb0ES3_S5_N6thrust23THRUST_200600_302600_NS6detail15normal_iteratorINS8_7pointerIfNS8_11hip_rocprim9par_det_tENS8_11use_defaultESE_EEEENSA_INSB_IlSD_SE_SE_EEEEZNS1_13binary_searchIS3_S5_NSA_INS8_10device_ptrIfEEEESG_SI_NS1_21upper_bound_search_opENS9_16wrapped_functionINS8_6system6detail7generic6detail18binary_search_lessEbEEEE10hipError_tPvRmT1_T2_T3_mmT4_T5_P12ihipStream_tbEUlRKfE_EESV_SZ_S10_mS11_S14_bEUlT_E_NS1_11comp_targetILNS1_3genE0ELNS1_11target_archE4294967295ELNS1_3gpuE0ELNS1_3repE0EEENS1_30default_config_static_selectorELNS0_4arch9wavefront6targetE1EEEvSY_.num_agpr, 0
	.set _ZN7rocprim17ROCPRIM_400000_NS6detail17trampoline_kernelINS0_14default_configENS1_27upper_bound_config_selectorIflEEZNS1_14transform_implILb0ES3_S5_N6thrust23THRUST_200600_302600_NS6detail15normal_iteratorINS8_7pointerIfNS8_11hip_rocprim9par_det_tENS8_11use_defaultESE_EEEENSA_INSB_IlSD_SE_SE_EEEEZNS1_13binary_searchIS3_S5_NSA_INS8_10device_ptrIfEEEESG_SI_NS1_21upper_bound_search_opENS9_16wrapped_functionINS8_6system6detail7generic6detail18binary_search_lessEbEEEE10hipError_tPvRmT1_T2_T3_mmT4_T5_P12ihipStream_tbEUlRKfE_EESV_SZ_S10_mS11_S14_bEUlT_E_NS1_11comp_targetILNS1_3genE0ELNS1_11target_archE4294967295ELNS1_3gpuE0ELNS1_3repE0EEENS1_30default_config_static_selectorELNS0_4arch9wavefront6targetE1EEEvSY_.numbered_sgpr, 0
	.set _ZN7rocprim17ROCPRIM_400000_NS6detail17trampoline_kernelINS0_14default_configENS1_27upper_bound_config_selectorIflEEZNS1_14transform_implILb0ES3_S5_N6thrust23THRUST_200600_302600_NS6detail15normal_iteratorINS8_7pointerIfNS8_11hip_rocprim9par_det_tENS8_11use_defaultESE_EEEENSA_INSB_IlSD_SE_SE_EEEEZNS1_13binary_searchIS3_S5_NSA_INS8_10device_ptrIfEEEESG_SI_NS1_21upper_bound_search_opENS9_16wrapped_functionINS8_6system6detail7generic6detail18binary_search_lessEbEEEE10hipError_tPvRmT1_T2_T3_mmT4_T5_P12ihipStream_tbEUlRKfE_EESV_SZ_S10_mS11_S14_bEUlT_E_NS1_11comp_targetILNS1_3genE0ELNS1_11target_archE4294967295ELNS1_3gpuE0ELNS1_3repE0EEENS1_30default_config_static_selectorELNS0_4arch9wavefront6targetE1EEEvSY_.num_named_barrier, 0
	.set _ZN7rocprim17ROCPRIM_400000_NS6detail17trampoline_kernelINS0_14default_configENS1_27upper_bound_config_selectorIflEEZNS1_14transform_implILb0ES3_S5_N6thrust23THRUST_200600_302600_NS6detail15normal_iteratorINS8_7pointerIfNS8_11hip_rocprim9par_det_tENS8_11use_defaultESE_EEEENSA_INSB_IlSD_SE_SE_EEEEZNS1_13binary_searchIS3_S5_NSA_INS8_10device_ptrIfEEEESG_SI_NS1_21upper_bound_search_opENS9_16wrapped_functionINS8_6system6detail7generic6detail18binary_search_lessEbEEEE10hipError_tPvRmT1_T2_T3_mmT4_T5_P12ihipStream_tbEUlRKfE_EESV_SZ_S10_mS11_S14_bEUlT_E_NS1_11comp_targetILNS1_3genE0ELNS1_11target_archE4294967295ELNS1_3gpuE0ELNS1_3repE0EEENS1_30default_config_static_selectorELNS0_4arch9wavefront6targetE1EEEvSY_.private_seg_size, 0
	.set _ZN7rocprim17ROCPRIM_400000_NS6detail17trampoline_kernelINS0_14default_configENS1_27upper_bound_config_selectorIflEEZNS1_14transform_implILb0ES3_S5_N6thrust23THRUST_200600_302600_NS6detail15normal_iteratorINS8_7pointerIfNS8_11hip_rocprim9par_det_tENS8_11use_defaultESE_EEEENSA_INSB_IlSD_SE_SE_EEEEZNS1_13binary_searchIS3_S5_NSA_INS8_10device_ptrIfEEEESG_SI_NS1_21upper_bound_search_opENS9_16wrapped_functionINS8_6system6detail7generic6detail18binary_search_lessEbEEEE10hipError_tPvRmT1_T2_T3_mmT4_T5_P12ihipStream_tbEUlRKfE_EESV_SZ_S10_mS11_S14_bEUlT_E_NS1_11comp_targetILNS1_3genE0ELNS1_11target_archE4294967295ELNS1_3gpuE0ELNS1_3repE0EEENS1_30default_config_static_selectorELNS0_4arch9wavefront6targetE1EEEvSY_.uses_vcc, 0
	.set _ZN7rocprim17ROCPRIM_400000_NS6detail17trampoline_kernelINS0_14default_configENS1_27upper_bound_config_selectorIflEEZNS1_14transform_implILb0ES3_S5_N6thrust23THRUST_200600_302600_NS6detail15normal_iteratorINS8_7pointerIfNS8_11hip_rocprim9par_det_tENS8_11use_defaultESE_EEEENSA_INSB_IlSD_SE_SE_EEEEZNS1_13binary_searchIS3_S5_NSA_INS8_10device_ptrIfEEEESG_SI_NS1_21upper_bound_search_opENS9_16wrapped_functionINS8_6system6detail7generic6detail18binary_search_lessEbEEEE10hipError_tPvRmT1_T2_T3_mmT4_T5_P12ihipStream_tbEUlRKfE_EESV_SZ_S10_mS11_S14_bEUlT_E_NS1_11comp_targetILNS1_3genE0ELNS1_11target_archE4294967295ELNS1_3gpuE0ELNS1_3repE0EEENS1_30default_config_static_selectorELNS0_4arch9wavefront6targetE1EEEvSY_.uses_flat_scratch, 0
	.set _ZN7rocprim17ROCPRIM_400000_NS6detail17trampoline_kernelINS0_14default_configENS1_27upper_bound_config_selectorIflEEZNS1_14transform_implILb0ES3_S5_N6thrust23THRUST_200600_302600_NS6detail15normal_iteratorINS8_7pointerIfNS8_11hip_rocprim9par_det_tENS8_11use_defaultESE_EEEENSA_INSB_IlSD_SE_SE_EEEEZNS1_13binary_searchIS3_S5_NSA_INS8_10device_ptrIfEEEESG_SI_NS1_21upper_bound_search_opENS9_16wrapped_functionINS8_6system6detail7generic6detail18binary_search_lessEbEEEE10hipError_tPvRmT1_T2_T3_mmT4_T5_P12ihipStream_tbEUlRKfE_EESV_SZ_S10_mS11_S14_bEUlT_E_NS1_11comp_targetILNS1_3genE0ELNS1_11target_archE4294967295ELNS1_3gpuE0ELNS1_3repE0EEENS1_30default_config_static_selectorELNS0_4arch9wavefront6targetE1EEEvSY_.has_dyn_sized_stack, 0
	.set _ZN7rocprim17ROCPRIM_400000_NS6detail17trampoline_kernelINS0_14default_configENS1_27upper_bound_config_selectorIflEEZNS1_14transform_implILb0ES3_S5_N6thrust23THRUST_200600_302600_NS6detail15normal_iteratorINS8_7pointerIfNS8_11hip_rocprim9par_det_tENS8_11use_defaultESE_EEEENSA_INSB_IlSD_SE_SE_EEEEZNS1_13binary_searchIS3_S5_NSA_INS8_10device_ptrIfEEEESG_SI_NS1_21upper_bound_search_opENS9_16wrapped_functionINS8_6system6detail7generic6detail18binary_search_lessEbEEEE10hipError_tPvRmT1_T2_T3_mmT4_T5_P12ihipStream_tbEUlRKfE_EESV_SZ_S10_mS11_S14_bEUlT_E_NS1_11comp_targetILNS1_3genE0ELNS1_11target_archE4294967295ELNS1_3gpuE0ELNS1_3repE0EEENS1_30default_config_static_selectorELNS0_4arch9wavefront6targetE1EEEvSY_.has_recursion, 0
	.set _ZN7rocprim17ROCPRIM_400000_NS6detail17trampoline_kernelINS0_14default_configENS1_27upper_bound_config_selectorIflEEZNS1_14transform_implILb0ES3_S5_N6thrust23THRUST_200600_302600_NS6detail15normal_iteratorINS8_7pointerIfNS8_11hip_rocprim9par_det_tENS8_11use_defaultESE_EEEENSA_INSB_IlSD_SE_SE_EEEEZNS1_13binary_searchIS3_S5_NSA_INS8_10device_ptrIfEEEESG_SI_NS1_21upper_bound_search_opENS9_16wrapped_functionINS8_6system6detail7generic6detail18binary_search_lessEbEEEE10hipError_tPvRmT1_T2_T3_mmT4_T5_P12ihipStream_tbEUlRKfE_EESV_SZ_S10_mS11_S14_bEUlT_E_NS1_11comp_targetILNS1_3genE0ELNS1_11target_archE4294967295ELNS1_3gpuE0ELNS1_3repE0EEENS1_30default_config_static_selectorELNS0_4arch9wavefront6targetE1EEEvSY_.has_indirect_call, 0
	.section	.AMDGPU.csdata,"",@progbits
; Kernel info:
; codeLenInByte = 0
; TotalNumSgprs: 4
; NumVgprs: 0
; ScratchSize: 0
; MemoryBound: 0
; FloatMode: 240
; IeeeMode: 1
; LDSByteSize: 0 bytes/workgroup (compile time only)
; SGPRBlocks: 0
; VGPRBlocks: 0
; NumSGPRsForWavesPerEU: 4
; NumVGPRsForWavesPerEU: 1
; Occupancy: 10
; WaveLimiterHint : 0
; COMPUTE_PGM_RSRC2:SCRATCH_EN: 0
; COMPUTE_PGM_RSRC2:USER_SGPR: 6
; COMPUTE_PGM_RSRC2:TRAP_HANDLER: 0
; COMPUTE_PGM_RSRC2:TGID_X_EN: 1
; COMPUTE_PGM_RSRC2:TGID_Y_EN: 0
; COMPUTE_PGM_RSRC2:TGID_Z_EN: 0
; COMPUTE_PGM_RSRC2:TIDIG_COMP_CNT: 0
	.section	.text._ZN7rocprim17ROCPRIM_400000_NS6detail17trampoline_kernelINS0_14default_configENS1_27upper_bound_config_selectorIflEEZNS1_14transform_implILb0ES3_S5_N6thrust23THRUST_200600_302600_NS6detail15normal_iteratorINS8_7pointerIfNS8_11hip_rocprim9par_det_tENS8_11use_defaultESE_EEEENSA_INSB_IlSD_SE_SE_EEEEZNS1_13binary_searchIS3_S5_NSA_INS8_10device_ptrIfEEEESG_SI_NS1_21upper_bound_search_opENS9_16wrapped_functionINS8_6system6detail7generic6detail18binary_search_lessEbEEEE10hipError_tPvRmT1_T2_T3_mmT4_T5_P12ihipStream_tbEUlRKfE_EESV_SZ_S10_mS11_S14_bEUlT_E_NS1_11comp_targetILNS1_3genE5ELNS1_11target_archE942ELNS1_3gpuE9ELNS1_3repE0EEENS1_30default_config_static_selectorELNS0_4arch9wavefront6targetE1EEEvSY_,"axG",@progbits,_ZN7rocprim17ROCPRIM_400000_NS6detail17trampoline_kernelINS0_14default_configENS1_27upper_bound_config_selectorIflEEZNS1_14transform_implILb0ES3_S5_N6thrust23THRUST_200600_302600_NS6detail15normal_iteratorINS8_7pointerIfNS8_11hip_rocprim9par_det_tENS8_11use_defaultESE_EEEENSA_INSB_IlSD_SE_SE_EEEEZNS1_13binary_searchIS3_S5_NSA_INS8_10device_ptrIfEEEESG_SI_NS1_21upper_bound_search_opENS9_16wrapped_functionINS8_6system6detail7generic6detail18binary_search_lessEbEEEE10hipError_tPvRmT1_T2_T3_mmT4_T5_P12ihipStream_tbEUlRKfE_EESV_SZ_S10_mS11_S14_bEUlT_E_NS1_11comp_targetILNS1_3genE5ELNS1_11target_archE942ELNS1_3gpuE9ELNS1_3repE0EEENS1_30default_config_static_selectorELNS0_4arch9wavefront6targetE1EEEvSY_,comdat
	.protected	_ZN7rocprim17ROCPRIM_400000_NS6detail17trampoline_kernelINS0_14default_configENS1_27upper_bound_config_selectorIflEEZNS1_14transform_implILb0ES3_S5_N6thrust23THRUST_200600_302600_NS6detail15normal_iteratorINS8_7pointerIfNS8_11hip_rocprim9par_det_tENS8_11use_defaultESE_EEEENSA_INSB_IlSD_SE_SE_EEEEZNS1_13binary_searchIS3_S5_NSA_INS8_10device_ptrIfEEEESG_SI_NS1_21upper_bound_search_opENS9_16wrapped_functionINS8_6system6detail7generic6detail18binary_search_lessEbEEEE10hipError_tPvRmT1_T2_T3_mmT4_T5_P12ihipStream_tbEUlRKfE_EESV_SZ_S10_mS11_S14_bEUlT_E_NS1_11comp_targetILNS1_3genE5ELNS1_11target_archE942ELNS1_3gpuE9ELNS1_3repE0EEENS1_30default_config_static_selectorELNS0_4arch9wavefront6targetE1EEEvSY_ ; -- Begin function _ZN7rocprim17ROCPRIM_400000_NS6detail17trampoline_kernelINS0_14default_configENS1_27upper_bound_config_selectorIflEEZNS1_14transform_implILb0ES3_S5_N6thrust23THRUST_200600_302600_NS6detail15normal_iteratorINS8_7pointerIfNS8_11hip_rocprim9par_det_tENS8_11use_defaultESE_EEEENSA_INSB_IlSD_SE_SE_EEEEZNS1_13binary_searchIS3_S5_NSA_INS8_10device_ptrIfEEEESG_SI_NS1_21upper_bound_search_opENS9_16wrapped_functionINS8_6system6detail7generic6detail18binary_search_lessEbEEEE10hipError_tPvRmT1_T2_T3_mmT4_T5_P12ihipStream_tbEUlRKfE_EESV_SZ_S10_mS11_S14_bEUlT_E_NS1_11comp_targetILNS1_3genE5ELNS1_11target_archE942ELNS1_3gpuE9ELNS1_3repE0EEENS1_30default_config_static_selectorELNS0_4arch9wavefront6targetE1EEEvSY_
	.globl	_ZN7rocprim17ROCPRIM_400000_NS6detail17trampoline_kernelINS0_14default_configENS1_27upper_bound_config_selectorIflEEZNS1_14transform_implILb0ES3_S5_N6thrust23THRUST_200600_302600_NS6detail15normal_iteratorINS8_7pointerIfNS8_11hip_rocprim9par_det_tENS8_11use_defaultESE_EEEENSA_INSB_IlSD_SE_SE_EEEEZNS1_13binary_searchIS3_S5_NSA_INS8_10device_ptrIfEEEESG_SI_NS1_21upper_bound_search_opENS9_16wrapped_functionINS8_6system6detail7generic6detail18binary_search_lessEbEEEE10hipError_tPvRmT1_T2_T3_mmT4_T5_P12ihipStream_tbEUlRKfE_EESV_SZ_S10_mS11_S14_bEUlT_E_NS1_11comp_targetILNS1_3genE5ELNS1_11target_archE942ELNS1_3gpuE9ELNS1_3repE0EEENS1_30default_config_static_selectorELNS0_4arch9wavefront6targetE1EEEvSY_
	.p2align	8
	.type	_ZN7rocprim17ROCPRIM_400000_NS6detail17trampoline_kernelINS0_14default_configENS1_27upper_bound_config_selectorIflEEZNS1_14transform_implILb0ES3_S5_N6thrust23THRUST_200600_302600_NS6detail15normal_iteratorINS8_7pointerIfNS8_11hip_rocprim9par_det_tENS8_11use_defaultESE_EEEENSA_INSB_IlSD_SE_SE_EEEEZNS1_13binary_searchIS3_S5_NSA_INS8_10device_ptrIfEEEESG_SI_NS1_21upper_bound_search_opENS9_16wrapped_functionINS8_6system6detail7generic6detail18binary_search_lessEbEEEE10hipError_tPvRmT1_T2_T3_mmT4_T5_P12ihipStream_tbEUlRKfE_EESV_SZ_S10_mS11_S14_bEUlT_E_NS1_11comp_targetILNS1_3genE5ELNS1_11target_archE942ELNS1_3gpuE9ELNS1_3repE0EEENS1_30default_config_static_selectorELNS0_4arch9wavefront6targetE1EEEvSY_,@function
_ZN7rocprim17ROCPRIM_400000_NS6detail17trampoline_kernelINS0_14default_configENS1_27upper_bound_config_selectorIflEEZNS1_14transform_implILb0ES3_S5_N6thrust23THRUST_200600_302600_NS6detail15normal_iteratorINS8_7pointerIfNS8_11hip_rocprim9par_det_tENS8_11use_defaultESE_EEEENSA_INSB_IlSD_SE_SE_EEEEZNS1_13binary_searchIS3_S5_NSA_INS8_10device_ptrIfEEEESG_SI_NS1_21upper_bound_search_opENS9_16wrapped_functionINS8_6system6detail7generic6detail18binary_search_lessEbEEEE10hipError_tPvRmT1_T2_T3_mmT4_T5_P12ihipStream_tbEUlRKfE_EESV_SZ_S10_mS11_S14_bEUlT_E_NS1_11comp_targetILNS1_3genE5ELNS1_11target_archE942ELNS1_3gpuE9ELNS1_3repE0EEENS1_30default_config_static_selectorELNS0_4arch9wavefront6targetE1EEEvSY_: ; @_ZN7rocprim17ROCPRIM_400000_NS6detail17trampoline_kernelINS0_14default_configENS1_27upper_bound_config_selectorIflEEZNS1_14transform_implILb0ES3_S5_N6thrust23THRUST_200600_302600_NS6detail15normal_iteratorINS8_7pointerIfNS8_11hip_rocprim9par_det_tENS8_11use_defaultESE_EEEENSA_INSB_IlSD_SE_SE_EEEEZNS1_13binary_searchIS3_S5_NSA_INS8_10device_ptrIfEEEESG_SI_NS1_21upper_bound_search_opENS9_16wrapped_functionINS8_6system6detail7generic6detail18binary_search_lessEbEEEE10hipError_tPvRmT1_T2_T3_mmT4_T5_P12ihipStream_tbEUlRKfE_EESV_SZ_S10_mS11_S14_bEUlT_E_NS1_11comp_targetILNS1_3genE5ELNS1_11target_archE942ELNS1_3gpuE9ELNS1_3repE0EEENS1_30default_config_static_selectorELNS0_4arch9wavefront6targetE1EEEvSY_
; %bb.0:
	.section	.rodata,"a",@progbits
	.p2align	6, 0x0
	.amdhsa_kernel _ZN7rocprim17ROCPRIM_400000_NS6detail17trampoline_kernelINS0_14default_configENS1_27upper_bound_config_selectorIflEEZNS1_14transform_implILb0ES3_S5_N6thrust23THRUST_200600_302600_NS6detail15normal_iteratorINS8_7pointerIfNS8_11hip_rocprim9par_det_tENS8_11use_defaultESE_EEEENSA_INSB_IlSD_SE_SE_EEEEZNS1_13binary_searchIS3_S5_NSA_INS8_10device_ptrIfEEEESG_SI_NS1_21upper_bound_search_opENS9_16wrapped_functionINS8_6system6detail7generic6detail18binary_search_lessEbEEEE10hipError_tPvRmT1_T2_T3_mmT4_T5_P12ihipStream_tbEUlRKfE_EESV_SZ_S10_mS11_S14_bEUlT_E_NS1_11comp_targetILNS1_3genE5ELNS1_11target_archE942ELNS1_3gpuE9ELNS1_3repE0EEENS1_30default_config_static_selectorELNS0_4arch9wavefront6targetE1EEEvSY_
		.amdhsa_group_segment_fixed_size 0
		.amdhsa_private_segment_fixed_size 0
		.amdhsa_kernarg_size 56
		.amdhsa_user_sgpr_count 6
		.amdhsa_user_sgpr_private_segment_buffer 1
		.amdhsa_user_sgpr_dispatch_ptr 0
		.amdhsa_user_sgpr_queue_ptr 0
		.amdhsa_user_sgpr_kernarg_segment_ptr 1
		.amdhsa_user_sgpr_dispatch_id 0
		.amdhsa_user_sgpr_flat_scratch_init 0
		.amdhsa_user_sgpr_private_segment_size 0
		.amdhsa_uses_dynamic_stack 0
		.amdhsa_system_sgpr_private_segment_wavefront_offset 0
		.amdhsa_system_sgpr_workgroup_id_x 1
		.amdhsa_system_sgpr_workgroup_id_y 0
		.amdhsa_system_sgpr_workgroup_id_z 0
		.amdhsa_system_sgpr_workgroup_info 0
		.amdhsa_system_vgpr_workitem_id 0
		.amdhsa_next_free_vgpr 1
		.amdhsa_next_free_sgpr 0
		.amdhsa_reserve_vcc 0
		.amdhsa_reserve_flat_scratch 0
		.amdhsa_float_round_mode_32 0
		.amdhsa_float_round_mode_16_64 0
		.amdhsa_float_denorm_mode_32 3
		.amdhsa_float_denorm_mode_16_64 3
		.amdhsa_dx10_clamp 1
		.amdhsa_ieee_mode 1
		.amdhsa_fp16_overflow 0
		.amdhsa_exception_fp_ieee_invalid_op 0
		.amdhsa_exception_fp_denorm_src 0
		.amdhsa_exception_fp_ieee_div_zero 0
		.amdhsa_exception_fp_ieee_overflow 0
		.amdhsa_exception_fp_ieee_underflow 0
		.amdhsa_exception_fp_ieee_inexact 0
		.amdhsa_exception_int_div_zero 0
	.end_amdhsa_kernel
	.section	.text._ZN7rocprim17ROCPRIM_400000_NS6detail17trampoline_kernelINS0_14default_configENS1_27upper_bound_config_selectorIflEEZNS1_14transform_implILb0ES3_S5_N6thrust23THRUST_200600_302600_NS6detail15normal_iteratorINS8_7pointerIfNS8_11hip_rocprim9par_det_tENS8_11use_defaultESE_EEEENSA_INSB_IlSD_SE_SE_EEEEZNS1_13binary_searchIS3_S5_NSA_INS8_10device_ptrIfEEEESG_SI_NS1_21upper_bound_search_opENS9_16wrapped_functionINS8_6system6detail7generic6detail18binary_search_lessEbEEEE10hipError_tPvRmT1_T2_T3_mmT4_T5_P12ihipStream_tbEUlRKfE_EESV_SZ_S10_mS11_S14_bEUlT_E_NS1_11comp_targetILNS1_3genE5ELNS1_11target_archE942ELNS1_3gpuE9ELNS1_3repE0EEENS1_30default_config_static_selectorELNS0_4arch9wavefront6targetE1EEEvSY_,"axG",@progbits,_ZN7rocprim17ROCPRIM_400000_NS6detail17trampoline_kernelINS0_14default_configENS1_27upper_bound_config_selectorIflEEZNS1_14transform_implILb0ES3_S5_N6thrust23THRUST_200600_302600_NS6detail15normal_iteratorINS8_7pointerIfNS8_11hip_rocprim9par_det_tENS8_11use_defaultESE_EEEENSA_INSB_IlSD_SE_SE_EEEEZNS1_13binary_searchIS3_S5_NSA_INS8_10device_ptrIfEEEESG_SI_NS1_21upper_bound_search_opENS9_16wrapped_functionINS8_6system6detail7generic6detail18binary_search_lessEbEEEE10hipError_tPvRmT1_T2_T3_mmT4_T5_P12ihipStream_tbEUlRKfE_EESV_SZ_S10_mS11_S14_bEUlT_E_NS1_11comp_targetILNS1_3genE5ELNS1_11target_archE942ELNS1_3gpuE9ELNS1_3repE0EEENS1_30default_config_static_selectorELNS0_4arch9wavefront6targetE1EEEvSY_,comdat
.Lfunc_end519:
	.size	_ZN7rocprim17ROCPRIM_400000_NS6detail17trampoline_kernelINS0_14default_configENS1_27upper_bound_config_selectorIflEEZNS1_14transform_implILb0ES3_S5_N6thrust23THRUST_200600_302600_NS6detail15normal_iteratorINS8_7pointerIfNS8_11hip_rocprim9par_det_tENS8_11use_defaultESE_EEEENSA_INSB_IlSD_SE_SE_EEEEZNS1_13binary_searchIS3_S5_NSA_INS8_10device_ptrIfEEEESG_SI_NS1_21upper_bound_search_opENS9_16wrapped_functionINS8_6system6detail7generic6detail18binary_search_lessEbEEEE10hipError_tPvRmT1_T2_T3_mmT4_T5_P12ihipStream_tbEUlRKfE_EESV_SZ_S10_mS11_S14_bEUlT_E_NS1_11comp_targetILNS1_3genE5ELNS1_11target_archE942ELNS1_3gpuE9ELNS1_3repE0EEENS1_30default_config_static_selectorELNS0_4arch9wavefront6targetE1EEEvSY_, .Lfunc_end519-_ZN7rocprim17ROCPRIM_400000_NS6detail17trampoline_kernelINS0_14default_configENS1_27upper_bound_config_selectorIflEEZNS1_14transform_implILb0ES3_S5_N6thrust23THRUST_200600_302600_NS6detail15normal_iteratorINS8_7pointerIfNS8_11hip_rocprim9par_det_tENS8_11use_defaultESE_EEEENSA_INSB_IlSD_SE_SE_EEEEZNS1_13binary_searchIS3_S5_NSA_INS8_10device_ptrIfEEEESG_SI_NS1_21upper_bound_search_opENS9_16wrapped_functionINS8_6system6detail7generic6detail18binary_search_lessEbEEEE10hipError_tPvRmT1_T2_T3_mmT4_T5_P12ihipStream_tbEUlRKfE_EESV_SZ_S10_mS11_S14_bEUlT_E_NS1_11comp_targetILNS1_3genE5ELNS1_11target_archE942ELNS1_3gpuE9ELNS1_3repE0EEENS1_30default_config_static_selectorELNS0_4arch9wavefront6targetE1EEEvSY_
                                        ; -- End function
	.set _ZN7rocprim17ROCPRIM_400000_NS6detail17trampoline_kernelINS0_14default_configENS1_27upper_bound_config_selectorIflEEZNS1_14transform_implILb0ES3_S5_N6thrust23THRUST_200600_302600_NS6detail15normal_iteratorINS8_7pointerIfNS8_11hip_rocprim9par_det_tENS8_11use_defaultESE_EEEENSA_INSB_IlSD_SE_SE_EEEEZNS1_13binary_searchIS3_S5_NSA_INS8_10device_ptrIfEEEESG_SI_NS1_21upper_bound_search_opENS9_16wrapped_functionINS8_6system6detail7generic6detail18binary_search_lessEbEEEE10hipError_tPvRmT1_T2_T3_mmT4_T5_P12ihipStream_tbEUlRKfE_EESV_SZ_S10_mS11_S14_bEUlT_E_NS1_11comp_targetILNS1_3genE5ELNS1_11target_archE942ELNS1_3gpuE9ELNS1_3repE0EEENS1_30default_config_static_selectorELNS0_4arch9wavefront6targetE1EEEvSY_.num_vgpr, 0
	.set _ZN7rocprim17ROCPRIM_400000_NS6detail17trampoline_kernelINS0_14default_configENS1_27upper_bound_config_selectorIflEEZNS1_14transform_implILb0ES3_S5_N6thrust23THRUST_200600_302600_NS6detail15normal_iteratorINS8_7pointerIfNS8_11hip_rocprim9par_det_tENS8_11use_defaultESE_EEEENSA_INSB_IlSD_SE_SE_EEEEZNS1_13binary_searchIS3_S5_NSA_INS8_10device_ptrIfEEEESG_SI_NS1_21upper_bound_search_opENS9_16wrapped_functionINS8_6system6detail7generic6detail18binary_search_lessEbEEEE10hipError_tPvRmT1_T2_T3_mmT4_T5_P12ihipStream_tbEUlRKfE_EESV_SZ_S10_mS11_S14_bEUlT_E_NS1_11comp_targetILNS1_3genE5ELNS1_11target_archE942ELNS1_3gpuE9ELNS1_3repE0EEENS1_30default_config_static_selectorELNS0_4arch9wavefront6targetE1EEEvSY_.num_agpr, 0
	.set _ZN7rocprim17ROCPRIM_400000_NS6detail17trampoline_kernelINS0_14default_configENS1_27upper_bound_config_selectorIflEEZNS1_14transform_implILb0ES3_S5_N6thrust23THRUST_200600_302600_NS6detail15normal_iteratorINS8_7pointerIfNS8_11hip_rocprim9par_det_tENS8_11use_defaultESE_EEEENSA_INSB_IlSD_SE_SE_EEEEZNS1_13binary_searchIS3_S5_NSA_INS8_10device_ptrIfEEEESG_SI_NS1_21upper_bound_search_opENS9_16wrapped_functionINS8_6system6detail7generic6detail18binary_search_lessEbEEEE10hipError_tPvRmT1_T2_T3_mmT4_T5_P12ihipStream_tbEUlRKfE_EESV_SZ_S10_mS11_S14_bEUlT_E_NS1_11comp_targetILNS1_3genE5ELNS1_11target_archE942ELNS1_3gpuE9ELNS1_3repE0EEENS1_30default_config_static_selectorELNS0_4arch9wavefront6targetE1EEEvSY_.numbered_sgpr, 0
	.set _ZN7rocprim17ROCPRIM_400000_NS6detail17trampoline_kernelINS0_14default_configENS1_27upper_bound_config_selectorIflEEZNS1_14transform_implILb0ES3_S5_N6thrust23THRUST_200600_302600_NS6detail15normal_iteratorINS8_7pointerIfNS8_11hip_rocprim9par_det_tENS8_11use_defaultESE_EEEENSA_INSB_IlSD_SE_SE_EEEEZNS1_13binary_searchIS3_S5_NSA_INS8_10device_ptrIfEEEESG_SI_NS1_21upper_bound_search_opENS9_16wrapped_functionINS8_6system6detail7generic6detail18binary_search_lessEbEEEE10hipError_tPvRmT1_T2_T3_mmT4_T5_P12ihipStream_tbEUlRKfE_EESV_SZ_S10_mS11_S14_bEUlT_E_NS1_11comp_targetILNS1_3genE5ELNS1_11target_archE942ELNS1_3gpuE9ELNS1_3repE0EEENS1_30default_config_static_selectorELNS0_4arch9wavefront6targetE1EEEvSY_.num_named_barrier, 0
	.set _ZN7rocprim17ROCPRIM_400000_NS6detail17trampoline_kernelINS0_14default_configENS1_27upper_bound_config_selectorIflEEZNS1_14transform_implILb0ES3_S5_N6thrust23THRUST_200600_302600_NS6detail15normal_iteratorINS8_7pointerIfNS8_11hip_rocprim9par_det_tENS8_11use_defaultESE_EEEENSA_INSB_IlSD_SE_SE_EEEEZNS1_13binary_searchIS3_S5_NSA_INS8_10device_ptrIfEEEESG_SI_NS1_21upper_bound_search_opENS9_16wrapped_functionINS8_6system6detail7generic6detail18binary_search_lessEbEEEE10hipError_tPvRmT1_T2_T3_mmT4_T5_P12ihipStream_tbEUlRKfE_EESV_SZ_S10_mS11_S14_bEUlT_E_NS1_11comp_targetILNS1_3genE5ELNS1_11target_archE942ELNS1_3gpuE9ELNS1_3repE0EEENS1_30default_config_static_selectorELNS0_4arch9wavefront6targetE1EEEvSY_.private_seg_size, 0
	.set _ZN7rocprim17ROCPRIM_400000_NS6detail17trampoline_kernelINS0_14default_configENS1_27upper_bound_config_selectorIflEEZNS1_14transform_implILb0ES3_S5_N6thrust23THRUST_200600_302600_NS6detail15normal_iteratorINS8_7pointerIfNS8_11hip_rocprim9par_det_tENS8_11use_defaultESE_EEEENSA_INSB_IlSD_SE_SE_EEEEZNS1_13binary_searchIS3_S5_NSA_INS8_10device_ptrIfEEEESG_SI_NS1_21upper_bound_search_opENS9_16wrapped_functionINS8_6system6detail7generic6detail18binary_search_lessEbEEEE10hipError_tPvRmT1_T2_T3_mmT4_T5_P12ihipStream_tbEUlRKfE_EESV_SZ_S10_mS11_S14_bEUlT_E_NS1_11comp_targetILNS1_3genE5ELNS1_11target_archE942ELNS1_3gpuE9ELNS1_3repE0EEENS1_30default_config_static_selectorELNS0_4arch9wavefront6targetE1EEEvSY_.uses_vcc, 0
	.set _ZN7rocprim17ROCPRIM_400000_NS6detail17trampoline_kernelINS0_14default_configENS1_27upper_bound_config_selectorIflEEZNS1_14transform_implILb0ES3_S5_N6thrust23THRUST_200600_302600_NS6detail15normal_iteratorINS8_7pointerIfNS8_11hip_rocprim9par_det_tENS8_11use_defaultESE_EEEENSA_INSB_IlSD_SE_SE_EEEEZNS1_13binary_searchIS3_S5_NSA_INS8_10device_ptrIfEEEESG_SI_NS1_21upper_bound_search_opENS9_16wrapped_functionINS8_6system6detail7generic6detail18binary_search_lessEbEEEE10hipError_tPvRmT1_T2_T3_mmT4_T5_P12ihipStream_tbEUlRKfE_EESV_SZ_S10_mS11_S14_bEUlT_E_NS1_11comp_targetILNS1_3genE5ELNS1_11target_archE942ELNS1_3gpuE9ELNS1_3repE0EEENS1_30default_config_static_selectorELNS0_4arch9wavefront6targetE1EEEvSY_.uses_flat_scratch, 0
	.set _ZN7rocprim17ROCPRIM_400000_NS6detail17trampoline_kernelINS0_14default_configENS1_27upper_bound_config_selectorIflEEZNS1_14transform_implILb0ES3_S5_N6thrust23THRUST_200600_302600_NS6detail15normal_iteratorINS8_7pointerIfNS8_11hip_rocprim9par_det_tENS8_11use_defaultESE_EEEENSA_INSB_IlSD_SE_SE_EEEEZNS1_13binary_searchIS3_S5_NSA_INS8_10device_ptrIfEEEESG_SI_NS1_21upper_bound_search_opENS9_16wrapped_functionINS8_6system6detail7generic6detail18binary_search_lessEbEEEE10hipError_tPvRmT1_T2_T3_mmT4_T5_P12ihipStream_tbEUlRKfE_EESV_SZ_S10_mS11_S14_bEUlT_E_NS1_11comp_targetILNS1_3genE5ELNS1_11target_archE942ELNS1_3gpuE9ELNS1_3repE0EEENS1_30default_config_static_selectorELNS0_4arch9wavefront6targetE1EEEvSY_.has_dyn_sized_stack, 0
	.set _ZN7rocprim17ROCPRIM_400000_NS6detail17trampoline_kernelINS0_14default_configENS1_27upper_bound_config_selectorIflEEZNS1_14transform_implILb0ES3_S5_N6thrust23THRUST_200600_302600_NS6detail15normal_iteratorINS8_7pointerIfNS8_11hip_rocprim9par_det_tENS8_11use_defaultESE_EEEENSA_INSB_IlSD_SE_SE_EEEEZNS1_13binary_searchIS3_S5_NSA_INS8_10device_ptrIfEEEESG_SI_NS1_21upper_bound_search_opENS9_16wrapped_functionINS8_6system6detail7generic6detail18binary_search_lessEbEEEE10hipError_tPvRmT1_T2_T3_mmT4_T5_P12ihipStream_tbEUlRKfE_EESV_SZ_S10_mS11_S14_bEUlT_E_NS1_11comp_targetILNS1_3genE5ELNS1_11target_archE942ELNS1_3gpuE9ELNS1_3repE0EEENS1_30default_config_static_selectorELNS0_4arch9wavefront6targetE1EEEvSY_.has_recursion, 0
	.set _ZN7rocprim17ROCPRIM_400000_NS6detail17trampoline_kernelINS0_14default_configENS1_27upper_bound_config_selectorIflEEZNS1_14transform_implILb0ES3_S5_N6thrust23THRUST_200600_302600_NS6detail15normal_iteratorINS8_7pointerIfNS8_11hip_rocprim9par_det_tENS8_11use_defaultESE_EEEENSA_INSB_IlSD_SE_SE_EEEEZNS1_13binary_searchIS3_S5_NSA_INS8_10device_ptrIfEEEESG_SI_NS1_21upper_bound_search_opENS9_16wrapped_functionINS8_6system6detail7generic6detail18binary_search_lessEbEEEE10hipError_tPvRmT1_T2_T3_mmT4_T5_P12ihipStream_tbEUlRKfE_EESV_SZ_S10_mS11_S14_bEUlT_E_NS1_11comp_targetILNS1_3genE5ELNS1_11target_archE942ELNS1_3gpuE9ELNS1_3repE0EEENS1_30default_config_static_selectorELNS0_4arch9wavefront6targetE1EEEvSY_.has_indirect_call, 0
	.section	.AMDGPU.csdata,"",@progbits
; Kernel info:
; codeLenInByte = 0
; TotalNumSgprs: 4
; NumVgprs: 0
; ScratchSize: 0
; MemoryBound: 0
; FloatMode: 240
; IeeeMode: 1
; LDSByteSize: 0 bytes/workgroup (compile time only)
; SGPRBlocks: 0
; VGPRBlocks: 0
; NumSGPRsForWavesPerEU: 4
; NumVGPRsForWavesPerEU: 1
; Occupancy: 10
; WaveLimiterHint : 0
; COMPUTE_PGM_RSRC2:SCRATCH_EN: 0
; COMPUTE_PGM_RSRC2:USER_SGPR: 6
; COMPUTE_PGM_RSRC2:TRAP_HANDLER: 0
; COMPUTE_PGM_RSRC2:TGID_X_EN: 1
; COMPUTE_PGM_RSRC2:TGID_Y_EN: 0
; COMPUTE_PGM_RSRC2:TGID_Z_EN: 0
; COMPUTE_PGM_RSRC2:TIDIG_COMP_CNT: 0
	.section	.text._ZN7rocprim17ROCPRIM_400000_NS6detail17trampoline_kernelINS0_14default_configENS1_27upper_bound_config_selectorIflEEZNS1_14transform_implILb0ES3_S5_N6thrust23THRUST_200600_302600_NS6detail15normal_iteratorINS8_7pointerIfNS8_11hip_rocprim9par_det_tENS8_11use_defaultESE_EEEENSA_INSB_IlSD_SE_SE_EEEEZNS1_13binary_searchIS3_S5_NSA_INS8_10device_ptrIfEEEESG_SI_NS1_21upper_bound_search_opENS9_16wrapped_functionINS8_6system6detail7generic6detail18binary_search_lessEbEEEE10hipError_tPvRmT1_T2_T3_mmT4_T5_P12ihipStream_tbEUlRKfE_EESV_SZ_S10_mS11_S14_bEUlT_E_NS1_11comp_targetILNS1_3genE4ELNS1_11target_archE910ELNS1_3gpuE8ELNS1_3repE0EEENS1_30default_config_static_selectorELNS0_4arch9wavefront6targetE1EEEvSY_,"axG",@progbits,_ZN7rocprim17ROCPRIM_400000_NS6detail17trampoline_kernelINS0_14default_configENS1_27upper_bound_config_selectorIflEEZNS1_14transform_implILb0ES3_S5_N6thrust23THRUST_200600_302600_NS6detail15normal_iteratorINS8_7pointerIfNS8_11hip_rocprim9par_det_tENS8_11use_defaultESE_EEEENSA_INSB_IlSD_SE_SE_EEEEZNS1_13binary_searchIS3_S5_NSA_INS8_10device_ptrIfEEEESG_SI_NS1_21upper_bound_search_opENS9_16wrapped_functionINS8_6system6detail7generic6detail18binary_search_lessEbEEEE10hipError_tPvRmT1_T2_T3_mmT4_T5_P12ihipStream_tbEUlRKfE_EESV_SZ_S10_mS11_S14_bEUlT_E_NS1_11comp_targetILNS1_3genE4ELNS1_11target_archE910ELNS1_3gpuE8ELNS1_3repE0EEENS1_30default_config_static_selectorELNS0_4arch9wavefront6targetE1EEEvSY_,comdat
	.protected	_ZN7rocprim17ROCPRIM_400000_NS6detail17trampoline_kernelINS0_14default_configENS1_27upper_bound_config_selectorIflEEZNS1_14transform_implILb0ES3_S5_N6thrust23THRUST_200600_302600_NS6detail15normal_iteratorINS8_7pointerIfNS8_11hip_rocprim9par_det_tENS8_11use_defaultESE_EEEENSA_INSB_IlSD_SE_SE_EEEEZNS1_13binary_searchIS3_S5_NSA_INS8_10device_ptrIfEEEESG_SI_NS1_21upper_bound_search_opENS9_16wrapped_functionINS8_6system6detail7generic6detail18binary_search_lessEbEEEE10hipError_tPvRmT1_T2_T3_mmT4_T5_P12ihipStream_tbEUlRKfE_EESV_SZ_S10_mS11_S14_bEUlT_E_NS1_11comp_targetILNS1_3genE4ELNS1_11target_archE910ELNS1_3gpuE8ELNS1_3repE0EEENS1_30default_config_static_selectorELNS0_4arch9wavefront6targetE1EEEvSY_ ; -- Begin function _ZN7rocprim17ROCPRIM_400000_NS6detail17trampoline_kernelINS0_14default_configENS1_27upper_bound_config_selectorIflEEZNS1_14transform_implILb0ES3_S5_N6thrust23THRUST_200600_302600_NS6detail15normal_iteratorINS8_7pointerIfNS8_11hip_rocprim9par_det_tENS8_11use_defaultESE_EEEENSA_INSB_IlSD_SE_SE_EEEEZNS1_13binary_searchIS3_S5_NSA_INS8_10device_ptrIfEEEESG_SI_NS1_21upper_bound_search_opENS9_16wrapped_functionINS8_6system6detail7generic6detail18binary_search_lessEbEEEE10hipError_tPvRmT1_T2_T3_mmT4_T5_P12ihipStream_tbEUlRKfE_EESV_SZ_S10_mS11_S14_bEUlT_E_NS1_11comp_targetILNS1_3genE4ELNS1_11target_archE910ELNS1_3gpuE8ELNS1_3repE0EEENS1_30default_config_static_selectorELNS0_4arch9wavefront6targetE1EEEvSY_
	.globl	_ZN7rocprim17ROCPRIM_400000_NS6detail17trampoline_kernelINS0_14default_configENS1_27upper_bound_config_selectorIflEEZNS1_14transform_implILb0ES3_S5_N6thrust23THRUST_200600_302600_NS6detail15normal_iteratorINS8_7pointerIfNS8_11hip_rocprim9par_det_tENS8_11use_defaultESE_EEEENSA_INSB_IlSD_SE_SE_EEEEZNS1_13binary_searchIS3_S5_NSA_INS8_10device_ptrIfEEEESG_SI_NS1_21upper_bound_search_opENS9_16wrapped_functionINS8_6system6detail7generic6detail18binary_search_lessEbEEEE10hipError_tPvRmT1_T2_T3_mmT4_T5_P12ihipStream_tbEUlRKfE_EESV_SZ_S10_mS11_S14_bEUlT_E_NS1_11comp_targetILNS1_3genE4ELNS1_11target_archE910ELNS1_3gpuE8ELNS1_3repE0EEENS1_30default_config_static_selectorELNS0_4arch9wavefront6targetE1EEEvSY_
	.p2align	8
	.type	_ZN7rocprim17ROCPRIM_400000_NS6detail17trampoline_kernelINS0_14default_configENS1_27upper_bound_config_selectorIflEEZNS1_14transform_implILb0ES3_S5_N6thrust23THRUST_200600_302600_NS6detail15normal_iteratorINS8_7pointerIfNS8_11hip_rocprim9par_det_tENS8_11use_defaultESE_EEEENSA_INSB_IlSD_SE_SE_EEEEZNS1_13binary_searchIS3_S5_NSA_INS8_10device_ptrIfEEEESG_SI_NS1_21upper_bound_search_opENS9_16wrapped_functionINS8_6system6detail7generic6detail18binary_search_lessEbEEEE10hipError_tPvRmT1_T2_T3_mmT4_T5_P12ihipStream_tbEUlRKfE_EESV_SZ_S10_mS11_S14_bEUlT_E_NS1_11comp_targetILNS1_3genE4ELNS1_11target_archE910ELNS1_3gpuE8ELNS1_3repE0EEENS1_30default_config_static_selectorELNS0_4arch9wavefront6targetE1EEEvSY_,@function
_ZN7rocprim17ROCPRIM_400000_NS6detail17trampoline_kernelINS0_14default_configENS1_27upper_bound_config_selectorIflEEZNS1_14transform_implILb0ES3_S5_N6thrust23THRUST_200600_302600_NS6detail15normal_iteratorINS8_7pointerIfNS8_11hip_rocprim9par_det_tENS8_11use_defaultESE_EEEENSA_INSB_IlSD_SE_SE_EEEEZNS1_13binary_searchIS3_S5_NSA_INS8_10device_ptrIfEEEESG_SI_NS1_21upper_bound_search_opENS9_16wrapped_functionINS8_6system6detail7generic6detail18binary_search_lessEbEEEE10hipError_tPvRmT1_T2_T3_mmT4_T5_P12ihipStream_tbEUlRKfE_EESV_SZ_S10_mS11_S14_bEUlT_E_NS1_11comp_targetILNS1_3genE4ELNS1_11target_archE910ELNS1_3gpuE8ELNS1_3repE0EEENS1_30default_config_static_selectorELNS0_4arch9wavefront6targetE1EEEvSY_: ; @_ZN7rocprim17ROCPRIM_400000_NS6detail17trampoline_kernelINS0_14default_configENS1_27upper_bound_config_selectorIflEEZNS1_14transform_implILb0ES3_S5_N6thrust23THRUST_200600_302600_NS6detail15normal_iteratorINS8_7pointerIfNS8_11hip_rocprim9par_det_tENS8_11use_defaultESE_EEEENSA_INSB_IlSD_SE_SE_EEEEZNS1_13binary_searchIS3_S5_NSA_INS8_10device_ptrIfEEEESG_SI_NS1_21upper_bound_search_opENS9_16wrapped_functionINS8_6system6detail7generic6detail18binary_search_lessEbEEEE10hipError_tPvRmT1_T2_T3_mmT4_T5_P12ihipStream_tbEUlRKfE_EESV_SZ_S10_mS11_S14_bEUlT_E_NS1_11comp_targetILNS1_3genE4ELNS1_11target_archE910ELNS1_3gpuE8ELNS1_3repE0EEENS1_30default_config_static_selectorELNS0_4arch9wavefront6targetE1EEEvSY_
; %bb.0:
	.section	.rodata,"a",@progbits
	.p2align	6, 0x0
	.amdhsa_kernel _ZN7rocprim17ROCPRIM_400000_NS6detail17trampoline_kernelINS0_14default_configENS1_27upper_bound_config_selectorIflEEZNS1_14transform_implILb0ES3_S5_N6thrust23THRUST_200600_302600_NS6detail15normal_iteratorINS8_7pointerIfNS8_11hip_rocprim9par_det_tENS8_11use_defaultESE_EEEENSA_INSB_IlSD_SE_SE_EEEEZNS1_13binary_searchIS3_S5_NSA_INS8_10device_ptrIfEEEESG_SI_NS1_21upper_bound_search_opENS9_16wrapped_functionINS8_6system6detail7generic6detail18binary_search_lessEbEEEE10hipError_tPvRmT1_T2_T3_mmT4_T5_P12ihipStream_tbEUlRKfE_EESV_SZ_S10_mS11_S14_bEUlT_E_NS1_11comp_targetILNS1_3genE4ELNS1_11target_archE910ELNS1_3gpuE8ELNS1_3repE0EEENS1_30default_config_static_selectorELNS0_4arch9wavefront6targetE1EEEvSY_
		.amdhsa_group_segment_fixed_size 0
		.amdhsa_private_segment_fixed_size 0
		.amdhsa_kernarg_size 56
		.amdhsa_user_sgpr_count 6
		.amdhsa_user_sgpr_private_segment_buffer 1
		.amdhsa_user_sgpr_dispatch_ptr 0
		.amdhsa_user_sgpr_queue_ptr 0
		.amdhsa_user_sgpr_kernarg_segment_ptr 1
		.amdhsa_user_sgpr_dispatch_id 0
		.amdhsa_user_sgpr_flat_scratch_init 0
		.amdhsa_user_sgpr_private_segment_size 0
		.amdhsa_uses_dynamic_stack 0
		.amdhsa_system_sgpr_private_segment_wavefront_offset 0
		.amdhsa_system_sgpr_workgroup_id_x 1
		.amdhsa_system_sgpr_workgroup_id_y 0
		.amdhsa_system_sgpr_workgroup_id_z 0
		.amdhsa_system_sgpr_workgroup_info 0
		.amdhsa_system_vgpr_workitem_id 0
		.amdhsa_next_free_vgpr 1
		.amdhsa_next_free_sgpr 0
		.amdhsa_reserve_vcc 0
		.amdhsa_reserve_flat_scratch 0
		.amdhsa_float_round_mode_32 0
		.amdhsa_float_round_mode_16_64 0
		.amdhsa_float_denorm_mode_32 3
		.amdhsa_float_denorm_mode_16_64 3
		.amdhsa_dx10_clamp 1
		.amdhsa_ieee_mode 1
		.amdhsa_fp16_overflow 0
		.amdhsa_exception_fp_ieee_invalid_op 0
		.amdhsa_exception_fp_denorm_src 0
		.amdhsa_exception_fp_ieee_div_zero 0
		.amdhsa_exception_fp_ieee_overflow 0
		.amdhsa_exception_fp_ieee_underflow 0
		.amdhsa_exception_fp_ieee_inexact 0
		.amdhsa_exception_int_div_zero 0
	.end_amdhsa_kernel
	.section	.text._ZN7rocprim17ROCPRIM_400000_NS6detail17trampoline_kernelINS0_14default_configENS1_27upper_bound_config_selectorIflEEZNS1_14transform_implILb0ES3_S5_N6thrust23THRUST_200600_302600_NS6detail15normal_iteratorINS8_7pointerIfNS8_11hip_rocprim9par_det_tENS8_11use_defaultESE_EEEENSA_INSB_IlSD_SE_SE_EEEEZNS1_13binary_searchIS3_S5_NSA_INS8_10device_ptrIfEEEESG_SI_NS1_21upper_bound_search_opENS9_16wrapped_functionINS8_6system6detail7generic6detail18binary_search_lessEbEEEE10hipError_tPvRmT1_T2_T3_mmT4_T5_P12ihipStream_tbEUlRKfE_EESV_SZ_S10_mS11_S14_bEUlT_E_NS1_11comp_targetILNS1_3genE4ELNS1_11target_archE910ELNS1_3gpuE8ELNS1_3repE0EEENS1_30default_config_static_selectorELNS0_4arch9wavefront6targetE1EEEvSY_,"axG",@progbits,_ZN7rocprim17ROCPRIM_400000_NS6detail17trampoline_kernelINS0_14default_configENS1_27upper_bound_config_selectorIflEEZNS1_14transform_implILb0ES3_S5_N6thrust23THRUST_200600_302600_NS6detail15normal_iteratorINS8_7pointerIfNS8_11hip_rocprim9par_det_tENS8_11use_defaultESE_EEEENSA_INSB_IlSD_SE_SE_EEEEZNS1_13binary_searchIS3_S5_NSA_INS8_10device_ptrIfEEEESG_SI_NS1_21upper_bound_search_opENS9_16wrapped_functionINS8_6system6detail7generic6detail18binary_search_lessEbEEEE10hipError_tPvRmT1_T2_T3_mmT4_T5_P12ihipStream_tbEUlRKfE_EESV_SZ_S10_mS11_S14_bEUlT_E_NS1_11comp_targetILNS1_3genE4ELNS1_11target_archE910ELNS1_3gpuE8ELNS1_3repE0EEENS1_30default_config_static_selectorELNS0_4arch9wavefront6targetE1EEEvSY_,comdat
.Lfunc_end520:
	.size	_ZN7rocprim17ROCPRIM_400000_NS6detail17trampoline_kernelINS0_14default_configENS1_27upper_bound_config_selectorIflEEZNS1_14transform_implILb0ES3_S5_N6thrust23THRUST_200600_302600_NS6detail15normal_iteratorINS8_7pointerIfNS8_11hip_rocprim9par_det_tENS8_11use_defaultESE_EEEENSA_INSB_IlSD_SE_SE_EEEEZNS1_13binary_searchIS3_S5_NSA_INS8_10device_ptrIfEEEESG_SI_NS1_21upper_bound_search_opENS9_16wrapped_functionINS8_6system6detail7generic6detail18binary_search_lessEbEEEE10hipError_tPvRmT1_T2_T3_mmT4_T5_P12ihipStream_tbEUlRKfE_EESV_SZ_S10_mS11_S14_bEUlT_E_NS1_11comp_targetILNS1_3genE4ELNS1_11target_archE910ELNS1_3gpuE8ELNS1_3repE0EEENS1_30default_config_static_selectorELNS0_4arch9wavefront6targetE1EEEvSY_, .Lfunc_end520-_ZN7rocprim17ROCPRIM_400000_NS6detail17trampoline_kernelINS0_14default_configENS1_27upper_bound_config_selectorIflEEZNS1_14transform_implILb0ES3_S5_N6thrust23THRUST_200600_302600_NS6detail15normal_iteratorINS8_7pointerIfNS8_11hip_rocprim9par_det_tENS8_11use_defaultESE_EEEENSA_INSB_IlSD_SE_SE_EEEEZNS1_13binary_searchIS3_S5_NSA_INS8_10device_ptrIfEEEESG_SI_NS1_21upper_bound_search_opENS9_16wrapped_functionINS8_6system6detail7generic6detail18binary_search_lessEbEEEE10hipError_tPvRmT1_T2_T3_mmT4_T5_P12ihipStream_tbEUlRKfE_EESV_SZ_S10_mS11_S14_bEUlT_E_NS1_11comp_targetILNS1_3genE4ELNS1_11target_archE910ELNS1_3gpuE8ELNS1_3repE0EEENS1_30default_config_static_selectorELNS0_4arch9wavefront6targetE1EEEvSY_
                                        ; -- End function
	.set _ZN7rocprim17ROCPRIM_400000_NS6detail17trampoline_kernelINS0_14default_configENS1_27upper_bound_config_selectorIflEEZNS1_14transform_implILb0ES3_S5_N6thrust23THRUST_200600_302600_NS6detail15normal_iteratorINS8_7pointerIfNS8_11hip_rocprim9par_det_tENS8_11use_defaultESE_EEEENSA_INSB_IlSD_SE_SE_EEEEZNS1_13binary_searchIS3_S5_NSA_INS8_10device_ptrIfEEEESG_SI_NS1_21upper_bound_search_opENS9_16wrapped_functionINS8_6system6detail7generic6detail18binary_search_lessEbEEEE10hipError_tPvRmT1_T2_T3_mmT4_T5_P12ihipStream_tbEUlRKfE_EESV_SZ_S10_mS11_S14_bEUlT_E_NS1_11comp_targetILNS1_3genE4ELNS1_11target_archE910ELNS1_3gpuE8ELNS1_3repE0EEENS1_30default_config_static_selectorELNS0_4arch9wavefront6targetE1EEEvSY_.num_vgpr, 0
	.set _ZN7rocprim17ROCPRIM_400000_NS6detail17trampoline_kernelINS0_14default_configENS1_27upper_bound_config_selectorIflEEZNS1_14transform_implILb0ES3_S5_N6thrust23THRUST_200600_302600_NS6detail15normal_iteratorINS8_7pointerIfNS8_11hip_rocprim9par_det_tENS8_11use_defaultESE_EEEENSA_INSB_IlSD_SE_SE_EEEEZNS1_13binary_searchIS3_S5_NSA_INS8_10device_ptrIfEEEESG_SI_NS1_21upper_bound_search_opENS9_16wrapped_functionINS8_6system6detail7generic6detail18binary_search_lessEbEEEE10hipError_tPvRmT1_T2_T3_mmT4_T5_P12ihipStream_tbEUlRKfE_EESV_SZ_S10_mS11_S14_bEUlT_E_NS1_11comp_targetILNS1_3genE4ELNS1_11target_archE910ELNS1_3gpuE8ELNS1_3repE0EEENS1_30default_config_static_selectorELNS0_4arch9wavefront6targetE1EEEvSY_.num_agpr, 0
	.set _ZN7rocprim17ROCPRIM_400000_NS6detail17trampoline_kernelINS0_14default_configENS1_27upper_bound_config_selectorIflEEZNS1_14transform_implILb0ES3_S5_N6thrust23THRUST_200600_302600_NS6detail15normal_iteratorINS8_7pointerIfNS8_11hip_rocprim9par_det_tENS8_11use_defaultESE_EEEENSA_INSB_IlSD_SE_SE_EEEEZNS1_13binary_searchIS3_S5_NSA_INS8_10device_ptrIfEEEESG_SI_NS1_21upper_bound_search_opENS9_16wrapped_functionINS8_6system6detail7generic6detail18binary_search_lessEbEEEE10hipError_tPvRmT1_T2_T3_mmT4_T5_P12ihipStream_tbEUlRKfE_EESV_SZ_S10_mS11_S14_bEUlT_E_NS1_11comp_targetILNS1_3genE4ELNS1_11target_archE910ELNS1_3gpuE8ELNS1_3repE0EEENS1_30default_config_static_selectorELNS0_4arch9wavefront6targetE1EEEvSY_.numbered_sgpr, 0
	.set _ZN7rocprim17ROCPRIM_400000_NS6detail17trampoline_kernelINS0_14default_configENS1_27upper_bound_config_selectorIflEEZNS1_14transform_implILb0ES3_S5_N6thrust23THRUST_200600_302600_NS6detail15normal_iteratorINS8_7pointerIfNS8_11hip_rocprim9par_det_tENS8_11use_defaultESE_EEEENSA_INSB_IlSD_SE_SE_EEEEZNS1_13binary_searchIS3_S5_NSA_INS8_10device_ptrIfEEEESG_SI_NS1_21upper_bound_search_opENS9_16wrapped_functionINS8_6system6detail7generic6detail18binary_search_lessEbEEEE10hipError_tPvRmT1_T2_T3_mmT4_T5_P12ihipStream_tbEUlRKfE_EESV_SZ_S10_mS11_S14_bEUlT_E_NS1_11comp_targetILNS1_3genE4ELNS1_11target_archE910ELNS1_3gpuE8ELNS1_3repE0EEENS1_30default_config_static_selectorELNS0_4arch9wavefront6targetE1EEEvSY_.num_named_barrier, 0
	.set _ZN7rocprim17ROCPRIM_400000_NS6detail17trampoline_kernelINS0_14default_configENS1_27upper_bound_config_selectorIflEEZNS1_14transform_implILb0ES3_S5_N6thrust23THRUST_200600_302600_NS6detail15normal_iteratorINS8_7pointerIfNS8_11hip_rocprim9par_det_tENS8_11use_defaultESE_EEEENSA_INSB_IlSD_SE_SE_EEEEZNS1_13binary_searchIS3_S5_NSA_INS8_10device_ptrIfEEEESG_SI_NS1_21upper_bound_search_opENS9_16wrapped_functionINS8_6system6detail7generic6detail18binary_search_lessEbEEEE10hipError_tPvRmT1_T2_T3_mmT4_T5_P12ihipStream_tbEUlRKfE_EESV_SZ_S10_mS11_S14_bEUlT_E_NS1_11comp_targetILNS1_3genE4ELNS1_11target_archE910ELNS1_3gpuE8ELNS1_3repE0EEENS1_30default_config_static_selectorELNS0_4arch9wavefront6targetE1EEEvSY_.private_seg_size, 0
	.set _ZN7rocprim17ROCPRIM_400000_NS6detail17trampoline_kernelINS0_14default_configENS1_27upper_bound_config_selectorIflEEZNS1_14transform_implILb0ES3_S5_N6thrust23THRUST_200600_302600_NS6detail15normal_iteratorINS8_7pointerIfNS8_11hip_rocprim9par_det_tENS8_11use_defaultESE_EEEENSA_INSB_IlSD_SE_SE_EEEEZNS1_13binary_searchIS3_S5_NSA_INS8_10device_ptrIfEEEESG_SI_NS1_21upper_bound_search_opENS9_16wrapped_functionINS8_6system6detail7generic6detail18binary_search_lessEbEEEE10hipError_tPvRmT1_T2_T3_mmT4_T5_P12ihipStream_tbEUlRKfE_EESV_SZ_S10_mS11_S14_bEUlT_E_NS1_11comp_targetILNS1_3genE4ELNS1_11target_archE910ELNS1_3gpuE8ELNS1_3repE0EEENS1_30default_config_static_selectorELNS0_4arch9wavefront6targetE1EEEvSY_.uses_vcc, 0
	.set _ZN7rocprim17ROCPRIM_400000_NS6detail17trampoline_kernelINS0_14default_configENS1_27upper_bound_config_selectorIflEEZNS1_14transform_implILb0ES3_S5_N6thrust23THRUST_200600_302600_NS6detail15normal_iteratorINS8_7pointerIfNS8_11hip_rocprim9par_det_tENS8_11use_defaultESE_EEEENSA_INSB_IlSD_SE_SE_EEEEZNS1_13binary_searchIS3_S5_NSA_INS8_10device_ptrIfEEEESG_SI_NS1_21upper_bound_search_opENS9_16wrapped_functionINS8_6system6detail7generic6detail18binary_search_lessEbEEEE10hipError_tPvRmT1_T2_T3_mmT4_T5_P12ihipStream_tbEUlRKfE_EESV_SZ_S10_mS11_S14_bEUlT_E_NS1_11comp_targetILNS1_3genE4ELNS1_11target_archE910ELNS1_3gpuE8ELNS1_3repE0EEENS1_30default_config_static_selectorELNS0_4arch9wavefront6targetE1EEEvSY_.uses_flat_scratch, 0
	.set _ZN7rocprim17ROCPRIM_400000_NS6detail17trampoline_kernelINS0_14default_configENS1_27upper_bound_config_selectorIflEEZNS1_14transform_implILb0ES3_S5_N6thrust23THRUST_200600_302600_NS6detail15normal_iteratorINS8_7pointerIfNS8_11hip_rocprim9par_det_tENS8_11use_defaultESE_EEEENSA_INSB_IlSD_SE_SE_EEEEZNS1_13binary_searchIS3_S5_NSA_INS8_10device_ptrIfEEEESG_SI_NS1_21upper_bound_search_opENS9_16wrapped_functionINS8_6system6detail7generic6detail18binary_search_lessEbEEEE10hipError_tPvRmT1_T2_T3_mmT4_T5_P12ihipStream_tbEUlRKfE_EESV_SZ_S10_mS11_S14_bEUlT_E_NS1_11comp_targetILNS1_3genE4ELNS1_11target_archE910ELNS1_3gpuE8ELNS1_3repE0EEENS1_30default_config_static_selectorELNS0_4arch9wavefront6targetE1EEEvSY_.has_dyn_sized_stack, 0
	.set _ZN7rocprim17ROCPRIM_400000_NS6detail17trampoline_kernelINS0_14default_configENS1_27upper_bound_config_selectorIflEEZNS1_14transform_implILb0ES3_S5_N6thrust23THRUST_200600_302600_NS6detail15normal_iteratorINS8_7pointerIfNS8_11hip_rocprim9par_det_tENS8_11use_defaultESE_EEEENSA_INSB_IlSD_SE_SE_EEEEZNS1_13binary_searchIS3_S5_NSA_INS8_10device_ptrIfEEEESG_SI_NS1_21upper_bound_search_opENS9_16wrapped_functionINS8_6system6detail7generic6detail18binary_search_lessEbEEEE10hipError_tPvRmT1_T2_T3_mmT4_T5_P12ihipStream_tbEUlRKfE_EESV_SZ_S10_mS11_S14_bEUlT_E_NS1_11comp_targetILNS1_3genE4ELNS1_11target_archE910ELNS1_3gpuE8ELNS1_3repE0EEENS1_30default_config_static_selectorELNS0_4arch9wavefront6targetE1EEEvSY_.has_recursion, 0
	.set _ZN7rocprim17ROCPRIM_400000_NS6detail17trampoline_kernelINS0_14default_configENS1_27upper_bound_config_selectorIflEEZNS1_14transform_implILb0ES3_S5_N6thrust23THRUST_200600_302600_NS6detail15normal_iteratorINS8_7pointerIfNS8_11hip_rocprim9par_det_tENS8_11use_defaultESE_EEEENSA_INSB_IlSD_SE_SE_EEEEZNS1_13binary_searchIS3_S5_NSA_INS8_10device_ptrIfEEEESG_SI_NS1_21upper_bound_search_opENS9_16wrapped_functionINS8_6system6detail7generic6detail18binary_search_lessEbEEEE10hipError_tPvRmT1_T2_T3_mmT4_T5_P12ihipStream_tbEUlRKfE_EESV_SZ_S10_mS11_S14_bEUlT_E_NS1_11comp_targetILNS1_3genE4ELNS1_11target_archE910ELNS1_3gpuE8ELNS1_3repE0EEENS1_30default_config_static_selectorELNS0_4arch9wavefront6targetE1EEEvSY_.has_indirect_call, 0
	.section	.AMDGPU.csdata,"",@progbits
; Kernel info:
; codeLenInByte = 0
; TotalNumSgprs: 4
; NumVgprs: 0
; ScratchSize: 0
; MemoryBound: 0
; FloatMode: 240
; IeeeMode: 1
; LDSByteSize: 0 bytes/workgroup (compile time only)
; SGPRBlocks: 0
; VGPRBlocks: 0
; NumSGPRsForWavesPerEU: 4
; NumVGPRsForWavesPerEU: 1
; Occupancy: 10
; WaveLimiterHint : 0
; COMPUTE_PGM_RSRC2:SCRATCH_EN: 0
; COMPUTE_PGM_RSRC2:USER_SGPR: 6
; COMPUTE_PGM_RSRC2:TRAP_HANDLER: 0
; COMPUTE_PGM_RSRC2:TGID_X_EN: 1
; COMPUTE_PGM_RSRC2:TGID_Y_EN: 0
; COMPUTE_PGM_RSRC2:TGID_Z_EN: 0
; COMPUTE_PGM_RSRC2:TIDIG_COMP_CNT: 0
	.section	.text._ZN7rocprim17ROCPRIM_400000_NS6detail17trampoline_kernelINS0_14default_configENS1_27upper_bound_config_selectorIflEEZNS1_14transform_implILb0ES3_S5_N6thrust23THRUST_200600_302600_NS6detail15normal_iteratorINS8_7pointerIfNS8_11hip_rocprim9par_det_tENS8_11use_defaultESE_EEEENSA_INSB_IlSD_SE_SE_EEEEZNS1_13binary_searchIS3_S5_NSA_INS8_10device_ptrIfEEEESG_SI_NS1_21upper_bound_search_opENS9_16wrapped_functionINS8_6system6detail7generic6detail18binary_search_lessEbEEEE10hipError_tPvRmT1_T2_T3_mmT4_T5_P12ihipStream_tbEUlRKfE_EESV_SZ_S10_mS11_S14_bEUlT_E_NS1_11comp_targetILNS1_3genE3ELNS1_11target_archE908ELNS1_3gpuE7ELNS1_3repE0EEENS1_30default_config_static_selectorELNS0_4arch9wavefront6targetE1EEEvSY_,"axG",@progbits,_ZN7rocprim17ROCPRIM_400000_NS6detail17trampoline_kernelINS0_14default_configENS1_27upper_bound_config_selectorIflEEZNS1_14transform_implILb0ES3_S5_N6thrust23THRUST_200600_302600_NS6detail15normal_iteratorINS8_7pointerIfNS8_11hip_rocprim9par_det_tENS8_11use_defaultESE_EEEENSA_INSB_IlSD_SE_SE_EEEEZNS1_13binary_searchIS3_S5_NSA_INS8_10device_ptrIfEEEESG_SI_NS1_21upper_bound_search_opENS9_16wrapped_functionINS8_6system6detail7generic6detail18binary_search_lessEbEEEE10hipError_tPvRmT1_T2_T3_mmT4_T5_P12ihipStream_tbEUlRKfE_EESV_SZ_S10_mS11_S14_bEUlT_E_NS1_11comp_targetILNS1_3genE3ELNS1_11target_archE908ELNS1_3gpuE7ELNS1_3repE0EEENS1_30default_config_static_selectorELNS0_4arch9wavefront6targetE1EEEvSY_,comdat
	.protected	_ZN7rocprim17ROCPRIM_400000_NS6detail17trampoline_kernelINS0_14default_configENS1_27upper_bound_config_selectorIflEEZNS1_14transform_implILb0ES3_S5_N6thrust23THRUST_200600_302600_NS6detail15normal_iteratorINS8_7pointerIfNS8_11hip_rocprim9par_det_tENS8_11use_defaultESE_EEEENSA_INSB_IlSD_SE_SE_EEEEZNS1_13binary_searchIS3_S5_NSA_INS8_10device_ptrIfEEEESG_SI_NS1_21upper_bound_search_opENS9_16wrapped_functionINS8_6system6detail7generic6detail18binary_search_lessEbEEEE10hipError_tPvRmT1_T2_T3_mmT4_T5_P12ihipStream_tbEUlRKfE_EESV_SZ_S10_mS11_S14_bEUlT_E_NS1_11comp_targetILNS1_3genE3ELNS1_11target_archE908ELNS1_3gpuE7ELNS1_3repE0EEENS1_30default_config_static_selectorELNS0_4arch9wavefront6targetE1EEEvSY_ ; -- Begin function _ZN7rocprim17ROCPRIM_400000_NS6detail17trampoline_kernelINS0_14default_configENS1_27upper_bound_config_selectorIflEEZNS1_14transform_implILb0ES3_S5_N6thrust23THRUST_200600_302600_NS6detail15normal_iteratorINS8_7pointerIfNS8_11hip_rocprim9par_det_tENS8_11use_defaultESE_EEEENSA_INSB_IlSD_SE_SE_EEEEZNS1_13binary_searchIS3_S5_NSA_INS8_10device_ptrIfEEEESG_SI_NS1_21upper_bound_search_opENS9_16wrapped_functionINS8_6system6detail7generic6detail18binary_search_lessEbEEEE10hipError_tPvRmT1_T2_T3_mmT4_T5_P12ihipStream_tbEUlRKfE_EESV_SZ_S10_mS11_S14_bEUlT_E_NS1_11comp_targetILNS1_3genE3ELNS1_11target_archE908ELNS1_3gpuE7ELNS1_3repE0EEENS1_30default_config_static_selectorELNS0_4arch9wavefront6targetE1EEEvSY_
	.globl	_ZN7rocprim17ROCPRIM_400000_NS6detail17trampoline_kernelINS0_14default_configENS1_27upper_bound_config_selectorIflEEZNS1_14transform_implILb0ES3_S5_N6thrust23THRUST_200600_302600_NS6detail15normal_iteratorINS8_7pointerIfNS8_11hip_rocprim9par_det_tENS8_11use_defaultESE_EEEENSA_INSB_IlSD_SE_SE_EEEEZNS1_13binary_searchIS3_S5_NSA_INS8_10device_ptrIfEEEESG_SI_NS1_21upper_bound_search_opENS9_16wrapped_functionINS8_6system6detail7generic6detail18binary_search_lessEbEEEE10hipError_tPvRmT1_T2_T3_mmT4_T5_P12ihipStream_tbEUlRKfE_EESV_SZ_S10_mS11_S14_bEUlT_E_NS1_11comp_targetILNS1_3genE3ELNS1_11target_archE908ELNS1_3gpuE7ELNS1_3repE0EEENS1_30default_config_static_selectorELNS0_4arch9wavefront6targetE1EEEvSY_
	.p2align	8
	.type	_ZN7rocprim17ROCPRIM_400000_NS6detail17trampoline_kernelINS0_14default_configENS1_27upper_bound_config_selectorIflEEZNS1_14transform_implILb0ES3_S5_N6thrust23THRUST_200600_302600_NS6detail15normal_iteratorINS8_7pointerIfNS8_11hip_rocprim9par_det_tENS8_11use_defaultESE_EEEENSA_INSB_IlSD_SE_SE_EEEEZNS1_13binary_searchIS3_S5_NSA_INS8_10device_ptrIfEEEESG_SI_NS1_21upper_bound_search_opENS9_16wrapped_functionINS8_6system6detail7generic6detail18binary_search_lessEbEEEE10hipError_tPvRmT1_T2_T3_mmT4_T5_P12ihipStream_tbEUlRKfE_EESV_SZ_S10_mS11_S14_bEUlT_E_NS1_11comp_targetILNS1_3genE3ELNS1_11target_archE908ELNS1_3gpuE7ELNS1_3repE0EEENS1_30default_config_static_selectorELNS0_4arch9wavefront6targetE1EEEvSY_,@function
_ZN7rocprim17ROCPRIM_400000_NS6detail17trampoline_kernelINS0_14default_configENS1_27upper_bound_config_selectorIflEEZNS1_14transform_implILb0ES3_S5_N6thrust23THRUST_200600_302600_NS6detail15normal_iteratorINS8_7pointerIfNS8_11hip_rocprim9par_det_tENS8_11use_defaultESE_EEEENSA_INSB_IlSD_SE_SE_EEEEZNS1_13binary_searchIS3_S5_NSA_INS8_10device_ptrIfEEEESG_SI_NS1_21upper_bound_search_opENS9_16wrapped_functionINS8_6system6detail7generic6detail18binary_search_lessEbEEEE10hipError_tPvRmT1_T2_T3_mmT4_T5_P12ihipStream_tbEUlRKfE_EESV_SZ_S10_mS11_S14_bEUlT_E_NS1_11comp_targetILNS1_3genE3ELNS1_11target_archE908ELNS1_3gpuE7ELNS1_3repE0EEENS1_30default_config_static_selectorELNS0_4arch9wavefront6targetE1EEEvSY_: ; @_ZN7rocprim17ROCPRIM_400000_NS6detail17trampoline_kernelINS0_14default_configENS1_27upper_bound_config_selectorIflEEZNS1_14transform_implILb0ES3_S5_N6thrust23THRUST_200600_302600_NS6detail15normal_iteratorINS8_7pointerIfNS8_11hip_rocprim9par_det_tENS8_11use_defaultESE_EEEENSA_INSB_IlSD_SE_SE_EEEEZNS1_13binary_searchIS3_S5_NSA_INS8_10device_ptrIfEEEESG_SI_NS1_21upper_bound_search_opENS9_16wrapped_functionINS8_6system6detail7generic6detail18binary_search_lessEbEEEE10hipError_tPvRmT1_T2_T3_mmT4_T5_P12ihipStream_tbEUlRKfE_EESV_SZ_S10_mS11_S14_bEUlT_E_NS1_11comp_targetILNS1_3genE3ELNS1_11target_archE908ELNS1_3gpuE7ELNS1_3repE0EEENS1_30default_config_static_selectorELNS0_4arch9wavefront6targetE1EEEvSY_
; %bb.0:
	.section	.rodata,"a",@progbits
	.p2align	6, 0x0
	.amdhsa_kernel _ZN7rocprim17ROCPRIM_400000_NS6detail17trampoline_kernelINS0_14default_configENS1_27upper_bound_config_selectorIflEEZNS1_14transform_implILb0ES3_S5_N6thrust23THRUST_200600_302600_NS6detail15normal_iteratorINS8_7pointerIfNS8_11hip_rocprim9par_det_tENS8_11use_defaultESE_EEEENSA_INSB_IlSD_SE_SE_EEEEZNS1_13binary_searchIS3_S5_NSA_INS8_10device_ptrIfEEEESG_SI_NS1_21upper_bound_search_opENS9_16wrapped_functionINS8_6system6detail7generic6detail18binary_search_lessEbEEEE10hipError_tPvRmT1_T2_T3_mmT4_T5_P12ihipStream_tbEUlRKfE_EESV_SZ_S10_mS11_S14_bEUlT_E_NS1_11comp_targetILNS1_3genE3ELNS1_11target_archE908ELNS1_3gpuE7ELNS1_3repE0EEENS1_30default_config_static_selectorELNS0_4arch9wavefront6targetE1EEEvSY_
		.amdhsa_group_segment_fixed_size 0
		.amdhsa_private_segment_fixed_size 0
		.amdhsa_kernarg_size 56
		.amdhsa_user_sgpr_count 6
		.amdhsa_user_sgpr_private_segment_buffer 1
		.amdhsa_user_sgpr_dispatch_ptr 0
		.amdhsa_user_sgpr_queue_ptr 0
		.amdhsa_user_sgpr_kernarg_segment_ptr 1
		.amdhsa_user_sgpr_dispatch_id 0
		.amdhsa_user_sgpr_flat_scratch_init 0
		.amdhsa_user_sgpr_private_segment_size 0
		.amdhsa_uses_dynamic_stack 0
		.amdhsa_system_sgpr_private_segment_wavefront_offset 0
		.amdhsa_system_sgpr_workgroup_id_x 1
		.amdhsa_system_sgpr_workgroup_id_y 0
		.amdhsa_system_sgpr_workgroup_id_z 0
		.amdhsa_system_sgpr_workgroup_info 0
		.amdhsa_system_vgpr_workitem_id 0
		.amdhsa_next_free_vgpr 1
		.amdhsa_next_free_sgpr 0
		.amdhsa_reserve_vcc 0
		.amdhsa_reserve_flat_scratch 0
		.amdhsa_float_round_mode_32 0
		.amdhsa_float_round_mode_16_64 0
		.amdhsa_float_denorm_mode_32 3
		.amdhsa_float_denorm_mode_16_64 3
		.amdhsa_dx10_clamp 1
		.amdhsa_ieee_mode 1
		.amdhsa_fp16_overflow 0
		.amdhsa_exception_fp_ieee_invalid_op 0
		.amdhsa_exception_fp_denorm_src 0
		.amdhsa_exception_fp_ieee_div_zero 0
		.amdhsa_exception_fp_ieee_overflow 0
		.amdhsa_exception_fp_ieee_underflow 0
		.amdhsa_exception_fp_ieee_inexact 0
		.amdhsa_exception_int_div_zero 0
	.end_amdhsa_kernel
	.section	.text._ZN7rocprim17ROCPRIM_400000_NS6detail17trampoline_kernelINS0_14default_configENS1_27upper_bound_config_selectorIflEEZNS1_14transform_implILb0ES3_S5_N6thrust23THRUST_200600_302600_NS6detail15normal_iteratorINS8_7pointerIfNS8_11hip_rocprim9par_det_tENS8_11use_defaultESE_EEEENSA_INSB_IlSD_SE_SE_EEEEZNS1_13binary_searchIS3_S5_NSA_INS8_10device_ptrIfEEEESG_SI_NS1_21upper_bound_search_opENS9_16wrapped_functionINS8_6system6detail7generic6detail18binary_search_lessEbEEEE10hipError_tPvRmT1_T2_T3_mmT4_T5_P12ihipStream_tbEUlRKfE_EESV_SZ_S10_mS11_S14_bEUlT_E_NS1_11comp_targetILNS1_3genE3ELNS1_11target_archE908ELNS1_3gpuE7ELNS1_3repE0EEENS1_30default_config_static_selectorELNS0_4arch9wavefront6targetE1EEEvSY_,"axG",@progbits,_ZN7rocprim17ROCPRIM_400000_NS6detail17trampoline_kernelINS0_14default_configENS1_27upper_bound_config_selectorIflEEZNS1_14transform_implILb0ES3_S5_N6thrust23THRUST_200600_302600_NS6detail15normal_iteratorINS8_7pointerIfNS8_11hip_rocprim9par_det_tENS8_11use_defaultESE_EEEENSA_INSB_IlSD_SE_SE_EEEEZNS1_13binary_searchIS3_S5_NSA_INS8_10device_ptrIfEEEESG_SI_NS1_21upper_bound_search_opENS9_16wrapped_functionINS8_6system6detail7generic6detail18binary_search_lessEbEEEE10hipError_tPvRmT1_T2_T3_mmT4_T5_P12ihipStream_tbEUlRKfE_EESV_SZ_S10_mS11_S14_bEUlT_E_NS1_11comp_targetILNS1_3genE3ELNS1_11target_archE908ELNS1_3gpuE7ELNS1_3repE0EEENS1_30default_config_static_selectorELNS0_4arch9wavefront6targetE1EEEvSY_,comdat
.Lfunc_end521:
	.size	_ZN7rocprim17ROCPRIM_400000_NS6detail17trampoline_kernelINS0_14default_configENS1_27upper_bound_config_selectorIflEEZNS1_14transform_implILb0ES3_S5_N6thrust23THRUST_200600_302600_NS6detail15normal_iteratorINS8_7pointerIfNS8_11hip_rocprim9par_det_tENS8_11use_defaultESE_EEEENSA_INSB_IlSD_SE_SE_EEEEZNS1_13binary_searchIS3_S5_NSA_INS8_10device_ptrIfEEEESG_SI_NS1_21upper_bound_search_opENS9_16wrapped_functionINS8_6system6detail7generic6detail18binary_search_lessEbEEEE10hipError_tPvRmT1_T2_T3_mmT4_T5_P12ihipStream_tbEUlRKfE_EESV_SZ_S10_mS11_S14_bEUlT_E_NS1_11comp_targetILNS1_3genE3ELNS1_11target_archE908ELNS1_3gpuE7ELNS1_3repE0EEENS1_30default_config_static_selectorELNS0_4arch9wavefront6targetE1EEEvSY_, .Lfunc_end521-_ZN7rocprim17ROCPRIM_400000_NS6detail17trampoline_kernelINS0_14default_configENS1_27upper_bound_config_selectorIflEEZNS1_14transform_implILb0ES3_S5_N6thrust23THRUST_200600_302600_NS6detail15normal_iteratorINS8_7pointerIfNS8_11hip_rocprim9par_det_tENS8_11use_defaultESE_EEEENSA_INSB_IlSD_SE_SE_EEEEZNS1_13binary_searchIS3_S5_NSA_INS8_10device_ptrIfEEEESG_SI_NS1_21upper_bound_search_opENS9_16wrapped_functionINS8_6system6detail7generic6detail18binary_search_lessEbEEEE10hipError_tPvRmT1_T2_T3_mmT4_T5_P12ihipStream_tbEUlRKfE_EESV_SZ_S10_mS11_S14_bEUlT_E_NS1_11comp_targetILNS1_3genE3ELNS1_11target_archE908ELNS1_3gpuE7ELNS1_3repE0EEENS1_30default_config_static_selectorELNS0_4arch9wavefront6targetE1EEEvSY_
                                        ; -- End function
	.set _ZN7rocprim17ROCPRIM_400000_NS6detail17trampoline_kernelINS0_14default_configENS1_27upper_bound_config_selectorIflEEZNS1_14transform_implILb0ES3_S5_N6thrust23THRUST_200600_302600_NS6detail15normal_iteratorINS8_7pointerIfNS8_11hip_rocprim9par_det_tENS8_11use_defaultESE_EEEENSA_INSB_IlSD_SE_SE_EEEEZNS1_13binary_searchIS3_S5_NSA_INS8_10device_ptrIfEEEESG_SI_NS1_21upper_bound_search_opENS9_16wrapped_functionINS8_6system6detail7generic6detail18binary_search_lessEbEEEE10hipError_tPvRmT1_T2_T3_mmT4_T5_P12ihipStream_tbEUlRKfE_EESV_SZ_S10_mS11_S14_bEUlT_E_NS1_11comp_targetILNS1_3genE3ELNS1_11target_archE908ELNS1_3gpuE7ELNS1_3repE0EEENS1_30default_config_static_selectorELNS0_4arch9wavefront6targetE1EEEvSY_.num_vgpr, 0
	.set _ZN7rocprim17ROCPRIM_400000_NS6detail17trampoline_kernelINS0_14default_configENS1_27upper_bound_config_selectorIflEEZNS1_14transform_implILb0ES3_S5_N6thrust23THRUST_200600_302600_NS6detail15normal_iteratorINS8_7pointerIfNS8_11hip_rocprim9par_det_tENS8_11use_defaultESE_EEEENSA_INSB_IlSD_SE_SE_EEEEZNS1_13binary_searchIS3_S5_NSA_INS8_10device_ptrIfEEEESG_SI_NS1_21upper_bound_search_opENS9_16wrapped_functionINS8_6system6detail7generic6detail18binary_search_lessEbEEEE10hipError_tPvRmT1_T2_T3_mmT4_T5_P12ihipStream_tbEUlRKfE_EESV_SZ_S10_mS11_S14_bEUlT_E_NS1_11comp_targetILNS1_3genE3ELNS1_11target_archE908ELNS1_3gpuE7ELNS1_3repE0EEENS1_30default_config_static_selectorELNS0_4arch9wavefront6targetE1EEEvSY_.num_agpr, 0
	.set _ZN7rocprim17ROCPRIM_400000_NS6detail17trampoline_kernelINS0_14default_configENS1_27upper_bound_config_selectorIflEEZNS1_14transform_implILb0ES3_S5_N6thrust23THRUST_200600_302600_NS6detail15normal_iteratorINS8_7pointerIfNS8_11hip_rocprim9par_det_tENS8_11use_defaultESE_EEEENSA_INSB_IlSD_SE_SE_EEEEZNS1_13binary_searchIS3_S5_NSA_INS8_10device_ptrIfEEEESG_SI_NS1_21upper_bound_search_opENS9_16wrapped_functionINS8_6system6detail7generic6detail18binary_search_lessEbEEEE10hipError_tPvRmT1_T2_T3_mmT4_T5_P12ihipStream_tbEUlRKfE_EESV_SZ_S10_mS11_S14_bEUlT_E_NS1_11comp_targetILNS1_3genE3ELNS1_11target_archE908ELNS1_3gpuE7ELNS1_3repE0EEENS1_30default_config_static_selectorELNS0_4arch9wavefront6targetE1EEEvSY_.numbered_sgpr, 0
	.set _ZN7rocprim17ROCPRIM_400000_NS6detail17trampoline_kernelINS0_14default_configENS1_27upper_bound_config_selectorIflEEZNS1_14transform_implILb0ES3_S5_N6thrust23THRUST_200600_302600_NS6detail15normal_iteratorINS8_7pointerIfNS8_11hip_rocprim9par_det_tENS8_11use_defaultESE_EEEENSA_INSB_IlSD_SE_SE_EEEEZNS1_13binary_searchIS3_S5_NSA_INS8_10device_ptrIfEEEESG_SI_NS1_21upper_bound_search_opENS9_16wrapped_functionINS8_6system6detail7generic6detail18binary_search_lessEbEEEE10hipError_tPvRmT1_T2_T3_mmT4_T5_P12ihipStream_tbEUlRKfE_EESV_SZ_S10_mS11_S14_bEUlT_E_NS1_11comp_targetILNS1_3genE3ELNS1_11target_archE908ELNS1_3gpuE7ELNS1_3repE0EEENS1_30default_config_static_selectorELNS0_4arch9wavefront6targetE1EEEvSY_.num_named_barrier, 0
	.set _ZN7rocprim17ROCPRIM_400000_NS6detail17trampoline_kernelINS0_14default_configENS1_27upper_bound_config_selectorIflEEZNS1_14transform_implILb0ES3_S5_N6thrust23THRUST_200600_302600_NS6detail15normal_iteratorINS8_7pointerIfNS8_11hip_rocprim9par_det_tENS8_11use_defaultESE_EEEENSA_INSB_IlSD_SE_SE_EEEEZNS1_13binary_searchIS3_S5_NSA_INS8_10device_ptrIfEEEESG_SI_NS1_21upper_bound_search_opENS9_16wrapped_functionINS8_6system6detail7generic6detail18binary_search_lessEbEEEE10hipError_tPvRmT1_T2_T3_mmT4_T5_P12ihipStream_tbEUlRKfE_EESV_SZ_S10_mS11_S14_bEUlT_E_NS1_11comp_targetILNS1_3genE3ELNS1_11target_archE908ELNS1_3gpuE7ELNS1_3repE0EEENS1_30default_config_static_selectorELNS0_4arch9wavefront6targetE1EEEvSY_.private_seg_size, 0
	.set _ZN7rocprim17ROCPRIM_400000_NS6detail17trampoline_kernelINS0_14default_configENS1_27upper_bound_config_selectorIflEEZNS1_14transform_implILb0ES3_S5_N6thrust23THRUST_200600_302600_NS6detail15normal_iteratorINS8_7pointerIfNS8_11hip_rocprim9par_det_tENS8_11use_defaultESE_EEEENSA_INSB_IlSD_SE_SE_EEEEZNS1_13binary_searchIS3_S5_NSA_INS8_10device_ptrIfEEEESG_SI_NS1_21upper_bound_search_opENS9_16wrapped_functionINS8_6system6detail7generic6detail18binary_search_lessEbEEEE10hipError_tPvRmT1_T2_T3_mmT4_T5_P12ihipStream_tbEUlRKfE_EESV_SZ_S10_mS11_S14_bEUlT_E_NS1_11comp_targetILNS1_3genE3ELNS1_11target_archE908ELNS1_3gpuE7ELNS1_3repE0EEENS1_30default_config_static_selectorELNS0_4arch9wavefront6targetE1EEEvSY_.uses_vcc, 0
	.set _ZN7rocprim17ROCPRIM_400000_NS6detail17trampoline_kernelINS0_14default_configENS1_27upper_bound_config_selectorIflEEZNS1_14transform_implILb0ES3_S5_N6thrust23THRUST_200600_302600_NS6detail15normal_iteratorINS8_7pointerIfNS8_11hip_rocprim9par_det_tENS8_11use_defaultESE_EEEENSA_INSB_IlSD_SE_SE_EEEEZNS1_13binary_searchIS3_S5_NSA_INS8_10device_ptrIfEEEESG_SI_NS1_21upper_bound_search_opENS9_16wrapped_functionINS8_6system6detail7generic6detail18binary_search_lessEbEEEE10hipError_tPvRmT1_T2_T3_mmT4_T5_P12ihipStream_tbEUlRKfE_EESV_SZ_S10_mS11_S14_bEUlT_E_NS1_11comp_targetILNS1_3genE3ELNS1_11target_archE908ELNS1_3gpuE7ELNS1_3repE0EEENS1_30default_config_static_selectorELNS0_4arch9wavefront6targetE1EEEvSY_.uses_flat_scratch, 0
	.set _ZN7rocprim17ROCPRIM_400000_NS6detail17trampoline_kernelINS0_14default_configENS1_27upper_bound_config_selectorIflEEZNS1_14transform_implILb0ES3_S5_N6thrust23THRUST_200600_302600_NS6detail15normal_iteratorINS8_7pointerIfNS8_11hip_rocprim9par_det_tENS8_11use_defaultESE_EEEENSA_INSB_IlSD_SE_SE_EEEEZNS1_13binary_searchIS3_S5_NSA_INS8_10device_ptrIfEEEESG_SI_NS1_21upper_bound_search_opENS9_16wrapped_functionINS8_6system6detail7generic6detail18binary_search_lessEbEEEE10hipError_tPvRmT1_T2_T3_mmT4_T5_P12ihipStream_tbEUlRKfE_EESV_SZ_S10_mS11_S14_bEUlT_E_NS1_11comp_targetILNS1_3genE3ELNS1_11target_archE908ELNS1_3gpuE7ELNS1_3repE0EEENS1_30default_config_static_selectorELNS0_4arch9wavefront6targetE1EEEvSY_.has_dyn_sized_stack, 0
	.set _ZN7rocprim17ROCPRIM_400000_NS6detail17trampoline_kernelINS0_14default_configENS1_27upper_bound_config_selectorIflEEZNS1_14transform_implILb0ES3_S5_N6thrust23THRUST_200600_302600_NS6detail15normal_iteratorINS8_7pointerIfNS8_11hip_rocprim9par_det_tENS8_11use_defaultESE_EEEENSA_INSB_IlSD_SE_SE_EEEEZNS1_13binary_searchIS3_S5_NSA_INS8_10device_ptrIfEEEESG_SI_NS1_21upper_bound_search_opENS9_16wrapped_functionINS8_6system6detail7generic6detail18binary_search_lessEbEEEE10hipError_tPvRmT1_T2_T3_mmT4_T5_P12ihipStream_tbEUlRKfE_EESV_SZ_S10_mS11_S14_bEUlT_E_NS1_11comp_targetILNS1_3genE3ELNS1_11target_archE908ELNS1_3gpuE7ELNS1_3repE0EEENS1_30default_config_static_selectorELNS0_4arch9wavefront6targetE1EEEvSY_.has_recursion, 0
	.set _ZN7rocprim17ROCPRIM_400000_NS6detail17trampoline_kernelINS0_14default_configENS1_27upper_bound_config_selectorIflEEZNS1_14transform_implILb0ES3_S5_N6thrust23THRUST_200600_302600_NS6detail15normal_iteratorINS8_7pointerIfNS8_11hip_rocprim9par_det_tENS8_11use_defaultESE_EEEENSA_INSB_IlSD_SE_SE_EEEEZNS1_13binary_searchIS3_S5_NSA_INS8_10device_ptrIfEEEESG_SI_NS1_21upper_bound_search_opENS9_16wrapped_functionINS8_6system6detail7generic6detail18binary_search_lessEbEEEE10hipError_tPvRmT1_T2_T3_mmT4_T5_P12ihipStream_tbEUlRKfE_EESV_SZ_S10_mS11_S14_bEUlT_E_NS1_11comp_targetILNS1_3genE3ELNS1_11target_archE908ELNS1_3gpuE7ELNS1_3repE0EEENS1_30default_config_static_selectorELNS0_4arch9wavefront6targetE1EEEvSY_.has_indirect_call, 0
	.section	.AMDGPU.csdata,"",@progbits
; Kernel info:
; codeLenInByte = 0
; TotalNumSgprs: 4
; NumVgprs: 0
; ScratchSize: 0
; MemoryBound: 0
; FloatMode: 240
; IeeeMode: 1
; LDSByteSize: 0 bytes/workgroup (compile time only)
; SGPRBlocks: 0
; VGPRBlocks: 0
; NumSGPRsForWavesPerEU: 4
; NumVGPRsForWavesPerEU: 1
; Occupancy: 10
; WaveLimiterHint : 0
; COMPUTE_PGM_RSRC2:SCRATCH_EN: 0
; COMPUTE_PGM_RSRC2:USER_SGPR: 6
; COMPUTE_PGM_RSRC2:TRAP_HANDLER: 0
; COMPUTE_PGM_RSRC2:TGID_X_EN: 1
; COMPUTE_PGM_RSRC2:TGID_Y_EN: 0
; COMPUTE_PGM_RSRC2:TGID_Z_EN: 0
; COMPUTE_PGM_RSRC2:TIDIG_COMP_CNT: 0
	.section	.text._ZN7rocprim17ROCPRIM_400000_NS6detail17trampoline_kernelINS0_14default_configENS1_27upper_bound_config_selectorIflEEZNS1_14transform_implILb0ES3_S5_N6thrust23THRUST_200600_302600_NS6detail15normal_iteratorINS8_7pointerIfNS8_11hip_rocprim9par_det_tENS8_11use_defaultESE_EEEENSA_INSB_IlSD_SE_SE_EEEEZNS1_13binary_searchIS3_S5_NSA_INS8_10device_ptrIfEEEESG_SI_NS1_21upper_bound_search_opENS9_16wrapped_functionINS8_6system6detail7generic6detail18binary_search_lessEbEEEE10hipError_tPvRmT1_T2_T3_mmT4_T5_P12ihipStream_tbEUlRKfE_EESV_SZ_S10_mS11_S14_bEUlT_E_NS1_11comp_targetILNS1_3genE2ELNS1_11target_archE906ELNS1_3gpuE6ELNS1_3repE0EEENS1_30default_config_static_selectorELNS0_4arch9wavefront6targetE1EEEvSY_,"axG",@progbits,_ZN7rocprim17ROCPRIM_400000_NS6detail17trampoline_kernelINS0_14default_configENS1_27upper_bound_config_selectorIflEEZNS1_14transform_implILb0ES3_S5_N6thrust23THRUST_200600_302600_NS6detail15normal_iteratorINS8_7pointerIfNS8_11hip_rocprim9par_det_tENS8_11use_defaultESE_EEEENSA_INSB_IlSD_SE_SE_EEEEZNS1_13binary_searchIS3_S5_NSA_INS8_10device_ptrIfEEEESG_SI_NS1_21upper_bound_search_opENS9_16wrapped_functionINS8_6system6detail7generic6detail18binary_search_lessEbEEEE10hipError_tPvRmT1_T2_T3_mmT4_T5_P12ihipStream_tbEUlRKfE_EESV_SZ_S10_mS11_S14_bEUlT_E_NS1_11comp_targetILNS1_3genE2ELNS1_11target_archE906ELNS1_3gpuE6ELNS1_3repE0EEENS1_30default_config_static_selectorELNS0_4arch9wavefront6targetE1EEEvSY_,comdat
	.protected	_ZN7rocprim17ROCPRIM_400000_NS6detail17trampoline_kernelINS0_14default_configENS1_27upper_bound_config_selectorIflEEZNS1_14transform_implILb0ES3_S5_N6thrust23THRUST_200600_302600_NS6detail15normal_iteratorINS8_7pointerIfNS8_11hip_rocprim9par_det_tENS8_11use_defaultESE_EEEENSA_INSB_IlSD_SE_SE_EEEEZNS1_13binary_searchIS3_S5_NSA_INS8_10device_ptrIfEEEESG_SI_NS1_21upper_bound_search_opENS9_16wrapped_functionINS8_6system6detail7generic6detail18binary_search_lessEbEEEE10hipError_tPvRmT1_T2_T3_mmT4_T5_P12ihipStream_tbEUlRKfE_EESV_SZ_S10_mS11_S14_bEUlT_E_NS1_11comp_targetILNS1_3genE2ELNS1_11target_archE906ELNS1_3gpuE6ELNS1_3repE0EEENS1_30default_config_static_selectorELNS0_4arch9wavefront6targetE1EEEvSY_ ; -- Begin function _ZN7rocprim17ROCPRIM_400000_NS6detail17trampoline_kernelINS0_14default_configENS1_27upper_bound_config_selectorIflEEZNS1_14transform_implILb0ES3_S5_N6thrust23THRUST_200600_302600_NS6detail15normal_iteratorINS8_7pointerIfNS8_11hip_rocprim9par_det_tENS8_11use_defaultESE_EEEENSA_INSB_IlSD_SE_SE_EEEEZNS1_13binary_searchIS3_S5_NSA_INS8_10device_ptrIfEEEESG_SI_NS1_21upper_bound_search_opENS9_16wrapped_functionINS8_6system6detail7generic6detail18binary_search_lessEbEEEE10hipError_tPvRmT1_T2_T3_mmT4_T5_P12ihipStream_tbEUlRKfE_EESV_SZ_S10_mS11_S14_bEUlT_E_NS1_11comp_targetILNS1_3genE2ELNS1_11target_archE906ELNS1_3gpuE6ELNS1_3repE0EEENS1_30default_config_static_selectorELNS0_4arch9wavefront6targetE1EEEvSY_
	.globl	_ZN7rocprim17ROCPRIM_400000_NS6detail17trampoline_kernelINS0_14default_configENS1_27upper_bound_config_selectorIflEEZNS1_14transform_implILb0ES3_S5_N6thrust23THRUST_200600_302600_NS6detail15normal_iteratorINS8_7pointerIfNS8_11hip_rocprim9par_det_tENS8_11use_defaultESE_EEEENSA_INSB_IlSD_SE_SE_EEEEZNS1_13binary_searchIS3_S5_NSA_INS8_10device_ptrIfEEEESG_SI_NS1_21upper_bound_search_opENS9_16wrapped_functionINS8_6system6detail7generic6detail18binary_search_lessEbEEEE10hipError_tPvRmT1_T2_T3_mmT4_T5_P12ihipStream_tbEUlRKfE_EESV_SZ_S10_mS11_S14_bEUlT_E_NS1_11comp_targetILNS1_3genE2ELNS1_11target_archE906ELNS1_3gpuE6ELNS1_3repE0EEENS1_30default_config_static_selectorELNS0_4arch9wavefront6targetE1EEEvSY_
	.p2align	8
	.type	_ZN7rocprim17ROCPRIM_400000_NS6detail17trampoline_kernelINS0_14default_configENS1_27upper_bound_config_selectorIflEEZNS1_14transform_implILb0ES3_S5_N6thrust23THRUST_200600_302600_NS6detail15normal_iteratorINS8_7pointerIfNS8_11hip_rocprim9par_det_tENS8_11use_defaultESE_EEEENSA_INSB_IlSD_SE_SE_EEEEZNS1_13binary_searchIS3_S5_NSA_INS8_10device_ptrIfEEEESG_SI_NS1_21upper_bound_search_opENS9_16wrapped_functionINS8_6system6detail7generic6detail18binary_search_lessEbEEEE10hipError_tPvRmT1_T2_T3_mmT4_T5_P12ihipStream_tbEUlRKfE_EESV_SZ_S10_mS11_S14_bEUlT_E_NS1_11comp_targetILNS1_3genE2ELNS1_11target_archE906ELNS1_3gpuE6ELNS1_3repE0EEENS1_30default_config_static_selectorELNS0_4arch9wavefront6targetE1EEEvSY_,@function
_ZN7rocprim17ROCPRIM_400000_NS6detail17trampoline_kernelINS0_14default_configENS1_27upper_bound_config_selectorIflEEZNS1_14transform_implILb0ES3_S5_N6thrust23THRUST_200600_302600_NS6detail15normal_iteratorINS8_7pointerIfNS8_11hip_rocprim9par_det_tENS8_11use_defaultESE_EEEENSA_INSB_IlSD_SE_SE_EEEEZNS1_13binary_searchIS3_S5_NSA_INS8_10device_ptrIfEEEESG_SI_NS1_21upper_bound_search_opENS9_16wrapped_functionINS8_6system6detail7generic6detail18binary_search_lessEbEEEE10hipError_tPvRmT1_T2_T3_mmT4_T5_P12ihipStream_tbEUlRKfE_EESV_SZ_S10_mS11_S14_bEUlT_E_NS1_11comp_targetILNS1_3genE2ELNS1_11target_archE906ELNS1_3gpuE6ELNS1_3repE0EEENS1_30default_config_static_selectorELNS0_4arch9wavefront6targetE1EEEvSY_: ; @_ZN7rocprim17ROCPRIM_400000_NS6detail17trampoline_kernelINS0_14default_configENS1_27upper_bound_config_selectorIflEEZNS1_14transform_implILb0ES3_S5_N6thrust23THRUST_200600_302600_NS6detail15normal_iteratorINS8_7pointerIfNS8_11hip_rocprim9par_det_tENS8_11use_defaultESE_EEEENSA_INSB_IlSD_SE_SE_EEEEZNS1_13binary_searchIS3_S5_NSA_INS8_10device_ptrIfEEEESG_SI_NS1_21upper_bound_search_opENS9_16wrapped_functionINS8_6system6detail7generic6detail18binary_search_lessEbEEEE10hipError_tPvRmT1_T2_T3_mmT4_T5_P12ihipStream_tbEUlRKfE_EESV_SZ_S10_mS11_S14_bEUlT_E_NS1_11comp_targetILNS1_3genE2ELNS1_11target_archE906ELNS1_3gpuE6ELNS1_3repE0EEENS1_30default_config_static_selectorELNS0_4arch9wavefront6targetE1EEEvSY_
; %bb.0:
	s_load_dwordx4 s[16:19], s[4:5], 0x0
	s_load_dwordx4 s[8:11], s[4:5], 0x18
	s_load_dwordx2 s[12:13], s[4:5], 0x28
	s_load_dword s15, s[4:5], 0x38
	s_waitcnt lgkmcnt(0)
	s_lshl_b64 s[0:1], s[18:19], 2
	s_add_u32 s2, s16, s0
	s_addc_u32 s3, s17, s1
	s_lshl_b64 s[0:1], s[18:19], 3
	s_add_u32 s7, s8, s0
	s_addc_u32 s14, s9, s1
	s_lshl_b32 s8, s6, 8
	s_add_i32 s15, s15, -1
	s_mov_b32 s9, 0
	s_cmp_lg_u32 s6, s15
	s_mov_b64 s[0:1], -1
	s_cbranch_scc0 .LBB522_7
; %bb.1:
	s_cmp_eq_u64 s[12:13], 0
	s_mov_b64 s[0:1], 0
	s_cbranch_scc1 .LBB522_5
; %bb.2:
	s_lshl_b64 s[16:17], s[8:9], 2
	s_add_u32 s6, s2, s16
	s_addc_u32 s15, s3, s17
	v_lshlrev_b32_e32 v1, 2, v0
	v_mov_b32_e32 v2, s15
	v_add_co_u32_e32 v1, vcc, s6, v1
	v_addc_co_u32_e32 v2, vcc, 0, v2, vcc
	flat_load_dword v5, v[1:2]
	v_mov_b32_e32 v1, 0
	v_mov_b32_e32 v3, s12
	;; [unrolled: 1-line block ×5, first 2 shown]
.LBB522_3:                              ; =>This Inner Loop Header: Depth=1
	v_sub_co_u32_e32 v7, vcc, v3, v1
	v_subb_co_u32_e32 v8, vcc, v4, v2, vcc
	v_lshrrev_b64 v[9:10], 1, v[7:8]
	v_lshrrev_b64 v[7:8], 6, v[7:8]
	v_add_co_u32_e32 v9, vcc, v9, v1
	v_addc_co_u32_e32 v10, vcc, v10, v2, vcc
	v_add_co_u32_e32 v7, vcc, v9, v7
	v_addc_co_u32_e32 v8, vcc, v10, v8, vcc
	v_lshlrev_b64 v[9:10], 2, v[7:8]
	v_add_co_u32_e32 v9, vcc, s10, v9
	v_addc_co_u32_e32 v10, vcc, v6, v10, vcc
	global_load_dword v9, v[9:10], off
	v_add_co_u32_e32 v10, vcc, 1, v7
	v_addc_co_u32_e32 v11, vcc, 0, v8, vcc
	s_waitcnt vmcnt(0) lgkmcnt(0)
	v_cmp_lt_f32_e32 vcc, v5, v9
	v_cndmask_b32_e32 v4, v4, v8, vcc
	v_cndmask_b32_e32 v3, v3, v7, vcc
	;; [unrolled: 1-line block ×4, first 2 shown]
	v_cmp_ge_u64_e32 vcc, v[1:2], v[3:4]
	s_or_b64 s[0:1], vcc, s[0:1]
	s_andn2_b64 exec, exec, s[0:1]
	s_cbranch_execnz .LBB522_3
; %bb.4:
	s_or_b64 exec, exec, s[0:1]
	s_branch .LBB522_6
.LBB522_5:
	v_mov_b32_e32 v1, 0
	v_mov_b32_e32 v2, 0
.LBB522_6:
	s_lshl_b64 s[0:1], s[8:9], 3
	s_add_u32 s0, s7, s0
	s_addc_u32 s1, s14, s1
	v_lshlrev_b32_e32 v3, 3, v0
	v_mov_b32_e32 v4, s1
	v_add_co_u32_e32 v3, vcc, s0, v3
	v_addc_co_u32_e32 v4, vcc, 0, v4, vcc
	s_mov_b64 s[0:1], 0
	flat_store_dwordx2 v[3:4], v[1:2]
.LBB522_7:
	s_and_b64 vcc, exec, s[0:1]
	s_cbranch_vccz .LBB522_16
; %bb.8:
	s_load_dword s0, s[4:5], 0x10
                                        ; implicit-def: $vgpr5
	s_waitcnt lgkmcnt(0)
	s_sub_i32 s4, s0, s8
	v_cmp_le_u32_e64 s[0:1], s4, v0
	v_cmp_gt_u32_e32 vcc, s4, v0
	s_and_saveexec_b64 s[4:5], vcc
	s_cbranch_execz .LBB522_10
; %bb.9:
	s_lshl_b64 s[16:17], s[8:9], 2
	s_add_u32 s2, s2, s16
	s_addc_u32 s3, s3, s17
	v_lshlrev_b32_e32 v1, 2, v0
	v_mov_b32_e32 v2, s3
	v_add_co_u32_e64 v1, s[2:3], s2, v1
	v_addc_co_u32_e64 v2, s[2:3], 0, v2, s[2:3]
	flat_load_dword v5, v[1:2]
.LBB522_10:
	s_or_b64 exec, exec, s[4:5]
	s_cmp_lg_u64 s[12:13], 0
	s_cselect_b64 s[4:5], -1, 0
	s_xor_b64 s[0:1], s[0:1], -1
	v_mov_b32_e32 v1, 0
	s_mov_b64 s[2:3], 0
	v_mov_b32_e32 v2, 0
	s_and_b64 s[0:1], s[0:1], s[4:5]
	s_and_saveexec_b64 s[4:5], s[0:1]
	s_cbranch_execz .LBB522_14
; %bb.11:
	v_mov_b32_e32 v1, 0
	v_mov_b32_e32 v3, s12
	;; [unrolled: 1-line block ×5, first 2 shown]
.LBB522_12:                             ; =>This Inner Loop Header: Depth=1
	v_sub_co_u32_e64 v7, s[0:1], v3, v1
	v_subb_co_u32_e64 v8, s[0:1], v4, v2, s[0:1]
	v_lshrrev_b64 v[9:10], 1, v[7:8]
	v_lshrrev_b64 v[7:8], 6, v[7:8]
	v_add_co_u32_e64 v9, s[0:1], v9, v1
	v_addc_co_u32_e64 v10, s[0:1], v10, v2, s[0:1]
	v_add_co_u32_e64 v7, s[0:1], v9, v7
	v_addc_co_u32_e64 v8, s[0:1], v10, v8, s[0:1]
	v_lshlrev_b64 v[9:10], 2, v[7:8]
	v_add_co_u32_e64 v9, s[0:1], s10, v9
	v_addc_co_u32_e64 v10, s[0:1], v6, v10, s[0:1]
	global_load_dword v9, v[9:10], off
	v_add_co_u32_e64 v10, s[0:1], 1, v7
	v_addc_co_u32_e64 v11, s[0:1], 0, v8, s[0:1]
	s_waitcnt vmcnt(0) lgkmcnt(0)
	v_cmp_lt_f32_e64 s[0:1], v5, v9
	v_cndmask_b32_e64 v4, v4, v8, s[0:1]
	v_cndmask_b32_e64 v3, v3, v7, s[0:1]
	;; [unrolled: 1-line block ×4, first 2 shown]
	v_cmp_ge_u64_e64 s[0:1], v[1:2], v[3:4]
	s_or_b64 s[2:3], s[0:1], s[2:3]
	s_andn2_b64 exec, exec, s[2:3]
	s_cbranch_execnz .LBB522_12
; %bb.13:
	s_or_b64 exec, exec, s[2:3]
.LBB522_14:
	s_or_b64 exec, exec, s[4:5]
	s_and_saveexec_b64 s[0:1], vcc
	s_cbranch_execz .LBB522_16
; %bb.15:
	s_lshl_b64 s[0:1], s[8:9], 3
	s_add_u32 s0, s7, s0
	s_addc_u32 s1, s14, s1
	v_lshlrev_b32_e32 v0, 3, v0
	v_mov_b32_e32 v4, s1
	v_add_co_u32_e32 v3, vcc, s0, v0
	v_addc_co_u32_e32 v4, vcc, 0, v4, vcc
	flat_store_dwordx2 v[3:4], v[1:2]
.LBB522_16:
	s_endpgm
	.section	.rodata,"a",@progbits
	.p2align	6, 0x0
	.amdhsa_kernel _ZN7rocprim17ROCPRIM_400000_NS6detail17trampoline_kernelINS0_14default_configENS1_27upper_bound_config_selectorIflEEZNS1_14transform_implILb0ES3_S5_N6thrust23THRUST_200600_302600_NS6detail15normal_iteratorINS8_7pointerIfNS8_11hip_rocprim9par_det_tENS8_11use_defaultESE_EEEENSA_INSB_IlSD_SE_SE_EEEEZNS1_13binary_searchIS3_S5_NSA_INS8_10device_ptrIfEEEESG_SI_NS1_21upper_bound_search_opENS9_16wrapped_functionINS8_6system6detail7generic6detail18binary_search_lessEbEEEE10hipError_tPvRmT1_T2_T3_mmT4_T5_P12ihipStream_tbEUlRKfE_EESV_SZ_S10_mS11_S14_bEUlT_E_NS1_11comp_targetILNS1_3genE2ELNS1_11target_archE906ELNS1_3gpuE6ELNS1_3repE0EEENS1_30default_config_static_selectorELNS0_4arch9wavefront6targetE1EEEvSY_
		.amdhsa_group_segment_fixed_size 0
		.amdhsa_private_segment_fixed_size 0
		.amdhsa_kernarg_size 312
		.amdhsa_user_sgpr_count 6
		.amdhsa_user_sgpr_private_segment_buffer 1
		.amdhsa_user_sgpr_dispatch_ptr 0
		.amdhsa_user_sgpr_queue_ptr 0
		.amdhsa_user_sgpr_kernarg_segment_ptr 1
		.amdhsa_user_sgpr_dispatch_id 0
		.amdhsa_user_sgpr_flat_scratch_init 0
		.amdhsa_user_sgpr_private_segment_size 0
		.amdhsa_uses_dynamic_stack 0
		.amdhsa_system_sgpr_private_segment_wavefront_offset 0
		.amdhsa_system_sgpr_workgroup_id_x 1
		.amdhsa_system_sgpr_workgroup_id_y 0
		.amdhsa_system_sgpr_workgroup_id_z 0
		.amdhsa_system_sgpr_workgroup_info 0
		.amdhsa_system_vgpr_workitem_id 0
		.amdhsa_next_free_vgpr 12
		.amdhsa_next_free_sgpr 20
		.amdhsa_reserve_vcc 1
		.amdhsa_reserve_flat_scratch 0
		.amdhsa_float_round_mode_32 0
		.amdhsa_float_round_mode_16_64 0
		.amdhsa_float_denorm_mode_32 3
		.amdhsa_float_denorm_mode_16_64 3
		.amdhsa_dx10_clamp 1
		.amdhsa_ieee_mode 1
		.amdhsa_fp16_overflow 0
		.amdhsa_exception_fp_ieee_invalid_op 0
		.amdhsa_exception_fp_denorm_src 0
		.amdhsa_exception_fp_ieee_div_zero 0
		.amdhsa_exception_fp_ieee_overflow 0
		.amdhsa_exception_fp_ieee_underflow 0
		.amdhsa_exception_fp_ieee_inexact 0
		.amdhsa_exception_int_div_zero 0
	.end_amdhsa_kernel
	.section	.text._ZN7rocprim17ROCPRIM_400000_NS6detail17trampoline_kernelINS0_14default_configENS1_27upper_bound_config_selectorIflEEZNS1_14transform_implILb0ES3_S5_N6thrust23THRUST_200600_302600_NS6detail15normal_iteratorINS8_7pointerIfNS8_11hip_rocprim9par_det_tENS8_11use_defaultESE_EEEENSA_INSB_IlSD_SE_SE_EEEEZNS1_13binary_searchIS3_S5_NSA_INS8_10device_ptrIfEEEESG_SI_NS1_21upper_bound_search_opENS9_16wrapped_functionINS8_6system6detail7generic6detail18binary_search_lessEbEEEE10hipError_tPvRmT1_T2_T3_mmT4_T5_P12ihipStream_tbEUlRKfE_EESV_SZ_S10_mS11_S14_bEUlT_E_NS1_11comp_targetILNS1_3genE2ELNS1_11target_archE906ELNS1_3gpuE6ELNS1_3repE0EEENS1_30default_config_static_selectorELNS0_4arch9wavefront6targetE1EEEvSY_,"axG",@progbits,_ZN7rocprim17ROCPRIM_400000_NS6detail17trampoline_kernelINS0_14default_configENS1_27upper_bound_config_selectorIflEEZNS1_14transform_implILb0ES3_S5_N6thrust23THRUST_200600_302600_NS6detail15normal_iteratorINS8_7pointerIfNS8_11hip_rocprim9par_det_tENS8_11use_defaultESE_EEEENSA_INSB_IlSD_SE_SE_EEEEZNS1_13binary_searchIS3_S5_NSA_INS8_10device_ptrIfEEEESG_SI_NS1_21upper_bound_search_opENS9_16wrapped_functionINS8_6system6detail7generic6detail18binary_search_lessEbEEEE10hipError_tPvRmT1_T2_T3_mmT4_T5_P12ihipStream_tbEUlRKfE_EESV_SZ_S10_mS11_S14_bEUlT_E_NS1_11comp_targetILNS1_3genE2ELNS1_11target_archE906ELNS1_3gpuE6ELNS1_3repE0EEENS1_30default_config_static_selectorELNS0_4arch9wavefront6targetE1EEEvSY_,comdat
.Lfunc_end522:
	.size	_ZN7rocprim17ROCPRIM_400000_NS6detail17trampoline_kernelINS0_14default_configENS1_27upper_bound_config_selectorIflEEZNS1_14transform_implILb0ES3_S5_N6thrust23THRUST_200600_302600_NS6detail15normal_iteratorINS8_7pointerIfNS8_11hip_rocprim9par_det_tENS8_11use_defaultESE_EEEENSA_INSB_IlSD_SE_SE_EEEEZNS1_13binary_searchIS3_S5_NSA_INS8_10device_ptrIfEEEESG_SI_NS1_21upper_bound_search_opENS9_16wrapped_functionINS8_6system6detail7generic6detail18binary_search_lessEbEEEE10hipError_tPvRmT1_T2_T3_mmT4_T5_P12ihipStream_tbEUlRKfE_EESV_SZ_S10_mS11_S14_bEUlT_E_NS1_11comp_targetILNS1_3genE2ELNS1_11target_archE906ELNS1_3gpuE6ELNS1_3repE0EEENS1_30default_config_static_selectorELNS0_4arch9wavefront6targetE1EEEvSY_, .Lfunc_end522-_ZN7rocprim17ROCPRIM_400000_NS6detail17trampoline_kernelINS0_14default_configENS1_27upper_bound_config_selectorIflEEZNS1_14transform_implILb0ES3_S5_N6thrust23THRUST_200600_302600_NS6detail15normal_iteratorINS8_7pointerIfNS8_11hip_rocprim9par_det_tENS8_11use_defaultESE_EEEENSA_INSB_IlSD_SE_SE_EEEEZNS1_13binary_searchIS3_S5_NSA_INS8_10device_ptrIfEEEESG_SI_NS1_21upper_bound_search_opENS9_16wrapped_functionINS8_6system6detail7generic6detail18binary_search_lessEbEEEE10hipError_tPvRmT1_T2_T3_mmT4_T5_P12ihipStream_tbEUlRKfE_EESV_SZ_S10_mS11_S14_bEUlT_E_NS1_11comp_targetILNS1_3genE2ELNS1_11target_archE906ELNS1_3gpuE6ELNS1_3repE0EEENS1_30default_config_static_selectorELNS0_4arch9wavefront6targetE1EEEvSY_
                                        ; -- End function
	.set _ZN7rocprim17ROCPRIM_400000_NS6detail17trampoline_kernelINS0_14default_configENS1_27upper_bound_config_selectorIflEEZNS1_14transform_implILb0ES3_S5_N6thrust23THRUST_200600_302600_NS6detail15normal_iteratorINS8_7pointerIfNS8_11hip_rocprim9par_det_tENS8_11use_defaultESE_EEEENSA_INSB_IlSD_SE_SE_EEEEZNS1_13binary_searchIS3_S5_NSA_INS8_10device_ptrIfEEEESG_SI_NS1_21upper_bound_search_opENS9_16wrapped_functionINS8_6system6detail7generic6detail18binary_search_lessEbEEEE10hipError_tPvRmT1_T2_T3_mmT4_T5_P12ihipStream_tbEUlRKfE_EESV_SZ_S10_mS11_S14_bEUlT_E_NS1_11comp_targetILNS1_3genE2ELNS1_11target_archE906ELNS1_3gpuE6ELNS1_3repE0EEENS1_30default_config_static_selectorELNS0_4arch9wavefront6targetE1EEEvSY_.num_vgpr, 12
	.set _ZN7rocprim17ROCPRIM_400000_NS6detail17trampoline_kernelINS0_14default_configENS1_27upper_bound_config_selectorIflEEZNS1_14transform_implILb0ES3_S5_N6thrust23THRUST_200600_302600_NS6detail15normal_iteratorINS8_7pointerIfNS8_11hip_rocprim9par_det_tENS8_11use_defaultESE_EEEENSA_INSB_IlSD_SE_SE_EEEEZNS1_13binary_searchIS3_S5_NSA_INS8_10device_ptrIfEEEESG_SI_NS1_21upper_bound_search_opENS9_16wrapped_functionINS8_6system6detail7generic6detail18binary_search_lessEbEEEE10hipError_tPvRmT1_T2_T3_mmT4_T5_P12ihipStream_tbEUlRKfE_EESV_SZ_S10_mS11_S14_bEUlT_E_NS1_11comp_targetILNS1_3genE2ELNS1_11target_archE906ELNS1_3gpuE6ELNS1_3repE0EEENS1_30default_config_static_selectorELNS0_4arch9wavefront6targetE1EEEvSY_.num_agpr, 0
	.set _ZN7rocprim17ROCPRIM_400000_NS6detail17trampoline_kernelINS0_14default_configENS1_27upper_bound_config_selectorIflEEZNS1_14transform_implILb0ES3_S5_N6thrust23THRUST_200600_302600_NS6detail15normal_iteratorINS8_7pointerIfNS8_11hip_rocprim9par_det_tENS8_11use_defaultESE_EEEENSA_INSB_IlSD_SE_SE_EEEEZNS1_13binary_searchIS3_S5_NSA_INS8_10device_ptrIfEEEESG_SI_NS1_21upper_bound_search_opENS9_16wrapped_functionINS8_6system6detail7generic6detail18binary_search_lessEbEEEE10hipError_tPvRmT1_T2_T3_mmT4_T5_P12ihipStream_tbEUlRKfE_EESV_SZ_S10_mS11_S14_bEUlT_E_NS1_11comp_targetILNS1_3genE2ELNS1_11target_archE906ELNS1_3gpuE6ELNS1_3repE0EEENS1_30default_config_static_selectorELNS0_4arch9wavefront6targetE1EEEvSY_.numbered_sgpr, 20
	.set _ZN7rocprim17ROCPRIM_400000_NS6detail17trampoline_kernelINS0_14default_configENS1_27upper_bound_config_selectorIflEEZNS1_14transform_implILb0ES3_S5_N6thrust23THRUST_200600_302600_NS6detail15normal_iteratorINS8_7pointerIfNS8_11hip_rocprim9par_det_tENS8_11use_defaultESE_EEEENSA_INSB_IlSD_SE_SE_EEEEZNS1_13binary_searchIS3_S5_NSA_INS8_10device_ptrIfEEEESG_SI_NS1_21upper_bound_search_opENS9_16wrapped_functionINS8_6system6detail7generic6detail18binary_search_lessEbEEEE10hipError_tPvRmT1_T2_T3_mmT4_T5_P12ihipStream_tbEUlRKfE_EESV_SZ_S10_mS11_S14_bEUlT_E_NS1_11comp_targetILNS1_3genE2ELNS1_11target_archE906ELNS1_3gpuE6ELNS1_3repE0EEENS1_30default_config_static_selectorELNS0_4arch9wavefront6targetE1EEEvSY_.num_named_barrier, 0
	.set _ZN7rocprim17ROCPRIM_400000_NS6detail17trampoline_kernelINS0_14default_configENS1_27upper_bound_config_selectorIflEEZNS1_14transform_implILb0ES3_S5_N6thrust23THRUST_200600_302600_NS6detail15normal_iteratorINS8_7pointerIfNS8_11hip_rocprim9par_det_tENS8_11use_defaultESE_EEEENSA_INSB_IlSD_SE_SE_EEEEZNS1_13binary_searchIS3_S5_NSA_INS8_10device_ptrIfEEEESG_SI_NS1_21upper_bound_search_opENS9_16wrapped_functionINS8_6system6detail7generic6detail18binary_search_lessEbEEEE10hipError_tPvRmT1_T2_T3_mmT4_T5_P12ihipStream_tbEUlRKfE_EESV_SZ_S10_mS11_S14_bEUlT_E_NS1_11comp_targetILNS1_3genE2ELNS1_11target_archE906ELNS1_3gpuE6ELNS1_3repE0EEENS1_30default_config_static_selectorELNS0_4arch9wavefront6targetE1EEEvSY_.private_seg_size, 0
	.set _ZN7rocprim17ROCPRIM_400000_NS6detail17trampoline_kernelINS0_14default_configENS1_27upper_bound_config_selectorIflEEZNS1_14transform_implILb0ES3_S5_N6thrust23THRUST_200600_302600_NS6detail15normal_iteratorINS8_7pointerIfNS8_11hip_rocprim9par_det_tENS8_11use_defaultESE_EEEENSA_INSB_IlSD_SE_SE_EEEEZNS1_13binary_searchIS3_S5_NSA_INS8_10device_ptrIfEEEESG_SI_NS1_21upper_bound_search_opENS9_16wrapped_functionINS8_6system6detail7generic6detail18binary_search_lessEbEEEE10hipError_tPvRmT1_T2_T3_mmT4_T5_P12ihipStream_tbEUlRKfE_EESV_SZ_S10_mS11_S14_bEUlT_E_NS1_11comp_targetILNS1_3genE2ELNS1_11target_archE906ELNS1_3gpuE6ELNS1_3repE0EEENS1_30default_config_static_selectorELNS0_4arch9wavefront6targetE1EEEvSY_.uses_vcc, 1
	.set _ZN7rocprim17ROCPRIM_400000_NS6detail17trampoline_kernelINS0_14default_configENS1_27upper_bound_config_selectorIflEEZNS1_14transform_implILb0ES3_S5_N6thrust23THRUST_200600_302600_NS6detail15normal_iteratorINS8_7pointerIfNS8_11hip_rocprim9par_det_tENS8_11use_defaultESE_EEEENSA_INSB_IlSD_SE_SE_EEEEZNS1_13binary_searchIS3_S5_NSA_INS8_10device_ptrIfEEEESG_SI_NS1_21upper_bound_search_opENS9_16wrapped_functionINS8_6system6detail7generic6detail18binary_search_lessEbEEEE10hipError_tPvRmT1_T2_T3_mmT4_T5_P12ihipStream_tbEUlRKfE_EESV_SZ_S10_mS11_S14_bEUlT_E_NS1_11comp_targetILNS1_3genE2ELNS1_11target_archE906ELNS1_3gpuE6ELNS1_3repE0EEENS1_30default_config_static_selectorELNS0_4arch9wavefront6targetE1EEEvSY_.uses_flat_scratch, 0
	.set _ZN7rocprim17ROCPRIM_400000_NS6detail17trampoline_kernelINS0_14default_configENS1_27upper_bound_config_selectorIflEEZNS1_14transform_implILb0ES3_S5_N6thrust23THRUST_200600_302600_NS6detail15normal_iteratorINS8_7pointerIfNS8_11hip_rocprim9par_det_tENS8_11use_defaultESE_EEEENSA_INSB_IlSD_SE_SE_EEEEZNS1_13binary_searchIS3_S5_NSA_INS8_10device_ptrIfEEEESG_SI_NS1_21upper_bound_search_opENS9_16wrapped_functionINS8_6system6detail7generic6detail18binary_search_lessEbEEEE10hipError_tPvRmT1_T2_T3_mmT4_T5_P12ihipStream_tbEUlRKfE_EESV_SZ_S10_mS11_S14_bEUlT_E_NS1_11comp_targetILNS1_3genE2ELNS1_11target_archE906ELNS1_3gpuE6ELNS1_3repE0EEENS1_30default_config_static_selectorELNS0_4arch9wavefront6targetE1EEEvSY_.has_dyn_sized_stack, 0
	.set _ZN7rocprim17ROCPRIM_400000_NS6detail17trampoline_kernelINS0_14default_configENS1_27upper_bound_config_selectorIflEEZNS1_14transform_implILb0ES3_S5_N6thrust23THRUST_200600_302600_NS6detail15normal_iteratorINS8_7pointerIfNS8_11hip_rocprim9par_det_tENS8_11use_defaultESE_EEEENSA_INSB_IlSD_SE_SE_EEEEZNS1_13binary_searchIS3_S5_NSA_INS8_10device_ptrIfEEEESG_SI_NS1_21upper_bound_search_opENS9_16wrapped_functionINS8_6system6detail7generic6detail18binary_search_lessEbEEEE10hipError_tPvRmT1_T2_T3_mmT4_T5_P12ihipStream_tbEUlRKfE_EESV_SZ_S10_mS11_S14_bEUlT_E_NS1_11comp_targetILNS1_3genE2ELNS1_11target_archE906ELNS1_3gpuE6ELNS1_3repE0EEENS1_30default_config_static_selectorELNS0_4arch9wavefront6targetE1EEEvSY_.has_recursion, 0
	.set _ZN7rocprim17ROCPRIM_400000_NS6detail17trampoline_kernelINS0_14default_configENS1_27upper_bound_config_selectorIflEEZNS1_14transform_implILb0ES3_S5_N6thrust23THRUST_200600_302600_NS6detail15normal_iteratorINS8_7pointerIfNS8_11hip_rocprim9par_det_tENS8_11use_defaultESE_EEEENSA_INSB_IlSD_SE_SE_EEEEZNS1_13binary_searchIS3_S5_NSA_INS8_10device_ptrIfEEEESG_SI_NS1_21upper_bound_search_opENS9_16wrapped_functionINS8_6system6detail7generic6detail18binary_search_lessEbEEEE10hipError_tPvRmT1_T2_T3_mmT4_T5_P12ihipStream_tbEUlRKfE_EESV_SZ_S10_mS11_S14_bEUlT_E_NS1_11comp_targetILNS1_3genE2ELNS1_11target_archE906ELNS1_3gpuE6ELNS1_3repE0EEENS1_30default_config_static_selectorELNS0_4arch9wavefront6targetE1EEEvSY_.has_indirect_call, 0
	.section	.AMDGPU.csdata,"",@progbits
; Kernel info:
; codeLenInByte = 700
; TotalNumSgprs: 24
; NumVgprs: 12
; ScratchSize: 0
; MemoryBound: 0
; FloatMode: 240
; IeeeMode: 1
; LDSByteSize: 0 bytes/workgroup (compile time only)
; SGPRBlocks: 2
; VGPRBlocks: 2
; NumSGPRsForWavesPerEU: 24
; NumVGPRsForWavesPerEU: 12
; Occupancy: 10
; WaveLimiterHint : 0
; COMPUTE_PGM_RSRC2:SCRATCH_EN: 0
; COMPUTE_PGM_RSRC2:USER_SGPR: 6
; COMPUTE_PGM_RSRC2:TRAP_HANDLER: 0
; COMPUTE_PGM_RSRC2:TGID_X_EN: 1
; COMPUTE_PGM_RSRC2:TGID_Y_EN: 0
; COMPUTE_PGM_RSRC2:TGID_Z_EN: 0
; COMPUTE_PGM_RSRC2:TIDIG_COMP_CNT: 0
	.section	.text._ZN7rocprim17ROCPRIM_400000_NS6detail17trampoline_kernelINS0_14default_configENS1_27upper_bound_config_selectorIflEEZNS1_14transform_implILb0ES3_S5_N6thrust23THRUST_200600_302600_NS6detail15normal_iteratorINS8_7pointerIfNS8_11hip_rocprim9par_det_tENS8_11use_defaultESE_EEEENSA_INSB_IlSD_SE_SE_EEEEZNS1_13binary_searchIS3_S5_NSA_INS8_10device_ptrIfEEEESG_SI_NS1_21upper_bound_search_opENS9_16wrapped_functionINS8_6system6detail7generic6detail18binary_search_lessEbEEEE10hipError_tPvRmT1_T2_T3_mmT4_T5_P12ihipStream_tbEUlRKfE_EESV_SZ_S10_mS11_S14_bEUlT_E_NS1_11comp_targetILNS1_3genE10ELNS1_11target_archE1201ELNS1_3gpuE5ELNS1_3repE0EEENS1_30default_config_static_selectorELNS0_4arch9wavefront6targetE1EEEvSY_,"axG",@progbits,_ZN7rocprim17ROCPRIM_400000_NS6detail17trampoline_kernelINS0_14default_configENS1_27upper_bound_config_selectorIflEEZNS1_14transform_implILb0ES3_S5_N6thrust23THRUST_200600_302600_NS6detail15normal_iteratorINS8_7pointerIfNS8_11hip_rocprim9par_det_tENS8_11use_defaultESE_EEEENSA_INSB_IlSD_SE_SE_EEEEZNS1_13binary_searchIS3_S5_NSA_INS8_10device_ptrIfEEEESG_SI_NS1_21upper_bound_search_opENS9_16wrapped_functionINS8_6system6detail7generic6detail18binary_search_lessEbEEEE10hipError_tPvRmT1_T2_T3_mmT4_T5_P12ihipStream_tbEUlRKfE_EESV_SZ_S10_mS11_S14_bEUlT_E_NS1_11comp_targetILNS1_3genE10ELNS1_11target_archE1201ELNS1_3gpuE5ELNS1_3repE0EEENS1_30default_config_static_selectorELNS0_4arch9wavefront6targetE1EEEvSY_,comdat
	.protected	_ZN7rocprim17ROCPRIM_400000_NS6detail17trampoline_kernelINS0_14default_configENS1_27upper_bound_config_selectorIflEEZNS1_14transform_implILb0ES3_S5_N6thrust23THRUST_200600_302600_NS6detail15normal_iteratorINS8_7pointerIfNS8_11hip_rocprim9par_det_tENS8_11use_defaultESE_EEEENSA_INSB_IlSD_SE_SE_EEEEZNS1_13binary_searchIS3_S5_NSA_INS8_10device_ptrIfEEEESG_SI_NS1_21upper_bound_search_opENS9_16wrapped_functionINS8_6system6detail7generic6detail18binary_search_lessEbEEEE10hipError_tPvRmT1_T2_T3_mmT4_T5_P12ihipStream_tbEUlRKfE_EESV_SZ_S10_mS11_S14_bEUlT_E_NS1_11comp_targetILNS1_3genE10ELNS1_11target_archE1201ELNS1_3gpuE5ELNS1_3repE0EEENS1_30default_config_static_selectorELNS0_4arch9wavefront6targetE1EEEvSY_ ; -- Begin function _ZN7rocprim17ROCPRIM_400000_NS6detail17trampoline_kernelINS0_14default_configENS1_27upper_bound_config_selectorIflEEZNS1_14transform_implILb0ES3_S5_N6thrust23THRUST_200600_302600_NS6detail15normal_iteratorINS8_7pointerIfNS8_11hip_rocprim9par_det_tENS8_11use_defaultESE_EEEENSA_INSB_IlSD_SE_SE_EEEEZNS1_13binary_searchIS3_S5_NSA_INS8_10device_ptrIfEEEESG_SI_NS1_21upper_bound_search_opENS9_16wrapped_functionINS8_6system6detail7generic6detail18binary_search_lessEbEEEE10hipError_tPvRmT1_T2_T3_mmT4_T5_P12ihipStream_tbEUlRKfE_EESV_SZ_S10_mS11_S14_bEUlT_E_NS1_11comp_targetILNS1_3genE10ELNS1_11target_archE1201ELNS1_3gpuE5ELNS1_3repE0EEENS1_30default_config_static_selectorELNS0_4arch9wavefront6targetE1EEEvSY_
	.globl	_ZN7rocprim17ROCPRIM_400000_NS6detail17trampoline_kernelINS0_14default_configENS1_27upper_bound_config_selectorIflEEZNS1_14transform_implILb0ES3_S5_N6thrust23THRUST_200600_302600_NS6detail15normal_iteratorINS8_7pointerIfNS8_11hip_rocprim9par_det_tENS8_11use_defaultESE_EEEENSA_INSB_IlSD_SE_SE_EEEEZNS1_13binary_searchIS3_S5_NSA_INS8_10device_ptrIfEEEESG_SI_NS1_21upper_bound_search_opENS9_16wrapped_functionINS8_6system6detail7generic6detail18binary_search_lessEbEEEE10hipError_tPvRmT1_T2_T3_mmT4_T5_P12ihipStream_tbEUlRKfE_EESV_SZ_S10_mS11_S14_bEUlT_E_NS1_11comp_targetILNS1_3genE10ELNS1_11target_archE1201ELNS1_3gpuE5ELNS1_3repE0EEENS1_30default_config_static_selectorELNS0_4arch9wavefront6targetE1EEEvSY_
	.p2align	8
	.type	_ZN7rocprim17ROCPRIM_400000_NS6detail17trampoline_kernelINS0_14default_configENS1_27upper_bound_config_selectorIflEEZNS1_14transform_implILb0ES3_S5_N6thrust23THRUST_200600_302600_NS6detail15normal_iteratorINS8_7pointerIfNS8_11hip_rocprim9par_det_tENS8_11use_defaultESE_EEEENSA_INSB_IlSD_SE_SE_EEEEZNS1_13binary_searchIS3_S5_NSA_INS8_10device_ptrIfEEEESG_SI_NS1_21upper_bound_search_opENS9_16wrapped_functionINS8_6system6detail7generic6detail18binary_search_lessEbEEEE10hipError_tPvRmT1_T2_T3_mmT4_T5_P12ihipStream_tbEUlRKfE_EESV_SZ_S10_mS11_S14_bEUlT_E_NS1_11comp_targetILNS1_3genE10ELNS1_11target_archE1201ELNS1_3gpuE5ELNS1_3repE0EEENS1_30default_config_static_selectorELNS0_4arch9wavefront6targetE1EEEvSY_,@function
_ZN7rocprim17ROCPRIM_400000_NS6detail17trampoline_kernelINS0_14default_configENS1_27upper_bound_config_selectorIflEEZNS1_14transform_implILb0ES3_S5_N6thrust23THRUST_200600_302600_NS6detail15normal_iteratorINS8_7pointerIfNS8_11hip_rocprim9par_det_tENS8_11use_defaultESE_EEEENSA_INSB_IlSD_SE_SE_EEEEZNS1_13binary_searchIS3_S5_NSA_INS8_10device_ptrIfEEEESG_SI_NS1_21upper_bound_search_opENS9_16wrapped_functionINS8_6system6detail7generic6detail18binary_search_lessEbEEEE10hipError_tPvRmT1_T2_T3_mmT4_T5_P12ihipStream_tbEUlRKfE_EESV_SZ_S10_mS11_S14_bEUlT_E_NS1_11comp_targetILNS1_3genE10ELNS1_11target_archE1201ELNS1_3gpuE5ELNS1_3repE0EEENS1_30default_config_static_selectorELNS0_4arch9wavefront6targetE1EEEvSY_: ; @_ZN7rocprim17ROCPRIM_400000_NS6detail17trampoline_kernelINS0_14default_configENS1_27upper_bound_config_selectorIflEEZNS1_14transform_implILb0ES3_S5_N6thrust23THRUST_200600_302600_NS6detail15normal_iteratorINS8_7pointerIfNS8_11hip_rocprim9par_det_tENS8_11use_defaultESE_EEEENSA_INSB_IlSD_SE_SE_EEEEZNS1_13binary_searchIS3_S5_NSA_INS8_10device_ptrIfEEEESG_SI_NS1_21upper_bound_search_opENS9_16wrapped_functionINS8_6system6detail7generic6detail18binary_search_lessEbEEEE10hipError_tPvRmT1_T2_T3_mmT4_T5_P12ihipStream_tbEUlRKfE_EESV_SZ_S10_mS11_S14_bEUlT_E_NS1_11comp_targetILNS1_3genE10ELNS1_11target_archE1201ELNS1_3gpuE5ELNS1_3repE0EEENS1_30default_config_static_selectorELNS0_4arch9wavefront6targetE1EEEvSY_
; %bb.0:
	.section	.rodata,"a",@progbits
	.p2align	6, 0x0
	.amdhsa_kernel _ZN7rocprim17ROCPRIM_400000_NS6detail17trampoline_kernelINS0_14default_configENS1_27upper_bound_config_selectorIflEEZNS1_14transform_implILb0ES3_S5_N6thrust23THRUST_200600_302600_NS6detail15normal_iteratorINS8_7pointerIfNS8_11hip_rocprim9par_det_tENS8_11use_defaultESE_EEEENSA_INSB_IlSD_SE_SE_EEEEZNS1_13binary_searchIS3_S5_NSA_INS8_10device_ptrIfEEEESG_SI_NS1_21upper_bound_search_opENS9_16wrapped_functionINS8_6system6detail7generic6detail18binary_search_lessEbEEEE10hipError_tPvRmT1_T2_T3_mmT4_T5_P12ihipStream_tbEUlRKfE_EESV_SZ_S10_mS11_S14_bEUlT_E_NS1_11comp_targetILNS1_3genE10ELNS1_11target_archE1201ELNS1_3gpuE5ELNS1_3repE0EEENS1_30default_config_static_selectorELNS0_4arch9wavefront6targetE1EEEvSY_
		.amdhsa_group_segment_fixed_size 0
		.amdhsa_private_segment_fixed_size 0
		.amdhsa_kernarg_size 56
		.amdhsa_user_sgpr_count 6
		.amdhsa_user_sgpr_private_segment_buffer 1
		.amdhsa_user_sgpr_dispatch_ptr 0
		.amdhsa_user_sgpr_queue_ptr 0
		.amdhsa_user_sgpr_kernarg_segment_ptr 1
		.amdhsa_user_sgpr_dispatch_id 0
		.amdhsa_user_sgpr_flat_scratch_init 0
		.amdhsa_user_sgpr_private_segment_size 0
		.amdhsa_uses_dynamic_stack 0
		.amdhsa_system_sgpr_private_segment_wavefront_offset 0
		.amdhsa_system_sgpr_workgroup_id_x 1
		.amdhsa_system_sgpr_workgroup_id_y 0
		.amdhsa_system_sgpr_workgroup_id_z 0
		.amdhsa_system_sgpr_workgroup_info 0
		.amdhsa_system_vgpr_workitem_id 0
		.amdhsa_next_free_vgpr 1
		.amdhsa_next_free_sgpr 0
		.amdhsa_reserve_vcc 0
		.amdhsa_reserve_flat_scratch 0
		.amdhsa_float_round_mode_32 0
		.amdhsa_float_round_mode_16_64 0
		.amdhsa_float_denorm_mode_32 3
		.amdhsa_float_denorm_mode_16_64 3
		.amdhsa_dx10_clamp 1
		.amdhsa_ieee_mode 1
		.amdhsa_fp16_overflow 0
		.amdhsa_exception_fp_ieee_invalid_op 0
		.amdhsa_exception_fp_denorm_src 0
		.amdhsa_exception_fp_ieee_div_zero 0
		.amdhsa_exception_fp_ieee_overflow 0
		.amdhsa_exception_fp_ieee_underflow 0
		.amdhsa_exception_fp_ieee_inexact 0
		.amdhsa_exception_int_div_zero 0
	.end_amdhsa_kernel
	.section	.text._ZN7rocprim17ROCPRIM_400000_NS6detail17trampoline_kernelINS0_14default_configENS1_27upper_bound_config_selectorIflEEZNS1_14transform_implILb0ES3_S5_N6thrust23THRUST_200600_302600_NS6detail15normal_iteratorINS8_7pointerIfNS8_11hip_rocprim9par_det_tENS8_11use_defaultESE_EEEENSA_INSB_IlSD_SE_SE_EEEEZNS1_13binary_searchIS3_S5_NSA_INS8_10device_ptrIfEEEESG_SI_NS1_21upper_bound_search_opENS9_16wrapped_functionINS8_6system6detail7generic6detail18binary_search_lessEbEEEE10hipError_tPvRmT1_T2_T3_mmT4_T5_P12ihipStream_tbEUlRKfE_EESV_SZ_S10_mS11_S14_bEUlT_E_NS1_11comp_targetILNS1_3genE10ELNS1_11target_archE1201ELNS1_3gpuE5ELNS1_3repE0EEENS1_30default_config_static_selectorELNS0_4arch9wavefront6targetE1EEEvSY_,"axG",@progbits,_ZN7rocprim17ROCPRIM_400000_NS6detail17trampoline_kernelINS0_14default_configENS1_27upper_bound_config_selectorIflEEZNS1_14transform_implILb0ES3_S5_N6thrust23THRUST_200600_302600_NS6detail15normal_iteratorINS8_7pointerIfNS8_11hip_rocprim9par_det_tENS8_11use_defaultESE_EEEENSA_INSB_IlSD_SE_SE_EEEEZNS1_13binary_searchIS3_S5_NSA_INS8_10device_ptrIfEEEESG_SI_NS1_21upper_bound_search_opENS9_16wrapped_functionINS8_6system6detail7generic6detail18binary_search_lessEbEEEE10hipError_tPvRmT1_T2_T3_mmT4_T5_P12ihipStream_tbEUlRKfE_EESV_SZ_S10_mS11_S14_bEUlT_E_NS1_11comp_targetILNS1_3genE10ELNS1_11target_archE1201ELNS1_3gpuE5ELNS1_3repE0EEENS1_30default_config_static_selectorELNS0_4arch9wavefront6targetE1EEEvSY_,comdat
.Lfunc_end523:
	.size	_ZN7rocprim17ROCPRIM_400000_NS6detail17trampoline_kernelINS0_14default_configENS1_27upper_bound_config_selectorIflEEZNS1_14transform_implILb0ES3_S5_N6thrust23THRUST_200600_302600_NS6detail15normal_iteratorINS8_7pointerIfNS8_11hip_rocprim9par_det_tENS8_11use_defaultESE_EEEENSA_INSB_IlSD_SE_SE_EEEEZNS1_13binary_searchIS3_S5_NSA_INS8_10device_ptrIfEEEESG_SI_NS1_21upper_bound_search_opENS9_16wrapped_functionINS8_6system6detail7generic6detail18binary_search_lessEbEEEE10hipError_tPvRmT1_T2_T3_mmT4_T5_P12ihipStream_tbEUlRKfE_EESV_SZ_S10_mS11_S14_bEUlT_E_NS1_11comp_targetILNS1_3genE10ELNS1_11target_archE1201ELNS1_3gpuE5ELNS1_3repE0EEENS1_30default_config_static_selectorELNS0_4arch9wavefront6targetE1EEEvSY_, .Lfunc_end523-_ZN7rocprim17ROCPRIM_400000_NS6detail17trampoline_kernelINS0_14default_configENS1_27upper_bound_config_selectorIflEEZNS1_14transform_implILb0ES3_S5_N6thrust23THRUST_200600_302600_NS6detail15normal_iteratorINS8_7pointerIfNS8_11hip_rocprim9par_det_tENS8_11use_defaultESE_EEEENSA_INSB_IlSD_SE_SE_EEEEZNS1_13binary_searchIS3_S5_NSA_INS8_10device_ptrIfEEEESG_SI_NS1_21upper_bound_search_opENS9_16wrapped_functionINS8_6system6detail7generic6detail18binary_search_lessEbEEEE10hipError_tPvRmT1_T2_T3_mmT4_T5_P12ihipStream_tbEUlRKfE_EESV_SZ_S10_mS11_S14_bEUlT_E_NS1_11comp_targetILNS1_3genE10ELNS1_11target_archE1201ELNS1_3gpuE5ELNS1_3repE0EEENS1_30default_config_static_selectorELNS0_4arch9wavefront6targetE1EEEvSY_
                                        ; -- End function
	.set _ZN7rocprim17ROCPRIM_400000_NS6detail17trampoline_kernelINS0_14default_configENS1_27upper_bound_config_selectorIflEEZNS1_14transform_implILb0ES3_S5_N6thrust23THRUST_200600_302600_NS6detail15normal_iteratorINS8_7pointerIfNS8_11hip_rocprim9par_det_tENS8_11use_defaultESE_EEEENSA_INSB_IlSD_SE_SE_EEEEZNS1_13binary_searchIS3_S5_NSA_INS8_10device_ptrIfEEEESG_SI_NS1_21upper_bound_search_opENS9_16wrapped_functionINS8_6system6detail7generic6detail18binary_search_lessEbEEEE10hipError_tPvRmT1_T2_T3_mmT4_T5_P12ihipStream_tbEUlRKfE_EESV_SZ_S10_mS11_S14_bEUlT_E_NS1_11comp_targetILNS1_3genE10ELNS1_11target_archE1201ELNS1_3gpuE5ELNS1_3repE0EEENS1_30default_config_static_selectorELNS0_4arch9wavefront6targetE1EEEvSY_.num_vgpr, 0
	.set _ZN7rocprim17ROCPRIM_400000_NS6detail17trampoline_kernelINS0_14default_configENS1_27upper_bound_config_selectorIflEEZNS1_14transform_implILb0ES3_S5_N6thrust23THRUST_200600_302600_NS6detail15normal_iteratorINS8_7pointerIfNS8_11hip_rocprim9par_det_tENS8_11use_defaultESE_EEEENSA_INSB_IlSD_SE_SE_EEEEZNS1_13binary_searchIS3_S5_NSA_INS8_10device_ptrIfEEEESG_SI_NS1_21upper_bound_search_opENS9_16wrapped_functionINS8_6system6detail7generic6detail18binary_search_lessEbEEEE10hipError_tPvRmT1_T2_T3_mmT4_T5_P12ihipStream_tbEUlRKfE_EESV_SZ_S10_mS11_S14_bEUlT_E_NS1_11comp_targetILNS1_3genE10ELNS1_11target_archE1201ELNS1_3gpuE5ELNS1_3repE0EEENS1_30default_config_static_selectorELNS0_4arch9wavefront6targetE1EEEvSY_.num_agpr, 0
	.set _ZN7rocprim17ROCPRIM_400000_NS6detail17trampoline_kernelINS0_14default_configENS1_27upper_bound_config_selectorIflEEZNS1_14transform_implILb0ES3_S5_N6thrust23THRUST_200600_302600_NS6detail15normal_iteratorINS8_7pointerIfNS8_11hip_rocprim9par_det_tENS8_11use_defaultESE_EEEENSA_INSB_IlSD_SE_SE_EEEEZNS1_13binary_searchIS3_S5_NSA_INS8_10device_ptrIfEEEESG_SI_NS1_21upper_bound_search_opENS9_16wrapped_functionINS8_6system6detail7generic6detail18binary_search_lessEbEEEE10hipError_tPvRmT1_T2_T3_mmT4_T5_P12ihipStream_tbEUlRKfE_EESV_SZ_S10_mS11_S14_bEUlT_E_NS1_11comp_targetILNS1_3genE10ELNS1_11target_archE1201ELNS1_3gpuE5ELNS1_3repE0EEENS1_30default_config_static_selectorELNS0_4arch9wavefront6targetE1EEEvSY_.numbered_sgpr, 0
	.set _ZN7rocprim17ROCPRIM_400000_NS6detail17trampoline_kernelINS0_14default_configENS1_27upper_bound_config_selectorIflEEZNS1_14transform_implILb0ES3_S5_N6thrust23THRUST_200600_302600_NS6detail15normal_iteratorINS8_7pointerIfNS8_11hip_rocprim9par_det_tENS8_11use_defaultESE_EEEENSA_INSB_IlSD_SE_SE_EEEEZNS1_13binary_searchIS3_S5_NSA_INS8_10device_ptrIfEEEESG_SI_NS1_21upper_bound_search_opENS9_16wrapped_functionINS8_6system6detail7generic6detail18binary_search_lessEbEEEE10hipError_tPvRmT1_T2_T3_mmT4_T5_P12ihipStream_tbEUlRKfE_EESV_SZ_S10_mS11_S14_bEUlT_E_NS1_11comp_targetILNS1_3genE10ELNS1_11target_archE1201ELNS1_3gpuE5ELNS1_3repE0EEENS1_30default_config_static_selectorELNS0_4arch9wavefront6targetE1EEEvSY_.num_named_barrier, 0
	.set _ZN7rocprim17ROCPRIM_400000_NS6detail17trampoline_kernelINS0_14default_configENS1_27upper_bound_config_selectorIflEEZNS1_14transform_implILb0ES3_S5_N6thrust23THRUST_200600_302600_NS6detail15normal_iteratorINS8_7pointerIfNS8_11hip_rocprim9par_det_tENS8_11use_defaultESE_EEEENSA_INSB_IlSD_SE_SE_EEEEZNS1_13binary_searchIS3_S5_NSA_INS8_10device_ptrIfEEEESG_SI_NS1_21upper_bound_search_opENS9_16wrapped_functionINS8_6system6detail7generic6detail18binary_search_lessEbEEEE10hipError_tPvRmT1_T2_T3_mmT4_T5_P12ihipStream_tbEUlRKfE_EESV_SZ_S10_mS11_S14_bEUlT_E_NS1_11comp_targetILNS1_3genE10ELNS1_11target_archE1201ELNS1_3gpuE5ELNS1_3repE0EEENS1_30default_config_static_selectorELNS0_4arch9wavefront6targetE1EEEvSY_.private_seg_size, 0
	.set _ZN7rocprim17ROCPRIM_400000_NS6detail17trampoline_kernelINS0_14default_configENS1_27upper_bound_config_selectorIflEEZNS1_14transform_implILb0ES3_S5_N6thrust23THRUST_200600_302600_NS6detail15normal_iteratorINS8_7pointerIfNS8_11hip_rocprim9par_det_tENS8_11use_defaultESE_EEEENSA_INSB_IlSD_SE_SE_EEEEZNS1_13binary_searchIS3_S5_NSA_INS8_10device_ptrIfEEEESG_SI_NS1_21upper_bound_search_opENS9_16wrapped_functionINS8_6system6detail7generic6detail18binary_search_lessEbEEEE10hipError_tPvRmT1_T2_T3_mmT4_T5_P12ihipStream_tbEUlRKfE_EESV_SZ_S10_mS11_S14_bEUlT_E_NS1_11comp_targetILNS1_3genE10ELNS1_11target_archE1201ELNS1_3gpuE5ELNS1_3repE0EEENS1_30default_config_static_selectorELNS0_4arch9wavefront6targetE1EEEvSY_.uses_vcc, 0
	.set _ZN7rocprim17ROCPRIM_400000_NS6detail17trampoline_kernelINS0_14default_configENS1_27upper_bound_config_selectorIflEEZNS1_14transform_implILb0ES3_S5_N6thrust23THRUST_200600_302600_NS6detail15normal_iteratorINS8_7pointerIfNS8_11hip_rocprim9par_det_tENS8_11use_defaultESE_EEEENSA_INSB_IlSD_SE_SE_EEEEZNS1_13binary_searchIS3_S5_NSA_INS8_10device_ptrIfEEEESG_SI_NS1_21upper_bound_search_opENS9_16wrapped_functionINS8_6system6detail7generic6detail18binary_search_lessEbEEEE10hipError_tPvRmT1_T2_T3_mmT4_T5_P12ihipStream_tbEUlRKfE_EESV_SZ_S10_mS11_S14_bEUlT_E_NS1_11comp_targetILNS1_3genE10ELNS1_11target_archE1201ELNS1_3gpuE5ELNS1_3repE0EEENS1_30default_config_static_selectorELNS0_4arch9wavefront6targetE1EEEvSY_.uses_flat_scratch, 0
	.set _ZN7rocprim17ROCPRIM_400000_NS6detail17trampoline_kernelINS0_14default_configENS1_27upper_bound_config_selectorIflEEZNS1_14transform_implILb0ES3_S5_N6thrust23THRUST_200600_302600_NS6detail15normal_iteratorINS8_7pointerIfNS8_11hip_rocprim9par_det_tENS8_11use_defaultESE_EEEENSA_INSB_IlSD_SE_SE_EEEEZNS1_13binary_searchIS3_S5_NSA_INS8_10device_ptrIfEEEESG_SI_NS1_21upper_bound_search_opENS9_16wrapped_functionINS8_6system6detail7generic6detail18binary_search_lessEbEEEE10hipError_tPvRmT1_T2_T3_mmT4_T5_P12ihipStream_tbEUlRKfE_EESV_SZ_S10_mS11_S14_bEUlT_E_NS1_11comp_targetILNS1_3genE10ELNS1_11target_archE1201ELNS1_3gpuE5ELNS1_3repE0EEENS1_30default_config_static_selectorELNS0_4arch9wavefront6targetE1EEEvSY_.has_dyn_sized_stack, 0
	.set _ZN7rocprim17ROCPRIM_400000_NS6detail17trampoline_kernelINS0_14default_configENS1_27upper_bound_config_selectorIflEEZNS1_14transform_implILb0ES3_S5_N6thrust23THRUST_200600_302600_NS6detail15normal_iteratorINS8_7pointerIfNS8_11hip_rocprim9par_det_tENS8_11use_defaultESE_EEEENSA_INSB_IlSD_SE_SE_EEEEZNS1_13binary_searchIS3_S5_NSA_INS8_10device_ptrIfEEEESG_SI_NS1_21upper_bound_search_opENS9_16wrapped_functionINS8_6system6detail7generic6detail18binary_search_lessEbEEEE10hipError_tPvRmT1_T2_T3_mmT4_T5_P12ihipStream_tbEUlRKfE_EESV_SZ_S10_mS11_S14_bEUlT_E_NS1_11comp_targetILNS1_3genE10ELNS1_11target_archE1201ELNS1_3gpuE5ELNS1_3repE0EEENS1_30default_config_static_selectorELNS0_4arch9wavefront6targetE1EEEvSY_.has_recursion, 0
	.set _ZN7rocprim17ROCPRIM_400000_NS6detail17trampoline_kernelINS0_14default_configENS1_27upper_bound_config_selectorIflEEZNS1_14transform_implILb0ES3_S5_N6thrust23THRUST_200600_302600_NS6detail15normal_iteratorINS8_7pointerIfNS8_11hip_rocprim9par_det_tENS8_11use_defaultESE_EEEENSA_INSB_IlSD_SE_SE_EEEEZNS1_13binary_searchIS3_S5_NSA_INS8_10device_ptrIfEEEESG_SI_NS1_21upper_bound_search_opENS9_16wrapped_functionINS8_6system6detail7generic6detail18binary_search_lessEbEEEE10hipError_tPvRmT1_T2_T3_mmT4_T5_P12ihipStream_tbEUlRKfE_EESV_SZ_S10_mS11_S14_bEUlT_E_NS1_11comp_targetILNS1_3genE10ELNS1_11target_archE1201ELNS1_3gpuE5ELNS1_3repE0EEENS1_30default_config_static_selectorELNS0_4arch9wavefront6targetE1EEEvSY_.has_indirect_call, 0
	.section	.AMDGPU.csdata,"",@progbits
; Kernel info:
; codeLenInByte = 0
; TotalNumSgprs: 4
; NumVgprs: 0
; ScratchSize: 0
; MemoryBound: 0
; FloatMode: 240
; IeeeMode: 1
; LDSByteSize: 0 bytes/workgroup (compile time only)
; SGPRBlocks: 0
; VGPRBlocks: 0
; NumSGPRsForWavesPerEU: 4
; NumVGPRsForWavesPerEU: 1
; Occupancy: 10
; WaveLimiterHint : 0
; COMPUTE_PGM_RSRC2:SCRATCH_EN: 0
; COMPUTE_PGM_RSRC2:USER_SGPR: 6
; COMPUTE_PGM_RSRC2:TRAP_HANDLER: 0
; COMPUTE_PGM_RSRC2:TGID_X_EN: 1
; COMPUTE_PGM_RSRC2:TGID_Y_EN: 0
; COMPUTE_PGM_RSRC2:TGID_Z_EN: 0
; COMPUTE_PGM_RSRC2:TIDIG_COMP_CNT: 0
	.section	.text._ZN7rocprim17ROCPRIM_400000_NS6detail17trampoline_kernelINS0_14default_configENS1_27upper_bound_config_selectorIflEEZNS1_14transform_implILb0ES3_S5_N6thrust23THRUST_200600_302600_NS6detail15normal_iteratorINS8_7pointerIfNS8_11hip_rocprim9par_det_tENS8_11use_defaultESE_EEEENSA_INSB_IlSD_SE_SE_EEEEZNS1_13binary_searchIS3_S5_NSA_INS8_10device_ptrIfEEEESG_SI_NS1_21upper_bound_search_opENS9_16wrapped_functionINS8_6system6detail7generic6detail18binary_search_lessEbEEEE10hipError_tPvRmT1_T2_T3_mmT4_T5_P12ihipStream_tbEUlRKfE_EESV_SZ_S10_mS11_S14_bEUlT_E_NS1_11comp_targetILNS1_3genE10ELNS1_11target_archE1200ELNS1_3gpuE4ELNS1_3repE0EEENS1_30default_config_static_selectorELNS0_4arch9wavefront6targetE1EEEvSY_,"axG",@progbits,_ZN7rocprim17ROCPRIM_400000_NS6detail17trampoline_kernelINS0_14default_configENS1_27upper_bound_config_selectorIflEEZNS1_14transform_implILb0ES3_S5_N6thrust23THRUST_200600_302600_NS6detail15normal_iteratorINS8_7pointerIfNS8_11hip_rocprim9par_det_tENS8_11use_defaultESE_EEEENSA_INSB_IlSD_SE_SE_EEEEZNS1_13binary_searchIS3_S5_NSA_INS8_10device_ptrIfEEEESG_SI_NS1_21upper_bound_search_opENS9_16wrapped_functionINS8_6system6detail7generic6detail18binary_search_lessEbEEEE10hipError_tPvRmT1_T2_T3_mmT4_T5_P12ihipStream_tbEUlRKfE_EESV_SZ_S10_mS11_S14_bEUlT_E_NS1_11comp_targetILNS1_3genE10ELNS1_11target_archE1200ELNS1_3gpuE4ELNS1_3repE0EEENS1_30default_config_static_selectorELNS0_4arch9wavefront6targetE1EEEvSY_,comdat
	.protected	_ZN7rocprim17ROCPRIM_400000_NS6detail17trampoline_kernelINS0_14default_configENS1_27upper_bound_config_selectorIflEEZNS1_14transform_implILb0ES3_S5_N6thrust23THRUST_200600_302600_NS6detail15normal_iteratorINS8_7pointerIfNS8_11hip_rocprim9par_det_tENS8_11use_defaultESE_EEEENSA_INSB_IlSD_SE_SE_EEEEZNS1_13binary_searchIS3_S5_NSA_INS8_10device_ptrIfEEEESG_SI_NS1_21upper_bound_search_opENS9_16wrapped_functionINS8_6system6detail7generic6detail18binary_search_lessEbEEEE10hipError_tPvRmT1_T2_T3_mmT4_T5_P12ihipStream_tbEUlRKfE_EESV_SZ_S10_mS11_S14_bEUlT_E_NS1_11comp_targetILNS1_3genE10ELNS1_11target_archE1200ELNS1_3gpuE4ELNS1_3repE0EEENS1_30default_config_static_selectorELNS0_4arch9wavefront6targetE1EEEvSY_ ; -- Begin function _ZN7rocprim17ROCPRIM_400000_NS6detail17trampoline_kernelINS0_14default_configENS1_27upper_bound_config_selectorIflEEZNS1_14transform_implILb0ES3_S5_N6thrust23THRUST_200600_302600_NS6detail15normal_iteratorINS8_7pointerIfNS8_11hip_rocprim9par_det_tENS8_11use_defaultESE_EEEENSA_INSB_IlSD_SE_SE_EEEEZNS1_13binary_searchIS3_S5_NSA_INS8_10device_ptrIfEEEESG_SI_NS1_21upper_bound_search_opENS9_16wrapped_functionINS8_6system6detail7generic6detail18binary_search_lessEbEEEE10hipError_tPvRmT1_T2_T3_mmT4_T5_P12ihipStream_tbEUlRKfE_EESV_SZ_S10_mS11_S14_bEUlT_E_NS1_11comp_targetILNS1_3genE10ELNS1_11target_archE1200ELNS1_3gpuE4ELNS1_3repE0EEENS1_30default_config_static_selectorELNS0_4arch9wavefront6targetE1EEEvSY_
	.globl	_ZN7rocprim17ROCPRIM_400000_NS6detail17trampoline_kernelINS0_14default_configENS1_27upper_bound_config_selectorIflEEZNS1_14transform_implILb0ES3_S5_N6thrust23THRUST_200600_302600_NS6detail15normal_iteratorINS8_7pointerIfNS8_11hip_rocprim9par_det_tENS8_11use_defaultESE_EEEENSA_INSB_IlSD_SE_SE_EEEEZNS1_13binary_searchIS3_S5_NSA_INS8_10device_ptrIfEEEESG_SI_NS1_21upper_bound_search_opENS9_16wrapped_functionINS8_6system6detail7generic6detail18binary_search_lessEbEEEE10hipError_tPvRmT1_T2_T3_mmT4_T5_P12ihipStream_tbEUlRKfE_EESV_SZ_S10_mS11_S14_bEUlT_E_NS1_11comp_targetILNS1_3genE10ELNS1_11target_archE1200ELNS1_3gpuE4ELNS1_3repE0EEENS1_30default_config_static_selectorELNS0_4arch9wavefront6targetE1EEEvSY_
	.p2align	8
	.type	_ZN7rocprim17ROCPRIM_400000_NS6detail17trampoline_kernelINS0_14default_configENS1_27upper_bound_config_selectorIflEEZNS1_14transform_implILb0ES3_S5_N6thrust23THRUST_200600_302600_NS6detail15normal_iteratorINS8_7pointerIfNS8_11hip_rocprim9par_det_tENS8_11use_defaultESE_EEEENSA_INSB_IlSD_SE_SE_EEEEZNS1_13binary_searchIS3_S5_NSA_INS8_10device_ptrIfEEEESG_SI_NS1_21upper_bound_search_opENS9_16wrapped_functionINS8_6system6detail7generic6detail18binary_search_lessEbEEEE10hipError_tPvRmT1_T2_T3_mmT4_T5_P12ihipStream_tbEUlRKfE_EESV_SZ_S10_mS11_S14_bEUlT_E_NS1_11comp_targetILNS1_3genE10ELNS1_11target_archE1200ELNS1_3gpuE4ELNS1_3repE0EEENS1_30default_config_static_selectorELNS0_4arch9wavefront6targetE1EEEvSY_,@function
_ZN7rocprim17ROCPRIM_400000_NS6detail17trampoline_kernelINS0_14default_configENS1_27upper_bound_config_selectorIflEEZNS1_14transform_implILb0ES3_S5_N6thrust23THRUST_200600_302600_NS6detail15normal_iteratorINS8_7pointerIfNS8_11hip_rocprim9par_det_tENS8_11use_defaultESE_EEEENSA_INSB_IlSD_SE_SE_EEEEZNS1_13binary_searchIS3_S5_NSA_INS8_10device_ptrIfEEEESG_SI_NS1_21upper_bound_search_opENS9_16wrapped_functionINS8_6system6detail7generic6detail18binary_search_lessEbEEEE10hipError_tPvRmT1_T2_T3_mmT4_T5_P12ihipStream_tbEUlRKfE_EESV_SZ_S10_mS11_S14_bEUlT_E_NS1_11comp_targetILNS1_3genE10ELNS1_11target_archE1200ELNS1_3gpuE4ELNS1_3repE0EEENS1_30default_config_static_selectorELNS0_4arch9wavefront6targetE1EEEvSY_: ; @_ZN7rocprim17ROCPRIM_400000_NS6detail17trampoline_kernelINS0_14default_configENS1_27upper_bound_config_selectorIflEEZNS1_14transform_implILb0ES3_S5_N6thrust23THRUST_200600_302600_NS6detail15normal_iteratorINS8_7pointerIfNS8_11hip_rocprim9par_det_tENS8_11use_defaultESE_EEEENSA_INSB_IlSD_SE_SE_EEEEZNS1_13binary_searchIS3_S5_NSA_INS8_10device_ptrIfEEEESG_SI_NS1_21upper_bound_search_opENS9_16wrapped_functionINS8_6system6detail7generic6detail18binary_search_lessEbEEEE10hipError_tPvRmT1_T2_T3_mmT4_T5_P12ihipStream_tbEUlRKfE_EESV_SZ_S10_mS11_S14_bEUlT_E_NS1_11comp_targetILNS1_3genE10ELNS1_11target_archE1200ELNS1_3gpuE4ELNS1_3repE0EEENS1_30default_config_static_selectorELNS0_4arch9wavefront6targetE1EEEvSY_
; %bb.0:
	.section	.rodata,"a",@progbits
	.p2align	6, 0x0
	.amdhsa_kernel _ZN7rocprim17ROCPRIM_400000_NS6detail17trampoline_kernelINS0_14default_configENS1_27upper_bound_config_selectorIflEEZNS1_14transform_implILb0ES3_S5_N6thrust23THRUST_200600_302600_NS6detail15normal_iteratorINS8_7pointerIfNS8_11hip_rocprim9par_det_tENS8_11use_defaultESE_EEEENSA_INSB_IlSD_SE_SE_EEEEZNS1_13binary_searchIS3_S5_NSA_INS8_10device_ptrIfEEEESG_SI_NS1_21upper_bound_search_opENS9_16wrapped_functionINS8_6system6detail7generic6detail18binary_search_lessEbEEEE10hipError_tPvRmT1_T2_T3_mmT4_T5_P12ihipStream_tbEUlRKfE_EESV_SZ_S10_mS11_S14_bEUlT_E_NS1_11comp_targetILNS1_3genE10ELNS1_11target_archE1200ELNS1_3gpuE4ELNS1_3repE0EEENS1_30default_config_static_selectorELNS0_4arch9wavefront6targetE1EEEvSY_
		.amdhsa_group_segment_fixed_size 0
		.amdhsa_private_segment_fixed_size 0
		.amdhsa_kernarg_size 56
		.amdhsa_user_sgpr_count 6
		.amdhsa_user_sgpr_private_segment_buffer 1
		.amdhsa_user_sgpr_dispatch_ptr 0
		.amdhsa_user_sgpr_queue_ptr 0
		.amdhsa_user_sgpr_kernarg_segment_ptr 1
		.amdhsa_user_sgpr_dispatch_id 0
		.amdhsa_user_sgpr_flat_scratch_init 0
		.amdhsa_user_sgpr_private_segment_size 0
		.amdhsa_uses_dynamic_stack 0
		.amdhsa_system_sgpr_private_segment_wavefront_offset 0
		.amdhsa_system_sgpr_workgroup_id_x 1
		.amdhsa_system_sgpr_workgroup_id_y 0
		.amdhsa_system_sgpr_workgroup_id_z 0
		.amdhsa_system_sgpr_workgroup_info 0
		.amdhsa_system_vgpr_workitem_id 0
		.amdhsa_next_free_vgpr 1
		.amdhsa_next_free_sgpr 0
		.amdhsa_reserve_vcc 0
		.amdhsa_reserve_flat_scratch 0
		.amdhsa_float_round_mode_32 0
		.amdhsa_float_round_mode_16_64 0
		.amdhsa_float_denorm_mode_32 3
		.amdhsa_float_denorm_mode_16_64 3
		.amdhsa_dx10_clamp 1
		.amdhsa_ieee_mode 1
		.amdhsa_fp16_overflow 0
		.amdhsa_exception_fp_ieee_invalid_op 0
		.amdhsa_exception_fp_denorm_src 0
		.amdhsa_exception_fp_ieee_div_zero 0
		.amdhsa_exception_fp_ieee_overflow 0
		.amdhsa_exception_fp_ieee_underflow 0
		.amdhsa_exception_fp_ieee_inexact 0
		.amdhsa_exception_int_div_zero 0
	.end_amdhsa_kernel
	.section	.text._ZN7rocprim17ROCPRIM_400000_NS6detail17trampoline_kernelINS0_14default_configENS1_27upper_bound_config_selectorIflEEZNS1_14transform_implILb0ES3_S5_N6thrust23THRUST_200600_302600_NS6detail15normal_iteratorINS8_7pointerIfNS8_11hip_rocprim9par_det_tENS8_11use_defaultESE_EEEENSA_INSB_IlSD_SE_SE_EEEEZNS1_13binary_searchIS3_S5_NSA_INS8_10device_ptrIfEEEESG_SI_NS1_21upper_bound_search_opENS9_16wrapped_functionINS8_6system6detail7generic6detail18binary_search_lessEbEEEE10hipError_tPvRmT1_T2_T3_mmT4_T5_P12ihipStream_tbEUlRKfE_EESV_SZ_S10_mS11_S14_bEUlT_E_NS1_11comp_targetILNS1_3genE10ELNS1_11target_archE1200ELNS1_3gpuE4ELNS1_3repE0EEENS1_30default_config_static_selectorELNS0_4arch9wavefront6targetE1EEEvSY_,"axG",@progbits,_ZN7rocprim17ROCPRIM_400000_NS6detail17trampoline_kernelINS0_14default_configENS1_27upper_bound_config_selectorIflEEZNS1_14transform_implILb0ES3_S5_N6thrust23THRUST_200600_302600_NS6detail15normal_iteratorINS8_7pointerIfNS8_11hip_rocprim9par_det_tENS8_11use_defaultESE_EEEENSA_INSB_IlSD_SE_SE_EEEEZNS1_13binary_searchIS3_S5_NSA_INS8_10device_ptrIfEEEESG_SI_NS1_21upper_bound_search_opENS9_16wrapped_functionINS8_6system6detail7generic6detail18binary_search_lessEbEEEE10hipError_tPvRmT1_T2_T3_mmT4_T5_P12ihipStream_tbEUlRKfE_EESV_SZ_S10_mS11_S14_bEUlT_E_NS1_11comp_targetILNS1_3genE10ELNS1_11target_archE1200ELNS1_3gpuE4ELNS1_3repE0EEENS1_30default_config_static_selectorELNS0_4arch9wavefront6targetE1EEEvSY_,comdat
.Lfunc_end524:
	.size	_ZN7rocprim17ROCPRIM_400000_NS6detail17trampoline_kernelINS0_14default_configENS1_27upper_bound_config_selectorIflEEZNS1_14transform_implILb0ES3_S5_N6thrust23THRUST_200600_302600_NS6detail15normal_iteratorINS8_7pointerIfNS8_11hip_rocprim9par_det_tENS8_11use_defaultESE_EEEENSA_INSB_IlSD_SE_SE_EEEEZNS1_13binary_searchIS3_S5_NSA_INS8_10device_ptrIfEEEESG_SI_NS1_21upper_bound_search_opENS9_16wrapped_functionINS8_6system6detail7generic6detail18binary_search_lessEbEEEE10hipError_tPvRmT1_T2_T3_mmT4_T5_P12ihipStream_tbEUlRKfE_EESV_SZ_S10_mS11_S14_bEUlT_E_NS1_11comp_targetILNS1_3genE10ELNS1_11target_archE1200ELNS1_3gpuE4ELNS1_3repE0EEENS1_30default_config_static_selectorELNS0_4arch9wavefront6targetE1EEEvSY_, .Lfunc_end524-_ZN7rocprim17ROCPRIM_400000_NS6detail17trampoline_kernelINS0_14default_configENS1_27upper_bound_config_selectorIflEEZNS1_14transform_implILb0ES3_S5_N6thrust23THRUST_200600_302600_NS6detail15normal_iteratorINS8_7pointerIfNS8_11hip_rocprim9par_det_tENS8_11use_defaultESE_EEEENSA_INSB_IlSD_SE_SE_EEEEZNS1_13binary_searchIS3_S5_NSA_INS8_10device_ptrIfEEEESG_SI_NS1_21upper_bound_search_opENS9_16wrapped_functionINS8_6system6detail7generic6detail18binary_search_lessEbEEEE10hipError_tPvRmT1_T2_T3_mmT4_T5_P12ihipStream_tbEUlRKfE_EESV_SZ_S10_mS11_S14_bEUlT_E_NS1_11comp_targetILNS1_3genE10ELNS1_11target_archE1200ELNS1_3gpuE4ELNS1_3repE0EEENS1_30default_config_static_selectorELNS0_4arch9wavefront6targetE1EEEvSY_
                                        ; -- End function
	.set _ZN7rocprim17ROCPRIM_400000_NS6detail17trampoline_kernelINS0_14default_configENS1_27upper_bound_config_selectorIflEEZNS1_14transform_implILb0ES3_S5_N6thrust23THRUST_200600_302600_NS6detail15normal_iteratorINS8_7pointerIfNS8_11hip_rocprim9par_det_tENS8_11use_defaultESE_EEEENSA_INSB_IlSD_SE_SE_EEEEZNS1_13binary_searchIS3_S5_NSA_INS8_10device_ptrIfEEEESG_SI_NS1_21upper_bound_search_opENS9_16wrapped_functionINS8_6system6detail7generic6detail18binary_search_lessEbEEEE10hipError_tPvRmT1_T2_T3_mmT4_T5_P12ihipStream_tbEUlRKfE_EESV_SZ_S10_mS11_S14_bEUlT_E_NS1_11comp_targetILNS1_3genE10ELNS1_11target_archE1200ELNS1_3gpuE4ELNS1_3repE0EEENS1_30default_config_static_selectorELNS0_4arch9wavefront6targetE1EEEvSY_.num_vgpr, 0
	.set _ZN7rocprim17ROCPRIM_400000_NS6detail17trampoline_kernelINS0_14default_configENS1_27upper_bound_config_selectorIflEEZNS1_14transform_implILb0ES3_S5_N6thrust23THRUST_200600_302600_NS6detail15normal_iteratorINS8_7pointerIfNS8_11hip_rocprim9par_det_tENS8_11use_defaultESE_EEEENSA_INSB_IlSD_SE_SE_EEEEZNS1_13binary_searchIS3_S5_NSA_INS8_10device_ptrIfEEEESG_SI_NS1_21upper_bound_search_opENS9_16wrapped_functionINS8_6system6detail7generic6detail18binary_search_lessEbEEEE10hipError_tPvRmT1_T2_T3_mmT4_T5_P12ihipStream_tbEUlRKfE_EESV_SZ_S10_mS11_S14_bEUlT_E_NS1_11comp_targetILNS1_3genE10ELNS1_11target_archE1200ELNS1_3gpuE4ELNS1_3repE0EEENS1_30default_config_static_selectorELNS0_4arch9wavefront6targetE1EEEvSY_.num_agpr, 0
	.set _ZN7rocprim17ROCPRIM_400000_NS6detail17trampoline_kernelINS0_14default_configENS1_27upper_bound_config_selectorIflEEZNS1_14transform_implILb0ES3_S5_N6thrust23THRUST_200600_302600_NS6detail15normal_iteratorINS8_7pointerIfNS8_11hip_rocprim9par_det_tENS8_11use_defaultESE_EEEENSA_INSB_IlSD_SE_SE_EEEEZNS1_13binary_searchIS3_S5_NSA_INS8_10device_ptrIfEEEESG_SI_NS1_21upper_bound_search_opENS9_16wrapped_functionINS8_6system6detail7generic6detail18binary_search_lessEbEEEE10hipError_tPvRmT1_T2_T3_mmT4_T5_P12ihipStream_tbEUlRKfE_EESV_SZ_S10_mS11_S14_bEUlT_E_NS1_11comp_targetILNS1_3genE10ELNS1_11target_archE1200ELNS1_3gpuE4ELNS1_3repE0EEENS1_30default_config_static_selectorELNS0_4arch9wavefront6targetE1EEEvSY_.numbered_sgpr, 0
	.set _ZN7rocprim17ROCPRIM_400000_NS6detail17trampoline_kernelINS0_14default_configENS1_27upper_bound_config_selectorIflEEZNS1_14transform_implILb0ES3_S5_N6thrust23THRUST_200600_302600_NS6detail15normal_iteratorINS8_7pointerIfNS8_11hip_rocprim9par_det_tENS8_11use_defaultESE_EEEENSA_INSB_IlSD_SE_SE_EEEEZNS1_13binary_searchIS3_S5_NSA_INS8_10device_ptrIfEEEESG_SI_NS1_21upper_bound_search_opENS9_16wrapped_functionINS8_6system6detail7generic6detail18binary_search_lessEbEEEE10hipError_tPvRmT1_T2_T3_mmT4_T5_P12ihipStream_tbEUlRKfE_EESV_SZ_S10_mS11_S14_bEUlT_E_NS1_11comp_targetILNS1_3genE10ELNS1_11target_archE1200ELNS1_3gpuE4ELNS1_3repE0EEENS1_30default_config_static_selectorELNS0_4arch9wavefront6targetE1EEEvSY_.num_named_barrier, 0
	.set _ZN7rocprim17ROCPRIM_400000_NS6detail17trampoline_kernelINS0_14default_configENS1_27upper_bound_config_selectorIflEEZNS1_14transform_implILb0ES3_S5_N6thrust23THRUST_200600_302600_NS6detail15normal_iteratorINS8_7pointerIfNS8_11hip_rocprim9par_det_tENS8_11use_defaultESE_EEEENSA_INSB_IlSD_SE_SE_EEEEZNS1_13binary_searchIS3_S5_NSA_INS8_10device_ptrIfEEEESG_SI_NS1_21upper_bound_search_opENS9_16wrapped_functionINS8_6system6detail7generic6detail18binary_search_lessEbEEEE10hipError_tPvRmT1_T2_T3_mmT4_T5_P12ihipStream_tbEUlRKfE_EESV_SZ_S10_mS11_S14_bEUlT_E_NS1_11comp_targetILNS1_3genE10ELNS1_11target_archE1200ELNS1_3gpuE4ELNS1_3repE0EEENS1_30default_config_static_selectorELNS0_4arch9wavefront6targetE1EEEvSY_.private_seg_size, 0
	.set _ZN7rocprim17ROCPRIM_400000_NS6detail17trampoline_kernelINS0_14default_configENS1_27upper_bound_config_selectorIflEEZNS1_14transform_implILb0ES3_S5_N6thrust23THRUST_200600_302600_NS6detail15normal_iteratorINS8_7pointerIfNS8_11hip_rocprim9par_det_tENS8_11use_defaultESE_EEEENSA_INSB_IlSD_SE_SE_EEEEZNS1_13binary_searchIS3_S5_NSA_INS8_10device_ptrIfEEEESG_SI_NS1_21upper_bound_search_opENS9_16wrapped_functionINS8_6system6detail7generic6detail18binary_search_lessEbEEEE10hipError_tPvRmT1_T2_T3_mmT4_T5_P12ihipStream_tbEUlRKfE_EESV_SZ_S10_mS11_S14_bEUlT_E_NS1_11comp_targetILNS1_3genE10ELNS1_11target_archE1200ELNS1_3gpuE4ELNS1_3repE0EEENS1_30default_config_static_selectorELNS0_4arch9wavefront6targetE1EEEvSY_.uses_vcc, 0
	.set _ZN7rocprim17ROCPRIM_400000_NS6detail17trampoline_kernelINS0_14default_configENS1_27upper_bound_config_selectorIflEEZNS1_14transform_implILb0ES3_S5_N6thrust23THRUST_200600_302600_NS6detail15normal_iteratorINS8_7pointerIfNS8_11hip_rocprim9par_det_tENS8_11use_defaultESE_EEEENSA_INSB_IlSD_SE_SE_EEEEZNS1_13binary_searchIS3_S5_NSA_INS8_10device_ptrIfEEEESG_SI_NS1_21upper_bound_search_opENS9_16wrapped_functionINS8_6system6detail7generic6detail18binary_search_lessEbEEEE10hipError_tPvRmT1_T2_T3_mmT4_T5_P12ihipStream_tbEUlRKfE_EESV_SZ_S10_mS11_S14_bEUlT_E_NS1_11comp_targetILNS1_3genE10ELNS1_11target_archE1200ELNS1_3gpuE4ELNS1_3repE0EEENS1_30default_config_static_selectorELNS0_4arch9wavefront6targetE1EEEvSY_.uses_flat_scratch, 0
	.set _ZN7rocprim17ROCPRIM_400000_NS6detail17trampoline_kernelINS0_14default_configENS1_27upper_bound_config_selectorIflEEZNS1_14transform_implILb0ES3_S5_N6thrust23THRUST_200600_302600_NS6detail15normal_iteratorINS8_7pointerIfNS8_11hip_rocprim9par_det_tENS8_11use_defaultESE_EEEENSA_INSB_IlSD_SE_SE_EEEEZNS1_13binary_searchIS3_S5_NSA_INS8_10device_ptrIfEEEESG_SI_NS1_21upper_bound_search_opENS9_16wrapped_functionINS8_6system6detail7generic6detail18binary_search_lessEbEEEE10hipError_tPvRmT1_T2_T3_mmT4_T5_P12ihipStream_tbEUlRKfE_EESV_SZ_S10_mS11_S14_bEUlT_E_NS1_11comp_targetILNS1_3genE10ELNS1_11target_archE1200ELNS1_3gpuE4ELNS1_3repE0EEENS1_30default_config_static_selectorELNS0_4arch9wavefront6targetE1EEEvSY_.has_dyn_sized_stack, 0
	.set _ZN7rocprim17ROCPRIM_400000_NS6detail17trampoline_kernelINS0_14default_configENS1_27upper_bound_config_selectorIflEEZNS1_14transform_implILb0ES3_S5_N6thrust23THRUST_200600_302600_NS6detail15normal_iteratorINS8_7pointerIfNS8_11hip_rocprim9par_det_tENS8_11use_defaultESE_EEEENSA_INSB_IlSD_SE_SE_EEEEZNS1_13binary_searchIS3_S5_NSA_INS8_10device_ptrIfEEEESG_SI_NS1_21upper_bound_search_opENS9_16wrapped_functionINS8_6system6detail7generic6detail18binary_search_lessEbEEEE10hipError_tPvRmT1_T2_T3_mmT4_T5_P12ihipStream_tbEUlRKfE_EESV_SZ_S10_mS11_S14_bEUlT_E_NS1_11comp_targetILNS1_3genE10ELNS1_11target_archE1200ELNS1_3gpuE4ELNS1_3repE0EEENS1_30default_config_static_selectorELNS0_4arch9wavefront6targetE1EEEvSY_.has_recursion, 0
	.set _ZN7rocprim17ROCPRIM_400000_NS6detail17trampoline_kernelINS0_14default_configENS1_27upper_bound_config_selectorIflEEZNS1_14transform_implILb0ES3_S5_N6thrust23THRUST_200600_302600_NS6detail15normal_iteratorINS8_7pointerIfNS8_11hip_rocprim9par_det_tENS8_11use_defaultESE_EEEENSA_INSB_IlSD_SE_SE_EEEEZNS1_13binary_searchIS3_S5_NSA_INS8_10device_ptrIfEEEESG_SI_NS1_21upper_bound_search_opENS9_16wrapped_functionINS8_6system6detail7generic6detail18binary_search_lessEbEEEE10hipError_tPvRmT1_T2_T3_mmT4_T5_P12ihipStream_tbEUlRKfE_EESV_SZ_S10_mS11_S14_bEUlT_E_NS1_11comp_targetILNS1_3genE10ELNS1_11target_archE1200ELNS1_3gpuE4ELNS1_3repE0EEENS1_30default_config_static_selectorELNS0_4arch9wavefront6targetE1EEEvSY_.has_indirect_call, 0
	.section	.AMDGPU.csdata,"",@progbits
; Kernel info:
; codeLenInByte = 0
; TotalNumSgprs: 4
; NumVgprs: 0
; ScratchSize: 0
; MemoryBound: 0
; FloatMode: 240
; IeeeMode: 1
; LDSByteSize: 0 bytes/workgroup (compile time only)
; SGPRBlocks: 0
; VGPRBlocks: 0
; NumSGPRsForWavesPerEU: 4
; NumVGPRsForWavesPerEU: 1
; Occupancy: 10
; WaveLimiterHint : 0
; COMPUTE_PGM_RSRC2:SCRATCH_EN: 0
; COMPUTE_PGM_RSRC2:USER_SGPR: 6
; COMPUTE_PGM_RSRC2:TRAP_HANDLER: 0
; COMPUTE_PGM_RSRC2:TGID_X_EN: 1
; COMPUTE_PGM_RSRC2:TGID_Y_EN: 0
; COMPUTE_PGM_RSRC2:TGID_Z_EN: 0
; COMPUTE_PGM_RSRC2:TIDIG_COMP_CNT: 0
	.section	.text._ZN7rocprim17ROCPRIM_400000_NS6detail17trampoline_kernelINS0_14default_configENS1_27upper_bound_config_selectorIflEEZNS1_14transform_implILb0ES3_S5_N6thrust23THRUST_200600_302600_NS6detail15normal_iteratorINS8_7pointerIfNS8_11hip_rocprim9par_det_tENS8_11use_defaultESE_EEEENSA_INSB_IlSD_SE_SE_EEEEZNS1_13binary_searchIS3_S5_NSA_INS8_10device_ptrIfEEEESG_SI_NS1_21upper_bound_search_opENS9_16wrapped_functionINS8_6system6detail7generic6detail18binary_search_lessEbEEEE10hipError_tPvRmT1_T2_T3_mmT4_T5_P12ihipStream_tbEUlRKfE_EESV_SZ_S10_mS11_S14_bEUlT_E_NS1_11comp_targetILNS1_3genE9ELNS1_11target_archE1100ELNS1_3gpuE3ELNS1_3repE0EEENS1_30default_config_static_selectorELNS0_4arch9wavefront6targetE1EEEvSY_,"axG",@progbits,_ZN7rocprim17ROCPRIM_400000_NS6detail17trampoline_kernelINS0_14default_configENS1_27upper_bound_config_selectorIflEEZNS1_14transform_implILb0ES3_S5_N6thrust23THRUST_200600_302600_NS6detail15normal_iteratorINS8_7pointerIfNS8_11hip_rocprim9par_det_tENS8_11use_defaultESE_EEEENSA_INSB_IlSD_SE_SE_EEEEZNS1_13binary_searchIS3_S5_NSA_INS8_10device_ptrIfEEEESG_SI_NS1_21upper_bound_search_opENS9_16wrapped_functionINS8_6system6detail7generic6detail18binary_search_lessEbEEEE10hipError_tPvRmT1_T2_T3_mmT4_T5_P12ihipStream_tbEUlRKfE_EESV_SZ_S10_mS11_S14_bEUlT_E_NS1_11comp_targetILNS1_3genE9ELNS1_11target_archE1100ELNS1_3gpuE3ELNS1_3repE0EEENS1_30default_config_static_selectorELNS0_4arch9wavefront6targetE1EEEvSY_,comdat
	.protected	_ZN7rocprim17ROCPRIM_400000_NS6detail17trampoline_kernelINS0_14default_configENS1_27upper_bound_config_selectorIflEEZNS1_14transform_implILb0ES3_S5_N6thrust23THRUST_200600_302600_NS6detail15normal_iteratorINS8_7pointerIfNS8_11hip_rocprim9par_det_tENS8_11use_defaultESE_EEEENSA_INSB_IlSD_SE_SE_EEEEZNS1_13binary_searchIS3_S5_NSA_INS8_10device_ptrIfEEEESG_SI_NS1_21upper_bound_search_opENS9_16wrapped_functionINS8_6system6detail7generic6detail18binary_search_lessEbEEEE10hipError_tPvRmT1_T2_T3_mmT4_T5_P12ihipStream_tbEUlRKfE_EESV_SZ_S10_mS11_S14_bEUlT_E_NS1_11comp_targetILNS1_3genE9ELNS1_11target_archE1100ELNS1_3gpuE3ELNS1_3repE0EEENS1_30default_config_static_selectorELNS0_4arch9wavefront6targetE1EEEvSY_ ; -- Begin function _ZN7rocprim17ROCPRIM_400000_NS6detail17trampoline_kernelINS0_14default_configENS1_27upper_bound_config_selectorIflEEZNS1_14transform_implILb0ES3_S5_N6thrust23THRUST_200600_302600_NS6detail15normal_iteratorINS8_7pointerIfNS8_11hip_rocprim9par_det_tENS8_11use_defaultESE_EEEENSA_INSB_IlSD_SE_SE_EEEEZNS1_13binary_searchIS3_S5_NSA_INS8_10device_ptrIfEEEESG_SI_NS1_21upper_bound_search_opENS9_16wrapped_functionINS8_6system6detail7generic6detail18binary_search_lessEbEEEE10hipError_tPvRmT1_T2_T3_mmT4_T5_P12ihipStream_tbEUlRKfE_EESV_SZ_S10_mS11_S14_bEUlT_E_NS1_11comp_targetILNS1_3genE9ELNS1_11target_archE1100ELNS1_3gpuE3ELNS1_3repE0EEENS1_30default_config_static_selectorELNS0_4arch9wavefront6targetE1EEEvSY_
	.globl	_ZN7rocprim17ROCPRIM_400000_NS6detail17trampoline_kernelINS0_14default_configENS1_27upper_bound_config_selectorIflEEZNS1_14transform_implILb0ES3_S5_N6thrust23THRUST_200600_302600_NS6detail15normal_iteratorINS8_7pointerIfNS8_11hip_rocprim9par_det_tENS8_11use_defaultESE_EEEENSA_INSB_IlSD_SE_SE_EEEEZNS1_13binary_searchIS3_S5_NSA_INS8_10device_ptrIfEEEESG_SI_NS1_21upper_bound_search_opENS9_16wrapped_functionINS8_6system6detail7generic6detail18binary_search_lessEbEEEE10hipError_tPvRmT1_T2_T3_mmT4_T5_P12ihipStream_tbEUlRKfE_EESV_SZ_S10_mS11_S14_bEUlT_E_NS1_11comp_targetILNS1_3genE9ELNS1_11target_archE1100ELNS1_3gpuE3ELNS1_3repE0EEENS1_30default_config_static_selectorELNS0_4arch9wavefront6targetE1EEEvSY_
	.p2align	8
	.type	_ZN7rocprim17ROCPRIM_400000_NS6detail17trampoline_kernelINS0_14default_configENS1_27upper_bound_config_selectorIflEEZNS1_14transform_implILb0ES3_S5_N6thrust23THRUST_200600_302600_NS6detail15normal_iteratorINS8_7pointerIfNS8_11hip_rocprim9par_det_tENS8_11use_defaultESE_EEEENSA_INSB_IlSD_SE_SE_EEEEZNS1_13binary_searchIS3_S5_NSA_INS8_10device_ptrIfEEEESG_SI_NS1_21upper_bound_search_opENS9_16wrapped_functionINS8_6system6detail7generic6detail18binary_search_lessEbEEEE10hipError_tPvRmT1_T2_T3_mmT4_T5_P12ihipStream_tbEUlRKfE_EESV_SZ_S10_mS11_S14_bEUlT_E_NS1_11comp_targetILNS1_3genE9ELNS1_11target_archE1100ELNS1_3gpuE3ELNS1_3repE0EEENS1_30default_config_static_selectorELNS0_4arch9wavefront6targetE1EEEvSY_,@function
_ZN7rocprim17ROCPRIM_400000_NS6detail17trampoline_kernelINS0_14default_configENS1_27upper_bound_config_selectorIflEEZNS1_14transform_implILb0ES3_S5_N6thrust23THRUST_200600_302600_NS6detail15normal_iteratorINS8_7pointerIfNS8_11hip_rocprim9par_det_tENS8_11use_defaultESE_EEEENSA_INSB_IlSD_SE_SE_EEEEZNS1_13binary_searchIS3_S5_NSA_INS8_10device_ptrIfEEEESG_SI_NS1_21upper_bound_search_opENS9_16wrapped_functionINS8_6system6detail7generic6detail18binary_search_lessEbEEEE10hipError_tPvRmT1_T2_T3_mmT4_T5_P12ihipStream_tbEUlRKfE_EESV_SZ_S10_mS11_S14_bEUlT_E_NS1_11comp_targetILNS1_3genE9ELNS1_11target_archE1100ELNS1_3gpuE3ELNS1_3repE0EEENS1_30default_config_static_selectorELNS0_4arch9wavefront6targetE1EEEvSY_: ; @_ZN7rocprim17ROCPRIM_400000_NS6detail17trampoline_kernelINS0_14default_configENS1_27upper_bound_config_selectorIflEEZNS1_14transform_implILb0ES3_S5_N6thrust23THRUST_200600_302600_NS6detail15normal_iteratorINS8_7pointerIfNS8_11hip_rocprim9par_det_tENS8_11use_defaultESE_EEEENSA_INSB_IlSD_SE_SE_EEEEZNS1_13binary_searchIS3_S5_NSA_INS8_10device_ptrIfEEEESG_SI_NS1_21upper_bound_search_opENS9_16wrapped_functionINS8_6system6detail7generic6detail18binary_search_lessEbEEEE10hipError_tPvRmT1_T2_T3_mmT4_T5_P12ihipStream_tbEUlRKfE_EESV_SZ_S10_mS11_S14_bEUlT_E_NS1_11comp_targetILNS1_3genE9ELNS1_11target_archE1100ELNS1_3gpuE3ELNS1_3repE0EEENS1_30default_config_static_selectorELNS0_4arch9wavefront6targetE1EEEvSY_
; %bb.0:
	.section	.rodata,"a",@progbits
	.p2align	6, 0x0
	.amdhsa_kernel _ZN7rocprim17ROCPRIM_400000_NS6detail17trampoline_kernelINS0_14default_configENS1_27upper_bound_config_selectorIflEEZNS1_14transform_implILb0ES3_S5_N6thrust23THRUST_200600_302600_NS6detail15normal_iteratorINS8_7pointerIfNS8_11hip_rocprim9par_det_tENS8_11use_defaultESE_EEEENSA_INSB_IlSD_SE_SE_EEEEZNS1_13binary_searchIS3_S5_NSA_INS8_10device_ptrIfEEEESG_SI_NS1_21upper_bound_search_opENS9_16wrapped_functionINS8_6system6detail7generic6detail18binary_search_lessEbEEEE10hipError_tPvRmT1_T2_T3_mmT4_T5_P12ihipStream_tbEUlRKfE_EESV_SZ_S10_mS11_S14_bEUlT_E_NS1_11comp_targetILNS1_3genE9ELNS1_11target_archE1100ELNS1_3gpuE3ELNS1_3repE0EEENS1_30default_config_static_selectorELNS0_4arch9wavefront6targetE1EEEvSY_
		.amdhsa_group_segment_fixed_size 0
		.amdhsa_private_segment_fixed_size 0
		.amdhsa_kernarg_size 56
		.amdhsa_user_sgpr_count 6
		.amdhsa_user_sgpr_private_segment_buffer 1
		.amdhsa_user_sgpr_dispatch_ptr 0
		.amdhsa_user_sgpr_queue_ptr 0
		.amdhsa_user_sgpr_kernarg_segment_ptr 1
		.amdhsa_user_sgpr_dispatch_id 0
		.amdhsa_user_sgpr_flat_scratch_init 0
		.amdhsa_user_sgpr_private_segment_size 0
		.amdhsa_uses_dynamic_stack 0
		.amdhsa_system_sgpr_private_segment_wavefront_offset 0
		.amdhsa_system_sgpr_workgroup_id_x 1
		.amdhsa_system_sgpr_workgroup_id_y 0
		.amdhsa_system_sgpr_workgroup_id_z 0
		.amdhsa_system_sgpr_workgroup_info 0
		.amdhsa_system_vgpr_workitem_id 0
		.amdhsa_next_free_vgpr 1
		.amdhsa_next_free_sgpr 0
		.amdhsa_reserve_vcc 0
		.amdhsa_reserve_flat_scratch 0
		.amdhsa_float_round_mode_32 0
		.amdhsa_float_round_mode_16_64 0
		.amdhsa_float_denorm_mode_32 3
		.amdhsa_float_denorm_mode_16_64 3
		.amdhsa_dx10_clamp 1
		.amdhsa_ieee_mode 1
		.amdhsa_fp16_overflow 0
		.amdhsa_exception_fp_ieee_invalid_op 0
		.amdhsa_exception_fp_denorm_src 0
		.amdhsa_exception_fp_ieee_div_zero 0
		.amdhsa_exception_fp_ieee_overflow 0
		.amdhsa_exception_fp_ieee_underflow 0
		.amdhsa_exception_fp_ieee_inexact 0
		.amdhsa_exception_int_div_zero 0
	.end_amdhsa_kernel
	.section	.text._ZN7rocprim17ROCPRIM_400000_NS6detail17trampoline_kernelINS0_14default_configENS1_27upper_bound_config_selectorIflEEZNS1_14transform_implILb0ES3_S5_N6thrust23THRUST_200600_302600_NS6detail15normal_iteratorINS8_7pointerIfNS8_11hip_rocprim9par_det_tENS8_11use_defaultESE_EEEENSA_INSB_IlSD_SE_SE_EEEEZNS1_13binary_searchIS3_S5_NSA_INS8_10device_ptrIfEEEESG_SI_NS1_21upper_bound_search_opENS9_16wrapped_functionINS8_6system6detail7generic6detail18binary_search_lessEbEEEE10hipError_tPvRmT1_T2_T3_mmT4_T5_P12ihipStream_tbEUlRKfE_EESV_SZ_S10_mS11_S14_bEUlT_E_NS1_11comp_targetILNS1_3genE9ELNS1_11target_archE1100ELNS1_3gpuE3ELNS1_3repE0EEENS1_30default_config_static_selectorELNS0_4arch9wavefront6targetE1EEEvSY_,"axG",@progbits,_ZN7rocprim17ROCPRIM_400000_NS6detail17trampoline_kernelINS0_14default_configENS1_27upper_bound_config_selectorIflEEZNS1_14transform_implILb0ES3_S5_N6thrust23THRUST_200600_302600_NS6detail15normal_iteratorINS8_7pointerIfNS8_11hip_rocprim9par_det_tENS8_11use_defaultESE_EEEENSA_INSB_IlSD_SE_SE_EEEEZNS1_13binary_searchIS3_S5_NSA_INS8_10device_ptrIfEEEESG_SI_NS1_21upper_bound_search_opENS9_16wrapped_functionINS8_6system6detail7generic6detail18binary_search_lessEbEEEE10hipError_tPvRmT1_T2_T3_mmT4_T5_P12ihipStream_tbEUlRKfE_EESV_SZ_S10_mS11_S14_bEUlT_E_NS1_11comp_targetILNS1_3genE9ELNS1_11target_archE1100ELNS1_3gpuE3ELNS1_3repE0EEENS1_30default_config_static_selectorELNS0_4arch9wavefront6targetE1EEEvSY_,comdat
.Lfunc_end525:
	.size	_ZN7rocprim17ROCPRIM_400000_NS6detail17trampoline_kernelINS0_14default_configENS1_27upper_bound_config_selectorIflEEZNS1_14transform_implILb0ES3_S5_N6thrust23THRUST_200600_302600_NS6detail15normal_iteratorINS8_7pointerIfNS8_11hip_rocprim9par_det_tENS8_11use_defaultESE_EEEENSA_INSB_IlSD_SE_SE_EEEEZNS1_13binary_searchIS3_S5_NSA_INS8_10device_ptrIfEEEESG_SI_NS1_21upper_bound_search_opENS9_16wrapped_functionINS8_6system6detail7generic6detail18binary_search_lessEbEEEE10hipError_tPvRmT1_T2_T3_mmT4_T5_P12ihipStream_tbEUlRKfE_EESV_SZ_S10_mS11_S14_bEUlT_E_NS1_11comp_targetILNS1_3genE9ELNS1_11target_archE1100ELNS1_3gpuE3ELNS1_3repE0EEENS1_30default_config_static_selectorELNS0_4arch9wavefront6targetE1EEEvSY_, .Lfunc_end525-_ZN7rocprim17ROCPRIM_400000_NS6detail17trampoline_kernelINS0_14default_configENS1_27upper_bound_config_selectorIflEEZNS1_14transform_implILb0ES3_S5_N6thrust23THRUST_200600_302600_NS6detail15normal_iteratorINS8_7pointerIfNS8_11hip_rocprim9par_det_tENS8_11use_defaultESE_EEEENSA_INSB_IlSD_SE_SE_EEEEZNS1_13binary_searchIS3_S5_NSA_INS8_10device_ptrIfEEEESG_SI_NS1_21upper_bound_search_opENS9_16wrapped_functionINS8_6system6detail7generic6detail18binary_search_lessEbEEEE10hipError_tPvRmT1_T2_T3_mmT4_T5_P12ihipStream_tbEUlRKfE_EESV_SZ_S10_mS11_S14_bEUlT_E_NS1_11comp_targetILNS1_3genE9ELNS1_11target_archE1100ELNS1_3gpuE3ELNS1_3repE0EEENS1_30default_config_static_selectorELNS0_4arch9wavefront6targetE1EEEvSY_
                                        ; -- End function
	.set _ZN7rocprim17ROCPRIM_400000_NS6detail17trampoline_kernelINS0_14default_configENS1_27upper_bound_config_selectorIflEEZNS1_14transform_implILb0ES3_S5_N6thrust23THRUST_200600_302600_NS6detail15normal_iteratorINS8_7pointerIfNS8_11hip_rocprim9par_det_tENS8_11use_defaultESE_EEEENSA_INSB_IlSD_SE_SE_EEEEZNS1_13binary_searchIS3_S5_NSA_INS8_10device_ptrIfEEEESG_SI_NS1_21upper_bound_search_opENS9_16wrapped_functionINS8_6system6detail7generic6detail18binary_search_lessEbEEEE10hipError_tPvRmT1_T2_T3_mmT4_T5_P12ihipStream_tbEUlRKfE_EESV_SZ_S10_mS11_S14_bEUlT_E_NS1_11comp_targetILNS1_3genE9ELNS1_11target_archE1100ELNS1_3gpuE3ELNS1_3repE0EEENS1_30default_config_static_selectorELNS0_4arch9wavefront6targetE1EEEvSY_.num_vgpr, 0
	.set _ZN7rocprim17ROCPRIM_400000_NS6detail17trampoline_kernelINS0_14default_configENS1_27upper_bound_config_selectorIflEEZNS1_14transform_implILb0ES3_S5_N6thrust23THRUST_200600_302600_NS6detail15normal_iteratorINS8_7pointerIfNS8_11hip_rocprim9par_det_tENS8_11use_defaultESE_EEEENSA_INSB_IlSD_SE_SE_EEEEZNS1_13binary_searchIS3_S5_NSA_INS8_10device_ptrIfEEEESG_SI_NS1_21upper_bound_search_opENS9_16wrapped_functionINS8_6system6detail7generic6detail18binary_search_lessEbEEEE10hipError_tPvRmT1_T2_T3_mmT4_T5_P12ihipStream_tbEUlRKfE_EESV_SZ_S10_mS11_S14_bEUlT_E_NS1_11comp_targetILNS1_3genE9ELNS1_11target_archE1100ELNS1_3gpuE3ELNS1_3repE0EEENS1_30default_config_static_selectorELNS0_4arch9wavefront6targetE1EEEvSY_.num_agpr, 0
	.set _ZN7rocprim17ROCPRIM_400000_NS6detail17trampoline_kernelINS0_14default_configENS1_27upper_bound_config_selectorIflEEZNS1_14transform_implILb0ES3_S5_N6thrust23THRUST_200600_302600_NS6detail15normal_iteratorINS8_7pointerIfNS8_11hip_rocprim9par_det_tENS8_11use_defaultESE_EEEENSA_INSB_IlSD_SE_SE_EEEEZNS1_13binary_searchIS3_S5_NSA_INS8_10device_ptrIfEEEESG_SI_NS1_21upper_bound_search_opENS9_16wrapped_functionINS8_6system6detail7generic6detail18binary_search_lessEbEEEE10hipError_tPvRmT1_T2_T3_mmT4_T5_P12ihipStream_tbEUlRKfE_EESV_SZ_S10_mS11_S14_bEUlT_E_NS1_11comp_targetILNS1_3genE9ELNS1_11target_archE1100ELNS1_3gpuE3ELNS1_3repE0EEENS1_30default_config_static_selectorELNS0_4arch9wavefront6targetE1EEEvSY_.numbered_sgpr, 0
	.set _ZN7rocprim17ROCPRIM_400000_NS6detail17trampoline_kernelINS0_14default_configENS1_27upper_bound_config_selectorIflEEZNS1_14transform_implILb0ES3_S5_N6thrust23THRUST_200600_302600_NS6detail15normal_iteratorINS8_7pointerIfNS8_11hip_rocprim9par_det_tENS8_11use_defaultESE_EEEENSA_INSB_IlSD_SE_SE_EEEEZNS1_13binary_searchIS3_S5_NSA_INS8_10device_ptrIfEEEESG_SI_NS1_21upper_bound_search_opENS9_16wrapped_functionINS8_6system6detail7generic6detail18binary_search_lessEbEEEE10hipError_tPvRmT1_T2_T3_mmT4_T5_P12ihipStream_tbEUlRKfE_EESV_SZ_S10_mS11_S14_bEUlT_E_NS1_11comp_targetILNS1_3genE9ELNS1_11target_archE1100ELNS1_3gpuE3ELNS1_3repE0EEENS1_30default_config_static_selectorELNS0_4arch9wavefront6targetE1EEEvSY_.num_named_barrier, 0
	.set _ZN7rocprim17ROCPRIM_400000_NS6detail17trampoline_kernelINS0_14default_configENS1_27upper_bound_config_selectorIflEEZNS1_14transform_implILb0ES3_S5_N6thrust23THRUST_200600_302600_NS6detail15normal_iteratorINS8_7pointerIfNS8_11hip_rocprim9par_det_tENS8_11use_defaultESE_EEEENSA_INSB_IlSD_SE_SE_EEEEZNS1_13binary_searchIS3_S5_NSA_INS8_10device_ptrIfEEEESG_SI_NS1_21upper_bound_search_opENS9_16wrapped_functionINS8_6system6detail7generic6detail18binary_search_lessEbEEEE10hipError_tPvRmT1_T2_T3_mmT4_T5_P12ihipStream_tbEUlRKfE_EESV_SZ_S10_mS11_S14_bEUlT_E_NS1_11comp_targetILNS1_3genE9ELNS1_11target_archE1100ELNS1_3gpuE3ELNS1_3repE0EEENS1_30default_config_static_selectorELNS0_4arch9wavefront6targetE1EEEvSY_.private_seg_size, 0
	.set _ZN7rocprim17ROCPRIM_400000_NS6detail17trampoline_kernelINS0_14default_configENS1_27upper_bound_config_selectorIflEEZNS1_14transform_implILb0ES3_S5_N6thrust23THRUST_200600_302600_NS6detail15normal_iteratorINS8_7pointerIfNS8_11hip_rocprim9par_det_tENS8_11use_defaultESE_EEEENSA_INSB_IlSD_SE_SE_EEEEZNS1_13binary_searchIS3_S5_NSA_INS8_10device_ptrIfEEEESG_SI_NS1_21upper_bound_search_opENS9_16wrapped_functionINS8_6system6detail7generic6detail18binary_search_lessEbEEEE10hipError_tPvRmT1_T2_T3_mmT4_T5_P12ihipStream_tbEUlRKfE_EESV_SZ_S10_mS11_S14_bEUlT_E_NS1_11comp_targetILNS1_3genE9ELNS1_11target_archE1100ELNS1_3gpuE3ELNS1_3repE0EEENS1_30default_config_static_selectorELNS0_4arch9wavefront6targetE1EEEvSY_.uses_vcc, 0
	.set _ZN7rocprim17ROCPRIM_400000_NS6detail17trampoline_kernelINS0_14default_configENS1_27upper_bound_config_selectorIflEEZNS1_14transform_implILb0ES3_S5_N6thrust23THRUST_200600_302600_NS6detail15normal_iteratorINS8_7pointerIfNS8_11hip_rocprim9par_det_tENS8_11use_defaultESE_EEEENSA_INSB_IlSD_SE_SE_EEEEZNS1_13binary_searchIS3_S5_NSA_INS8_10device_ptrIfEEEESG_SI_NS1_21upper_bound_search_opENS9_16wrapped_functionINS8_6system6detail7generic6detail18binary_search_lessEbEEEE10hipError_tPvRmT1_T2_T3_mmT4_T5_P12ihipStream_tbEUlRKfE_EESV_SZ_S10_mS11_S14_bEUlT_E_NS1_11comp_targetILNS1_3genE9ELNS1_11target_archE1100ELNS1_3gpuE3ELNS1_3repE0EEENS1_30default_config_static_selectorELNS0_4arch9wavefront6targetE1EEEvSY_.uses_flat_scratch, 0
	.set _ZN7rocprim17ROCPRIM_400000_NS6detail17trampoline_kernelINS0_14default_configENS1_27upper_bound_config_selectorIflEEZNS1_14transform_implILb0ES3_S5_N6thrust23THRUST_200600_302600_NS6detail15normal_iteratorINS8_7pointerIfNS8_11hip_rocprim9par_det_tENS8_11use_defaultESE_EEEENSA_INSB_IlSD_SE_SE_EEEEZNS1_13binary_searchIS3_S5_NSA_INS8_10device_ptrIfEEEESG_SI_NS1_21upper_bound_search_opENS9_16wrapped_functionINS8_6system6detail7generic6detail18binary_search_lessEbEEEE10hipError_tPvRmT1_T2_T3_mmT4_T5_P12ihipStream_tbEUlRKfE_EESV_SZ_S10_mS11_S14_bEUlT_E_NS1_11comp_targetILNS1_3genE9ELNS1_11target_archE1100ELNS1_3gpuE3ELNS1_3repE0EEENS1_30default_config_static_selectorELNS0_4arch9wavefront6targetE1EEEvSY_.has_dyn_sized_stack, 0
	.set _ZN7rocprim17ROCPRIM_400000_NS6detail17trampoline_kernelINS0_14default_configENS1_27upper_bound_config_selectorIflEEZNS1_14transform_implILb0ES3_S5_N6thrust23THRUST_200600_302600_NS6detail15normal_iteratorINS8_7pointerIfNS8_11hip_rocprim9par_det_tENS8_11use_defaultESE_EEEENSA_INSB_IlSD_SE_SE_EEEEZNS1_13binary_searchIS3_S5_NSA_INS8_10device_ptrIfEEEESG_SI_NS1_21upper_bound_search_opENS9_16wrapped_functionINS8_6system6detail7generic6detail18binary_search_lessEbEEEE10hipError_tPvRmT1_T2_T3_mmT4_T5_P12ihipStream_tbEUlRKfE_EESV_SZ_S10_mS11_S14_bEUlT_E_NS1_11comp_targetILNS1_3genE9ELNS1_11target_archE1100ELNS1_3gpuE3ELNS1_3repE0EEENS1_30default_config_static_selectorELNS0_4arch9wavefront6targetE1EEEvSY_.has_recursion, 0
	.set _ZN7rocprim17ROCPRIM_400000_NS6detail17trampoline_kernelINS0_14default_configENS1_27upper_bound_config_selectorIflEEZNS1_14transform_implILb0ES3_S5_N6thrust23THRUST_200600_302600_NS6detail15normal_iteratorINS8_7pointerIfNS8_11hip_rocprim9par_det_tENS8_11use_defaultESE_EEEENSA_INSB_IlSD_SE_SE_EEEEZNS1_13binary_searchIS3_S5_NSA_INS8_10device_ptrIfEEEESG_SI_NS1_21upper_bound_search_opENS9_16wrapped_functionINS8_6system6detail7generic6detail18binary_search_lessEbEEEE10hipError_tPvRmT1_T2_T3_mmT4_T5_P12ihipStream_tbEUlRKfE_EESV_SZ_S10_mS11_S14_bEUlT_E_NS1_11comp_targetILNS1_3genE9ELNS1_11target_archE1100ELNS1_3gpuE3ELNS1_3repE0EEENS1_30default_config_static_selectorELNS0_4arch9wavefront6targetE1EEEvSY_.has_indirect_call, 0
	.section	.AMDGPU.csdata,"",@progbits
; Kernel info:
; codeLenInByte = 0
; TotalNumSgprs: 4
; NumVgprs: 0
; ScratchSize: 0
; MemoryBound: 0
; FloatMode: 240
; IeeeMode: 1
; LDSByteSize: 0 bytes/workgroup (compile time only)
; SGPRBlocks: 0
; VGPRBlocks: 0
; NumSGPRsForWavesPerEU: 4
; NumVGPRsForWavesPerEU: 1
; Occupancy: 10
; WaveLimiterHint : 0
; COMPUTE_PGM_RSRC2:SCRATCH_EN: 0
; COMPUTE_PGM_RSRC2:USER_SGPR: 6
; COMPUTE_PGM_RSRC2:TRAP_HANDLER: 0
; COMPUTE_PGM_RSRC2:TGID_X_EN: 1
; COMPUTE_PGM_RSRC2:TGID_Y_EN: 0
; COMPUTE_PGM_RSRC2:TGID_Z_EN: 0
; COMPUTE_PGM_RSRC2:TIDIG_COMP_CNT: 0
	.section	.text._ZN7rocprim17ROCPRIM_400000_NS6detail17trampoline_kernelINS0_14default_configENS1_27upper_bound_config_selectorIflEEZNS1_14transform_implILb0ES3_S5_N6thrust23THRUST_200600_302600_NS6detail15normal_iteratorINS8_7pointerIfNS8_11hip_rocprim9par_det_tENS8_11use_defaultESE_EEEENSA_INSB_IlSD_SE_SE_EEEEZNS1_13binary_searchIS3_S5_NSA_INS8_10device_ptrIfEEEESG_SI_NS1_21upper_bound_search_opENS9_16wrapped_functionINS8_6system6detail7generic6detail18binary_search_lessEbEEEE10hipError_tPvRmT1_T2_T3_mmT4_T5_P12ihipStream_tbEUlRKfE_EESV_SZ_S10_mS11_S14_bEUlT_E_NS1_11comp_targetILNS1_3genE8ELNS1_11target_archE1030ELNS1_3gpuE2ELNS1_3repE0EEENS1_30default_config_static_selectorELNS0_4arch9wavefront6targetE1EEEvSY_,"axG",@progbits,_ZN7rocprim17ROCPRIM_400000_NS6detail17trampoline_kernelINS0_14default_configENS1_27upper_bound_config_selectorIflEEZNS1_14transform_implILb0ES3_S5_N6thrust23THRUST_200600_302600_NS6detail15normal_iteratorINS8_7pointerIfNS8_11hip_rocprim9par_det_tENS8_11use_defaultESE_EEEENSA_INSB_IlSD_SE_SE_EEEEZNS1_13binary_searchIS3_S5_NSA_INS8_10device_ptrIfEEEESG_SI_NS1_21upper_bound_search_opENS9_16wrapped_functionINS8_6system6detail7generic6detail18binary_search_lessEbEEEE10hipError_tPvRmT1_T2_T3_mmT4_T5_P12ihipStream_tbEUlRKfE_EESV_SZ_S10_mS11_S14_bEUlT_E_NS1_11comp_targetILNS1_3genE8ELNS1_11target_archE1030ELNS1_3gpuE2ELNS1_3repE0EEENS1_30default_config_static_selectorELNS0_4arch9wavefront6targetE1EEEvSY_,comdat
	.protected	_ZN7rocprim17ROCPRIM_400000_NS6detail17trampoline_kernelINS0_14default_configENS1_27upper_bound_config_selectorIflEEZNS1_14transform_implILb0ES3_S5_N6thrust23THRUST_200600_302600_NS6detail15normal_iteratorINS8_7pointerIfNS8_11hip_rocprim9par_det_tENS8_11use_defaultESE_EEEENSA_INSB_IlSD_SE_SE_EEEEZNS1_13binary_searchIS3_S5_NSA_INS8_10device_ptrIfEEEESG_SI_NS1_21upper_bound_search_opENS9_16wrapped_functionINS8_6system6detail7generic6detail18binary_search_lessEbEEEE10hipError_tPvRmT1_T2_T3_mmT4_T5_P12ihipStream_tbEUlRKfE_EESV_SZ_S10_mS11_S14_bEUlT_E_NS1_11comp_targetILNS1_3genE8ELNS1_11target_archE1030ELNS1_3gpuE2ELNS1_3repE0EEENS1_30default_config_static_selectorELNS0_4arch9wavefront6targetE1EEEvSY_ ; -- Begin function _ZN7rocprim17ROCPRIM_400000_NS6detail17trampoline_kernelINS0_14default_configENS1_27upper_bound_config_selectorIflEEZNS1_14transform_implILb0ES3_S5_N6thrust23THRUST_200600_302600_NS6detail15normal_iteratorINS8_7pointerIfNS8_11hip_rocprim9par_det_tENS8_11use_defaultESE_EEEENSA_INSB_IlSD_SE_SE_EEEEZNS1_13binary_searchIS3_S5_NSA_INS8_10device_ptrIfEEEESG_SI_NS1_21upper_bound_search_opENS9_16wrapped_functionINS8_6system6detail7generic6detail18binary_search_lessEbEEEE10hipError_tPvRmT1_T2_T3_mmT4_T5_P12ihipStream_tbEUlRKfE_EESV_SZ_S10_mS11_S14_bEUlT_E_NS1_11comp_targetILNS1_3genE8ELNS1_11target_archE1030ELNS1_3gpuE2ELNS1_3repE0EEENS1_30default_config_static_selectorELNS0_4arch9wavefront6targetE1EEEvSY_
	.globl	_ZN7rocprim17ROCPRIM_400000_NS6detail17trampoline_kernelINS0_14default_configENS1_27upper_bound_config_selectorIflEEZNS1_14transform_implILb0ES3_S5_N6thrust23THRUST_200600_302600_NS6detail15normal_iteratorINS8_7pointerIfNS8_11hip_rocprim9par_det_tENS8_11use_defaultESE_EEEENSA_INSB_IlSD_SE_SE_EEEEZNS1_13binary_searchIS3_S5_NSA_INS8_10device_ptrIfEEEESG_SI_NS1_21upper_bound_search_opENS9_16wrapped_functionINS8_6system6detail7generic6detail18binary_search_lessEbEEEE10hipError_tPvRmT1_T2_T3_mmT4_T5_P12ihipStream_tbEUlRKfE_EESV_SZ_S10_mS11_S14_bEUlT_E_NS1_11comp_targetILNS1_3genE8ELNS1_11target_archE1030ELNS1_3gpuE2ELNS1_3repE0EEENS1_30default_config_static_selectorELNS0_4arch9wavefront6targetE1EEEvSY_
	.p2align	8
	.type	_ZN7rocprim17ROCPRIM_400000_NS6detail17trampoline_kernelINS0_14default_configENS1_27upper_bound_config_selectorIflEEZNS1_14transform_implILb0ES3_S5_N6thrust23THRUST_200600_302600_NS6detail15normal_iteratorINS8_7pointerIfNS8_11hip_rocprim9par_det_tENS8_11use_defaultESE_EEEENSA_INSB_IlSD_SE_SE_EEEEZNS1_13binary_searchIS3_S5_NSA_INS8_10device_ptrIfEEEESG_SI_NS1_21upper_bound_search_opENS9_16wrapped_functionINS8_6system6detail7generic6detail18binary_search_lessEbEEEE10hipError_tPvRmT1_T2_T3_mmT4_T5_P12ihipStream_tbEUlRKfE_EESV_SZ_S10_mS11_S14_bEUlT_E_NS1_11comp_targetILNS1_3genE8ELNS1_11target_archE1030ELNS1_3gpuE2ELNS1_3repE0EEENS1_30default_config_static_selectorELNS0_4arch9wavefront6targetE1EEEvSY_,@function
_ZN7rocprim17ROCPRIM_400000_NS6detail17trampoline_kernelINS0_14default_configENS1_27upper_bound_config_selectorIflEEZNS1_14transform_implILb0ES3_S5_N6thrust23THRUST_200600_302600_NS6detail15normal_iteratorINS8_7pointerIfNS8_11hip_rocprim9par_det_tENS8_11use_defaultESE_EEEENSA_INSB_IlSD_SE_SE_EEEEZNS1_13binary_searchIS3_S5_NSA_INS8_10device_ptrIfEEEESG_SI_NS1_21upper_bound_search_opENS9_16wrapped_functionINS8_6system6detail7generic6detail18binary_search_lessEbEEEE10hipError_tPvRmT1_T2_T3_mmT4_T5_P12ihipStream_tbEUlRKfE_EESV_SZ_S10_mS11_S14_bEUlT_E_NS1_11comp_targetILNS1_3genE8ELNS1_11target_archE1030ELNS1_3gpuE2ELNS1_3repE0EEENS1_30default_config_static_selectorELNS0_4arch9wavefront6targetE1EEEvSY_: ; @_ZN7rocprim17ROCPRIM_400000_NS6detail17trampoline_kernelINS0_14default_configENS1_27upper_bound_config_selectorIflEEZNS1_14transform_implILb0ES3_S5_N6thrust23THRUST_200600_302600_NS6detail15normal_iteratorINS8_7pointerIfNS8_11hip_rocprim9par_det_tENS8_11use_defaultESE_EEEENSA_INSB_IlSD_SE_SE_EEEEZNS1_13binary_searchIS3_S5_NSA_INS8_10device_ptrIfEEEESG_SI_NS1_21upper_bound_search_opENS9_16wrapped_functionINS8_6system6detail7generic6detail18binary_search_lessEbEEEE10hipError_tPvRmT1_T2_T3_mmT4_T5_P12ihipStream_tbEUlRKfE_EESV_SZ_S10_mS11_S14_bEUlT_E_NS1_11comp_targetILNS1_3genE8ELNS1_11target_archE1030ELNS1_3gpuE2ELNS1_3repE0EEENS1_30default_config_static_selectorELNS0_4arch9wavefront6targetE1EEEvSY_
; %bb.0:
	.section	.rodata,"a",@progbits
	.p2align	6, 0x0
	.amdhsa_kernel _ZN7rocprim17ROCPRIM_400000_NS6detail17trampoline_kernelINS0_14default_configENS1_27upper_bound_config_selectorIflEEZNS1_14transform_implILb0ES3_S5_N6thrust23THRUST_200600_302600_NS6detail15normal_iteratorINS8_7pointerIfNS8_11hip_rocprim9par_det_tENS8_11use_defaultESE_EEEENSA_INSB_IlSD_SE_SE_EEEEZNS1_13binary_searchIS3_S5_NSA_INS8_10device_ptrIfEEEESG_SI_NS1_21upper_bound_search_opENS9_16wrapped_functionINS8_6system6detail7generic6detail18binary_search_lessEbEEEE10hipError_tPvRmT1_T2_T3_mmT4_T5_P12ihipStream_tbEUlRKfE_EESV_SZ_S10_mS11_S14_bEUlT_E_NS1_11comp_targetILNS1_3genE8ELNS1_11target_archE1030ELNS1_3gpuE2ELNS1_3repE0EEENS1_30default_config_static_selectorELNS0_4arch9wavefront6targetE1EEEvSY_
		.amdhsa_group_segment_fixed_size 0
		.amdhsa_private_segment_fixed_size 0
		.amdhsa_kernarg_size 56
		.amdhsa_user_sgpr_count 6
		.amdhsa_user_sgpr_private_segment_buffer 1
		.amdhsa_user_sgpr_dispatch_ptr 0
		.amdhsa_user_sgpr_queue_ptr 0
		.amdhsa_user_sgpr_kernarg_segment_ptr 1
		.amdhsa_user_sgpr_dispatch_id 0
		.amdhsa_user_sgpr_flat_scratch_init 0
		.amdhsa_user_sgpr_private_segment_size 0
		.amdhsa_uses_dynamic_stack 0
		.amdhsa_system_sgpr_private_segment_wavefront_offset 0
		.amdhsa_system_sgpr_workgroup_id_x 1
		.amdhsa_system_sgpr_workgroup_id_y 0
		.amdhsa_system_sgpr_workgroup_id_z 0
		.amdhsa_system_sgpr_workgroup_info 0
		.amdhsa_system_vgpr_workitem_id 0
		.amdhsa_next_free_vgpr 1
		.amdhsa_next_free_sgpr 0
		.amdhsa_reserve_vcc 0
		.amdhsa_reserve_flat_scratch 0
		.amdhsa_float_round_mode_32 0
		.amdhsa_float_round_mode_16_64 0
		.amdhsa_float_denorm_mode_32 3
		.amdhsa_float_denorm_mode_16_64 3
		.amdhsa_dx10_clamp 1
		.amdhsa_ieee_mode 1
		.amdhsa_fp16_overflow 0
		.amdhsa_exception_fp_ieee_invalid_op 0
		.amdhsa_exception_fp_denorm_src 0
		.amdhsa_exception_fp_ieee_div_zero 0
		.amdhsa_exception_fp_ieee_overflow 0
		.amdhsa_exception_fp_ieee_underflow 0
		.amdhsa_exception_fp_ieee_inexact 0
		.amdhsa_exception_int_div_zero 0
	.end_amdhsa_kernel
	.section	.text._ZN7rocprim17ROCPRIM_400000_NS6detail17trampoline_kernelINS0_14default_configENS1_27upper_bound_config_selectorIflEEZNS1_14transform_implILb0ES3_S5_N6thrust23THRUST_200600_302600_NS6detail15normal_iteratorINS8_7pointerIfNS8_11hip_rocprim9par_det_tENS8_11use_defaultESE_EEEENSA_INSB_IlSD_SE_SE_EEEEZNS1_13binary_searchIS3_S5_NSA_INS8_10device_ptrIfEEEESG_SI_NS1_21upper_bound_search_opENS9_16wrapped_functionINS8_6system6detail7generic6detail18binary_search_lessEbEEEE10hipError_tPvRmT1_T2_T3_mmT4_T5_P12ihipStream_tbEUlRKfE_EESV_SZ_S10_mS11_S14_bEUlT_E_NS1_11comp_targetILNS1_3genE8ELNS1_11target_archE1030ELNS1_3gpuE2ELNS1_3repE0EEENS1_30default_config_static_selectorELNS0_4arch9wavefront6targetE1EEEvSY_,"axG",@progbits,_ZN7rocprim17ROCPRIM_400000_NS6detail17trampoline_kernelINS0_14default_configENS1_27upper_bound_config_selectorIflEEZNS1_14transform_implILb0ES3_S5_N6thrust23THRUST_200600_302600_NS6detail15normal_iteratorINS8_7pointerIfNS8_11hip_rocprim9par_det_tENS8_11use_defaultESE_EEEENSA_INSB_IlSD_SE_SE_EEEEZNS1_13binary_searchIS3_S5_NSA_INS8_10device_ptrIfEEEESG_SI_NS1_21upper_bound_search_opENS9_16wrapped_functionINS8_6system6detail7generic6detail18binary_search_lessEbEEEE10hipError_tPvRmT1_T2_T3_mmT4_T5_P12ihipStream_tbEUlRKfE_EESV_SZ_S10_mS11_S14_bEUlT_E_NS1_11comp_targetILNS1_3genE8ELNS1_11target_archE1030ELNS1_3gpuE2ELNS1_3repE0EEENS1_30default_config_static_selectorELNS0_4arch9wavefront6targetE1EEEvSY_,comdat
.Lfunc_end526:
	.size	_ZN7rocprim17ROCPRIM_400000_NS6detail17trampoline_kernelINS0_14default_configENS1_27upper_bound_config_selectorIflEEZNS1_14transform_implILb0ES3_S5_N6thrust23THRUST_200600_302600_NS6detail15normal_iteratorINS8_7pointerIfNS8_11hip_rocprim9par_det_tENS8_11use_defaultESE_EEEENSA_INSB_IlSD_SE_SE_EEEEZNS1_13binary_searchIS3_S5_NSA_INS8_10device_ptrIfEEEESG_SI_NS1_21upper_bound_search_opENS9_16wrapped_functionINS8_6system6detail7generic6detail18binary_search_lessEbEEEE10hipError_tPvRmT1_T2_T3_mmT4_T5_P12ihipStream_tbEUlRKfE_EESV_SZ_S10_mS11_S14_bEUlT_E_NS1_11comp_targetILNS1_3genE8ELNS1_11target_archE1030ELNS1_3gpuE2ELNS1_3repE0EEENS1_30default_config_static_selectorELNS0_4arch9wavefront6targetE1EEEvSY_, .Lfunc_end526-_ZN7rocprim17ROCPRIM_400000_NS6detail17trampoline_kernelINS0_14default_configENS1_27upper_bound_config_selectorIflEEZNS1_14transform_implILb0ES3_S5_N6thrust23THRUST_200600_302600_NS6detail15normal_iteratorINS8_7pointerIfNS8_11hip_rocprim9par_det_tENS8_11use_defaultESE_EEEENSA_INSB_IlSD_SE_SE_EEEEZNS1_13binary_searchIS3_S5_NSA_INS8_10device_ptrIfEEEESG_SI_NS1_21upper_bound_search_opENS9_16wrapped_functionINS8_6system6detail7generic6detail18binary_search_lessEbEEEE10hipError_tPvRmT1_T2_T3_mmT4_T5_P12ihipStream_tbEUlRKfE_EESV_SZ_S10_mS11_S14_bEUlT_E_NS1_11comp_targetILNS1_3genE8ELNS1_11target_archE1030ELNS1_3gpuE2ELNS1_3repE0EEENS1_30default_config_static_selectorELNS0_4arch9wavefront6targetE1EEEvSY_
                                        ; -- End function
	.set _ZN7rocprim17ROCPRIM_400000_NS6detail17trampoline_kernelINS0_14default_configENS1_27upper_bound_config_selectorIflEEZNS1_14transform_implILb0ES3_S5_N6thrust23THRUST_200600_302600_NS6detail15normal_iteratorINS8_7pointerIfNS8_11hip_rocprim9par_det_tENS8_11use_defaultESE_EEEENSA_INSB_IlSD_SE_SE_EEEEZNS1_13binary_searchIS3_S5_NSA_INS8_10device_ptrIfEEEESG_SI_NS1_21upper_bound_search_opENS9_16wrapped_functionINS8_6system6detail7generic6detail18binary_search_lessEbEEEE10hipError_tPvRmT1_T2_T3_mmT4_T5_P12ihipStream_tbEUlRKfE_EESV_SZ_S10_mS11_S14_bEUlT_E_NS1_11comp_targetILNS1_3genE8ELNS1_11target_archE1030ELNS1_3gpuE2ELNS1_3repE0EEENS1_30default_config_static_selectorELNS0_4arch9wavefront6targetE1EEEvSY_.num_vgpr, 0
	.set _ZN7rocprim17ROCPRIM_400000_NS6detail17trampoline_kernelINS0_14default_configENS1_27upper_bound_config_selectorIflEEZNS1_14transform_implILb0ES3_S5_N6thrust23THRUST_200600_302600_NS6detail15normal_iteratorINS8_7pointerIfNS8_11hip_rocprim9par_det_tENS8_11use_defaultESE_EEEENSA_INSB_IlSD_SE_SE_EEEEZNS1_13binary_searchIS3_S5_NSA_INS8_10device_ptrIfEEEESG_SI_NS1_21upper_bound_search_opENS9_16wrapped_functionINS8_6system6detail7generic6detail18binary_search_lessEbEEEE10hipError_tPvRmT1_T2_T3_mmT4_T5_P12ihipStream_tbEUlRKfE_EESV_SZ_S10_mS11_S14_bEUlT_E_NS1_11comp_targetILNS1_3genE8ELNS1_11target_archE1030ELNS1_3gpuE2ELNS1_3repE0EEENS1_30default_config_static_selectorELNS0_4arch9wavefront6targetE1EEEvSY_.num_agpr, 0
	.set _ZN7rocprim17ROCPRIM_400000_NS6detail17trampoline_kernelINS0_14default_configENS1_27upper_bound_config_selectorIflEEZNS1_14transform_implILb0ES3_S5_N6thrust23THRUST_200600_302600_NS6detail15normal_iteratorINS8_7pointerIfNS8_11hip_rocprim9par_det_tENS8_11use_defaultESE_EEEENSA_INSB_IlSD_SE_SE_EEEEZNS1_13binary_searchIS3_S5_NSA_INS8_10device_ptrIfEEEESG_SI_NS1_21upper_bound_search_opENS9_16wrapped_functionINS8_6system6detail7generic6detail18binary_search_lessEbEEEE10hipError_tPvRmT1_T2_T3_mmT4_T5_P12ihipStream_tbEUlRKfE_EESV_SZ_S10_mS11_S14_bEUlT_E_NS1_11comp_targetILNS1_3genE8ELNS1_11target_archE1030ELNS1_3gpuE2ELNS1_3repE0EEENS1_30default_config_static_selectorELNS0_4arch9wavefront6targetE1EEEvSY_.numbered_sgpr, 0
	.set _ZN7rocprim17ROCPRIM_400000_NS6detail17trampoline_kernelINS0_14default_configENS1_27upper_bound_config_selectorIflEEZNS1_14transform_implILb0ES3_S5_N6thrust23THRUST_200600_302600_NS6detail15normal_iteratorINS8_7pointerIfNS8_11hip_rocprim9par_det_tENS8_11use_defaultESE_EEEENSA_INSB_IlSD_SE_SE_EEEEZNS1_13binary_searchIS3_S5_NSA_INS8_10device_ptrIfEEEESG_SI_NS1_21upper_bound_search_opENS9_16wrapped_functionINS8_6system6detail7generic6detail18binary_search_lessEbEEEE10hipError_tPvRmT1_T2_T3_mmT4_T5_P12ihipStream_tbEUlRKfE_EESV_SZ_S10_mS11_S14_bEUlT_E_NS1_11comp_targetILNS1_3genE8ELNS1_11target_archE1030ELNS1_3gpuE2ELNS1_3repE0EEENS1_30default_config_static_selectorELNS0_4arch9wavefront6targetE1EEEvSY_.num_named_barrier, 0
	.set _ZN7rocprim17ROCPRIM_400000_NS6detail17trampoline_kernelINS0_14default_configENS1_27upper_bound_config_selectorIflEEZNS1_14transform_implILb0ES3_S5_N6thrust23THRUST_200600_302600_NS6detail15normal_iteratorINS8_7pointerIfNS8_11hip_rocprim9par_det_tENS8_11use_defaultESE_EEEENSA_INSB_IlSD_SE_SE_EEEEZNS1_13binary_searchIS3_S5_NSA_INS8_10device_ptrIfEEEESG_SI_NS1_21upper_bound_search_opENS9_16wrapped_functionINS8_6system6detail7generic6detail18binary_search_lessEbEEEE10hipError_tPvRmT1_T2_T3_mmT4_T5_P12ihipStream_tbEUlRKfE_EESV_SZ_S10_mS11_S14_bEUlT_E_NS1_11comp_targetILNS1_3genE8ELNS1_11target_archE1030ELNS1_3gpuE2ELNS1_3repE0EEENS1_30default_config_static_selectorELNS0_4arch9wavefront6targetE1EEEvSY_.private_seg_size, 0
	.set _ZN7rocprim17ROCPRIM_400000_NS6detail17trampoline_kernelINS0_14default_configENS1_27upper_bound_config_selectorIflEEZNS1_14transform_implILb0ES3_S5_N6thrust23THRUST_200600_302600_NS6detail15normal_iteratorINS8_7pointerIfNS8_11hip_rocprim9par_det_tENS8_11use_defaultESE_EEEENSA_INSB_IlSD_SE_SE_EEEEZNS1_13binary_searchIS3_S5_NSA_INS8_10device_ptrIfEEEESG_SI_NS1_21upper_bound_search_opENS9_16wrapped_functionINS8_6system6detail7generic6detail18binary_search_lessEbEEEE10hipError_tPvRmT1_T2_T3_mmT4_T5_P12ihipStream_tbEUlRKfE_EESV_SZ_S10_mS11_S14_bEUlT_E_NS1_11comp_targetILNS1_3genE8ELNS1_11target_archE1030ELNS1_3gpuE2ELNS1_3repE0EEENS1_30default_config_static_selectorELNS0_4arch9wavefront6targetE1EEEvSY_.uses_vcc, 0
	.set _ZN7rocprim17ROCPRIM_400000_NS6detail17trampoline_kernelINS0_14default_configENS1_27upper_bound_config_selectorIflEEZNS1_14transform_implILb0ES3_S5_N6thrust23THRUST_200600_302600_NS6detail15normal_iteratorINS8_7pointerIfNS8_11hip_rocprim9par_det_tENS8_11use_defaultESE_EEEENSA_INSB_IlSD_SE_SE_EEEEZNS1_13binary_searchIS3_S5_NSA_INS8_10device_ptrIfEEEESG_SI_NS1_21upper_bound_search_opENS9_16wrapped_functionINS8_6system6detail7generic6detail18binary_search_lessEbEEEE10hipError_tPvRmT1_T2_T3_mmT4_T5_P12ihipStream_tbEUlRKfE_EESV_SZ_S10_mS11_S14_bEUlT_E_NS1_11comp_targetILNS1_3genE8ELNS1_11target_archE1030ELNS1_3gpuE2ELNS1_3repE0EEENS1_30default_config_static_selectorELNS0_4arch9wavefront6targetE1EEEvSY_.uses_flat_scratch, 0
	.set _ZN7rocprim17ROCPRIM_400000_NS6detail17trampoline_kernelINS0_14default_configENS1_27upper_bound_config_selectorIflEEZNS1_14transform_implILb0ES3_S5_N6thrust23THRUST_200600_302600_NS6detail15normal_iteratorINS8_7pointerIfNS8_11hip_rocprim9par_det_tENS8_11use_defaultESE_EEEENSA_INSB_IlSD_SE_SE_EEEEZNS1_13binary_searchIS3_S5_NSA_INS8_10device_ptrIfEEEESG_SI_NS1_21upper_bound_search_opENS9_16wrapped_functionINS8_6system6detail7generic6detail18binary_search_lessEbEEEE10hipError_tPvRmT1_T2_T3_mmT4_T5_P12ihipStream_tbEUlRKfE_EESV_SZ_S10_mS11_S14_bEUlT_E_NS1_11comp_targetILNS1_3genE8ELNS1_11target_archE1030ELNS1_3gpuE2ELNS1_3repE0EEENS1_30default_config_static_selectorELNS0_4arch9wavefront6targetE1EEEvSY_.has_dyn_sized_stack, 0
	.set _ZN7rocprim17ROCPRIM_400000_NS6detail17trampoline_kernelINS0_14default_configENS1_27upper_bound_config_selectorIflEEZNS1_14transform_implILb0ES3_S5_N6thrust23THRUST_200600_302600_NS6detail15normal_iteratorINS8_7pointerIfNS8_11hip_rocprim9par_det_tENS8_11use_defaultESE_EEEENSA_INSB_IlSD_SE_SE_EEEEZNS1_13binary_searchIS3_S5_NSA_INS8_10device_ptrIfEEEESG_SI_NS1_21upper_bound_search_opENS9_16wrapped_functionINS8_6system6detail7generic6detail18binary_search_lessEbEEEE10hipError_tPvRmT1_T2_T3_mmT4_T5_P12ihipStream_tbEUlRKfE_EESV_SZ_S10_mS11_S14_bEUlT_E_NS1_11comp_targetILNS1_3genE8ELNS1_11target_archE1030ELNS1_3gpuE2ELNS1_3repE0EEENS1_30default_config_static_selectorELNS0_4arch9wavefront6targetE1EEEvSY_.has_recursion, 0
	.set _ZN7rocprim17ROCPRIM_400000_NS6detail17trampoline_kernelINS0_14default_configENS1_27upper_bound_config_selectorIflEEZNS1_14transform_implILb0ES3_S5_N6thrust23THRUST_200600_302600_NS6detail15normal_iteratorINS8_7pointerIfNS8_11hip_rocprim9par_det_tENS8_11use_defaultESE_EEEENSA_INSB_IlSD_SE_SE_EEEEZNS1_13binary_searchIS3_S5_NSA_INS8_10device_ptrIfEEEESG_SI_NS1_21upper_bound_search_opENS9_16wrapped_functionINS8_6system6detail7generic6detail18binary_search_lessEbEEEE10hipError_tPvRmT1_T2_T3_mmT4_T5_P12ihipStream_tbEUlRKfE_EESV_SZ_S10_mS11_S14_bEUlT_E_NS1_11comp_targetILNS1_3genE8ELNS1_11target_archE1030ELNS1_3gpuE2ELNS1_3repE0EEENS1_30default_config_static_selectorELNS0_4arch9wavefront6targetE1EEEvSY_.has_indirect_call, 0
	.section	.AMDGPU.csdata,"",@progbits
; Kernel info:
; codeLenInByte = 0
; TotalNumSgprs: 4
; NumVgprs: 0
; ScratchSize: 0
; MemoryBound: 0
; FloatMode: 240
; IeeeMode: 1
; LDSByteSize: 0 bytes/workgroup (compile time only)
; SGPRBlocks: 0
; VGPRBlocks: 0
; NumSGPRsForWavesPerEU: 4
; NumVGPRsForWavesPerEU: 1
; Occupancy: 10
; WaveLimiterHint : 0
; COMPUTE_PGM_RSRC2:SCRATCH_EN: 0
; COMPUTE_PGM_RSRC2:USER_SGPR: 6
; COMPUTE_PGM_RSRC2:TRAP_HANDLER: 0
; COMPUTE_PGM_RSRC2:TGID_X_EN: 1
; COMPUTE_PGM_RSRC2:TGID_Y_EN: 0
; COMPUTE_PGM_RSRC2:TGID_Z_EN: 0
; COMPUTE_PGM_RSRC2:TIDIG_COMP_CNT: 0
	.section	.text._ZN7rocprim17ROCPRIM_400000_NS6detail17trampoline_kernelINS0_14default_configENS1_27upper_bound_config_selectorIflEEZNS1_14transform_implILb0ES3_S5_N6thrust23THRUST_200600_302600_NS6detail15normal_iteratorINS8_7pointerIfNS8_11hip_rocprim5par_tENS8_11use_defaultESE_EEEENSA_INSB_IlSD_SE_SE_EEEEZNS1_13binary_searchIS3_S5_NSA_INS8_10device_ptrIfEEEESG_SI_NS1_21upper_bound_search_opENS9_16wrapped_functionINS8_6system6detail7generic6detail18binary_search_lessEbEEEE10hipError_tPvRmT1_T2_T3_mmT4_T5_P12ihipStream_tbEUlRKfE_EESV_SZ_S10_mS11_S14_bEUlT_E_NS1_11comp_targetILNS1_3genE0ELNS1_11target_archE4294967295ELNS1_3gpuE0ELNS1_3repE0EEENS1_30default_config_static_selectorELNS0_4arch9wavefront6targetE1EEEvSY_,"axG",@progbits,_ZN7rocprim17ROCPRIM_400000_NS6detail17trampoline_kernelINS0_14default_configENS1_27upper_bound_config_selectorIflEEZNS1_14transform_implILb0ES3_S5_N6thrust23THRUST_200600_302600_NS6detail15normal_iteratorINS8_7pointerIfNS8_11hip_rocprim5par_tENS8_11use_defaultESE_EEEENSA_INSB_IlSD_SE_SE_EEEEZNS1_13binary_searchIS3_S5_NSA_INS8_10device_ptrIfEEEESG_SI_NS1_21upper_bound_search_opENS9_16wrapped_functionINS8_6system6detail7generic6detail18binary_search_lessEbEEEE10hipError_tPvRmT1_T2_T3_mmT4_T5_P12ihipStream_tbEUlRKfE_EESV_SZ_S10_mS11_S14_bEUlT_E_NS1_11comp_targetILNS1_3genE0ELNS1_11target_archE4294967295ELNS1_3gpuE0ELNS1_3repE0EEENS1_30default_config_static_selectorELNS0_4arch9wavefront6targetE1EEEvSY_,comdat
	.protected	_ZN7rocprim17ROCPRIM_400000_NS6detail17trampoline_kernelINS0_14default_configENS1_27upper_bound_config_selectorIflEEZNS1_14transform_implILb0ES3_S5_N6thrust23THRUST_200600_302600_NS6detail15normal_iteratorINS8_7pointerIfNS8_11hip_rocprim5par_tENS8_11use_defaultESE_EEEENSA_INSB_IlSD_SE_SE_EEEEZNS1_13binary_searchIS3_S5_NSA_INS8_10device_ptrIfEEEESG_SI_NS1_21upper_bound_search_opENS9_16wrapped_functionINS8_6system6detail7generic6detail18binary_search_lessEbEEEE10hipError_tPvRmT1_T2_T3_mmT4_T5_P12ihipStream_tbEUlRKfE_EESV_SZ_S10_mS11_S14_bEUlT_E_NS1_11comp_targetILNS1_3genE0ELNS1_11target_archE4294967295ELNS1_3gpuE0ELNS1_3repE0EEENS1_30default_config_static_selectorELNS0_4arch9wavefront6targetE1EEEvSY_ ; -- Begin function _ZN7rocprim17ROCPRIM_400000_NS6detail17trampoline_kernelINS0_14default_configENS1_27upper_bound_config_selectorIflEEZNS1_14transform_implILb0ES3_S5_N6thrust23THRUST_200600_302600_NS6detail15normal_iteratorINS8_7pointerIfNS8_11hip_rocprim5par_tENS8_11use_defaultESE_EEEENSA_INSB_IlSD_SE_SE_EEEEZNS1_13binary_searchIS3_S5_NSA_INS8_10device_ptrIfEEEESG_SI_NS1_21upper_bound_search_opENS9_16wrapped_functionINS8_6system6detail7generic6detail18binary_search_lessEbEEEE10hipError_tPvRmT1_T2_T3_mmT4_T5_P12ihipStream_tbEUlRKfE_EESV_SZ_S10_mS11_S14_bEUlT_E_NS1_11comp_targetILNS1_3genE0ELNS1_11target_archE4294967295ELNS1_3gpuE0ELNS1_3repE0EEENS1_30default_config_static_selectorELNS0_4arch9wavefront6targetE1EEEvSY_
	.globl	_ZN7rocprim17ROCPRIM_400000_NS6detail17trampoline_kernelINS0_14default_configENS1_27upper_bound_config_selectorIflEEZNS1_14transform_implILb0ES3_S5_N6thrust23THRUST_200600_302600_NS6detail15normal_iteratorINS8_7pointerIfNS8_11hip_rocprim5par_tENS8_11use_defaultESE_EEEENSA_INSB_IlSD_SE_SE_EEEEZNS1_13binary_searchIS3_S5_NSA_INS8_10device_ptrIfEEEESG_SI_NS1_21upper_bound_search_opENS9_16wrapped_functionINS8_6system6detail7generic6detail18binary_search_lessEbEEEE10hipError_tPvRmT1_T2_T3_mmT4_T5_P12ihipStream_tbEUlRKfE_EESV_SZ_S10_mS11_S14_bEUlT_E_NS1_11comp_targetILNS1_3genE0ELNS1_11target_archE4294967295ELNS1_3gpuE0ELNS1_3repE0EEENS1_30default_config_static_selectorELNS0_4arch9wavefront6targetE1EEEvSY_
	.p2align	8
	.type	_ZN7rocprim17ROCPRIM_400000_NS6detail17trampoline_kernelINS0_14default_configENS1_27upper_bound_config_selectorIflEEZNS1_14transform_implILb0ES3_S5_N6thrust23THRUST_200600_302600_NS6detail15normal_iteratorINS8_7pointerIfNS8_11hip_rocprim5par_tENS8_11use_defaultESE_EEEENSA_INSB_IlSD_SE_SE_EEEEZNS1_13binary_searchIS3_S5_NSA_INS8_10device_ptrIfEEEESG_SI_NS1_21upper_bound_search_opENS9_16wrapped_functionINS8_6system6detail7generic6detail18binary_search_lessEbEEEE10hipError_tPvRmT1_T2_T3_mmT4_T5_P12ihipStream_tbEUlRKfE_EESV_SZ_S10_mS11_S14_bEUlT_E_NS1_11comp_targetILNS1_3genE0ELNS1_11target_archE4294967295ELNS1_3gpuE0ELNS1_3repE0EEENS1_30default_config_static_selectorELNS0_4arch9wavefront6targetE1EEEvSY_,@function
_ZN7rocprim17ROCPRIM_400000_NS6detail17trampoline_kernelINS0_14default_configENS1_27upper_bound_config_selectorIflEEZNS1_14transform_implILb0ES3_S5_N6thrust23THRUST_200600_302600_NS6detail15normal_iteratorINS8_7pointerIfNS8_11hip_rocprim5par_tENS8_11use_defaultESE_EEEENSA_INSB_IlSD_SE_SE_EEEEZNS1_13binary_searchIS3_S5_NSA_INS8_10device_ptrIfEEEESG_SI_NS1_21upper_bound_search_opENS9_16wrapped_functionINS8_6system6detail7generic6detail18binary_search_lessEbEEEE10hipError_tPvRmT1_T2_T3_mmT4_T5_P12ihipStream_tbEUlRKfE_EESV_SZ_S10_mS11_S14_bEUlT_E_NS1_11comp_targetILNS1_3genE0ELNS1_11target_archE4294967295ELNS1_3gpuE0ELNS1_3repE0EEENS1_30default_config_static_selectorELNS0_4arch9wavefront6targetE1EEEvSY_: ; @_ZN7rocprim17ROCPRIM_400000_NS6detail17trampoline_kernelINS0_14default_configENS1_27upper_bound_config_selectorIflEEZNS1_14transform_implILb0ES3_S5_N6thrust23THRUST_200600_302600_NS6detail15normal_iteratorINS8_7pointerIfNS8_11hip_rocprim5par_tENS8_11use_defaultESE_EEEENSA_INSB_IlSD_SE_SE_EEEEZNS1_13binary_searchIS3_S5_NSA_INS8_10device_ptrIfEEEESG_SI_NS1_21upper_bound_search_opENS9_16wrapped_functionINS8_6system6detail7generic6detail18binary_search_lessEbEEEE10hipError_tPvRmT1_T2_T3_mmT4_T5_P12ihipStream_tbEUlRKfE_EESV_SZ_S10_mS11_S14_bEUlT_E_NS1_11comp_targetILNS1_3genE0ELNS1_11target_archE4294967295ELNS1_3gpuE0ELNS1_3repE0EEENS1_30default_config_static_selectorELNS0_4arch9wavefront6targetE1EEEvSY_
; %bb.0:
	.section	.rodata,"a",@progbits
	.p2align	6, 0x0
	.amdhsa_kernel _ZN7rocprim17ROCPRIM_400000_NS6detail17trampoline_kernelINS0_14default_configENS1_27upper_bound_config_selectorIflEEZNS1_14transform_implILb0ES3_S5_N6thrust23THRUST_200600_302600_NS6detail15normal_iteratorINS8_7pointerIfNS8_11hip_rocprim5par_tENS8_11use_defaultESE_EEEENSA_INSB_IlSD_SE_SE_EEEEZNS1_13binary_searchIS3_S5_NSA_INS8_10device_ptrIfEEEESG_SI_NS1_21upper_bound_search_opENS9_16wrapped_functionINS8_6system6detail7generic6detail18binary_search_lessEbEEEE10hipError_tPvRmT1_T2_T3_mmT4_T5_P12ihipStream_tbEUlRKfE_EESV_SZ_S10_mS11_S14_bEUlT_E_NS1_11comp_targetILNS1_3genE0ELNS1_11target_archE4294967295ELNS1_3gpuE0ELNS1_3repE0EEENS1_30default_config_static_selectorELNS0_4arch9wavefront6targetE1EEEvSY_
		.amdhsa_group_segment_fixed_size 0
		.amdhsa_private_segment_fixed_size 0
		.amdhsa_kernarg_size 56
		.amdhsa_user_sgpr_count 6
		.amdhsa_user_sgpr_private_segment_buffer 1
		.amdhsa_user_sgpr_dispatch_ptr 0
		.amdhsa_user_sgpr_queue_ptr 0
		.amdhsa_user_sgpr_kernarg_segment_ptr 1
		.amdhsa_user_sgpr_dispatch_id 0
		.amdhsa_user_sgpr_flat_scratch_init 0
		.amdhsa_user_sgpr_private_segment_size 0
		.amdhsa_uses_dynamic_stack 0
		.amdhsa_system_sgpr_private_segment_wavefront_offset 0
		.amdhsa_system_sgpr_workgroup_id_x 1
		.amdhsa_system_sgpr_workgroup_id_y 0
		.amdhsa_system_sgpr_workgroup_id_z 0
		.amdhsa_system_sgpr_workgroup_info 0
		.amdhsa_system_vgpr_workitem_id 0
		.amdhsa_next_free_vgpr 1
		.amdhsa_next_free_sgpr 0
		.amdhsa_reserve_vcc 0
		.amdhsa_reserve_flat_scratch 0
		.amdhsa_float_round_mode_32 0
		.amdhsa_float_round_mode_16_64 0
		.amdhsa_float_denorm_mode_32 3
		.amdhsa_float_denorm_mode_16_64 3
		.amdhsa_dx10_clamp 1
		.amdhsa_ieee_mode 1
		.amdhsa_fp16_overflow 0
		.amdhsa_exception_fp_ieee_invalid_op 0
		.amdhsa_exception_fp_denorm_src 0
		.amdhsa_exception_fp_ieee_div_zero 0
		.amdhsa_exception_fp_ieee_overflow 0
		.amdhsa_exception_fp_ieee_underflow 0
		.amdhsa_exception_fp_ieee_inexact 0
		.amdhsa_exception_int_div_zero 0
	.end_amdhsa_kernel
	.section	.text._ZN7rocprim17ROCPRIM_400000_NS6detail17trampoline_kernelINS0_14default_configENS1_27upper_bound_config_selectorIflEEZNS1_14transform_implILb0ES3_S5_N6thrust23THRUST_200600_302600_NS6detail15normal_iteratorINS8_7pointerIfNS8_11hip_rocprim5par_tENS8_11use_defaultESE_EEEENSA_INSB_IlSD_SE_SE_EEEEZNS1_13binary_searchIS3_S5_NSA_INS8_10device_ptrIfEEEESG_SI_NS1_21upper_bound_search_opENS9_16wrapped_functionINS8_6system6detail7generic6detail18binary_search_lessEbEEEE10hipError_tPvRmT1_T2_T3_mmT4_T5_P12ihipStream_tbEUlRKfE_EESV_SZ_S10_mS11_S14_bEUlT_E_NS1_11comp_targetILNS1_3genE0ELNS1_11target_archE4294967295ELNS1_3gpuE0ELNS1_3repE0EEENS1_30default_config_static_selectorELNS0_4arch9wavefront6targetE1EEEvSY_,"axG",@progbits,_ZN7rocprim17ROCPRIM_400000_NS6detail17trampoline_kernelINS0_14default_configENS1_27upper_bound_config_selectorIflEEZNS1_14transform_implILb0ES3_S5_N6thrust23THRUST_200600_302600_NS6detail15normal_iteratorINS8_7pointerIfNS8_11hip_rocprim5par_tENS8_11use_defaultESE_EEEENSA_INSB_IlSD_SE_SE_EEEEZNS1_13binary_searchIS3_S5_NSA_INS8_10device_ptrIfEEEESG_SI_NS1_21upper_bound_search_opENS9_16wrapped_functionINS8_6system6detail7generic6detail18binary_search_lessEbEEEE10hipError_tPvRmT1_T2_T3_mmT4_T5_P12ihipStream_tbEUlRKfE_EESV_SZ_S10_mS11_S14_bEUlT_E_NS1_11comp_targetILNS1_3genE0ELNS1_11target_archE4294967295ELNS1_3gpuE0ELNS1_3repE0EEENS1_30default_config_static_selectorELNS0_4arch9wavefront6targetE1EEEvSY_,comdat
.Lfunc_end527:
	.size	_ZN7rocprim17ROCPRIM_400000_NS6detail17trampoline_kernelINS0_14default_configENS1_27upper_bound_config_selectorIflEEZNS1_14transform_implILb0ES3_S5_N6thrust23THRUST_200600_302600_NS6detail15normal_iteratorINS8_7pointerIfNS8_11hip_rocprim5par_tENS8_11use_defaultESE_EEEENSA_INSB_IlSD_SE_SE_EEEEZNS1_13binary_searchIS3_S5_NSA_INS8_10device_ptrIfEEEESG_SI_NS1_21upper_bound_search_opENS9_16wrapped_functionINS8_6system6detail7generic6detail18binary_search_lessEbEEEE10hipError_tPvRmT1_T2_T3_mmT4_T5_P12ihipStream_tbEUlRKfE_EESV_SZ_S10_mS11_S14_bEUlT_E_NS1_11comp_targetILNS1_3genE0ELNS1_11target_archE4294967295ELNS1_3gpuE0ELNS1_3repE0EEENS1_30default_config_static_selectorELNS0_4arch9wavefront6targetE1EEEvSY_, .Lfunc_end527-_ZN7rocprim17ROCPRIM_400000_NS6detail17trampoline_kernelINS0_14default_configENS1_27upper_bound_config_selectorIflEEZNS1_14transform_implILb0ES3_S5_N6thrust23THRUST_200600_302600_NS6detail15normal_iteratorINS8_7pointerIfNS8_11hip_rocprim5par_tENS8_11use_defaultESE_EEEENSA_INSB_IlSD_SE_SE_EEEEZNS1_13binary_searchIS3_S5_NSA_INS8_10device_ptrIfEEEESG_SI_NS1_21upper_bound_search_opENS9_16wrapped_functionINS8_6system6detail7generic6detail18binary_search_lessEbEEEE10hipError_tPvRmT1_T2_T3_mmT4_T5_P12ihipStream_tbEUlRKfE_EESV_SZ_S10_mS11_S14_bEUlT_E_NS1_11comp_targetILNS1_3genE0ELNS1_11target_archE4294967295ELNS1_3gpuE0ELNS1_3repE0EEENS1_30default_config_static_selectorELNS0_4arch9wavefront6targetE1EEEvSY_
                                        ; -- End function
	.set _ZN7rocprim17ROCPRIM_400000_NS6detail17trampoline_kernelINS0_14default_configENS1_27upper_bound_config_selectorIflEEZNS1_14transform_implILb0ES3_S5_N6thrust23THRUST_200600_302600_NS6detail15normal_iteratorINS8_7pointerIfNS8_11hip_rocprim5par_tENS8_11use_defaultESE_EEEENSA_INSB_IlSD_SE_SE_EEEEZNS1_13binary_searchIS3_S5_NSA_INS8_10device_ptrIfEEEESG_SI_NS1_21upper_bound_search_opENS9_16wrapped_functionINS8_6system6detail7generic6detail18binary_search_lessEbEEEE10hipError_tPvRmT1_T2_T3_mmT4_T5_P12ihipStream_tbEUlRKfE_EESV_SZ_S10_mS11_S14_bEUlT_E_NS1_11comp_targetILNS1_3genE0ELNS1_11target_archE4294967295ELNS1_3gpuE0ELNS1_3repE0EEENS1_30default_config_static_selectorELNS0_4arch9wavefront6targetE1EEEvSY_.num_vgpr, 0
	.set _ZN7rocprim17ROCPRIM_400000_NS6detail17trampoline_kernelINS0_14default_configENS1_27upper_bound_config_selectorIflEEZNS1_14transform_implILb0ES3_S5_N6thrust23THRUST_200600_302600_NS6detail15normal_iteratorINS8_7pointerIfNS8_11hip_rocprim5par_tENS8_11use_defaultESE_EEEENSA_INSB_IlSD_SE_SE_EEEEZNS1_13binary_searchIS3_S5_NSA_INS8_10device_ptrIfEEEESG_SI_NS1_21upper_bound_search_opENS9_16wrapped_functionINS8_6system6detail7generic6detail18binary_search_lessEbEEEE10hipError_tPvRmT1_T2_T3_mmT4_T5_P12ihipStream_tbEUlRKfE_EESV_SZ_S10_mS11_S14_bEUlT_E_NS1_11comp_targetILNS1_3genE0ELNS1_11target_archE4294967295ELNS1_3gpuE0ELNS1_3repE0EEENS1_30default_config_static_selectorELNS0_4arch9wavefront6targetE1EEEvSY_.num_agpr, 0
	.set _ZN7rocprim17ROCPRIM_400000_NS6detail17trampoline_kernelINS0_14default_configENS1_27upper_bound_config_selectorIflEEZNS1_14transform_implILb0ES3_S5_N6thrust23THRUST_200600_302600_NS6detail15normal_iteratorINS8_7pointerIfNS8_11hip_rocprim5par_tENS8_11use_defaultESE_EEEENSA_INSB_IlSD_SE_SE_EEEEZNS1_13binary_searchIS3_S5_NSA_INS8_10device_ptrIfEEEESG_SI_NS1_21upper_bound_search_opENS9_16wrapped_functionINS8_6system6detail7generic6detail18binary_search_lessEbEEEE10hipError_tPvRmT1_T2_T3_mmT4_T5_P12ihipStream_tbEUlRKfE_EESV_SZ_S10_mS11_S14_bEUlT_E_NS1_11comp_targetILNS1_3genE0ELNS1_11target_archE4294967295ELNS1_3gpuE0ELNS1_3repE0EEENS1_30default_config_static_selectorELNS0_4arch9wavefront6targetE1EEEvSY_.numbered_sgpr, 0
	.set _ZN7rocprim17ROCPRIM_400000_NS6detail17trampoline_kernelINS0_14default_configENS1_27upper_bound_config_selectorIflEEZNS1_14transform_implILb0ES3_S5_N6thrust23THRUST_200600_302600_NS6detail15normal_iteratorINS8_7pointerIfNS8_11hip_rocprim5par_tENS8_11use_defaultESE_EEEENSA_INSB_IlSD_SE_SE_EEEEZNS1_13binary_searchIS3_S5_NSA_INS8_10device_ptrIfEEEESG_SI_NS1_21upper_bound_search_opENS9_16wrapped_functionINS8_6system6detail7generic6detail18binary_search_lessEbEEEE10hipError_tPvRmT1_T2_T3_mmT4_T5_P12ihipStream_tbEUlRKfE_EESV_SZ_S10_mS11_S14_bEUlT_E_NS1_11comp_targetILNS1_3genE0ELNS1_11target_archE4294967295ELNS1_3gpuE0ELNS1_3repE0EEENS1_30default_config_static_selectorELNS0_4arch9wavefront6targetE1EEEvSY_.num_named_barrier, 0
	.set _ZN7rocprim17ROCPRIM_400000_NS6detail17trampoline_kernelINS0_14default_configENS1_27upper_bound_config_selectorIflEEZNS1_14transform_implILb0ES3_S5_N6thrust23THRUST_200600_302600_NS6detail15normal_iteratorINS8_7pointerIfNS8_11hip_rocprim5par_tENS8_11use_defaultESE_EEEENSA_INSB_IlSD_SE_SE_EEEEZNS1_13binary_searchIS3_S5_NSA_INS8_10device_ptrIfEEEESG_SI_NS1_21upper_bound_search_opENS9_16wrapped_functionINS8_6system6detail7generic6detail18binary_search_lessEbEEEE10hipError_tPvRmT1_T2_T3_mmT4_T5_P12ihipStream_tbEUlRKfE_EESV_SZ_S10_mS11_S14_bEUlT_E_NS1_11comp_targetILNS1_3genE0ELNS1_11target_archE4294967295ELNS1_3gpuE0ELNS1_3repE0EEENS1_30default_config_static_selectorELNS0_4arch9wavefront6targetE1EEEvSY_.private_seg_size, 0
	.set _ZN7rocprim17ROCPRIM_400000_NS6detail17trampoline_kernelINS0_14default_configENS1_27upper_bound_config_selectorIflEEZNS1_14transform_implILb0ES3_S5_N6thrust23THRUST_200600_302600_NS6detail15normal_iteratorINS8_7pointerIfNS8_11hip_rocprim5par_tENS8_11use_defaultESE_EEEENSA_INSB_IlSD_SE_SE_EEEEZNS1_13binary_searchIS3_S5_NSA_INS8_10device_ptrIfEEEESG_SI_NS1_21upper_bound_search_opENS9_16wrapped_functionINS8_6system6detail7generic6detail18binary_search_lessEbEEEE10hipError_tPvRmT1_T2_T3_mmT4_T5_P12ihipStream_tbEUlRKfE_EESV_SZ_S10_mS11_S14_bEUlT_E_NS1_11comp_targetILNS1_3genE0ELNS1_11target_archE4294967295ELNS1_3gpuE0ELNS1_3repE0EEENS1_30default_config_static_selectorELNS0_4arch9wavefront6targetE1EEEvSY_.uses_vcc, 0
	.set _ZN7rocprim17ROCPRIM_400000_NS6detail17trampoline_kernelINS0_14default_configENS1_27upper_bound_config_selectorIflEEZNS1_14transform_implILb0ES3_S5_N6thrust23THRUST_200600_302600_NS6detail15normal_iteratorINS8_7pointerIfNS8_11hip_rocprim5par_tENS8_11use_defaultESE_EEEENSA_INSB_IlSD_SE_SE_EEEEZNS1_13binary_searchIS3_S5_NSA_INS8_10device_ptrIfEEEESG_SI_NS1_21upper_bound_search_opENS9_16wrapped_functionINS8_6system6detail7generic6detail18binary_search_lessEbEEEE10hipError_tPvRmT1_T2_T3_mmT4_T5_P12ihipStream_tbEUlRKfE_EESV_SZ_S10_mS11_S14_bEUlT_E_NS1_11comp_targetILNS1_3genE0ELNS1_11target_archE4294967295ELNS1_3gpuE0ELNS1_3repE0EEENS1_30default_config_static_selectorELNS0_4arch9wavefront6targetE1EEEvSY_.uses_flat_scratch, 0
	.set _ZN7rocprim17ROCPRIM_400000_NS6detail17trampoline_kernelINS0_14default_configENS1_27upper_bound_config_selectorIflEEZNS1_14transform_implILb0ES3_S5_N6thrust23THRUST_200600_302600_NS6detail15normal_iteratorINS8_7pointerIfNS8_11hip_rocprim5par_tENS8_11use_defaultESE_EEEENSA_INSB_IlSD_SE_SE_EEEEZNS1_13binary_searchIS3_S5_NSA_INS8_10device_ptrIfEEEESG_SI_NS1_21upper_bound_search_opENS9_16wrapped_functionINS8_6system6detail7generic6detail18binary_search_lessEbEEEE10hipError_tPvRmT1_T2_T3_mmT4_T5_P12ihipStream_tbEUlRKfE_EESV_SZ_S10_mS11_S14_bEUlT_E_NS1_11comp_targetILNS1_3genE0ELNS1_11target_archE4294967295ELNS1_3gpuE0ELNS1_3repE0EEENS1_30default_config_static_selectorELNS0_4arch9wavefront6targetE1EEEvSY_.has_dyn_sized_stack, 0
	.set _ZN7rocprim17ROCPRIM_400000_NS6detail17trampoline_kernelINS0_14default_configENS1_27upper_bound_config_selectorIflEEZNS1_14transform_implILb0ES3_S5_N6thrust23THRUST_200600_302600_NS6detail15normal_iteratorINS8_7pointerIfNS8_11hip_rocprim5par_tENS8_11use_defaultESE_EEEENSA_INSB_IlSD_SE_SE_EEEEZNS1_13binary_searchIS3_S5_NSA_INS8_10device_ptrIfEEEESG_SI_NS1_21upper_bound_search_opENS9_16wrapped_functionINS8_6system6detail7generic6detail18binary_search_lessEbEEEE10hipError_tPvRmT1_T2_T3_mmT4_T5_P12ihipStream_tbEUlRKfE_EESV_SZ_S10_mS11_S14_bEUlT_E_NS1_11comp_targetILNS1_3genE0ELNS1_11target_archE4294967295ELNS1_3gpuE0ELNS1_3repE0EEENS1_30default_config_static_selectorELNS0_4arch9wavefront6targetE1EEEvSY_.has_recursion, 0
	.set _ZN7rocprim17ROCPRIM_400000_NS6detail17trampoline_kernelINS0_14default_configENS1_27upper_bound_config_selectorIflEEZNS1_14transform_implILb0ES3_S5_N6thrust23THRUST_200600_302600_NS6detail15normal_iteratorINS8_7pointerIfNS8_11hip_rocprim5par_tENS8_11use_defaultESE_EEEENSA_INSB_IlSD_SE_SE_EEEEZNS1_13binary_searchIS3_S5_NSA_INS8_10device_ptrIfEEEESG_SI_NS1_21upper_bound_search_opENS9_16wrapped_functionINS8_6system6detail7generic6detail18binary_search_lessEbEEEE10hipError_tPvRmT1_T2_T3_mmT4_T5_P12ihipStream_tbEUlRKfE_EESV_SZ_S10_mS11_S14_bEUlT_E_NS1_11comp_targetILNS1_3genE0ELNS1_11target_archE4294967295ELNS1_3gpuE0ELNS1_3repE0EEENS1_30default_config_static_selectorELNS0_4arch9wavefront6targetE1EEEvSY_.has_indirect_call, 0
	.section	.AMDGPU.csdata,"",@progbits
; Kernel info:
; codeLenInByte = 0
; TotalNumSgprs: 4
; NumVgprs: 0
; ScratchSize: 0
; MemoryBound: 0
; FloatMode: 240
; IeeeMode: 1
; LDSByteSize: 0 bytes/workgroup (compile time only)
; SGPRBlocks: 0
; VGPRBlocks: 0
; NumSGPRsForWavesPerEU: 4
; NumVGPRsForWavesPerEU: 1
; Occupancy: 10
; WaveLimiterHint : 0
; COMPUTE_PGM_RSRC2:SCRATCH_EN: 0
; COMPUTE_PGM_RSRC2:USER_SGPR: 6
; COMPUTE_PGM_RSRC2:TRAP_HANDLER: 0
; COMPUTE_PGM_RSRC2:TGID_X_EN: 1
; COMPUTE_PGM_RSRC2:TGID_Y_EN: 0
; COMPUTE_PGM_RSRC2:TGID_Z_EN: 0
; COMPUTE_PGM_RSRC2:TIDIG_COMP_CNT: 0
	.section	.text._ZN7rocprim17ROCPRIM_400000_NS6detail17trampoline_kernelINS0_14default_configENS1_27upper_bound_config_selectorIflEEZNS1_14transform_implILb0ES3_S5_N6thrust23THRUST_200600_302600_NS6detail15normal_iteratorINS8_7pointerIfNS8_11hip_rocprim5par_tENS8_11use_defaultESE_EEEENSA_INSB_IlSD_SE_SE_EEEEZNS1_13binary_searchIS3_S5_NSA_INS8_10device_ptrIfEEEESG_SI_NS1_21upper_bound_search_opENS9_16wrapped_functionINS8_6system6detail7generic6detail18binary_search_lessEbEEEE10hipError_tPvRmT1_T2_T3_mmT4_T5_P12ihipStream_tbEUlRKfE_EESV_SZ_S10_mS11_S14_bEUlT_E_NS1_11comp_targetILNS1_3genE5ELNS1_11target_archE942ELNS1_3gpuE9ELNS1_3repE0EEENS1_30default_config_static_selectorELNS0_4arch9wavefront6targetE1EEEvSY_,"axG",@progbits,_ZN7rocprim17ROCPRIM_400000_NS6detail17trampoline_kernelINS0_14default_configENS1_27upper_bound_config_selectorIflEEZNS1_14transform_implILb0ES3_S5_N6thrust23THRUST_200600_302600_NS6detail15normal_iteratorINS8_7pointerIfNS8_11hip_rocprim5par_tENS8_11use_defaultESE_EEEENSA_INSB_IlSD_SE_SE_EEEEZNS1_13binary_searchIS3_S5_NSA_INS8_10device_ptrIfEEEESG_SI_NS1_21upper_bound_search_opENS9_16wrapped_functionINS8_6system6detail7generic6detail18binary_search_lessEbEEEE10hipError_tPvRmT1_T2_T3_mmT4_T5_P12ihipStream_tbEUlRKfE_EESV_SZ_S10_mS11_S14_bEUlT_E_NS1_11comp_targetILNS1_3genE5ELNS1_11target_archE942ELNS1_3gpuE9ELNS1_3repE0EEENS1_30default_config_static_selectorELNS0_4arch9wavefront6targetE1EEEvSY_,comdat
	.protected	_ZN7rocprim17ROCPRIM_400000_NS6detail17trampoline_kernelINS0_14default_configENS1_27upper_bound_config_selectorIflEEZNS1_14transform_implILb0ES3_S5_N6thrust23THRUST_200600_302600_NS6detail15normal_iteratorINS8_7pointerIfNS8_11hip_rocprim5par_tENS8_11use_defaultESE_EEEENSA_INSB_IlSD_SE_SE_EEEEZNS1_13binary_searchIS3_S5_NSA_INS8_10device_ptrIfEEEESG_SI_NS1_21upper_bound_search_opENS9_16wrapped_functionINS8_6system6detail7generic6detail18binary_search_lessEbEEEE10hipError_tPvRmT1_T2_T3_mmT4_T5_P12ihipStream_tbEUlRKfE_EESV_SZ_S10_mS11_S14_bEUlT_E_NS1_11comp_targetILNS1_3genE5ELNS1_11target_archE942ELNS1_3gpuE9ELNS1_3repE0EEENS1_30default_config_static_selectorELNS0_4arch9wavefront6targetE1EEEvSY_ ; -- Begin function _ZN7rocprim17ROCPRIM_400000_NS6detail17trampoline_kernelINS0_14default_configENS1_27upper_bound_config_selectorIflEEZNS1_14transform_implILb0ES3_S5_N6thrust23THRUST_200600_302600_NS6detail15normal_iteratorINS8_7pointerIfNS8_11hip_rocprim5par_tENS8_11use_defaultESE_EEEENSA_INSB_IlSD_SE_SE_EEEEZNS1_13binary_searchIS3_S5_NSA_INS8_10device_ptrIfEEEESG_SI_NS1_21upper_bound_search_opENS9_16wrapped_functionINS8_6system6detail7generic6detail18binary_search_lessEbEEEE10hipError_tPvRmT1_T2_T3_mmT4_T5_P12ihipStream_tbEUlRKfE_EESV_SZ_S10_mS11_S14_bEUlT_E_NS1_11comp_targetILNS1_3genE5ELNS1_11target_archE942ELNS1_3gpuE9ELNS1_3repE0EEENS1_30default_config_static_selectorELNS0_4arch9wavefront6targetE1EEEvSY_
	.globl	_ZN7rocprim17ROCPRIM_400000_NS6detail17trampoline_kernelINS0_14default_configENS1_27upper_bound_config_selectorIflEEZNS1_14transform_implILb0ES3_S5_N6thrust23THRUST_200600_302600_NS6detail15normal_iteratorINS8_7pointerIfNS8_11hip_rocprim5par_tENS8_11use_defaultESE_EEEENSA_INSB_IlSD_SE_SE_EEEEZNS1_13binary_searchIS3_S5_NSA_INS8_10device_ptrIfEEEESG_SI_NS1_21upper_bound_search_opENS9_16wrapped_functionINS8_6system6detail7generic6detail18binary_search_lessEbEEEE10hipError_tPvRmT1_T2_T3_mmT4_T5_P12ihipStream_tbEUlRKfE_EESV_SZ_S10_mS11_S14_bEUlT_E_NS1_11comp_targetILNS1_3genE5ELNS1_11target_archE942ELNS1_3gpuE9ELNS1_3repE0EEENS1_30default_config_static_selectorELNS0_4arch9wavefront6targetE1EEEvSY_
	.p2align	8
	.type	_ZN7rocprim17ROCPRIM_400000_NS6detail17trampoline_kernelINS0_14default_configENS1_27upper_bound_config_selectorIflEEZNS1_14transform_implILb0ES3_S5_N6thrust23THRUST_200600_302600_NS6detail15normal_iteratorINS8_7pointerIfNS8_11hip_rocprim5par_tENS8_11use_defaultESE_EEEENSA_INSB_IlSD_SE_SE_EEEEZNS1_13binary_searchIS3_S5_NSA_INS8_10device_ptrIfEEEESG_SI_NS1_21upper_bound_search_opENS9_16wrapped_functionINS8_6system6detail7generic6detail18binary_search_lessEbEEEE10hipError_tPvRmT1_T2_T3_mmT4_T5_P12ihipStream_tbEUlRKfE_EESV_SZ_S10_mS11_S14_bEUlT_E_NS1_11comp_targetILNS1_3genE5ELNS1_11target_archE942ELNS1_3gpuE9ELNS1_3repE0EEENS1_30default_config_static_selectorELNS0_4arch9wavefront6targetE1EEEvSY_,@function
_ZN7rocprim17ROCPRIM_400000_NS6detail17trampoline_kernelINS0_14default_configENS1_27upper_bound_config_selectorIflEEZNS1_14transform_implILb0ES3_S5_N6thrust23THRUST_200600_302600_NS6detail15normal_iteratorINS8_7pointerIfNS8_11hip_rocprim5par_tENS8_11use_defaultESE_EEEENSA_INSB_IlSD_SE_SE_EEEEZNS1_13binary_searchIS3_S5_NSA_INS8_10device_ptrIfEEEESG_SI_NS1_21upper_bound_search_opENS9_16wrapped_functionINS8_6system6detail7generic6detail18binary_search_lessEbEEEE10hipError_tPvRmT1_T2_T3_mmT4_T5_P12ihipStream_tbEUlRKfE_EESV_SZ_S10_mS11_S14_bEUlT_E_NS1_11comp_targetILNS1_3genE5ELNS1_11target_archE942ELNS1_3gpuE9ELNS1_3repE0EEENS1_30default_config_static_selectorELNS0_4arch9wavefront6targetE1EEEvSY_: ; @_ZN7rocprim17ROCPRIM_400000_NS6detail17trampoline_kernelINS0_14default_configENS1_27upper_bound_config_selectorIflEEZNS1_14transform_implILb0ES3_S5_N6thrust23THRUST_200600_302600_NS6detail15normal_iteratorINS8_7pointerIfNS8_11hip_rocprim5par_tENS8_11use_defaultESE_EEEENSA_INSB_IlSD_SE_SE_EEEEZNS1_13binary_searchIS3_S5_NSA_INS8_10device_ptrIfEEEESG_SI_NS1_21upper_bound_search_opENS9_16wrapped_functionINS8_6system6detail7generic6detail18binary_search_lessEbEEEE10hipError_tPvRmT1_T2_T3_mmT4_T5_P12ihipStream_tbEUlRKfE_EESV_SZ_S10_mS11_S14_bEUlT_E_NS1_11comp_targetILNS1_3genE5ELNS1_11target_archE942ELNS1_3gpuE9ELNS1_3repE0EEENS1_30default_config_static_selectorELNS0_4arch9wavefront6targetE1EEEvSY_
; %bb.0:
	.section	.rodata,"a",@progbits
	.p2align	6, 0x0
	.amdhsa_kernel _ZN7rocprim17ROCPRIM_400000_NS6detail17trampoline_kernelINS0_14default_configENS1_27upper_bound_config_selectorIflEEZNS1_14transform_implILb0ES3_S5_N6thrust23THRUST_200600_302600_NS6detail15normal_iteratorINS8_7pointerIfNS8_11hip_rocprim5par_tENS8_11use_defaultESE_EEEENSA_INSB_IlSD_SE_SE_EEEEZNS1_13binary_searchIS3_S5_NSA_INS8_10device_ptrIfEEEESG_SI_NS1_21upper_bound_search_opENS9_16wrapped_functionINS8_6system6detail7generic6detail18binary_search_lessEbEEEE10hipError_tPvRmT1_T2_T3_mmT4_T5_P12ihipStream_tbEUlRKfE_EESV_SZ_S10_mS11_S14_bEUlT_E_NS1_11comp_targetILNS1_3genE5ELNS1_11target_archE942ELNS1_3gpuE9ELNS1_3repE0EEENS1_30default_config_static_selectorELNS0_4arch9wavefront6targetE1EEEvSY_
		.amdhsa_group_segment_fixed_size 0
		.amdhsa_private_segment_fixed_size 0
		.amdhsa_kernarg_size 56
		.amdhsa_user_sgpr_count 6
		.amdhsa_user_sgpr_private_segment_buffer 1
		.amdhsa_user_sgpr_dispatch_ptr 0
		.amdhsa_user_sgpr_queue_ptr 0
		.amdhsa_user_sgpr_kernarg_segment_ptr 1
		.amdhsa_user_sgpr_dispatch_id 0
		.amdhsa_user_sgpr_flat_scratch_init 0
		.amdhsa_user_sgpr_private_segment_size 0
		.amdhsa_uses_dynamic_stack 0
		.amdhsa_system_sgpr_private_segment_wavefront_offset 0
		.amdhsa_system_sgpr_workgroup_id_x 1
		.amdhsa_system_sgpr_workgroup_id_y 0
		.amdhsa_system_sgpr_workgroup_id_z 0
		.amdhsa_system_sgpr_workgroup_info 0
		.amdhsa_system_vgpr_workitem_id 0
		.amdhsa_next_free_vgpr 1
		.amdhsa_next_free_sgpr 0
		.amdhsa_reserve_vcc 0
		.amdhsa_reserve_flat_scratch 0
		.amdhsa_float_round_mode_32 0
		.amdhsa_float_round_mode_16_64 0
		.amdhsa_float_denorm_mode_32 3
		.amdhsa_float_denorm_mode_16_64 3
		.amdhsa_dx10_clamp 1
		.amdhsa_ieee_mode 1
		.amdhsa_fp16_overflow 0
		.amdhsa_exception_fp_ieee_invalid_op 0
		.amdhsa_exception_fp_denorm_src 0
		.amdhsa_exception_fp_ieee_div_zero 0
		.amdhsa_exception_fp_ieee_overflow 0
		.amdhsa_exception_fp_ieee_underflow 0
		.amdhsa_exception_fp_ieee_inexact 0
		.amdhsa_exception_int_div_zero 0
	.end_amdhsa_kernel
	.section	.text._ZN7rocprim17ROCPRIM_400000_NS6detail17trampoline_kernelINS0_14default_configENS1_27upper_bound_config_selectorIflEEZNS1_14transform_implILb0ES3_S5_N6thrust23THRUST_200600_302600_NS6detail15normal_iteratorINS8_7pointerIfNS8_11hip_rocprim5par_tENS8_11use_defaultESE_EEEENSA_INSB_IlSD_SE_SE_EEEEZNS1_13binary_searchIS3_S5_NSA_INS8_10device_ptrIfEEEESG_SI_NS1_21upper_bound_search_opENS9_16wrapped_functionINS8_6system6detail7generic6detail18binary_search_lessEbEEEE10hipError_tPvRmT1_T2_T3_mmT4_T5_P12ihipStream_tbEUlRKfE_EESV_SZ_S10_mS11_S14_bEUlT_E_NS1_11comp_targetILNS1_3genE5ELNS1_11target_archE942ELNS1_3gpuE9ELNS1_3repE0EEENS1_30default_config_static_selectorELNS0_4arch9wavefront6targetE1EEEvSY_,"axG",@progbits,_ZN7rocprim17ROCPRIM_400000_NS6detail17trampoline_kernelINS0_14default_configENS1_27upper_bound_config_selectorIflEEZNS1_14transform_implILb0ES3_S5_N6thrust23THRUST_200600_302600_NS6detail15normal_iteratorINS8_7pointerIfNS8_11hip_rocprim5par_tENS8_11use_defaultESE_EEEENSA_INSB_IlSD_SE_SE_EEEEZNS1_13binary_searchIS3_S5_NSA_INS8_10device_ptrIfEEEESG_SI_NS1_21upper_bound_search_opENS9_16wrapped_functionINS8_6system6detail7generic6detail18binary_search_lessEbEEEE10hipError_tPvRmT1_T2_T3_mmT4_T5_P12ihipStream_tbEUlRKfE_EESV_SZ_S10_mS11_S14_bEUlT_E_NS1_11comp_targetILNS1_3genE5ELNS1_11target_archE942ELNS1_3gpuE9ELNS1_3repE0EEENS1_30default_config_static_selectorELNS0_4arch9wavefront6targetE1EEEvSY_,comdat
.Lfunc_end528:
	.size	_ZN7rocprim17ROCPRIM_400000_NS6detail17trampoline_kernelINS0_14default_configENS1_27upper_bound_config_selectorIflEEZNS1_14transform_implILb0ES3_S5_N6thrust23THRUST_200600_302600_NS6detail15normal_iteratorINS8_7pointerIfNS8_11hip_rocprim5par_tENS8_11use_defaultESE_EEEENSA_INSB_IlSD_SE_SE_EEEEZNS1_13binary_searchIS3_S5_NSA_INS8_10device_ptrIfEEEESG_SI_NS1_21upper_bound_search_opENS9_16wrapped_functionINS8_6system6detail7generic6detail18binary_search_lessEbEEEE10hipError_tPvRmT1_T2_T3_mmT4_T5_P12ihipStream_tbEUlRKfE_EESV_SZ_S10_mS11_S14_bEUlT_E_NS1_11comp_targetILNS1_3genE5ELNS1_11target_archE942ELNS1_3gpuE9ELNS1_3repE0EEENS1_30default_config_static_selectorELNS0_4arch9wavefront6targetE1EEEvSY_, .Lfunc_end528-_ZN7rocprim17ROCPRIM_400000_NS6detail17trampoline_kernelINS0_14default_configENS1_27upper_bound_config_selectorIflEEZNS1_14transform_implILb0ES3_S5_N6thrust23THRUST_200600_302600_NS6detail15normal_iteratorINS8_7pointerIfNS8_11hip_rocprim5par_tENS8_11use_defaultESE_EEEENSA_INSB_IlSD_SE_SE_EEEEZNS1_13binary_searchIS3_S5_NSA_INS8_10device_ptrIfEEEESG_SI_NS1_21upper_bound_search_opENS9_16wrapped_functionINS8_6system6detail7generic6detail18binary_search_lessEbEEEE10hipError_tPvRmT1_T2_T3_mmT4_T5_P12ihipStream_tbEUlRKfE_EESV_SZ_S10_mS11_S14_bEUlT_E_NS1_11comp_targetILNS1_3genE5ELNS1_11target_archE942ELNS1_3gpuE9ELNS1_3repE0EEENS1_30default_config_static_selectorELNS0_4arch9wavefront6targetE1EEEvSY_
                                        ; -- End function
	.set _ZN7rocprim17ROCPRIM_400000_NS6detail17trampoline_kernelINS0_14default_configENS1_27upper_bound_config_selectorIflEEZNS1_14transform_implILb0ES3_S5_N6thrust23THRUST_200600_302600_NS6detail15normal_iteratorINS8_7pointerIfNS8_11hip_rocprim5par_tENS8_11use_defaultESE_EEEENSA_INSB_IlSD_SE_SE_EEEEZNS1_13binary_searchIS3_S5_NSA_INS8_10device_ptrIfEEEESG_SI_NS1_21upper_bound_search_opENS9_16wrapped_functionINS8_6system6detail7generic6detail18binary_search_lessEbEEEE10hipError_tPvRmT1_T2_T3_mmT4_T5_P12ihipStream_tbEUlRKfE_EESV_SZ_S10_mS11_S14_bEUlT_E_NS1_11comp_targetILNS1_3genE5ELNS1_11target_archE942ELNS1_3gpuE9ELNS1_3repE0EEENS1_30default_config_static_selectorELNS0_4arch9wavefront6targetE1EEEvSY_.num_vgpr, 0
	.set _ZN7rocprim17ROCPRIM_400000_NS6detail17trampoline_kernelINS0_14default_configENS1_27upper_bound_config_selectorIflEEZNS1_14transform_implILb0ES3_S5_N6thrust23THRUST_200600_302600_NS6detail15normal_iteratorINS8_7pointerIfNS8_11hip_rocprim5par_tENS8_11use_defaultESE_EEEENSA_INSB_IlSD_SE_SE_EEEEZNS1_13binary_searchIS3_S5_NSA_INS8_10device_ptrIfEEEESG_SI_NS1_21upper_bound_search_opENS9_16wrapped_functionINS8_6system6detail7generic6detail18binary_search_lessEbEEEE10hipError_tPvRmT1_T2_T3_mmT4_T5_P12ihipStream_tbEUlRKfE_EESV_SZ_S10_mS11_S14_bEUlT_E_NS1_11comp_targetILNS1_3genE5ELNS1_11target_archE942ELNS1_3gpuE9ELNS1_3repE0EEENS1_30default_config_static_selectorELNS0_4arch9wavefront6targetE1EEEvSY_.num_agpr, 0
	.set _ZN7rocprim17ROCPRIM_400000_NS6detail17trampoline_kernelINS0_14default_configENS1_27upper_bound_config_selectorIflEEZNS1_14transform_implILb0ES3_S5_N6thrust23THRUST_200600_302600_NS6detail15normal_iteratorINS8_7pointerIfNS8_11hip_rocprim5par_tENS8_11use_defaultESE_EEEENSA_INSB_IlSD_SE_SE_EEEEZNS1_13binary_searchIS3_S5_NSA_INS8_10device_ptrIfEEEESG_SI_NS1_21upper_bound_search_opENS9_16wrapped_functionINS8_6system6detail7generic6detail18binary_search_lessEbEEEE10hipError_tPvRmT1_T2_T3_mmT4_T5_P12ihipStream_tbEUlRKfE_EESV_SZ_S10_mS11_S14_bEUlT_E_NS1_11comp_targetILNS1_3genE5ELNS1_11target_archE942ELNS1_3gpuE9ELNS1_3repE0EEENS1_30default_config_static_selectorELNS0_4arch9wavefront6targetE1EEEvSY_.numbered_sgpr, 0
	.set _ZN7rocprim17ROCPRIM_400000_NS6detail17trampoline_kernelINS0_14default_configENS1_27upper_bound_config_selectorIflEEZNS1_14transform_implILb0ES3_S5_N6thrust23THRUST_200600_302600_NS6detail15normal_iteratorINS8_7pointerIfNS8_11hip_rocprim5par_tENS8_11use_defaultESE_EEEENSA_INSB_IlSD_SE_SE_EEEEZNS1_13binary_searchIS3_S5_NSA_INS8_10device_ptrIfEEEESG_SI_NS1_21upper_bound_search_opENS9_16wrapped_functionINS8_6system6detail7generic6detail18binary_search_lessEbEEEE10hipError_tPvRmT1_T2_T3_mmT4_T5_P12ihipStream_tbEUlRKfE_EESV_SZ_S10_mS11_S14_bEUlT_E_NS1_11comp_targetILNS1_3genE5ELNS1_11target_archE942ELNS1_3gpuE9ELNS1_3repE0EEENS1_30default_config_static_selectorELNS0_4arch9wavefront6targetE1EEEvSY_.num_named_barrier, 0
	.set _ZN7rocprim17ROCPRIM_400000_NS6detail17trampoline_kernelINS0_14default_configENS1_27upper_bound_config_selectorIflEEZNS1_14transform_implILb0ES3_S5_N6thrust23THRUST_200600_302600_NS6detail15normal_iteratorINS8_7pointerIfNS8_11hip_rocprim5par_tENS8_11use_defaultESE_EEEENSA_INSB_IlSD_SE_SE_EEEEZNS1_13binary_searchIS3_S5_NSA_INS8_10device_ptrIfEEEESG_SI_NS1_21upper_bound_search_opENS9_16wrapped_functionINS8_6system6detail7generic6detail18binary_search_lessEbEEEE10hipError_tPvRmT1_T2_T3_mmT4_T5_P12ihipStream_tbEUlRKfE_EESV_SZ_S10_mS11_S14_bEUlT_E_NS1_11comp_targetILNS1_3genE5ELNS1_11target_archE942ELNS1_3gpuE9ELNS1_3repE0EEENS1_30default_config_static_selectorELNS0_4arch9wavefront6targetE1EEEvSY_.private_seg_size, 0
	.set _ZN7rocprim17ROCPRIM_400000_NS6detail17trampoline_kernelINS0_14default_configENS1_27upper_bound_config_selectorIflEEZNS1_14transform_implILb0ES3_S5_N6thrust23THRUST_200600_302600_NS6detail15normal_iteratorINS8_7pointerIfNS8_11hip_rocprim5par_tENS8_11use_defaultESE_EEEENSA_INSB_IlSD_SE_SE_EEEEZNS1_13binary_searchIS3_S5_NSA_INS8_10device_ptrIfEEEESG_SI_NS1_21upper_bound_search_opENS9_16wrapped_functionINS8_6system6detail7generic6detail18binary_search_lessEbEEEE10hipError_tPvRmT1_T2_T3_mmT4_T5_P12ihipStream_tbEUlRKfE_EESV_SZ_S10_mS11_S14_bEUlT_E_NS1_11comp_targetILNS1_3genE5ELNS1_11target_archE942ELNS1_3gpuE9ELNS1_3repE0EEENS1_30default_config_static_selectorELNS0_4arch9wavefront6targetE1EEEvSY_.uses_vcc, 0
	.set _ZN7rocprim17ROCPRIM_400000_NS6detail17trampoline_kernelINS0_14default_configENS1_27upper_bound_config_selectorIflEEZNS1_14transform_implILb0ES3_S5_N6thrust23THRUST_200600_302600_NS6detail15normal_iteratorINS8_7pointerIfNS8_11hip_rocprim5par_tENS8_11use_defaultESE_EEEENSA_INSB_IlSD_SE_SE_EEEEZNS1_13binary_searchIS3_S5_NSA_INS8_10device_ptrIfEEEESG_SI_NS1_21upper_bound_search_opENS9_16wrapped_functionINS8_6system6detail7generic6detail18binary_search_lessEbEEEE10hipError_tPvRmT1_T2_T3_mmT4_T5_P12ihipStream_tbEUlRKfE_EESV_SZ_S10_mS11_S14_bEUlT_E_NS1_11comp_targetILNS1_3genE5ELNS1_11target_archE942ELNS1_3gpuE9ELNS1_3repE0EEENS1_30default_config_static_selectorELNS0_4arch9wavefront6targetE1EEEvSY_.uses_flat_scratch, 0
	.set _ZN7rocprim17ROCPRIM_400000_NS6detail17trampoline_kernelINS0_14default_configENS1_27upper_bound_config_selectorIflEEZNS1_14transform_implILb0ES3_S5_N6thrust23THRUST_200600_302600_NS6detail15normal_iteratorINS8_7pointerIfNS8_11hip_rocprim5par_tENS8_11use_defaultESE_EEEENSA_INSB_IlSD_SE_SE_EEEEZNS1_13binary_searchIS3_S5_NSA_INS8_10device_ptrIfEEEESG_SI_NS1_21upper_bound_search_opENS9_16wrapped_functionINS8_6system6detail7generic6detail18binary_search_lessEbEEEE10hipError_tPvRmT1_T2_T3_mmT4_T5_P12ihipStream_tbEUlRKfE_EESV_SZ_S10_mS11_S14_bEUlT_E_NS1_11comp_targetILNS1_3genE5ELNS1_11target_archE942ELNS1_3gpuE9ELNS1_3repE0EEENS1_30default_config_static_selectorELNS0_4arch9wavefront6targetE1EEEvSY_.has_dyn_sized_stack, 0
	.set _ZN7rocprim17ROCPRIM_400000_NS6detail17trampoline_kernelINS0_14default_configENS1_27upper_bound_config_selectorIflEEZNS1_14transform_implILb0ES3_S5_N6thrust23THRUST_200600_302600_NS6detail15normal_iteratorINS8_7pointerIfNS8_11hip_rocprim5par_tENS8_11use_defaultESE_EEEENSA_INSB_IlSD_SE_SE_EEEEZNS1_13binary_searchIS3_S5_NSA_INS8_10device_ptrIfEEEESG_SI_NS1_21upper_bound_search_opENS9_16wrapped_functionINS8_6system6detail7generic6detail18binary_search_lessEbEEEE10hipError_tPvRmT1_T2_T3_mmT4_T5_P12ihipStream_tbEUlRKfE_EESV_SZ_S10_mS11_S14_bEUlT_E_NS1_11comp_targetILNS1_3genE5ELNS1_11target_archE942ELNS1_3gpuE9ELNS1_3repE0EEENS1_30default_config_static_selectorELNS0_4arch9wavefront6targetE1EEEvSY_.has_recursion, 0
	.set _ZN7rocprim17ROCPRIM_400000_NS6detail17trampoline_kernelINS0_14default_configENS1_27upper_bound_config_selectorIflEEZNS1_14transform_implILb0ES3_S5_N6thrust23THRUST_200600_302600_NS6detail15normal_iteratorINS8_7pointerIfNS8_11hip_rocprim5par_tENS8_11use_defaultESE_EEEENSA_INSB_IlSD_SE_SE_EEEEZNS1_13binary_searchIS3_S5_NSA_INS8_10device_ptrIfEEEESG_SI_NS1_21upper_bound_search_opENS9_16wrapped_functionINS8_6system6detail7generic6detail18binary_search_lessEbEEEE10hipError_tPvRmT1_T2_T3_mmT4_T5_P12ihipStream_tbEUlRKfE_EESV_SZ_S10_mS11_S14_bEUlT_E_NS1_11comp_targetILNS1_3genE5ELNS1_11target_archE942ELNS1_3gpuE9ELNS1_3repE0EEENS1_30default_config_static_selectorELNS0_4arch9wavefront6targetE1EEEvSY_.has_indirect_call, 0
	.section	.AMDGPU.csdata,"",@progbits
; Kernel info:
; codeLenInByte = 0
; TotalNumSgprs: 4
; NumVgprs: 0
; ScratchSize: 0
; MemoryBound: 0
; FloatMode: 240
; IeeeMode: 1
; LDSByteSize: 0 bytes/workgroup (compile time only)
; SGPRBlocks: 0
; VGPRBlocks: 0
; NumSGPRsForWavesPerEU: 4
; NumVGPRsForWavesPerEU: 1
; Occupancy: 10
; WaveLimiterHint : 0
; COMPUTE_PGM_RSRC2:SCRATCH_EN: 0
; COMPUTE_PGM_RSRC2:USER_SGPR: 6
; COMPUTE_PGM_RSRC2:TRAP_HANDLER: 0
; COMPUTE_PGM_RSRC2:TGID_X_EN: 1
; COMPUTE_PGM_RSRC2:TGID_Y_EN: 0
; COMPUTE_PGM_RSRC2:TGID_Z_EN: 0
; COMPUTE_PGM_RSRC2:TIDIG_COMP_CNT: 0
	.section	.text._ZN7rocprim17ROCPRIM_400000_NS6detail17trampoline_kernelINS0_14default_configENS1_27upper_bound_config_selectorIflEEZNS1_14transform_implILb0ES3_S5_N6thrust23THRUST_200600_302600_NS6detail15normal_iteratorINS8_7pointerIfNS8_11hip_rocprim5par_tENS8_11use_defaultESE_EEEENSA_INSB_IlSD_SE_SE_EEEEZNS1_13binary_searchIS3_S5_NSA_INS8_10device_ptrIfEEEESG_SI_NS1_21upper_bound_search_opENS9_16wrapped_functionINS8_6system6detail7generic6detail18binary_search_lessEbEEEE10hipError_tPvRmT1_T2_T3_mmT4_T5_P12ihipStream_tbEUlRKfE_EESV_SZ_S10_mS11_S14_bEUlT_E_NS1_11comp_targetILNS1_3genE4ELNS1_11target_archE910ELNS1_3gpuE8ELNS1_3repE0EEENS1_30default_config_static_selectorELNS0_4arch9wavefront6targetE1EEEvSY_,"axG",@progbits,_ZN7rocprim17ROCPRIM_400000_NS6detail17trampoline_kernelINS0_14default_configENS1_27upper_bound_config_selectorIflEEZNS1_14transform_implILb0ES3_S5_N6thrust23THRUST_200600_302600_NS6detail15normal_iteratorINS8_7pointerIfNS8_11hip_rocprim5par_tENS8_11use_defaultESE_EEEENSA_INSB_IlSD_SE_SE_EEEEZNS1_13binary_searchIS3_S5_NSA_INS8_10device_ptrIfEEEESG_SI_NS1_21upper_bound_search_opENS9_16wrapped_functionINS8_6system6detail7generic6detail18binary_search_lessEbEEEE10hipError_tPvRmT1_T2_T3_mmT4_T5_P12ihipStream_tbEUlRKfE_EESV_SZ_S10_mS11_S14_bEUlT_E_NS1_11comp_targetILNS1_3genE4ELNS1_11target_archE910ELNS1_3gpuE8ELNS1_3repE0EEENS1_30default_config_static_selectorELNS0_4arch9wavefront6targetE1EEEvSY_,comdat
	.protected	_ZN7rocprim17ROCPRIM_400000_NS6detail17trampoline_kernelINS0_14default_configENS1_27upper_bound_config_selectorIflEEZNS1_14transform_implILb0ES3_S5_N6thrust23THRUST_200600_302600_NS6detail15normal_iteratorINS8_7pointerIfNS8_11hip_rocprim5par_tENS8_11use_defaultESE_EEEENSA_INSB_IlSD_SE_SE_EEEEZNS1_13binary_searchIS3_S5_NSA_INS8_10device_ptrIfEEEESG_SI_NS1_21upper_bound_search_opENS9_16wrapped_functionINS8_6system6detail7generic6detail18binary_search_lessEbEEEE10hipError_tPvRmT1_T2_T3_mmT4_T5_P12ihipStream_tbEUlRKfE_EESV_SZ_S10_mS11_S14_bEUlT_E_NS1_11comp_targetILNS1_3genE4ELNS1_11target_archE910ELNS1_3gpuE8ELNS1_3repE0EEENS1_30default_config_static_selectorELNS0_4arch9wavefront6targetE1EEEvSY_ ; -- Begin function _ZN7rocprim17ROCPRIM_400000_NS6detail17trampoline_kernelINS0_14default_configENS1_27upper_bound_config_selectorIflEEZNS1_14transform_implILb0ES3_S5_N6thrust23THRUST_200600_302600_NS6detail15normal_iteratorINS8_7pointerIfNS8_11hip_rocprim5par_tENS8_11use_defaultESE_EEEENSA_INSB_IlSD_SE_SE_EEEEZNS1_13binary_searchIS3_S5_NSA_INS8_10device_ptrIfEEEESG_SI_NS1_21upper_bound_search_opENS9_16wrapped_functionINS8_6system6detail7generic6detail18binary_search_lessEbEEEE10hipError_tPvRmT1_T2_T3_mmT4_T5_P12ihipStream_tbEUlRKfE_EESV_SZ_S10_mS11_S14_bEUlT_E_NS1_11comp_targetILNS1_3genE4ELNS1_11target_archE910ELNS1_3gpuE8ELNS1_3repE0EEENS1_30default_config_static_selectorELNS0_4arch9wavefront6targetE1EEEvSY_
	.globl	_ZN7rocprim17ROCPRIM_400000_NS6detail17trampoline_kernelINS0_14default_configENS1_27upper_bound_config_selectorIflEEZNS1_14transform_implILb0ES3_S5_N6thrust23THRUST_200600_302600_NS6detail15normal_iteratorINS8_7pointerIfNS8_11hip_rocprim5par_tENS8_11use_defaultESE_EEEENSA_INSB_IlSD_SE_SE_EEEEZNS1_13binary_searchIS3_S5_NSA_INS8_10device_ptrIfEEEESG_SI_NS1_21upper_bound_search_opENS9_16wrapped_functionINS8_6system6detail7generic6detail18binary_search_lessEbEEEE10hipError_tPvRmT1_T2_T3_mmT4_T5_P12ihipStream_tbEUlRKfE_EESV_SZ_S10_mS11_S14_bEUlT_E_NS1_11comp_targetILNS1_3genE4ELNS1_11target_archE910ELNS1_3gpuE8ELNS1_3repE0EEENS1_30default_config_static_selectorELNS0_4arch9wavefront6targetE1EEEvSY_
	.p2align	8
	.type	_ZN7rocprim17ROCPRIM_400000_NS6detail17trampoline_kernelINS0_14default_configENS1_27upper_bound_config_selectorIflEEZNS1_14transform_implILb0ES3_S5_N6thrust23THRUST_200600_302600_NS6detail15normal_iteratorINS8_7pointerIfNS8_11hip_rocprim5par_tENS8_11use_defaultESE_EEEENSA_INSB_IlSD_SE_SE_EEEEZNS1_13binary_searchIS3_S5_NSA_INS8_10device_ptrIfEEEESG_SI_NS1_21upper_bound_search_opENS9_16wrapped_functionINS8_6system6detail7generic6detail18binary_search_lessEbEEEE10hipError_tPvRmT1_T2_T3_mmT4_T5_P12ihipStream_tbEUlRKfE_EESV_SZ_S10_mS11_S14_bEUlT_E_NS1_11comp_targetILNS1_3genE4ELNS1_11target_archE910ELNS1_3gpuE8ELNS1_3repE0EEENS1_30default_config_static_selectorELNS0_4arch9wavefront6targetE1EEEvSY_,@function
_ZN7rocprim17ROCPRIM_400000_NS6detail17trampoline_kernelINS0_14default_configENS1_27upper_bound_config_selectorIflEEZNS1_14transform_implILb0ES3_S5_N6thrust23THRUST_200600_302600_NS6detail15normal_iteratorINS8_7pointerIfNS8_11hip_rocprim5par_tENS8_11use_defaultESE_EEEENSA_INSB_IlSD_SE_SE_EEEEZNS1_13binary_searchIS3_S5_NSA_INS8_10device_ptrIfEEEESG_SI_NS1_21upper_bound_search_opENS9_16wrapped_functionINS8_6system6detail7generic6detail18binary_search_lessEbEEEE10hipError_tPvRmT1_T2_T3_mmT4_T5_P12ihipStream_tbEUlRKfE_EESV_SZ_S10_mS11_S14_bEUlT_E_NS1_11comp_targetILNS1_3genE4ELNS1_11target_archE910ELNS1_3gpuE8ELNS1_3repE0EEENS1_30default_config_static_selectorELNS0_4arch9wavefront6targetE1EEEvSY_: ; @_ZN7rocprim17ROCPRIM_400000_NS6detail17trampoline_kernelINS0_14default_configENS1_27upper_bound_config_selectorIflEEZNS1_14transform_implILb0ES3_S5_N6thrust23THRUST_200600_302600_NS6detail15normal_iteratorINS8_7pointerIfNS8_11hip_rocprim5par_tENS8_11use_defaultESE_EEEENSA_INSB_IlSD_SE_SE_EEEEZNS1_13binary_searchIS3_S5_NSA_INS8_10device_ptrIfEEEESG_SI_NS1_21upper_bound_search_opENS9_16wrapped_functionINS8_6system6detail7generic6detail18binary_search_lessEbEEEE10hipError_tPvRmT1_T2_T3_mmT4_T5_P12ihipStream_tbEUlRKfE_EESV_SZ_S10_mS11_S14_bEUlT_E_NS1_11comp_targetILNS1_3genE4ELNS1_11target_archE910ELNS1_3gpuE8ELNS1_3repE0EEENS1_30default_config_static_selectorELNS0_4arch9wavefront6targetE1EEEvSY_
; %bb.0:
	.section	.rodata,"a",@progbits
	.p2align	6, 0x0
	.amdhsa_kernel _ZN7rocprim17ROCPRIM_400000_NS6detail17trampoline_kernelINS0_14default_configENS1_27upper_bound_config_selectorIflEEZNS1_14transform_implILb0ES3_S5_N6thrust23THRUST_200600_302600_NS6detail15normal_iteratorINS8_7pointerIfNS8_11hip_rocprim5par_tENS8_11use_defaultESE_EEEENSA_INSB_IlSD_SE_SE_EEEEZNS1_13binary_searchIS3_S5_NSA_INS8_10device_ptrIfEEEESG_SI_NS1_21upper_bound_search_opENS9_16wrapped_functionINS8_6system6detail7generic6detail18binary_search_lessEbEEEE10hipError_tPvRmT1_T2_T3_mmT4_T5_P12ihipStream_tbEUlRKfE_EESV_SZ_S10_mS11_S14_bEUlT_E_NS1_11comp_targetILNS1_3genE4ELNS1_11target_archE910ELNS1_3gpuE8ELNS1_3repE0EEENS1_30default_config_static_selectorELNS0_4arch9wavefront6targetE1EEEvSY_
		.amdhsa_group_segment_fixed_size 0
		.amdhsa_private_segment_fixed_size 0
		.amdhsa_kernarg_size 56
		.amdhsa_user_sgpr_count 6
		.amdhsa_user_sgpr_private_segment_buffer 1
		.amdhsa_user_sgpr_dispatch_ptr 0
		.amdhsa_user_sgpr_queue_ptr 0
		.amdhsa_user_sgpr_kernarg_segment_ptr 1
		.amdhsa_user_sgpr_dispatch_id 0
		.amdhsa_user_sgpr_flat_scratch_init 0
		.amdhsa_user_sgpr_private_segment_size 0
		.amdhsa_uses_dynamic_stack 0
		.amdhsa_system_sgpr_private_segment_wavefront_offset 0
		.amdhsa_system_sgpr_workgroup_id_x 1
		.amdhsa_system_sgpr_workgroup_id_y 0
		.amdhsa_system_sgpr_workgroup_id_z 0
		.amdhsa_system_sgpr_workgroup_info 0
		.amdhsa_system_vgpr_workitem_id 0
		.amdhsa_next_free_vgpr 1
		.amdhsa_next_free_sgpr 0
		.amdhsa_reserve_vcc 0
		.amdhsa_reserve_flat_scratch 0
		.amdhsa_float_round_mode_32 0
		.amdhsa_float_round_mode_16_64 0
		.amdhsa_float_denorm_mode_32 3
		.amdhsa_float_denorm_mode_16_64 3
		.amdhsa_dx10_clamp 1
		.amdhsa_ieee_mode 1
		.amdhsa_fp16_overflow 0
		.amdhsa_exception_fp_ieee_invalid_op 0
		.amdhsa_exception_fp_denorm_src 0
		.amdhsa_exception_fp_ieee_div_zero 0
		.amdhsa_exception_fp_ieee_overflow 0
		.amdhsa_exception_fp_ieee_underflow 0
		.amdhsa_exception_fp_ieee_inexact 0
		.amdhsa_exception_int_div_zero 0
	.end_amdhsa_kernel
	.section	.text._ZN7rocprim17ROCPRIM_400000_NS6detail17trampoline_kernelINS0_14default_configENS1_27upper_bound_config_selectorIflEEZNS1_14transform_implILb0ES3_S5_N6thrust23THRUST_200600_302600_NS6detail15normal_iteratorINS8_7pointerIfNS8_11hip_rocprim5par_tENS8_11use_defaultESE_EEEENSA_INSB_IlSD_SE_SE_EEEEZNS1_13binary_searchIS3_S5_NSA_INS8_10device_ptrIfEEEESG_SI_NS1_21upper_bound_search_opENS9_16wrapped_functionINS8_6system6detail7generic6detail18binary_search_lessEbEEEE10hipError_tPvRmT1_T2_T3_mmT4_T5_P12ihipStream_tbEUlRKfE_EESV_SZ_S10_mS11_S14_bEUlT_E_NS1_11comp_targetILNS1_3genE4ELNS1_11target_archE910ELNS1_3gpuE8ELNS1_3repE0EEENS1_30default_config_static_selectorELNS0_4arch9wavefront6targetE1EEEvSY_,"axG",@progbits,_ZN7rocprim17ROCPRIM_400000_NS6detail17trampoline_kernelINS0_14default_configENS1_27upper_bound_config_selectorIflEEZNS1_14transform_implILb0ES3_S5_N6thrust23THRUST_200600_302600_NS6detail15normal_iteratorINS8_7pointerIfNS8_11hip_rocprim5par_tENS8_11use_defaultESE_EEEENSA_INSB_IlSD_SE_SE_EEEEZNS1_13binary_searchIS3_S5_NSA_INS8_10device_ptrIfEEEESG_SI_NS1_21upper_bound_search_opENS9_16wrapped_functionINS8_6system6detail7generic6detail18binary_search_lessEbEEEE10hipError_tPvRmT1_T2_T3_mmT4_T5_P12ihipStream_tbEUlRKfE_EESV_SZ_S10_mS11_S14_bEUlT_E_NS1_11comp_targetILNS1_3genE4ELNS1_11target_archE910ELNS1_3gpuE8ELNS1_3repE0EEENS1_30default_config_static_selectorELNS0_4arch9wavefront6targetE1EEEvSY_,comdat
.Lfunc_end529:
	.size	_ZN7rocprim17ROCPRIM_400000_NS6detail17trampoline_kernelINS0_14default_configENS1_27upper_bound_config_selectorIflEEZNS1_14transform_implILb0ES3_S5_N6thrust23THRUST_200600_302600_NS6detail15normal_iteratorINS8_7pointerIfNS8_11hip_rocprim5par_tENS8_11use_defaultESE_EEEENSA_INSB_IlSD_SE_SE_EEEEZNS1_13binary_searchIS3_S5_NSA_INS8_10device_ptrIfEEEESG_SI_NS1_21upper_bound_search_opENS9_16wrapped_functionINS8_6system6detail7generic6detail18binary_search_lessEbEEEE10hipError_tPvRmT1_T2_T3_mmT4_T5_P12ihipStream_tbEUlRKfE_EESV_SZ_S10_mS11_S14_bEUlT_E_NS1_11comp_targetILNS1_3genE4ELNS1_11target_archE910ELNS1_3gpuE8ELNS1_3repE0EEENS1_30default_config_static_selectorELNS0_4arch9wavefront6targetE1EEEvSY_, .Lfunc_end529-_ZN7rocprim17ROCPRIM_400000_NS6detail17trampoline_kernelINS0_14default_configENS1_27upper_bound_config_selectorIflEEZNS1_14transform_implILb0ES3_S5_N6thrust23THRUST_200600_302600_NS6detail15normal_iteratorINS8_7pointerIfNS8_11hip_rocprim5par_tENS8_11use_defaultESE_EEEENSA_INSB_IlSD_SE_SE_EEEEZNS1_13binary_searchIS3_S5_NSA_INS8_10device_ptrIfEEEESG_SI_NS1_21upper_bound_search_opENS9_16wrapped_functionINS8_6system6detail7generic6detail18binary_search_lessEbEEEE10hipError_tPvRmT1_T2_T3_mmT4_T5_P12ihipStream_tbEUlRKfE_EESV_SZ_S10_mS11_S14_bEUlT_E_NS1_11comp_targetILNS1_3genE4ELNS1_11target_archE910ELNS1_3gpuE8ELNS1_3repE0EEENS1_30default_config_static_selectorELNS0_4arch9wavefront6targetE1EEEvSY_
                                        ; -- End function
	.set _ZN7rocprim17ROCPRIM_400000_NS6detail17trampoline_kernelINS0_14default_configENS1_27upper_bound_config_selectorIflEEZNS1_14transform_implILb0ES3_S5_N6thrust23THRUST_200600_302600_NS6detail15normal_iteratorINS8_7pointerIfNS8_11hip_rocprim5par_tENS8_11use_defaultESE_EEEENSA_INSB_IlSD_SE_SE_EEEEZNS1_13binary_searchIS3_S5_NSA_INS8_10device_ptrIfEEEESG_SI_NS1_21upper_bound_search_opENS9_16wrapped_functionINS8_6system6detail7generic6detail18binary_search_lessEbEEEE10hipError_tPvRmT1_T2_T3_mmT4_T5_P12ihipStream_tbEUlRKfE_EESV_SZ_S10_mS11_S14_bEUlT_E_NS1_11comp_targetILNS1_3genE4ELNS1_11target_archE910ELNS1_3gpuE8ELNS1_3repE0EEENS1_30default_config_static_selectorELNS0_4arch9wavefront6targetE1EEEvSY_.num_vgpr, 0
	.set _ZN7rocprim17ROCPRIM_400000_NS6detail17trampoline_kernelINS0_14default_configENS1_27upper_bound_config_selectorIflEEZNS1_14transform_implILb0ES3_S5_N6thrust23THRUST_200600_302600_NS6detail15normal_iteratorINS8_7pointerIfNS8_11hip_rocprim5par_tENS8_11use_defaultESE_EEEENSA_INSB_IlSD_SE_SE_EEEEZNS1_13binary_searchIS3_S5_NSA_INS8_10device_ptrIfEEEESG_SI_NS1_21upper_bound_search_opENS9_16wrapped_functionINS8_6system6detail7generic6detail18binary_search_lessEbEEEE10hipError_tPvRmT1_T2_T3_mmT4_T5_P12ihipStream_tbEUlRKfE_EESV_SZ_S10_mS11_S14_bEUlT_E_NS1_11comp_targetILNS1_3genE4ELNS1_11target_archE910ELNS1_3gpuE8ELNS1_3repE0EEENS1_30default_config_static_selectorELNS0_4arch9wavefront6targetE1EEEvSY_.num_agpr, 0
	.set _ZN7rocprim17ROCPRIM_400000_NS6detail17trampoline_kernelINS0_14default_configENS1_27upper_bound_config_selectorIflEEZNS1_14transform_implILb0ES3_S5_N6thrust23THRUST_200600_302600_NS6detail15normal_iteratorINS8_7pointerIfNS8_11hip_rocprim5par_tENS8_11use_defaultESE_EEEENSA_INSB_IlSD_SE_SE_EEEEZNS1_13binary_searchIS3_S5_NSA_INS8_10device_ptrIfEEEESG_SI_NS1_21upper_bound_search_opENS9_16wrapped_functionINS8_6system6detail7generic6detail18binary_search_lessEbEEEE10hipError_tPvRmT1_T2_T3_mmT4_T5_P12ihipStream_tbEUlRKfE_EESV_SZ_S10_mS11_S14_bEUlT_E_NS1_11comp_targetILNS1_3genE4ELNS1_11target_archE910ELNS1_3gpuE8ELNS1_3repE0EEENS1_30default_config_static_selectorELNS0_4arch9wavefront6targetE1EEEvSY_.numbered_sgpr, 0
	.set _ZN7rocprim17ROCPRIM_400000_NS6detail17trampoline_kernelINS0_14default_configENS1_27upper_bound_config_selectorIflEEZNS1_14transform_implILb0ES3_S5_N6thrust23THRUST_200600_302600_NS6detail15normal_iteratorINS8_7pointerIfNS8_11hip_rocprim5par_tENS8_11use_defaultESE_EEEENSA_INSB_IlSD_SE_SE_EEEEZNS1_13binary_searchIS3_S5_NSA_INS8_10device_ptrIfEEEESG_SI_NS1_21upper_bound_search_opENS9_16wrapped_functionINS8_6system6detail7generic6detail18binary_search_lessEbEEEE10hipError_tPvRmT1_T2_T3_mmT4_T5_P12ihipStream_tbEUlRKfE_EESV_SZ_S10_mS11_S14_bEUlT_E_NS1_11comp_targetILNS1_3genE4ELNS1_11target_archE910ELNS1_3gpuE8ELNS1_3repE0EEENS1_30default_config_static_selectorELNS0_4arch9wavefront6targetE1EEEvSY_.num_named_barrier, 0
	.set _ZN7rocprim17ROCPRIM_400000_NS6detail17trampoline_kernelINS0_14default_configENS1_27upper_bound_config_selectorIflEEZNS1_14transform_implILb0ES3_S5_N6thrust23THRUST_200600_302600_NS6detail15normal_iteratorINS8_7pointerIfNS8_11hip_rocprim5par_tENS8_11use_defaultESE_EEEENSA_INSB_IlSD_SE_SE_EEEEZNS1_13binary_searchIS3_S5_NSA_INS8_10device_ptrIfEEEESG_SI_NS1_21upper_bound_search_opENS9_16wrapped_functionINS8_6system6detail7generic6detail18binary_search_lessEbEEEE10hipError_tPvRmT1_T2_T3_mmT4_T5_P12ihipStream_tbEUlRKfE_EESV_SZ_S10_mS11_S14_bEUlT_E_NS1_11comp_targetILNS1_3genE4ELNS1_11target_archE910ELNS1_3gpuE8ELNS1_3repE0EEENS1_30default_config_static_selectorELNS0_4arch9wavefront6targetE1EEEvSY_.private_seg_size, 0
	.set _ZN7rocprim17ROCPRIM_400000_NS6detail17trampoline_kernelINS0_14default_configENS1_27upper_bound_config_selectorIflEEZNS1_14transform_implILb0ES3_S5_N6thrust23THRUST_200600_302600_NS6detail15normal_iteratorINS8_7pointerIfNS8_11hip_rocprim5par_tENS8_11use_defaultESE_EEEENSA_INSB_IlSD_SE_SE_EEEEZNS1_13binary_searchIS3_S5_NSA_INS8_10device_ptrIfEEEESG_SI_NS1_21upper_bound_search_opENS9_16wrapped_functionINS8_6system6detail7generic6detail18binary_search_lessEbEEEE10hipError_tPvRmT1_T2_T3_mmT4_T5_P12ihipStream_tbEUlRKfE_EESV_SZ_S10_mS11_S14_bEUlT_E_NS1_11comp_targetILNS1_3genE4ELNS1_11target_archE910ELNS1_3gpuE8ELNS1_3repE0EEENS1_30default_config_static_selectorELNS0_4arch9wavefront6targetE1EEEvSY_.uses_vcc, 0
	.set _ZN7rocprim17ROCPRIM_400000_NS6detail17trampoline_kernelINS0_14default_configENS1_27upper_bound_config_selectorIflEEZNS1_14transform_implILb0ES3_S5_N6thrust23THRUST_200600_302600_NS6detail15normal_iteratorINS8_7pointerIfNS8_11hip_rocprim5par_tENS8_11use_defaultESE_EEEENSA_INSB_IlSD_SE_SE_EEEEZNS1_13binary_searchIS3_S5_NSA_INS8_10device_ptrIfEEEESG_SI_NS1_21upper_bound_search_opENS9_16wrapped_functionINS8_6system6detail7generic6detail18binary_search_lessEbEEEE10hipError_tPvRmT1_T2_T3_mmT4_T5_P12ihipStream_tbEUlRKfE_EESV_SZ_S10_mS11_S14_bEUlT_E_NS1_11comp_targetILNS1_3genE4ELNS1_11target_archE910ELNS1_3gpuE8ELNS1_3repE0EEENS1_30default_config_static_selectorELNS0_4arch9wavefront6targetE1EEEvSY_.uses_flat_scratch, 0
	.set _ZN7rocprim17ROCPRIM_400000_NS6detail17trampoline_kernelINS0_14default_configENS1_27upper_bound_config_selectorIflEEZNS1_14transform_implILb0ES3_S5_N6thrust23THRUST_200600_302600_NS6detail15normal_iteratorINS8_7pointerIfNS8_11hip_rocprim5par_tENS8_11use_defaultESE_EEEENSA_INSB_IlSD_SE_SE_EEEEZNS1_13binary_searchIS3_S5_NSA_INS8_10device_ptrIfEEEESG_SI_NS1_21upper_bound_search_opENS9_16wrapped_functionINS8_6system6detail7generic6detail18binary_search_lessEbEEEE10hipError_tPvRmT1_T2_T3_mmT4_T5_P12ihipStream_tbEUlRKfE_EESV_SZ_S10_mS11_S14_bEUlT_E_NS1_11comp_targetILNS1_3genE4ELNS1_11target_archE910ELNS1_3gpuE8ELNS1_3repE0EEENS1_30default_config_static_selectorELNS0_4arch9wavefront6targetE1EEEvSY_.has_dyn_sized_stack, 0
	.set _ZN7rocprim17ROCPRIM_400000_NS6detail17trampoline_kernelINS0_14default_configENS1_27upper_bound_config_selectorIflEEZNS1_14transform_implILb0ES3_S5_N6thrust23THRUST_200600_302600_NS6detail15normal_iteratorINS8_7pointerIfNS8_11hip_rocprim5par_tENS8_11use_defaultESE_EEEENSA_INSB_IlSD_SE_SE_EEEEZNS1_13binary_searchIS3_S5_NSA_INS8_10device_ptrIfEEEESG_SI_NS1_21upper_bound_search_opENS9_16wrapped_functionINS8_6system6detail7generic6detail18binary_search_lessEbEEEE10hipError_tPvRmT1_T2_T3_mmT4_T5_P12ihipStream_tbEUlRKfE_EESV_SZ_S10_mS11_S14_bEUlT_E_NS1_11comp_targetILNS1_3genE4ELNS1_11target_archE910ELNS1_3gpuE8ELNS1_3repE0EEENS1_30default_config_static_selectorELNS0_4arch9wavefront6targetE1EEEvSY_.has_recursion, 0
	.set _ZN7rocprim17ROCPRIM_400000_NS6detail17trampoline_kernelINS0_14default_configENS1_27upper_bound_config_selectorIflEEZNS1_14transform_implILb0ES3_S5_N6thrust23THRUST_200600_302600_NS6detail15normal_iteratorINS8_7pointerIfNS8_11hip_rocprim5par_tENS8_11use_defaultESE_EEEENSA_INSB_IlSD_SE_SE_EEEEZNS1_13binary_searchIS3_S5_NSA_INS8_10device_ptrIfEEEESG_SI_NS1_21upper_bound_search_opENS9_16wrapped_functionINS8_6system6detail7generic6detail18binary_search_lessEbEEEE10hipError_tPvRmT1_T2_T3_mmT4_T5_P12ihipStream_tbEUlRKfE_EESV_SZ_S10_mS11_S14_bEUlT_E_NS1_11comp_targetILNS1_3genE4ELNS1_11target_archE910ELNS1_3gpuE8ELNS1_3repE0EEENS1_30default_config_static_selectorELNS0_4arch9wavefront6targetE1EEEvSY_.has_indirect_call, 0
	.section	.AMDGPU.csdata,"",@progbits
; Kernel info:
; codeLenInByte = 0
; TotalNumSgprs: 4
; NumVgprs: 0
; ScratchSize: 0
; MemoryBound: 0
; FloatMode: 240
; IeeeMode: 1
; LDSByteSize: 0 bytes/workgroup (compile time only)
; SGPRBlocks: 0
; VGPRBlocks: 0
; NumSGPRsForWavesPerEU: 4
; NumVGPRsForWavesPerEU: 1
; Occupancy: 10
; WaveLimiterHint : 0
; COMPUTE_PGM_RSRC2:SCRATCH_EN: 0
; COMPUTE_PGM_RSRC2:USER_SGPR: 6
; COMPUTE_PGM_RSRC2:TRAP_HANDLER: 0
; COMPUTE_PGM_RSRC2:TGID_X_EN: 1
; COMPUTE_PGM_RSRC2:TGID_Y_EN: 0
; COMPUTE_PGM_RSRC2:TGID_Z_EN: 0
; COMPUTE_PGM_RSRC2:TIDIG_COMP_CNT: 0
	.section	.text._ZN7rocprim17ROCPRIM_400000_NS6detail17trampoline_kernelINS0_14default_configENS1_27upper_bound_config_selectorIflEEZNS1_14transform_implILb0ES3_S5_N6thrust23THRUST_200600_302600_NS6detail15normal_iteratorINS8_7pointerIfNS8_11hip_rocprim5par_tENS8_11use_defaultESE_EEEENSA_INSB_IlSD_SE_SE_EEEEZNS1_13binary_searchIS3_S5_NSA_INS8_10device_ptrIfEEEESG_SI_NS1_21upper_bound_search_opENS9_16wrapped_functionINS8_6system6detail7generic6detail18binary_search_lessEbEEEE10hipError_tPvRmT1_T2_T3_mmT4_T5_P12ihipStream_tbEUlRKfE_EESV_SZ_S10_mS11_S14_bEUlT_E_NS1_11comp_targetILNS1_3genE3ELNS1_11target_archE908ELNS1_3gpuE7ELNS1_3repE0EEENS1_30default_config_static_selectorELNS0_4arch9wavefront6targetE1EEEvSY_,"axG",@progbits,_ZN7rocprim17ROCPRIM_400000_NS6detail17trampoline_kernelINS0_14default_configENS1_27upper_bound_config_selectorIflEEZNS1_14transform_implILb0ES3_S5_N6thrust23THRUST_200600_302600_NS6detail15normal_iteratorINS8_7pointerIfNS8_11hip_rocprim5par_tENS8_11use_defaultESE_EEEENSA_INSB_IlSD_SE_SE_EEEEZNS1_13binary_searchIS3_S5_NSA_INS8_10device_ptrIfEEEESG_SI_NS1_21upper_bound_search_opENS9_16wrapped_functionINS8_6system6detail7generic6detail18binary_search_lessEbEEEE10hipError_tPvRmT1_T2_T3_mmT4_T5_P12ihipStream_tbEUlRKfE_EESV_SZ_S10_mS11_S14_bEUlT_E_NS1_11comp_targetILNS1_3genE3ELNS1_11target_archE908ELNS1_3gpuE7ELNS1_3repE0EEENS1_30default_config_static_selectorELNS0_4arch9wavefront6targetE1EEEvSY_,comdat
	.protected	_ZN7rocprim17ROCPRIM_400000_NS6detail17trampoline_kernelINS0_14default_configENS1_27upper_bound_config_selectorIflEEZNS1_14transform_implILb0ES3_S5_N6thrust23THRUST_200600_302600_NS6detail15normal_iteratorINS8_7pointerIfNS8_11hip_rocprim5par_tENS8_11use_defaultESE_EEEENSA_INSB_IlSD_SE_SE_EEEEZNS1_13binary_searchIS3_S5_NSA_INS8_10device_ptrIfEEEESG_SI_NS1_21upper_bound_search_opENS9_16wrapped_functionINS8_6system6detail7generic6detail18binary_search_lessEbEEEE10hipError_tPvRmT1_T2_T3_mmT4_T5_P12ihipStream_tbEUlRKfE_EESV_SZ_S10_mS11_S14_bEUlT_E_NS1_11comp_targetILNS1_3genE3ELNS1_11target_archE908ELNS1_3gpuE7ELNS1_3repE0EEENS1_30default_config_static_selectorELNS0_4arch9wavefront6targetE1EEEvSY_ ; -- Begin function _ZN7rocprim17ROCPRIM_400000_NS6detail17trampoline_kernelINS0_14default_configENS1_27upper_bound_config_selectorIflEEZNS1_14transform_implILb0ES3_S5_N6thrust23THRUST_200600_302600_NS6detail15normal_iteratorINS8_7pointerIfNS8_11hip_rocprim5par_tENS8_11use_defaultESE_EEEENSA_INSB_IlSD_SE_SE_EEEEZNS1_13binary_searchIS3_S5_NSA_INS8_10device_ptrIfEEEESG_SI_NS1_21upper_bound_search_opENS9_16wrapped_functionINS8_6system6detail7generic6detail18binary_search_lessEbEEEE10hipError_tPvRmT1_T2_T3_mmT4_T5_P12ihipStream_tbEUlRKfE_EESV_SZ_S10_mS11_S14_bEUlT_E_NS1_11comp_targetILNS1_3genE3ELNS1_11target_archE908ELNS1_3gpuE7ELNS1_3repE0EEENS1_30default_config_static_selectorELNS0_4arch9wavefront6targetE1EEEvSY_
	.globl	_ZN7rocprim17ROCPRIM_400000_NS6detail17trampoline_kernelINS0_14default_configENS1_27upper_bound_config_selectorIflEEZNS1_14transform_implILb0ES3_S5_N6thrust23THRUST_200600_302600_NS6detail15normal_iteratorINS8_7pointerIfNS8_11hip_rocprim5par_tENS8_11use_defaultESE_EEEENSA_INSB_IlSD_SE_SE_EEEEZNS1_13binary_searchIS3_S5_NSA_INS8_10device_ptrIfEEEESG_SI_NS1_21upper_bound_search_opENS9_16wrapped_functionINS8_6system6detail7generic6detail18binary_search_lessEbEEEE10hipError_tPvRmT1_T2_T3_mmT4_T5_P12ihipStream_tbEUlRKfE_EESV_SZ_S10_mS11_S14_bEUlT_E_NS1_11comp_targetILNS1_3genE3ELNS1_11target_archE908ELNS1_3gpuE7ELNS1_3repE0EEENS1_30default_config_static_selectorELNS0_4arch9wavefront6targetE1EEEvSY_
	.p2align	8
	.type	_ZN7rocprim17ROCPRIM_400000_NS6detail17trampoline_kernelINS0_14default_configENS1_27upper_bound_config_selectorIflEEZNS1_14transform_implILb0ES3_S5_N6thrust23THRUST_200600_302600_NS6detail15normal_iteratorINS8_7pointerIfNS8_11hip_rocprim5par_tENS8_11use_defaultESE_EEEENSA_INSB_IlSD_SE_SE_EEEEZNS1_13binary_searchIS3_S5_NSA_INS8_10device_ptrIfEEEESG_SI_NS1_21upper_bound_search_opENS9_16wrapped_functionINS8_6system6detail7generic6detail18binary_search_lessEbEEEE10hipError_tPvRmT1_T2_T3_mmT4_T5_P12ihipStream_tbEUlRKfE_EESV_SZ_S10_mS11_S14_bEUlT_E_NS1_11comp_targetILNS1_3genE3ELNS1_11target_archE908ELNS1_3gpuE7ELNS1_3repE0EEENS1_30default_config_static_selectorELNS0_4arch9wavefront6targetE1EEEvSY_,@function
_ZN7rocprim17ROCPRIM_400000_NS6detail17trampoline_kernelINS0_14default_configENS1_27upper_bound_config_selectorIflEEZNS1_14transform_implILb0ES3_S5_N6thrust23THRUST_200600_302600_NS6detail15normal_iteratorINS8_7pointerIfNS8_11hip_rocprim5par_tENS8_11use_defaultESE_EEEENSA_INSB_IlSD_SE_SE_EEEEZNS1_13binary_searchIS3_S5_NSA_INS8_10device_ptrIfEEEESG_SI_NS1_21upper_bound_search_opENS9_16wrapped_functionINS8_6system6detail7generic6detail18binary_search_lessEbEEEE10hipError_tPvRmT1_T2_T3_mmT4_T5_P12ihipStream_tbEUlRKfE_EESV_SZ_S10_mS11_S14_bEUlT_E_NS1_11comp_targetILNS1_3genE3ELNS1_11target_archE908ELNS1_3gpuE7ELNS1_3repE0EEENS1_30default_config_static_selectorELNS0_4arch9wavefront6targetE1EEEvSY_: ; @_ZN7rocprim17ROCPRIM_400000_NS6detail17trampoline_kernelINS0_14default_configENS1_27upper_bound_config_selectorIflEEZNS1_14transform_implILb0ES3_S5_N6thrust23THRUST_200600_302600_NS6detail15normal_iteratorINS8_7pointerIfNS8_11hip_rocprim5par_tENS8_11use_defaultESE_EEEENSA_INSB_IlSD_SE_SE_EEEEZNS1_13binary_searchIS3_S5_NSA_INS8_10device_ptrIfEEEESG_SI_NS1_21upper_bound_search_opENS9_16wrapped_functionINS8_6system6detail7generic6detail18binary_search_lessEbEEEE10hipError_tPvRmT1_T2_T3_mmT4_T5_P12ihipStream_tbEUlRKfE_EESV_SZ_S10_mS11_S14_bEUlT_E_NS1_11comp_targetILNS1_3genE3ELNS1_11target_archE908ELNS1_3gpuE7ELNS1_3repE0EEENS1_30default_config_static_selectorELNS0_4arch9wavefront6targetE1EEEvSY_
; %bb.0:
	.section	.rodata,"a",@progbits
	.p2align	6, 0x0
	.amdhsa_kernel _ZN7rocprim17ROCPRIM_400000_NS6detail17trampoline_kernelINS0_14default_configENS1_27upper_bound_config_selectorIflEEZNS1_14transform_implILb0ES3_S5_N6thrust23THRUST_200600_302600_NS6detail15normal_iteratorINS8_7pointerIfNS8_11hip_rocprim5par_tENS8_11use_defaultESE_EEEENSA_INSB_IlSD_SE_SE_EEEEZNS1_13binary_searchIS3_S5_NSA_INS8_10device_ptrIfEEEESG_SI_NS1_21upper_bound_search_opENS9_16wrapped_functionINS8_6system6detail7generic6detail18binary_search_lessEbEEEE10hipError_tPvRmT1_T2_T3_mmT4_T5_P12ihipStream_tbEUlRKfE_EESV_SZ_S10_mS11_S14_bEUlT_E_NS1_11comp_targetILNS1_3genE3ELNS1_11target_archE908ELNS1_3gpuE7ELNS1_3repE0EEENS1_30default_config_static_selectorELNS0_4arch9wavefront6targetE1EEEvSY_
		.amdhsa_group_segment_fixed_size 0
		.amdhsa_private_segment_fixed_size 0
		.amdhsa_kernarg_size 56
		.amdhsa_user_sgpr_count 6
		.amdhsa_user_sgpr_private_segment_buffer 1
		.amdhsa_user_sgpr_dispatch_ptr 0
		.amdhsa_user_sgpr_queue_ptr 0
		.amdhsa_user_sgpr_kernarg_segment_ptr 1
		.amdhsa_user_sgpr_dispatch_id 0
		.amdhsa_user_sgpr_flat_scratch_init 0
		.amdhsa_user_sgpr_private_segment_size 0
		.amdhsa_uses_dynamic_stack 0
		.amdhsa_system_sgpr_private_segment_wavefront_offset 0
		.amdhsa_system_sgpr_workgroup_id_x 1
		.amdhsa_system_sgpr_workgroup_id_y 0
		.amdhsa_system_sgpr_workgroup_id_z 0
		.amdhsa_system_sgpr_workgroup_info 0
		.amdhsa_system_vgpr_workitem_id 0
		.amdhsa_next_free_vgpr 1
		.amdhsa_next_free_sgpr 0
		.amdhsa_reserve_vcc 0
		.amdhsa_reserve_flat_scratch 0
		.amdhsa_float_round_mode_32 0
		.amdhsa_float_round_mode_16_64 0
		.amdhsa_float_denorm_mode_32 3
		.amdhsa_float_denorm_mode_16_64 3
		.amdhsa_dx10_clamp 1
		.amdhsa_ieee_mode 1
		.amdhsa_fp16_overflow 0
		.amdhsa_exception_fp_ieee_invalid_op 0
		.amdhsa_exception_fp_denorm_src 0
		.amdhsa_exception_fp_ieee_div_zero 0
		.amdhsa_exception_fp_ieee_overflow 0
		.amdhsa_exception_fp_ieee_underflow 0
		.amdhsa_exception_fp_ieee_inexact 0
		.amdhsa_exception_int_div_zero 0
	.end_amdhsa_kernel
	.section	.text._ZN7rocprim17ROCPRIM_400000_NS6detail17trampoline_kernelINS0_14default_configENS1_27upper_bound_config_selectorIflEEZNS1_14transform_implILb0ES3_S5_N6thrust23THRUST_200600_302600_NS6detail15normal_iteratorINS8_7pointerIfNS8_11hip_rocprim5par_tENS8_11use_defaultESE_EEEENSA_INSB_IlSD_SE_SE_EEEEZNS1_13binary_searchIS3_S5_NSA_INS8_10device_ptrIfEEEESG_SI_NS1_21upper_bound_search_opENS9_16wrapped_functionINS8_6system6detail7generic6detail18binary_search_lessEbEEEE10hipError_tPvRmT1_T2_T3_mmT4_T5_P12ihipStream_tbEUlRKfE_EESV_SZ_S10_mS11_S14_bEUlT_E_NS1_11comp_targetILNS1_3genE3ELNS1_11target_archE908ELNS1_3gpuE7ELNS1_3repE0EEENS1_30default_config_static_selectorELNS0_4arch9wavefront6targetE1EEEvSY_,"axG",@progbits,_ZN7rocprim17ROCPRIM_400000_NS6detail17trampoline_kernelINS0_14default_configENS1_27upper_bound_config_selectorIflEEZNS1_14transform_implILb0ES3_S5_N6thrust23THRUST_200600_302600_NS6detail15normal_iteratorINS8_7pointerIfNS8_11hip_rocprim5par_tENS8_11use_defaultESE_EEEENSA_INSB_IlSD_SE_SE_EEEEZNS1_13binary_searchIS3_S5_NSA_INS8_10device_ptrIfEEEESG_SI_NS1_21upper_bound_search_opENS9_16wrapped_functionINS8_6system6detail7generic6detail18binary_search_lessEbEEEE10hipError_tPvRmT1_T2_T3_mmT4_T5_P12ihipStream_tbEUlRKfE_EESV_SZ_S10_mS11_S14_bEUlT_E_NS1_11comp_targetILNS1_3genE3ELNS1_11target_archE908ELNS1_3gpuE7ELNS1_3repE0EEENS1_30default_config_static_selectorELNS0_4arch9wavefront6targetE1EEEvSY_,comdat
.Lfunc_end530:
	.size	_ZN7rocprim17ROCPRIM_400000_NS6detail17trampoline_kernelINS0_14default_configENS1_27upper_bound_config_selectorIflEEZNS1_14transform_implILb0ES3_S5_N6thrust23THRUST_200600_302600_NS6detail15normal_iteratorINS8_7pointerIfNS8_11hip_rocprim5par_tENS8_11use_defaultESE_EEEENSA_INSB_IlSD_SE_SE_EEEEZNS1_13binary_searchIS3_S5_NSA_INS8_10device_ptrIfEEEESG_SI_NS1_21upper_bound_search_opENS9_16wrapped_functionINS8_6system6detail7generic6detail18binary_search_lessEbEEEE10hipError_tPvRmT1_T2_T3_mmT4_T5_P12ihipStream_tbEUlRKfE_EESV_SZ_S10_mS11_S14_bEUlT_E_NS1_11comp_targetILNS1_3genE3ELNS1_11target_archE908ELNS1_3gpuE7ELNS1_3repE0EEENS1_30default_config_static_selectorELNS0_4arch9wavefront6targetE1EEEvSY_, .Lfunc_end530-_ZN7rocprim17ROCPRIM_400000_NS6detail17trampoline_kernelINS0_14default_configENS1_27upper_bound_config_selectorIflEEZNS1_14transform_implILb0ES3_S5_N6thrust23THRUST_200600_302600_NS6detail15normal_iteratorINS8_7pointerIfNS8_11hip_rocprim5par_tENS8_11use_defaultESE_EEEENSA_INSB_IlSD_SE_SE_EEEEZNS1_13binary_searchIS3_S5_NSA_INS8_10device_ptrIfEEEESG_SI_NS1_21upper_bound_search_opENS9_16wrapped_functionINS8_6system6detail7generic6detail18binary_search_lessEbEEEE10hipError_tPvRmT1_T2_T3_mmT4_T5_P12ihipStream_tbEUlRKfE_EESV_SZ_S10_mS11_S14_bEUlT_E_NS1_11comp_targetILNS1_3genE3ELNS1_11target_archE908ELNS1_3gpuE7ELNS1_3repE0EEENS1_30default_config_static_selectorELNS0_4arch9wavefront6targetE1EEEvSY_
                                        ; -- End function
	.set _ZN7rocprim17ROCPRIM_400000_NS6detail17trampoline_kernelINS0_14default_configENS1_27upper_bound_config_selectorIflEEZNS1_14transform_implILb0ES3_S5_N6thrust23THRUST_200600_302600_NS6detail15normal_iteratorINS8_7pointerIfNS8_11hip_rocprim5par_tENS8_11use_defaultESE_EEEENSA_INSB_IlSD_SE_SE_EEEEZNS1_13binary_searchIS3_S5_NSA_INS8_10device_ptrIfEEEESG_SI_NS1_21upper_bound_search_opENS9_16wrapped_functionINS8_6system6detail7generic6detail18binary_search_lessEbEEEE10hipError_tPvRmT1_T2_T3_mmT4_T5_P12ihipStream_tbEUlRKfE_EESV_SZ_S10_mS11_S14_bEUlT_E_NS1_11comp_targetILNS1_3genE3ELNS1_11target_archE908ELNS1_3gpuE7ELNS1_3repE0EEENS1_30default_config_static_selectorELNS0_4arch9wavefront6targetE1EEEvSY_.num_vgpr, 0
	.set _ZN7rocprim17ROCPRIM_400000_NS6detail17trampoline_kernelINS0_14default_configENS1_27upper_bound_config_selectorIflEEZNS1_14transform_implILb0ES3_S5_N6thrust23THRUST_200600_302600_NS6detail15normal_iteratorINS8_7pointerIfNS8_11hip_rocprim5par_tENS8_11use_defaultESE_EEEENSA_INSB_IlSD_SE_SE_EEEEZNS1_13binary_searchIS3_S5_NSA_INS8_10device_ptrIfEEEESG_SI_NS1_21upper_bound_search_opENS9_16wrapped_functionINS8_6system6detail7generic6detail18binary_search_lessEbEEEE10hipError_tPvRmT1_T2_T3_mmT4_T5_P12ihipStream_tbEUlRKfE_EESV_SZ_S10_mS11_S14_bEUlT_E_NS1_11comp_targetILNS1_3genE3ELNS1_11target_archE908ELNS1_3gpuE7ELNS1_3repE0EEENS1_30default_config_static_selectorELNS0_4arch9wavefront6targetE1EEEvSY_.num_agpr, 0
	.set _ZN7rocprim17ROCPRIM_400000_NS6detail17trampoline_kernelINS0_14default_configENS1_27upper_bound_config_selectorIflEEZNS1_14transform_implILb0ES3_S5_N6thrust23THRUST_200600_302600_NS6detail15normal_iteratorINS8_7pointerIfNS8_11hip_rocprim5par_tENS8_11use_defaultESE_EEEENSA_INSB_IlSD_SE_SE_EEEEZNS1_13binary_searchIS3_S5_NSA_INS8_10device_ptrIfEEEESG_SI_NS1_21upper_bound_search_opENS9_16wrapped_functionINS8_6system6detail7generic6detail18binary_search_lessEbEEEE10hipError_tPvRmT1_T2_T3_mmT4_T5_P12ihipStream_tbEUlRKfE_EESV_SZ_S10_mS11_S14_bEUlT_E_NS1_11comp_targetILNS1_3genE3ELNS1_11target_archE908ELNS1_3gpuE7ELNS1_3repE0EEENS1_30default_config_static_selectorELNS0_4arch9wavefront6targetE1EEEvSY_.numbered_sgpr, 0
	.set _ZN7rocprim17ROCPRIM_400000_NS6detail17trampoline_kernelINS0_14default_configENS1_27upper_bound_config_selectorIflEEZNS1_14transform_implILb0ES3_S5_N6thrust23THRUST_200600_302600_NS6detail15normal_iteratorINS8_7pointerIfNS8_11hip_rocprim5par_tENS8_11use_defaultESE_EEEENSA_INSB_IlSD_SE_SE_EEEEZNS1_13binary_searchIS3_S5_NSA_INS8_10device_ptrIfEEEESG_SI_NS1_21upper_bound_search_opENS9_16wrapped_functionINS8_6system6detail7generic6detail18binary_search_lessEbEEEE10hipError_tPvRmT1_T2_T3_mmT4_T5_P12ihipStream_tbEUlRKfE_EESV_SZ_S10_mS11_S14_bEUlT_E_NS1_11comp_targetILNS1_3genE3ELNS1_11target_archE908ELNS1_3gpuE7ELNS1_3repE0EEENS1_30default_config_static_selectorELNS0_4arch9wavefront6targetE1EEEvSY_.num_named_barrier, 0
	.set _ZN7rocprim17ROCPRIM_400000_NS6detail17trampoline_kernelINS0_14default_configENS1_27upper_bound_config_selectorIflEEZNS1_14transform_implILb0ES3_S5_N6thrust23THRUST_200600_302600_NS6detail15normal_iteratorINS8_7pointerIfNS8_11hip_rocprim5par_tENS8_11use_defaultESE_EEEENSA_INSB_IlSD_SE_SE_EEEEZNS1_13binary_searchIS3_S5_NSA_INS8_10device_ptrIfEEEESG_SI_NS1_21upper_bound_search_opENS9_16wrapped_functionINS8_6system6detail7generic6detail18binary_search_lessEbEEEE10hipError_tPvRmT1_T2_T3_mmT4_T5_P12ihipStream_tbEUlRKfE_EESV_SZ_S10_mS11_S14_bEUlT_E_NS1_11comp_targetILNS1_3genE3ELNS1_11target_archE908ELNS1_3gpuE7ELNS1_3repE0EEENS1_30default_config_static_selectorELNS0_4arch9wavefront6targetE1EEEvSY_.private_seg_size, 0
	.set _ZN7rocprim17ROCPRIM_400000_NS6detail17trampoline_kernelINS0_14default_configENS1_27upper_bound_config_selectorIflEEZNS1_14transform_implILb0ES3_S5_N6thrust23THRUST_200600_302600_NS6detail15normal_iteratorINS8_7pointerIfNS8_11hip_rocprim5par_tENS8_11use_defaultESE_EEEENSA_INSB_IlSD_SE_SE_EEEEZNS1_13binary_searchIS3_S5_NSA_INS8_10device_ptrIfEEEESG_SI_NS1_21upper_bound_search_opENS9_16wrapped_functionINS8_6system6detail7generic6detail18binary_search_lessEbEEEE10hipError_tPvRmT1_T2_T3_mmT4_T5_P12ihipStream_tbEUlRKfE_EESV_SZ_S10_mS11_S14_bEUlT_E_NS1_11comp_targetILNS1_3genE3ELNS1_11target_archE908ELNS1_3gpuE7ELNS1_3repE0EEENS1_30default_config_static_selectorELNS0_4arch9wavefront6targetE1EEEvSY_.uses_vcc, 0
	.set _ZN7rocprim17ROCPRIM_400000_NS6detail17trampoline_kernelINS0_14default_configENS1_27upper_bound_config_selectorIflEEZNS1_14transform_implILb0ES3_S5_N6thrust23THRUST_200600_302600_NS6detail15normal_iteratorINS8_7pointerIfNS8_11hip_rocprim5par_tENS8_11use_defaultESE_EEEENSA_INSB_IlSD_SE_SE_EEEEZNS1_13binary_searchIS3_S5_NSA_INS8_10device_ptrIfEEEESG_SI_NS1_21upper_bound_search_opENS9_16wrapped_functionINS8_6system6detail7generic6detail18binary_search_lessEbEEEE10hipError_tPvRmT1_T2_T3_mmT4_T5_P12ihipStream_tbEUlRKfE_EESV_SZ_S10_mS11_S14_bEUlT_E_NS1_11comp_targetILNS1_3genE3ELNS1_11target_archE908ELNS1_3gpuE7ELNS1_3repE0EEENS1_30default_config_static_selectorELNS0_4arch9wavefront6targetE1EEEvSY_.uses_flat_scratch, 0
	.set _ZN7rocprim17ROCPRIM_400000_NS6detail17trampoline_kernelINS0_14default_configENS1_27upper_bound_config_selectorIflEEZNS1_14transform_implILb0ES3_S5_N6thrust23THRUST_200600_302600_NS6detail15normal_iteratorINS8_7pointerIfNS8_11hip_rocprim5par_tENS8_11use_defaultESE_EEEENSA_INSB_IlSD_SE_SE_EEEEZNS1_13binary_searchIS3_S5_NSA_INS8_10device_ptrIfEEEESG_SI_NS1_21upper_bound_search_opENS9_16wrapped_functionINS8_6system6detail7generic6detail18binary_search_lessEbEEEE10hipError_tPvRmT1_T2_T3_mmT4_T5_P12ihipStream_tbEUlRKfE_EESV_SZ_S10_mS11_S14_bEUlT_E_NS1_11comp_targetILNS1_3genE3ELNS1_11target_archE908ELNS1_3gpuE7ELNS1_3repE0EEENS1_30default_config_static_selectorELNS0_4arch9wavefront6targetE1EEEvSY_.has_dyn_sized_stack, 0
	.set _ZN7rocprim17ROCPRIM_400000_NS6detail17trampoline_kernelINS0_14default_configENS1_27upper_bound_config_selectorIflEEZNS1_14transform_implILb0ES3_S5_N6thrust23THRUST_200600_302600_NS6detail15normal_iteratorINS8_7pointerIfNS8_11hip_rocprim5par_tENS8_11use_defaultESE_EEEENSA_INSB_IlSD_SE_SE_EEEEZNS1_13binary_searchIS3_S5_NSA_INS8_10device_ptrIfEEEESG_SI_NS1_21upper_bound_search_opENS9_16wrapped_functionINS8_6system6detail7generic6detail18binary_search_lessEbEEEE10hipError_tPvRmT1_T2_T3_mmT4_T5_P12ihipStream_tbEUlRKfE_EESV_SZ_S10_mS11_S14_bEUlT_E_NS1_11comp_targetILNS1_3genE3ELNS1_11target_archE908ELNS1_3gpuE7ELNS1_3repE0EEENS1_30default_config_static_selectorELNS0_4arch9wavefront6targetE1EEEvSY_.has_recursion, 0
	.set _ZN7rocprim17ROCPRIM_400000_NS6detail17trampoline_kernelINS0_14default_configENS1_27upper_bound_config_selectorIflEEZNS1_14transform_implILb0ES3_S5_N6thrust23THRUST_200600_302600_NS6detail15normal_iteratorINS8_7pointerIfNS8_11hip_rocprim5par_tENS8_11use_defaultESE_EEEENSA_INSB_IlSD_SE_SE_EEEEZNS1_13binary_searchIS3_S5_NSA_INS8_10device_ptrIfEEEESG_SI_NS1_21upper_bound_search_opENS9_16wrapped_functionINS8_6system6detail7generic6detail18binary_search_lessEbEEEE10hipError_tPvRmT1_T2_T3_mmT4_T5_P12ihipStream_tbEUlRKfE_EESV_SZ_S10_mS11_S14_bEUlT_E_NS1_11comp_targetILNS1_3genE3ELNS1_11target_archE908ELNS1_3gpuE7ELNS1_3repE0EEENS1_30default_config_static_selectorELNS0_4arch9wavefront6targetE1EEEvSY_.has_indirect_call, 0
	.section	.AMDGPU.csdata,"",@progbits
; Kernel info:
; codeLenInByte = 0
; TotalNumSgprs: 4
; NumVgprs: 0
; ScratchSize: 0
; MemoryBound: 0
; FloatMode: 240
; IeeeMode: 1
; LDSByteSize: 0 bytes/workgroup (compile time only)
; SGPRBlocks: 0
; VGPRBlocks: 0
; NumSGPRsForWavesPerEU: 4
; NumVGPRsForWavesPerEU: 1
; Occupancy: 10
; WaveLimiterHint : 0
; COMPUTE_PGM_RSRC2:SCRATCH_EN: 0
; COMPUTE_PGM_RSRC2:USER_SGPR: 6
; COMPUTE_PGM_RSRC2:TRAP_HANDLER: 0
; COMPUTE_PGM_RSRC2:TGID_X_EN: 1
; COMPUTE_PGM_RSRC2:TGID_Y_EN: 0
; COMPUTE_PGM_RSRC2:TGID_Z_EN: 0
; COMPUTE_PGM_RSRC2:TIDIG_COMP_CNT: 0
	.section	.text._ZN7rocprim17ROCPRIM_400000_NS6detail17trampoline_kernelINS0_14default_configENS1_27upper_bound_config_selectorIflEEZNS1_14transform_implILb0ES3_S5_N6thrust23THRUST_200600_302600_NS6detail15normal_iteratorINS8_7pointerIfNS8_11hip_rocprim5par_tENS8_11use_defaultESE_EEEENSA_INSB_IlSD_SE_SE_EEEEZNS1_13binary_searchIS3_S5_NSA_INS8_10device_ptrIfEEEESG_SI_NS1_21upper_bound_search_opENS9_16wrapped_functionINS8_6system6detail7generic6detail18binary_search_lessEbEEEE10hipError_tPvRmT1_T2_T3_mmT4_T5_P12ihipStream_tbEUlRKfE_EESV_SZ_S10_mS11_S14_bEUlT_E_NS1_11comp_targetILNS1_3genE2ELNS1_11target_archE906ELNS1_3gpuE6ELNS1_3repE0EEENS1_30default_config_static_selectorELNS0_4arch9wavefront6targetE1EEEvSY_,"axG",@progbits,_ZN7rocprim17ROCPRIM_400000_NS6detail17trampoline_kernelINS0_14default_configENS1_27upper_bound_config_selectorIflEEZNS1_14transform_implILb0ES3_S5_N6thrust23THRUST_200600_302600_NS6detail15normal_iteratorINS8_7pointerIfNS8_11hip_rocprim5par_tENS8_11use_defaultESE_EEEENSA_INSB_IlSD_SE_SE_EEEEZNS1_13binary_searchIS3_S5_NSA_INS8_10device_ptrIfEEEESG_SI_NS1_21upper_bound_search_opENS9_16wrapped_functionINS8_6system6detail7generic6detail18binary_search_lessEbEEEE10hipError_tPvRmT1_T2_T3_mmT4_T5_P12ihipStream_tbEUlRKfE_EESV_SZ_S10_mS11_S14_bEUlT_E_NS1_11comp_targetILNS1_3genE2ELNS1_11target_archE906ELNS1_3gpuE6ELNS1_3repE0EEENS1_30default_config_static_selectorELNS0_4arch9wavefront6targetE1EEEvSY_,comdat
	.protected	_ZN7rocprim17ROCPRIM_400000_NS6detail17trampoline_kernelINS0_14default_configENS1_27upper_bound_config_selectorIflEEZNS1_14transform_implILb0ES3_S5_N6thrust23THRUST_200600_302600_NS6detail15normal_iteratorINS8_7pointerIfNS8_11hip_rocprim5par_tENS8_11use_defaultESE_EEEENSA_INSB_IlSD_SE_SE_EEEEZNS1_13binary_searchIS3_S5_NSA_INS8_10device_ptrIfEEEESG_SI_NS1_21upper_bound_search_opENS9_16wrapped_functionINS8_6system6detail7generic6detail18binary_search_lessEbEEEE10hipError_tPvRmT1_T2_T3_mmT4_T5_P12ihipStream_tbEUlRKfE_EESV_SZ_S10_mS11_S14_bEUlT_E_NS1_11comp_targetILNS1_3genE2ELNS1_11target_archE906ELNS1_3gpuE6ELNS1_3repE0EEENS1_30default_config_static_selectorELNS0_4arch9wavefront6targetE1EEEvSY_ ; -- Begin function _ZN7rocprim17ROCPRIM_400000_NS6detail17trampoline_kernelINS0_14default_configENS1_27upper_bound_config_selectorIflEEZNS1_14transform_implILb0ES3_S5_N6thrust23THRUST_200600_302600_NS6detail15normal_iteratorINS8_7pointerIfNS8_11hip_rocprim5par_tENS8_11use_defaultESE_EEEENSA_INSB_IlSD_SE_SE_EEEEZNS1_13binary_searchIS3_S5_NSA_INS8_10device_ptrIfEEEESG_SI_NS1_21upper_bound_search_opENS9_16wrapped_functionINS8_6system6detail7generic6detail18binary_search_lessEbEEEE10hipError_tPvRmT1_T2_T3_mmT4_T5_P12ihipStream_tbEUlRKfE_EESV_SZ_S10_mS11_S14_bEUlT_E_NS1_11comp_targetILNS1_3genE2ELNS1_11target_archE906ELNS1_3gpuE6ELNS1_3repE0EEENS1_30default_config_static_selectorELNS0_4arch9wavefront6targetE1EEEvSY_
	.globl	_ZN7rocprim17ROCPRIM_400000_NS6detail17trampoline_kernelINS0_14default_configENS1_27upper_bound_config_selectorIflEEZNS1_14transform_implILb0ES3_S5_N6thrust23THRUST_200600_302600_NS6detail15normal_iteratorINS8_7pointerIfNS8_11hip_rocprim5par_tENS8_11use_defaultESE_EEEENSA_INSB_IlSD_SE_SE_EEEEZNS1_13binary_searchIS3_S5_NSA_INS8_10device_ptrIfEEEESG_SI_NS1_21upper_bound_search_opENS9_16wrapped_functionINS8_6system6detail7generic6detail18binary_search_lessEbEEEE10hipError_tPvRmT1_T2_T3_mmT4_T5_P12ihipStream_tbEUlRKfE_EESV_SZ_S10_mS11_S14_bEUlT_E_NS1_11comp_targetILNS1_3genE2ELNS1_11target_archE906ELNS1_3gpuE6ELNS1_3repE0EEENS1_30default_config_static_selectorELNS0_4arch9wavefront6targetE1EEEvSY_
	.p2align	8
	.type	_ZN7rocprim17ROCPRIM_400000_NS6detail17trampoline_kernelINS0_14default_configENS1_27upper_bound_config_selectorIflEEZNS1_14transform_implILb0ES3_S5_N6thrust23THRUST_200600_302600_NS6detail15normal_iteratorINS8_7pointerIfNS8_11hip_rocprim5par_tENS8_11use_defaultESE_EEEENSA_INSB_IlSD_SE_SE_EEEEZNS1_13binary_searchIS3_S5_NSA_INS8_10device_ptrIfEEEESG_SI_NS1_21upper_bound_search_opENS9_16wrapped_functionINS8_6system6detail7generic6detail18binary_search_lessEbEEEE10hipError_tPvRmT1_T2_T3_mmT4_T5_P12ihipStream_tbEUlRKfE_EESV_SZ_S10_mS11_S14_bEUlT_E_NS1_11comp_targetILNS1_3genE2ELNS1_11target_archE906ELNS1_3gpuE6ELNS1_3repE0EEENS1_30default_config_static_selectorELNS0_4arch9wavefront6targetE1EEEvSY_,@function
_ZN7rocprim17ROCPRIM_400000_NS6detail17trampoline_kernelINS0_14default_configENS1_27upper_bound_config_selectorIflEEZNS1_14transform_implILb0ES3_S5_N6thrust23THRUST_200600_302600_NS6detail15normal_iteratorINS8_7pointerIfNS8_11hip_rocprim5par_tENS8_11use_defaultESE_EEEENSA_INSB_IlSD_SE_SE_EEEEZNS1_13binary_searchIS3_S5_NSA_INS8_10device_ptrIfEEEESG_SI_NS1_21upper_bound_search_opENS9_16wrapped_functionINS8_6system6detail7generic6detail18binary_search_lessEbEEEE10hipError_tPvRmT1_T2_T3_mmT4_T5_P12ihipStream_tbEUlRKfE_EESV_SZ_S10_mS11_S14_bEUlT_E_NS1_11comp_targetILNS1_3genE2ELNS1_11target_archE906ELNS1_3gpuE6ELNS1_3repE0EEENS1_30default_config_static_selectorELNS0_4arch9wavefront6targetE1EEEvSY_: ; @_ZN7rocprim17ROCPRIM_400000_NS6detail17trampoline_kernelINS0_14default_configENS1_27upper_bound_config_selectorIflEEZNS1_14transform_implILb0ES3_S5_N6thrust23THRUST_200600_302600_NS6detail15normal_iteratorINS8_7pointerIfNS8_11hip_rocprim5par_tENS8_11use_defaultESE_EEEENSA_INSB_IlSD_SE_SE_EEEEZNS1_13binary_searchIS3_S5_NSA_INS8_10device_ptrIfEEEESG_SI_NS1_21upper_bound_search_opENS9_16wrapped_functionINS8_6system6detail7generic6detail18binary_search_lessEbEEEE10hipError_tPvRmT1_T2_T3_mmT4_T5_P12ihipStream_tbEUlRKfE_EESV_SZ_S10_mS11_S14_bEUlT_E_NS1_11comp_targetILNS1_3genE2ELNS1_11target_archE906ELNS1_3gpuE6ELNS1_3repE0EEENS1_30default_config_static_selectorELNS0_4arch9wavefront6targetE1EEEvSY_
; %bb.0:
	s_load_dwordx4 s[16:19], s[4:5], 0x0
	s_load_dwordx4 s[8:11], s[4:5], 0x18
	s_load_dwordx2 s[12:13], s[4:5], 0x28
	s_load_dword s15, s[4:5], 0x38
	s_waitcnt lgkmcnt(0)
	s_lshl_b64 s[0:1], s[18:19], 2
	s_add_u32 s2, s16, s0
	s_addc_u32 s3, s17, s1
	s_lshl_b64 s[0:1], s[18:19], 3
	s_add_u32 s7, s8, s0
	s_addc_u32 s14, s9, s1
	s_lshl_b32 s8, s6, 8
	s_add_i32 s15, s15, -1
	s_mov_b32 s9, 0
	s_cmp_lg_u32 s6, s15
	s_mov_b64 s[0:1], -1
	s_cbranch_scc0 .LBB531_7
; %bb.1:
	s_cmp_eq_u64 s[12:13], 0
	s_mov_b64 s[0:1], 0
	s_cbranch_scc1 .LBB531_5
; %bb.2:
	s_lshl_b64 s[16:17], s[8:9], 2
	s_add_u32 s6, s2, s16
	s_addc_u32 s15, s3, s17
	v_lshlrev_b32_e32 v1, 2, v0
	v_mov_b32_e32 v2, s15
	v_add_co_u32_e32 v1, vcc, s6, v1
	v_addc_co_u32_e32 v2, vcc, 0, v2, vcc
	flat_load_dword v5, v[1:2]
	v_mov_b32_e32 v1, 0
	v_mov_b32_e32 v3, s12
	v_mov_b32_e32 v2, 0
	v_mov_b32_e32 v4, s13
	v_mov_b32_e32 v6, s11
.LBB531_3:                              ; =>This Inner Loop Header: Depth=1
	v_sub_co_u32_e32 v7, vcc, v3, v1
	v_subb_co_u32_e32 v8, vcc, v4, v2, vcc
	v_lshrrev_b64 v[9:10], 1, v[7:8]
	v_lshrrev_b64 v[7:8], 6, v[7:8]
	v_add_co_u32_e32 v9, vcc, v9, v1
	v_addc_co_u32_e32 v10, vcc, v10, v2, vcc
	v_add_co_u32_e32 v7, vcc, v9, v7
	v_addc_co_u32_e32 v8, vcc, v10, v8, vcc
	v_lshlrev_b64 v[9:10], 2, v[7:8]
	v_add_co_u32_e32 v9, vcc, s10, v9
	v_addc_co_u32_e32 v10, vcc, v6, v10, vcc
	global_load_dword v9, v[9:10], off
	v_add_co_u32_e32 v10, vcc, 1, v7
	v_addc_co_u32_e32 v11, vcc, 0, v8, vcc
	s_waitcnt vmcnt(0) lgkmcnt(0)
	v_cmp_lt_f32_e32 vcc, v5, v9
	v_cndmask_b32_e32 v4, v4, v8, vcc
	v_cndmask_b32_e32 v3, v3, v7, vcc
	;; [unrolled: 1-line block ×4, first 2 shown]
	v_cmp_ge_u64_e32 vcc, v[1:2], v[3:4]
	s_or_b64 s[0:1], vcc, s[0:1]
	s_andn2_b64 exec, exec, s[0:1]
	s_cbranch_execnz .LBB531_3
; %bb.4:
	s_or_b64 exec, exec, s[0:1]
	s_branch .LBB531_6
.LBB531_5:
	v_mov_b32_e32 v1, 0
	v_mov_b32_e32 v2, 0
.LBB531_6:
	s_lshl_b64 s[0:1], s[8:9], 3
	s_add_u32 s0, s7, s0
	s_addc_u32 s1, s14, s1
	v_lshlrev_b32_e32 v3, 3, v0
	v_mov_b32_e32 v4, s1
	v_add_co_u32_e32 v3, vcc, s0, v3
	v_addc_co_u32_e32 v4, vcc, 0, v4, vcc
	s_mov_b64 s[0:1], 0
	flat_store_dwordx2 v[3:4], v[1:2]
.LBB531_7:
	s_and_b64 vcc, exec, s[0:1]
	s_cbranch_vccz .LBB531_16
; %bb.8:
	s_load_dword s0, s[4:5], 0x10
                                        ; implicit-def: $vgpr5
	s_waitcnt lgkmcnt(0)
	s_sub_i32 s4, s0, s8
	v_cmp_le_u32_e64 s[0:1], s4, v0
	v_cmp_gt_u32_e32 vcc, s4, v0
	s_and_saveexec_b64 s[4:5], vcc
	s_cbranch_execz .LBB531_10
; %bb.9:
	s_lshl_b64 s[16:17], s[8:9], 2
	s_add_u32 s2, s2, s16
	s_addc_u32 s3, s3, s17
	v_lshlrev_b32_e32 v1, 2, v0
	v_mov_b32_e32 v2, s3
	v_add_co_u32_e64 v1, s[2:3], s2, v1
	v_addc_co_u32_e64 v2, s[2:3], 0, v2, s[2:3]
	flat_load_dword v5, v[1:2]
.LBB531_10:
	s_or_b64 exec, exec, s[4:5]
	s_cmp_lg_u64 s[12:13], 0
	s_cselect_b64 s[4:5], -1, 0
	s_xor_b64 s[0:1], s[0:1], -1
	v_mov_b32_e32 v1, 0
	s_mov_b64 s[2:3], 0
	v_mov_b32_e32 v2, 0
	s_and_b64 s[0:1], s[0:1], s[4:5]
	s_and_saveexec_b64 s[4:5], s[0:1]
	s_cbranch_execz .LBB531_14
; %bb.11:
	v_mov_b32_e32 v1, 0
	v_mov_b32_e32 v3, s12
	v_mov_b32_e32 v2, 0
	v_mov_b32_e32 v4, s13
	v_mov_b32_e32 v6, s11
.LBB531_12:                             ; =>This Inner Loop Header: Depth=1
	v_sub_co_u32_e64 v7, s[0:1], v3, v1
	v_subb_co_u32_e64 v8, s[0:1], v4, v2, s[0:1]
	v_lshrrev_b64 v[9:10], 1, v[7:8]
	v_lshrrev_b64 v[7:8], 6, v[7:8]
	v_add_co_u32_e64 v9, s[0:1], v9, v1
	v_addc_co_u32_e64 v10, s[0:1], v10, v2, s[0:1]
	v_add_co_u32_e64 v7, s[0:1], v9, v7
	v_addc_co_u32_e64 v8, s[0:1], v10, v8, s[0:1]
	v_lshlrev_b64 v[9:10], 2, v[7:8]
	v_add_co_u32_e64 v9, s[0:1], s10, v9
	v_addc_co_u32_e64 v10, s[0:1], v6, v10, s[0:1]
	global_load_dword v9, v[9:10], off
	v_add_co_u32_e64 v10, s[0:1], 1, v7
	v_addc_co_u32_e64 v11, s[0:1], 0, v8, s[0:1]
	s_waitcnt vmcnt(0) lgkmcnt(0)
	v_cmp_lt_f32_e64 s[0:1], v5, v9
	v_cndmask_b32_e64 v4, v4, v8, s[0:1]
	v_cndmask_b32_e64 v3, v3, v7, s[0:1]
	;; [unrolled: 1-line block ×4, first 2 shown]
	v_cmp_ge_u64_e64 s[0:1], v[1:2], v[3:4]
	s_or_b64 s[2:3], s[0:1], s[2:3]
	s_andn2_b64 exec, exec, s[2:3]
	s_cbranch_execnz .LBB531_12
; %bb.13:
	s_or_b64 exec, exec, s[2:3]
.LBB531_14:
	s_or_b64 exec, exec, s[4:5]
	s_and_saveexec_b64 s[0:1], vcc
	s_cbranch_execz .LBB531_16
; %bb.15:
	s_lshl_b64 s[0:1], s[8:9], 3
	s_add_u32 s0, s7, s0
	s_addc_u32 s1, s14, s1
	v_lshlrev_b32_e32 v0, 3, v0
	v_mov_b32_e32 v4, s1
	v_add_co_u32_e32 v3, vcc, s0, v0
	v_addc_co_u32_e32 v4, vcc, 0, v4, vcc
	flat_store_dwordx2 v[3:4], v[1:2]
.LBB531_16:
	s_endpgm
	.section	.rodata,"a",@progbits
	.p2align	6, 0x0
	.amdhsa_kernel _ZN7rocprim17ROCPRIM_400000_NS6detail17trampoline_kernelINS0_14default_configENS1_27upper_bound_config_selectorIflEEZNS1_14transform_implILb0ES3_S5_N6thrust23THRUST_200600_302600_NS6detail15normal_iteratorINS8_7pointerIfNS8_11hip_rocprim5par_tENS8_11use_defaultESE_EEEENSA_INSB_IlSD_SE_SE_EEEEZNS1_13binary_searchIS3_S5_NSA_INS8_10device_ptrIfEEEESG_SI_NS1_21upper_bound_search_opENS9_16wrapped_functionINS8_6system6detail7generic6detail18binary_search_lessEbEEEE10hipError_tPvRmT1_T2_T3_mmT4_T5_P12ihipStream_tbEUlRKfE_EESV_SZ_S10_mS11_S14_bEUlT_E_NS1_11comp_targetILNS1_3genE2ELNS1_11target_archE906ELNS1_3gpuE6ELNS1_3repE0EEENS1_30default_config_static_selectorELNS0_4arch9wavefront6targetE1EEEvSY_
		.amdhsa_group_segment_fixed_size 0
		.amdhsa_private_segment_fixed_size 0
		.amdhsa_kernarg_size 312
		.amdhsa_user_sgpr_count 6
		.amdhsa_user_sgpr_private_segment_buffer 1
		.amdhsa_user_sgpr_dispatch_ptr 0
		.amdhsa_user_sgpr_queue_ptr 0
		.amdhsa_user_sgpr_kernarg_segment_ptr 1
		.amdhsa_user_sgpr_dispatch_id 0
		.amdhsa_user_sgpr_flat_scratch_init 0
		.amdhsa_user_sgpr_private_segment_size 0
		.amdhsa_uses_dynamic_stack 0
		.amdhsa_system_sgpr_private_segment_wavefront_offset 0
		.amdhsa_system_sgpr_workgroup_id_x 1
		.amdhsa_system_sgpr_workgroup_id_y 0
		.amdhsa_system_sgpr_workgroup_id_z 0
		.amdhsa_system_sgpr_workgroup_info 0
		.amdhsa_system_vgpr_workitem_id 0
		.amdhsa_next_free_vgpr 12
		.amdhsa_next_free_sgpr 20
		.amdhsa_reserve_vcc 1
		.amdhsa_reserve_flat_scratch 0
		.amdhsa_float_round_mode_32 0
		.amdhsa_float_round_mode_16_64 0
		.amdhsa_float_denorm_mode_32 3
		.amdhsa_float_denorm_mode_16_64 3
		.amdhsa_dx10_clamp 1
		.amdhsa_ieee_mode 1
		.amdhsa_fp16_overflow 0
		.amdhsa_exception_fp_ieee_invalid_op 0
		.amdhsa_exception_fp_denorm_src 0
		.amdhsa_exception_fp_ieee_div_zero 0
		.amdhsa_exception_fp_ieee_overflow 0
		.amdhsa_exception_fp_ieee_underflow 0
		.amdhsa_exception_fp_ieee_inexact 0
		.amdhsa_exception_int_div_zero 0
	.end_amdhsa_kernel
	.section	.text._ZN7rocprim17ROCPRIM_400000_NS6detail17trampoline_kernelINS0_14default_configENS1_27upper_bound_config_selectorIflEEZNS1_14transform_implILb0ES3_S5_N6thrust23THRUST_200600_302600_NS6detail15normal_iteratorINS8_7pointerIfNS8_11hip_rocprim5par_tENS8_11use_defaultESE_EEEENSA_INSB_IlSD_SE_SE_EEEEZNS1_13binary_searchIS3_S5_NSA_INS8_10device_ptrIfEEEESG_SI_NS1_21upper_bound_search_opENS9_16wrapped_functionINS8_6system6detail7generic6detail18binary_search_lessEbEEEE10hipError_tPvRmT1_T2_T3_mmT4_T5_P12ihipStream_tbEUlRKfE_EESV_SZ_S10_mS11_S14_bEUlT_E_NS1_11comp_targetILNS1_3genE2ELNS1_11target_archE906ELNS1_3gpuE6ELNS1_3repE0EEENS1_30default_config_static_selectorELNS0_4arch9wavefront6targetE1EEEvSY_,"axG",@progbits,_ZN7rocprim17ROCPRIM_400000_NS6detail17trampoline_kernelINS0_14default_configENS1_27upper_bound_config_selectorIflEEZNS1_14transform_implILb0ES3_S5_N6thrust23THRUST_200600_302600_NS6detail15normal_iteratorINS8_7pointerIfNS8_11hip_rocprim5par_tENS8_11use_defaultESE_EEEENSA_INSB_IlSD_SE_SE_EEEEZNS1_13binary_searchIS3_S5_NSA_INS8_10device_ptrIfEEEESG_SI_NS1_21upper_bound_search_opENS9_16wrapped_functionINS8_6system6detail7generic6detail18binary_search_lessEbEEEE10hipError_tPvRmT1_T2_T3_mmT4_T5_P12ihipStream_tbEUlRKfE_EESV_SZ_S10_mS11_S14_bEUlT_E_NS1_11comp_targetILNS1_3genE2ELNS1_11target_archE906ELNS1_3gpuE6ELNS1_3repE0EEENS1_30default_config_static_selectorELNS0_4arch9wavefront6targetE1EEEvSY_,comdat
.Lfunc_end531:
	.size	_ZN7rocprim17ROCPRIM_400000_NS6detail17trampoline_kernelINS0_14default_configENS1_27upper_bound_config_selectorIflEEZNS1_14transform_implILb0ES3_S5_N6thrust23THRUST_200600_302600_NS6detail15normal_iteratorINS8_7pointerIfNS8_11hip_rocprim5par_tENS8_11use_defaultESE_EEEENSA_INSB_IlSD_SE_SE_EEEEZNS1_13binary_searchIS3_S5_NSA_INS8_10device_ptrIfEEEESG_SI_NS1_21upper_bound_search_opENS9_16wrapped_functionINS8_6system6detail7generic6detail18binary_search_lessEbEEEE10hipError_tPvRmT1_T2_T3_mmT4_T5_P12ihipStream_tbEUlRKfE_EESV_SZ_S10_mS11_S14_bEUlT_E_NS1_11comp_targetILNS1_3genE2ELNS1_11target_archE906ELNS1_3gpuE6ELNS1_3repE0EEENS1_30default_config_static_selectorELNS0_4arch9wavefront6targetE1EEEvSY_, .Lfunc_end531-_ZN7rocprim17ROCPRIM_400000_NS6detail17trampoline_kernelINS0_14default_configENS1_27upper_bound_config_selectorIflEEZNS1_14transform_implILb0ES3_S5_N6thrust23THRUST_200600_302600_NS6detail15normal_iteratorINS8_7pointerIfNS8_11hip_rocprim5par_tENS8_11use_defaultESE_EEEENSA_INSB_IlSD_SE_SE_EEEEZNS1_13binary_searchIS3_S5_NSA_INS8_10device_ptrIfEEEESG_SI_NS1_21upper_bound_search_opENS9_16wrapped_functionINS8_6system6detail7generic6detail18binary_search_lessEbEEEE10hipError_tPvRmT1_T2_T3_mmT4_T5_P12ihipStream_tbEUlRKfE_EESV_SZ_S10_mS11_S14_bEUlT_E_NS1_11comp_targetILNS1_3genE2ELNS1_11target_archE906ELNS1_3gpuE6ELNS1_3repE0EEENS1_30default_config_static_selectorELNS0_4arch9wavefront6targetE1EEEvSY_
                                        ; -- End function
	.set _ZN7rocprim17ROCPRIM_400000_NS6detail17trampoline_kernelINS0_14default_configENS1_27upper_bound_config_selectorIflEEZNS1_14transform_implILb0ES3_S5_N6thrust23THRUST_200600_302600_NS6detail15normal_iteratorINS8_7pointerIfNS8_11hip_rocprim5par_tENS8_11use_defaultESE_EEEENSA_INSB_IlSD_SE_SE_EEEEZNS1_13binary_searchIS3_S5_NSA_INS8_10device_ptrIfEEEESG_SI_NS1_21upper_bound_search_opENS9_16wrapped_functionINS8_6system6detail7generic6detail18binary_search_lessEbEEEE10hipError_tPvRmT1_T2_T3_mmT4_T5_P12ihipStream_tbEUlRKfE_EESV_SZ_S10_mS11_S14_bEUlT_E_NS1_11comp_targetILNS1_3genE2ELNS1_11target_archE906ELNS1_3gpuE6ELNS1_3repE0EEENS1_30default_config_static_selectorELNS0_4arch9wavefront6targetE1EEEvSY_.num_vgpr, 12
	.set _ZN7rocprim17ROCPRIM_400000_NS6detail17trampoline_kernelINS0_14default_configENS1_27upper_bound_config_selectorIflEEZNS1_14transform_implILb0ES3_S5_N6thrust23THRUST_200600_302600_NS6detail15normal_iteratorINS8_7pointerIfNS8_11hip_rocprim5par_tENS8_11use_defaultESE_EEEENSA_INSB_IlSD_SE_SE_EEEEZNS1_13binary_searchIS3_S5_NSA_INS8_10device_ptrIfEEEESG_SI_NS1_21upper_bound_search_opENS9_16wrapped_functionINS8_6system6detail7generic6detail18binary_search_lessEbEEEE10hipError_tPvRmT1_T2_T3_mmT4_T5_P12ihipStream_tbEUlRKfE_EESV_SZ_S10_mS11_S14_bEUlT_E_NS1_11comp_targetILNS1_3genE2ELNS1_11target_archE906ELNS1_3gpuE6ELNS1_3repE0EEENS1_30default_config_static_selectorELNS0_4arch9wavefront6targetE1EEEvSY_.num_agpr, 0
	.set _ZN7rocprim17ROCPRIM_400000_NS6detail17trampoline_kernelINS0_14default_configENS1_27upper_bound_config_selectorIflEEZNS1_14transform_implILb0ES3_S5_N6thrust23THRUST_200600_302600_NS6detail15normal_iteratorINS8_7pointerIfNS8_11hip_rocprim5par_tENS8_11use_defaultESE_EEEENSA_INSB_IlSD_SE_SE_EEEEZNS1_13binary_searchIS3_S5_NSA_INS8_10device_ptrIfEEEESG_SI_NS1_21upper_bound_search_opENS9_16wrapped_functionINS8_6system6detail7generic6detail18binary_search_lessEbEEEE10hipError_tPvRmT1_T2_T3_mmT4_T5_P12ihipStream_tbEUlRKfE_EESV_SZ_S10_mS11_S14_bEUlT_E_NS1_11comp_targetILNS1_3genE2ELNS1_11target_archE906ELNS1_3gpuE6ELNS1_3repE0EEENS1_30default_config_static_selectorELNS0_4arch9wavefront6targetE1EEEvSY_.numbered_sgpr, 20
	.set _ZN7rocprim17ROCPRIM_400000_NS6detail17trampoline_kernelINS0_14default_configENS1_27upper_bound_config_selectorIflEEZNS1_14transform_implILb0ES3_S5_N6thrust23THRUST_200600_302600_NS6detail15normal_iteratorINS8_7pointerIfNS8_11hip_rocprim5par_tENS8_11use_defaultESE_EEEENSA_INSB_IlSD_SE_SE_EEEEZNS1_13binary_searchIS3_S5_NSA_INS8_10device_ptrIfEEEESG_SI_NS1_21upper_bound_search_opENS9_16wrapped_functionINS8_6system6detail7generic6detail18binary_search_lessEbEEEE10hipError_tPvRmT1_T2_T3_mmT4_T5_P12ihipStream_tbEUlRKfE_EESV_SZ_S10_mS11_S14_bEUlT_E_NS1_11comp_targetILNS1_3genE2ELNS1_11target_archE906ELNS1_3gpuE6ELNS1_3repE0EEENS1_30default_config_static_selectorELNS0_4arch9wavefront6targetE1EEEvSY_.num_named_barrier, 0
	.set _ZN7rocprim17ROCPRIM_400000_NS6detail17trampoline_kernelINS0_14default_configENS1_27upper_bound_config_selectorIflEEZNS1_14transform_implILb0ES3_S5_N6thrust23THRUST_200600_302600_NS6detail15normal_iteratorINS8_7pointerIfNS8_11hip_rocprim5par_tENS8_11use_defaultESE_EEEENSA_INSB_IlSD_SE_SE_EEEEZNS1_13binary_searchIS3_S5_NSA_INS8_10device_ptrIfEEEESG_SI_NS1_21upper_bound_search_opENS9_16wrapped_functionINS8_6system6detail7generic6detail18binary_search_lessEbEEEE10hipError_tPvRmT1_T2_T3_mmT4_T5_P12ihipStream_tbEUlRKfE_EESV_SZ_S10_mS11_S14_bEUlT_E_NS1_11comp_targetILNS1_3genE2ELNS1_11target_archE906ELNS1_3gpuE6ELNS1_3repE0EEENS1_30default_config_static_selectorELNS0_4arch9wavefront6targetE1EEEvSY_.private_seg_size, 0
	.set _ZN7rocprim17ROCPRIM_400000_NS6detail17trampoline_kernelINS0_14default_configENS1_27upper_bound_config_selectorIflEEZNS1_14transform_implILb0ES3_S5_N6thrust23THRUST_200600_302600_NS6detail15normal_iteratorINS8_7pointerIfNS8_11hip_rocprim5par_tENS8_11use_defaultESE_EEEENSA_INSB_IlSD_SE_SE_EEEEZNS1_13binary_searchIS3_S5_NSA_INS8_10device_ptrIfEEEESG_SI_NS1_21upper_bound_search_opENS9_16wrapped_functionINS8_6system6detail7generic6detail18binary_search_lessEbEEEE10hipError_tPvRmT1_T2_T3_mmT4_T5_P12ihipStream_tbEUlRKfE_EESV_SZ_S10_mS11_S14_bEUlT_E_NS1_11comp_targetILNS1_3genE2ELNS1_11target_archE906ELNS1_3gpuE6ELNS1_3repE0EEENS1_30default_config_static_selectorELNS0_4arch9wavefront6targetE1EEEvSY_.uses_vcc, 1
	.set _ZN7rocprim17ROCPRIM_400000_NS6detail17trampoline_kernelINS0_14default_configENS1_27upper_bound_config_selectorIflEEZNS1_14transform_implILb0ES3_S5_N6thrust23THRUST_200600_302600_NS6detail15normal_iteratorINS8_7pointerIfNS8_11hip_rocprim5par_tENS8_11use_defaultESE_EEEENSA_INSB_IlSD_SE_SE_EEEEZNS1_13binary_searchIS3_S5_NSA_INS8_10device_ptrIfEEEESG_SI_NS1_21upper_bound_search_opENS9_16wrapped_functionINS8_6system6detail7generic6detail18binary_search_lessEbEEEE10hipError_tPvRmT1_T2_T3_mmT4_T5_P12ihipStream_tbEUlRKfE_EESV_SZ_S10_mS11_S14_bEUlT_E_NS1_11comp_targetILNS1_3genE2ELNS1_11target_archE906ELNS1_3gpuE6ELNS1_3repE0EEENS1_30default_config_static_selectorELNS0_4arch9wavefront6targetE1EEEvSY_.uses_flat_scratch, 0
	.set _ZN7rocprim17ROCPRIM_400000_NS6detail17trampoline_kernelINS0_14default_configENS1_27upper_bound_config_selectorIflEEZNS1_14transform_implILb0ES3_S5_N6thrust23THRUST_200600_302600_NS6detail15normal_iteratorINS8_7pointerIfNS8_11hip_rocprim5par_tENS8_11use_defaultESE_EEEENSA_INSB_IlSD_SE_SE_EEEEZNS1_13binary_searchIS3_S5_NSA_INS8_10device_ptrIfEEEESG_SI_NS1_21upper_bound_search_opENS9_16wrapped_functionINS8_6system6detail7generic6detail18binary_search_lessEbEEEE10hipError_tPvRmT1_T2_T3_mmT4_T5_P12ihipStream_tbEUlRKfE_EESV_SZ_S10_mS11_S14_bEUlT_E_NS1_11comp_targetILNS1_3genE2ELNS1_11target_archE906ELNS1_3gpuE6ELNS1_3repE0EEENS1_30default_config_static_selectorELNS0_4arch9wavefront6targetE1EEEvSY_.has_dyn_sized_stack, 0
	.set _ZN7rocprim17ROCPRIM_400000_NS6detail17trampoline_kernelINS0_14default_configENS1_27upper_bound_config_selectorIflEEZNS1_14transform_implILb0ES3_S5_N6thrust23THRUST_200600_302600_NS6detail15normal_iteratorINS8_7pointerIfNS8_11hip_rocprim5par_tENS8_11use_defaultESE_EEEENSA_INSB_IlSD_SE_SE_EEEEZNS1_13binary_searchIS3_S5_NSA_INS8_10device_ptrIfEEEESG_SI_NS1_21upper_bound_search_opENS9_16wrapped_functionINS8_6system6detail7generic6detail18binary_search_lessEbEEEE10hipError_tPvRmT1_T2_T3_mmT4_T5_P12ihipStream_tbEUlRKfE_EESV_SZ_S10_mS11_S14_bEUlT_E_NS1_11comp_targetILNS1_3genE2ELNS1_11target_archE906ELNS1_3gpuE6ELNS1_3repE0EEENS1_30default_config_static_selectorELNS0_4arch9wavefront6targetE1EEEvSY_.has_recursion, 0
	.set _ZN7rocprim17ROCPRIM_400000_NS6detail17trampoline_kernelINS0_14default_configENS1_27upper_bound_config_selectorIflEEZNS1_14transform_implILb0ES3_S5_N6thrust23THRUST_200600_302600_NS6detail15normal_iteratorINS8_7pointerIfNS8_11hip_rocprim5par_tENS8_11use_defaultESE_EEEENSA_INSB_IlSD_SE_SE_EEEEZNS1_13binary_searchIS3_S5_NSA_INS8_10device_ptrIfEEEESG_SI_NS1_21upper_bound_search_opENS9_16wrapped_functionINS8_6system6detail7generic6detail18binary_search_lessEbEEEE10hipError_tPvRmT1_T2_T3_mmT4_T5_P12ihipStream_tbEUlRKfE_EESV_SZ_S10_mS11_S14_bEUlT_E_NS1_11comp_targetILNS1_3genE2ELNS1_11target_archE906ELNS1_3gpuE6ELNS1_3repE0EEENS1_30default_config_static_selectorELNS0_4arch9wavefront6targetE1EEEvSY_.has_indirect_call, 0
	.section	.AMDGPU.csdata,"",@progbits
; Kernel info:
; codeLenInByte = 700
; TotalNumSgprs: 24
; NumVgprs: 12
; ScratchSize: 0
; MemoryBound: 0
; FloatMode: 240
; IeeeMode: 1
; LDSByteSize: 0 bytes/workgroup (compile time only)
; SGPRBlocks: 2
; VGPRBlocks: 2
; NumSGPRsForWavesPerEU: 24
; NumVGPRsForWavesPerEU: 12
; Occupancy: 10
; WaveLimiterHint : 0
; COMPUTE_PGM_RSRC2:SCRATCH_EN: 0
; COMPUTE_PGM_RSRC2:USER_SGPR: 6
; COMPUTE_PGM_RSRC2:TRAP_HANDLER: 0
; COMPUTE_PGM_RSRC2:TGID_X_EN: 1
; COMPUTE_PGM_RSRC2:TGID_Y_EN: 0
; COMPUTE_PGM_RSRC2:TGID_Z_EN: 0
; COMPUTE_PGM_RSRC2:TIDIG_COMP_CNT: 0
	.section	.text._ZN7rocprim17ROCPRIM_400000_NS6detail17trampoline_kernelINS0_14default_configENS1_27upper_bound_config_selectorIflEEZNS1_14transform_implILb0ES3_S5_N6thrust23THRUST_200600_302600_NS6detail15normal_iteratorINS8_7pointerIfNS8_11hip_rocprim5par_tENS8_11use_defaultESE_EEEENSA_INSB_IlSD_SE_SE_EEEEZNS1_13binary_searchIS3_S5_NSA_INS8_10device_ptrIfEEEESG_SI_NS1_21upper_bound_search_opENS9_16wrapped_functionINS8_6system6detail7generic6detail18binary_search_lessEbEEEE10hipError_tPvRmT1_T2_T3_mmT4_T5_P12ihipStream_tbEUlRKfE_EESV_SZ_S10_mS11_S14_bEUlT_E_NS1_11comp_targetILNS1_3genE10ELNS1_11target_archE1201ELNS1_3gpuE5ELNS1_3repE0EEENS1_30default_config_static_selectorELNS0_4arch9wavefront6targetE1EEEvSY_,"axG",@progbits,_ZN7rocprim17ROCPRIM_400000_NS6detail17trampoline_kernelINS0_14default_configENS1_27upper_bound_config_selectorIflEEZNS1_14transform_implILb0ES3_S5_N6thrust23THRUST_200600_302600_NS6detail15normal_iteratorINS8_7pointerIfNS8_11hip_rocprim5par_tENS8_11use_defaultESE_EEEENSA_INSB_IlSD_SE_SE_EEEEZNS1_13binary_searchIS3_S5_NSA_INS8_10device_ptrIfEEEESG_SI_NS1_21upper_bound_search_opENS9_16wrapped_functionINS8_6system6detail7generic6detail18binary_search_lessEbEEEE10hipError_tPvRmT1_T2_T3_mmT4_T5_P12ihipStream_tbEUlRKfE_EESV_SZ_S10_mS11_S14_bEUlT_E_NS1_11comp_targetILNS1_3genE10ELNS1_11target_archE1201ELNS1_3gpuE5ELNS1_3repE0EEENS1_30default_config_static_selectorELNS0_4arch9wavefront6targetE1EEEvSY_,comdat
	.protected	_ZN7rocprim17ROCPRIM_400000_NS6detail17trampoline_kernelINS0_14default_configENS1_27upper_bound_config_selectorIflEEZNS1_14transform_implILb0ES3_S5_N6thrust23THRUST_200600_302600_NS6detail15normal_iteratorINS8_7pointerIfNS8_11hip_rocprim5par_tENS8_11use_defaultESE_EEEENSA_INSB_IlSD_SE_SE_EEEEZNS1_13binary_searchIS3_S5_NSA_INS8_10device_ptrIfEEEESG_SI_NS1_21upper_bound_search_opENS9_16wrapped_functionINS8_6system6detail7generic6detail18binary_search_lessEbEEEE10hipError_tPvRmT1_T2_T3_mmT4_T5_P12ihipStream_tbEUlRKfE_EESV_SZ_S10_mS11_S14_bEUlT_E_NS1_11comp_targetILNS1_3genE10ELNS1_11target_archE1201ELNS1_3gpuE5ELNS1_3repE0EEENS1_30default_config_static_selectorELNS0_4arch9wavefront6targetE1EEEvSY_ ; -- Begin function _ZN7rocprim17ROCPRIM_400000_NS6detail17trampoline_kernelINS0_14default_configENS1_27upper_bound_config_selectorIflEEZNS1_14transform_implILb0ES3_S5_N6thrust23THRUST_200600_302600_NS6detail15normal_iteratorINS8_7pointerIfNS8_11hip_rocprim5par_tENS8_11use_defaultESE_EEEENSA_INSB_IlSD_SE_SE_EEEEZNS1_13binary_searchIS3_S5_NSA_INS8_10device_ptrIfEEEESG_SI_NS1_21upper_bound_search_opENS9_16wrapped_functionINS8_6system6detail7generic6detail18binary_search_lessEbEEEE10hipError_tPvRmT1_T2_T3_mmT4_T5_P12ihipStream_tbEUlRKfE_EESV_SZ_S10_mS11_S14_bEUlT_E_NS1_11comp_targetILNS1_3genE10ELNS1_11target_archE1201ELNS1_3gpuE5ELNS1_3repE0EEENS1_30default_config_static_selectorELNS0_4arch9wavefront6targetE1EEEvSY_
	.globl	_ZN7rocprim17ROCPRIM_400000_NS6detail17trampoline_kernelINS0_14default_configENS1_27upper_bound_config_selectorIflEEZNS1_14transform_implILb0ES3_S5_N6thrust23THRUST_200600_302600_NS6detail15normal_iteratorINS8_7pointerIfNS8_11hip_rocprim5par_tENS8_11use_defaultESE_EEEENSA_INSB_IlSD_SE_SE_EEEEZNS1_13binary_searchIS3_S5_NSA_INS8_10device_ptrIfEEEESG_SI_NS1_21upper_bound_search_opENS9_16wrapped_functionINS8_6system6detail7generic6detail18binary_search_lessEbEEEE10hipError_tPvRmT1_T2_T3_mmT4_T5_P12ihipStream_tbEUlRKfE_EESV_SZ_S10_mS11_S14_bEUlT_E_NS1_11comp_targetILNS1_3genE10ELNS1_11target_archE1201ELNS1_3gpuE5ELNS1_3repE0EEENS1_30default_config_static_selectorELNS0_4arch9wavefront6targetE1EEEvSY_
	.p2align	8
	.type	_ZN7rocprim17ROCPRIM_400000_NS6detail17trampoline_kernelINS0_14default_configENS1_27upper_bound_config_selectorIflEEZNS1_14transform_implILb0ES3_S5_N6thrust23THRUST_200600_302600_NS6detail15normal_iteratorINS8_7pointerIfNS8_11hip_rocprim5par_tENS8_11use_defaultESE_EEEENSA_INSB_IlSD_SE_SE_EEEEZNS1_13binary_searchIS3_S5_NSA_INS8_10device_ptrIfEEEESG_SI_NS1_21upper_bound_search_opENS9_16wrapped_functionINS8_6system6detail7generic6detail18binary_search_lessEbEEEE10hipError_tPvRmT1_T2_T3_mmT4_T5_P12ihipStream_tbEUlRKfE_EESV_SZ_S10_mS11_S14_bEUlT_E_NS1_11comp_targetILNS1_3genE10ELNS1_11target_archE1201ELNS1_3gpuE5ELNS1_3repE0EEENS1_30default_config_static_selectorELNS0_4arch9wavefront6targetE1EEEvSY_,@function
_ZN7rocprim17ROCPRIM_400000_NS6detail17trampoline_kernelINS0_14default_configENS1_27upper_bound_config_selectorIflEEZNS1_14transform_implILb0ES3_S5_N6thrust23THRUST_200600_302600_NS6detail15normal_iteratorINS8_7pointerIfNS8_11hip_rocprim5par_tENS8_11use_defaultESE_EEEENSA_INSB_IlSD_SE_SE_EEEEZNS1_13binary_searchIS3_S5_NSA_INS8_10device_ptrIfEEEESG_SI_NS1_21upper_bound_search_opENS9_16wrapped_functionINS8_6system6detail7generic6detail18binary_search_lessEbEEEE10hipError_tPvRmT1_T2_T3_mmT4_T5_P12ihipStream_tbEUlRKfE_EESV_SZ_S10_mS11_S14_bEUlT_E_NS1_11comp_targetILNS1_3genE10ELNS1_11target_archE1201ELNS1_3gpuE5ELNS1_3repE0EEENS1_30default_config_static_selectorELNS0_4arch9wavefront6targetE1EEEvSY_: ; @_ZN7rocprim17ROCPRIM_400000_NS6detail17trampoline_kernelINS0_14default_configENS1_27upper_bound_config_selectorIflEEZNS1_14transform_implILb0ES3_S5_N6thrust23THRUST_200600_302600_NS6detail15normal_iteratorINS8_7pointerIfNS8_11hip_rocprim5par_tENS8_11use_defaultESE_EEEENSA_INSB_IlSD_SE_SE_EEEEZNS1_13binary_searchIS3_S5_NSA_INS8_10device_ptrIfEEEESG_SI_NS1_21upper_bound_search_opENS9_16wrapped_functionINS8_6system6detail7generic6detail18binary_search_lessEbEEEE10hipError_tPvRmT1_T2_T3_mmT4_T5_P12ihipStream_tbEUlRKfE_EESV_SZ_S10_mS11_S14_bEUlT_E_NS1_11comp_targetILNS1_3genE10ELNS1_11target_archE1201ELNS1_3gpuE5ELNS1_3repE0EEENS1_30default_config_static_selectorELNS0_4arch9wavefront6targetE1EEEvSY_
; %bb.0:
	.section	.rodata,"a",@progbits
	.p2align	6, 0x0
	.amdhsa_kernel _ZN7rocprim17ROCPRIM_400000_NS6detail17trampoline_kernelINS0_14default_configENS1_27upper_bound_config_selectorIflEEZNS1_14transform_implILb0ES3_S5_N6thrust23THRUST_200600_302600_NS6detail15normal_iteratorINS8_7pointerIfNS8_11hip_rocprim5par_tENS8_11use_defaultESE_EEEENSA_INSB_IlSD_SE_SE_EEEEZNS1_13binary_searchIS3_S5_NSA_INS8_10device_ptrIfEEEESG_SI_NS1_21upper_bound_search_opENS9_16wrapped_functionINS8_6system6detail7generic6detail18binary_search_lessEbEEEE10hipError_tPvRmT1_T2_T3_mmT4_T5_P12ihipStream_tbEUlRKfE_EESV_SZ_S10_mS11_S14_bEUlT_E_NS1_11comp_targetILNS1_3genE10ELNS1_11target_archE1201ELNS1_3gpuE5ELNS1_3repE0EEENS1_30default_config_static_selectorELNS0_4arch9wavefront6targetE1EEEvSY_
		.amdhsa_group_segment_fixed_size 0
		.amdhsa_private_segment_fixed_size 0
		.amdhsa_kernarg_size 56
		.amdhsa_user_sgpr_count 6
		.amdhsa_user_sgpr_private_segment_buffer 1
		.amdhsa_user_sgpr_dispatch_ptr 0
		.amdhsa_user_sgpr_queue_ptr 0
		.amdhsa_user_sgpr_kernarg_segment_ptr 1
		.amdhsa_user_sgpr_dispatch_id 0
		.amdhsa_user_sgpr_flat_scratch_init 0
		.amdhsa_user_sgpr_private_segment_size 0
		.amdhsa_uses_dynamic_stack 0
		.amdhsa_system_sgpr_private_segment_wavefront_offset 0
		.amdhsa_system_sgpr_workgroup_id_x 1
		.amdhsa_system_sgpr_workgroup_id_y 0
		.amdhsa_system_sgpr_workgroup_id_z 0
		.amdhsa_system_sgpr_workgroup_info 0
		.amdhsa_system_vgpr_workitem_id 0
		.amdhsa_next_free_vgpr 1
		.amdhsa_next_free_sgpr 0
		.amdhsa_reserve_vcc 0
		.amdhsa_reserve_flat_scratch 0
		.amdhsa_float_round_mode_32 0
		.amdhsa_float_round_mode_16_64 0
		.amdhsa_float_denorm_mode_32 3
		.amdhsa_float_denorm_mode_16_64 3
		.amdhsa_dx10_clamp 1
		.amdhsa_ieee_mode 1
		.amdhsa_fp16_overflow 0
		.amdhsa_exception_fp_ieee_invalid_op 0
		.amdhsa_exception_fp_denorm_src 0
		.amdhsa_exception_fp_ieee_div_zero 0
		.amdhsa_exception_fp_ieee_overflow 0
		.amdhsa_exception_fp_ieee_underflow 0
		.amdhsa_exception_fp_ieee_inexact 0
		.amdhsa_exception_int_div_zero 0
	.end_amdhsa_kernel
	.section	.text._ZN7rocprim17ROCPRIM_400000_NS6detail17trampoline_kernelINS0_14default_configENS1_27upper_bound_config_selectorIflEEZNS1_14transform_implILb0ES3_S5_N6thrust23THRUST_200600_302600_NS6detail15normal_iteratorINS8_7pointerIfNS8_11hip_rocprim5par_tENS8_11use_defaultESE_EEEENSA_INSB_IlSD_SE_SE_EEEEZNS1_13binary_searchIS3_S5_NSA_INS8_10device_ptrIfEEEESG_SI_NS1_21upper_bound_search_opENS9_16wrapped_functionINS8_6system6detail7generic6detail18binary_search_lessEbEEEE10hipError_tPvRmT1_T2_T3_mmT4_T5_P12ihipStream_tbEUlRKfE_EESV_SZ_S10_mS11_S14_bEUlT_E_NS1_11comp_targetILNS1_3genE10ELNS1_11target_archE1201ELNS1_3gpuE5ELNS1_3repE0EEENS1_30default_config_static_selectorELNS0_4arch9wavefront6targetE1EEEvSY_,"axG",@progbits,_ZN7rocprim17ROCPRIM_400000_NS6detail17trampoline_kernelINS0_14default_configENS1_27upper_bound_config_selectorIflEEZNS1_14transform_implILb0ES3_S5_N6thrust23THRUST_200600_302600_NS6detail15normal_iteratorINS8_7pointerIfNS8_11hip_rocprim5par_tENS8_11use_defaultESE_EEEENSA_INSB_IlSD_SE_SE_EEEEZNS1_13binary_searchIS3_S5_NSA_INS8_10device_ptrIfEEEESG_SI_NS1_21upper_bound_search_opENS9_16wrapped_functionINS8_6system6detail7generic6detail18binary_search_lessEbEEEE10hipError_tPvRmT1_T2_T3_mmT4_T5_P12ihipStream_tbEUlRKfE_EESV_SZ_S10_mS11_S14_bEUlT_E_NS1_11comp_targetILNS1_3genE10ELNS1_11target_archE1201ELNS1_3gpuE5ELNS1_3repE0EEENS1_30default_config_static_selectorELNS0_4arch9wavefront6targetE1EEEvSY_,comdat
.Lfunc_end532:
	.size	_ZN7rocprim17ROCPRIM_400000_NS6detail17trampoline_kernelINS0_14default_configENS1_27upper_bound_config_selectorIflEEZNS1_14transform_implILb0ES3_S5_N6thrust23THRUST_200600_302600_NS6detail15normal_iteratorINS8_7pointerIfNS8_11hip_rocprim5par_tENS8_11use_defaultESE_EEEENSA_INSB_IlSD_SE_SE_EEEEZNS1_13binary_searchIS3_S5_NSA_INS8_10device_ptrIfEEEESG_SI_NS1_21upper_bound_search_opENS9_16wrapped_functionINS8_6system6detail7generic6detail18binary_search_lessEbEEEE10hipError_tPvRmT1_T2_T3_mmT4_T5_P12ihipStream_tbEUlRKfE_EESV_SZ_S10_mS11_S14_bEUlT_E_NS1_11comp_targetILNS1_3genE10ELNS1_11target_archE1201ELNS1_3gpuE5ELNS1_3repE0EEENS1_30default_config_static_selectorELNS0_4arch9wavefront6targetE1EEEvSY_, .Lfunc_end532-_ZN7rocprim17ROCPRIM_400000_NS6detail17trampoline_kernelINS0_14default_configENS1_27upper_bound_config_selectorIflEEZNS1_14transform_implILb0ES3_S5_N6thrust23THRUST_200600_302600_NS6detail15normal_iteratorINS8_7pointerIfNS8_11hip_rocprim5par_tENS8_11use_defaultESE_EEEENSA_INSB_IlSD_SE_SE_EEEEZNS1_13binary_searchIS3_S5_NSA_INS8_10device_ptrIfEEEESG_SI_NS1_21upper_bound_search_opENS9_16wrapped_functionINS8_6system6detail7generic6detail18binary_search_lessEbEEEE10hipError_tPvRmT1_T2_T3_mmT4_T5_P12ihipStream_tbEUlRKfE_EESV_SZ_S10_mS11_S14_bEUlT_E_NS1_11comp_targetILNS1_3genE10ELNS1_11target_archE1201ELNS1_3gpuE5ELNS1_3repE0EEENS1_30default_config_static_selectorELNS0_4arch9wavefront6targetE1EEEvSY_
                                        ; -- End function
	.set _ZN7rocprim17ROCPRIM_400000_NS6detail17trampoline_kernelINS0_14default_configENS1_27upper_bound_config_selectorIflEEZNS1_14transform_implILb0ES3_S5_N6thrust23THRUST_200600_302600_NS6detail15normal_iteratorINS8_7pointerIfNS8_11hip_rocprim5par_tENS8_11use_defaultESE_EEEENSA_INSB_IlSD_SE_SE_EEEEZNS1_13binary_searchIS3_S5_NSA_INS8_10device_ptrIfEEEESG_SI_NS1_21upper_bound_search_opENS9_16wrapped_functionINS8_6system6detail7generic6detail18binary_search_lessEbEEEE10hipError_tPvRmT1_T2_T3_mmT4_T5_P12ihipStream_tbEUlRKfE_EESV_SZ_S10_mS11_S14_bEUlT_E_NS1_11comp_targetILNS1_3genE10ELNS1_11target_archE1201ELNS1_3gpuE5ELNS1_3repE0EEENS1_30default_config_static_selectorELNS0_4arch9wavefront6targetE1EEEvSY_.num_vgpr, 0
	.set _ZN7rocprim17ROCPRIM_400000_NS6detail17trampoline_kernelINS0_14default_configENS1_27upper_bound_config_selectorIflEEZNS1_14transform_implILb0ES3_S5_N6thrust23THRUST_200600_302600_NS6detail15normal_iteratorINS8_7pointerIfNS8_11hip_rocprim5par_tENS8_11use_defaultESE_EEEENSA_INSB_IlSD_SE_SE_EEEEZNS1_13binary_searchIS3_S5_NSA_INS8_10device_ptrIfEEEESG_SI_NS1_21upper_bound_search_opENS9_16wrapped_functionINS8_6system6detail7generic6detail18binary_search_lessEbEEEE10hipError_tPvRmT1_T2_T3_mmT4_T5_P12ihipStream_tbEUlRKfE_EESV_SZ_S10_mS11_S14_bEUlT_E_NS1_11comp_targetILNS1_3genE10ELNS1_11target_archE1201ELNS1_3gpuE5ELNS1_3repE0EEENS1_30default_config_static_selectorELNS0_4arch9wavefront6targetE1EEEvSY_.num_agpr, 0
	.set _ZN7rocprim17ROCPRIM_400000_NS6detail17trampoline_kernelINS0_14default_configENS1_27upper_bound_config_selectorIflEEZNS1_14transform_implILb0ES3_S5_N6thrust23THRUST_200600_302600_NS6detail15normal_iteratorINS8_7pointerIfNS8_11hip_rocprim5par_tENS8_11use_defaultESE_EEEENSA_INSB_IlSD_SE_SE_EEEEZNS1_13binary_searchIS3_S5_NSA_INS8_10device_ptrIfEEEESG_SI_NS1_21upper_bound_search_opENS9_16wrapped_functionINS8_6system6detail7generic6detail18binary_search_lessEbEEEE10hipError_tPvRmT1_T2_T3_mmT4_T5_P12ihipStream_tbEUlRKfE_EESV_SZ_S10_mS11_S14_bEUlT_E_NS1_11comp_targetILNS1_3genE10ELNS1_11target_archE1201ELNS1_3gpuE5ELNS1_3repE0EEENS1_30default_config_static_selectorELNS0_4arch9wavefront6targetE1EEEvSY_.numbered_sgpr, 0
	.set _ZN7rocprim17ROCPRIM_400000_NS6detail17trampoline_kernelINS0_14default_configENS1_27upper_bound_config_selectorIflEEZNS1_14transform_implILb0ES3_S5_N6thrust23THRUST_200600_302600_NS6detail15normal_iteratorINS8_7pointerIfNS8_11hip_rocprim5par_tENS8_11use_defaultESE_EEEENSA_INSB_IlSD_SE_SE_EEEEZNS1_13binary_searchIS3_S5_NSA_INS8_10device_ptrIfEEEESG_SI_NS1_21upper_bound_search_opENS9_16wrapped_functionINS8_6system6detail7generic6detail18binary_search_lessEbEEEE10hipError_tPvRmT1_T2_T3_mmT4_T5_P12ihipStream_tbEUlRKfE_EESV_SZ_S10_mS11_S14_bEUlT_E_NS1_11comp_targetILNS1_3genE10ELNS1_11target_archE1201ELNS1_3gpuE5ELNS1_3repE0EEENS1_30default_config_static_selectorELNS0_4arch9wavefront6targetE1EEEvSY_.num_named_barrier, 0
	.set _ZN7rocprim17ROCPRIM_400000_NS6detail17trampoline_kernelINS0_14default_configENS1_27upper_bound_config_selectorIflEEZNS1_14transform_implILb0ES3_S5_N6thrust23THRUST_200600_302600_NS6detail15normal_iteratorINS8_7pointerIfNS8_11hip_rocprim5par_tENS8_11use_defaultESE_EEEENSA_INSB_IlSD_SE_SE_EEEEZNS1_13binary_searchIS3_S5_NSA_INS8_10device_ptrIfEEEESG_SI_NS1_21upper_bound_search_opENS9_16wrapped_functionINS8_6system6detail7generic6detail18binary_search_lessEbEEEE10hipError_tPvRmT1_T2_T3_mmT4_T5_P12ihipStream_tbEUlRKfE_EESV_SZ_S10_mS11_S14_bEUlT_E_NS1_11comp_targetILNS1_3genE10ELNS1_11target_archE1201ELNS1_3gpuE5ELNS1_3repE0EEENS1_30default_config_static_selectorELNS0_4arch9wavefront6targetE1EEEvSY_.private_seg_size, 0
	.set _ZN7rocprim17ROCPRIM_400000_NS6detail17trampoline_kernelINS0_14default_configENS1_27upper_bound_config_selectorIflEEZNS1_14transform_implILb0ES3_S5_N6thrust23THRUST_200600_302600_NS6detail15normal_iteratorINS8_7pointerIfNS8_11hip_rocprim5par_tENS8_11use_defaultESE_EEEENSA_INSB_IlSD_SE_SE_EEEEZNS1_13binary_searchIS3_S5_NSA_INS8_10device_ptrIfEEEESG_SI_NS1_21upper_bound_search_opENS9_16wrapped_functionINS8_6system6detail7generic6detail18binary_search_lessEbEEEE10hipError_tPvRmT1_T2_T3_mmT4_T5_P12ihipStream_tbEUlRKfE_EESV_SZ_S10_mS11_S14_bEUlT_E_NS1_11comp_targetILNS1_3genE10ELNS1_11target_archE1201ELNS1_3gpuE5ELNS1_3repE0EEENS1_30default_config_static_selectorELNS0_4arch9wavefront6targetE1EEEvSY_.uses_vcc, 0
	.set _ZN7rocprim17ROCPRIM_400000_NS6detail17trampoline_kernelINS0_14default_configENS1_27upper_bound_config_selectorIflEEZNS1_14transform_implILb0ES3_S5_N6thrust23THRUST_200600_302600_NS6detail15normal_iteratorINS8_7pointerIfNS8_11hip_rocprim5par_tENS8_11use_defaultESE_EEEENSA_INSB_IlSD_SE_SE_EEEEZNS1_13binary_searchIS3_S5_NSA_INS8_10device_ptrIfEEEESG_SI_NS1_21upper_bound_search_opENS9_16wrapped_functionINS8_6system6detail7generic6detail18binary_search_lessEbEEEE10hipError_tPvRmT1_T2_T3_mmT4_T5_P12ihipStream_tbEUlRKfE_EESV_SZ_S10_mS11_S14_bEUlT_E_NS1_11comp_targetILNS1_3genE10ELNS1_11target_archE1201ELNS1_3gpuE5ELNS1_3repE0EEENS1_30default_config_static_selectorELNS0_4arch9wavefront6targetE1EEEvSY_.uses_flat_scratch, 0
	.set _ZN7rocprim17ROCPRIM_400000_NS6detail17trampoline_kernelINS0_14default_configENS1_27upper_bound_config_selectorIflEEZNS1_14transform_implILb0ES3_S5_N6thrust23THRUST_200600_302600_NS6detail15normal_iteratorINS8_7pointerIfNS8_11hip_rocprim5par_tENS8_11use_defaultESE_EEEENSA_INSB_IlSD_SE_SE_EEEEZNS1_13binary_searchIS3_S5_NSA_INS8_10device_ptrIfEEEESG_SI_NS1_21upper_bound_search_opENS9_16wrapped_functionINS8_6system6detail7generic6detail18binary_search_lessEbEEEE10hipError_tPvRmT1_T2_T3_mmT4_T5_P12ihipStream_tbEUlRKfE_EESV_SZ_S10_mS11_S14_bEUlT_E_NS1_11comp_targetILNS1_3genE10ELNS1_11target_archE1201ELNS1_3gpuE5ELNS1_3repE0EEENS1_30default_config_static_selectorELNS0_4arch9wavefront6targetE1EEEvSY_.has_dyn_sized_stack, 0
	.set _ZN7rocprim17ROCPRIM_400000_NS6detail17trampoline_kernelINS0_14default_configENS1_27upper_bound_config_selectorIflEEZNS1_14transform_implILb0ES3_S5_N6thrust23THRUST_200600_302600_NS6detail15normal_iteratorINS8_7pointerIfNS8_11hip_rocprim5par_tENS8_11use_defaultESE_EEEENSA_INSB_IlSD_SE_SE_EEEEZNS1_13binary_searchIS3_S5_NSA_INS8_10device_ptrIfEEEESG_SI_NS1_21upper_bound_search_opENS9_16wrapped_functionINS8_6system6detail7generic6detail18binary_search_lessEbEEEE10hipError_tPvRmT1_T2_T3_mmT4_T5_P12ihipStream_tbEUlRKfE_EESV_SZ_S10_mS11_S14_bEUlT_E_NS1_11comp_targetILNS1_3genE10ELNS1_11target_archE1201ELNS1_3gpuE5ELNS1_3repE0EEENS1_30default_config_static_selectorELNS0_4arch9wavefront6targetE1EEEvSY_.has_recursion, 0
	.set _ZN7rocprim17ROCPRIM_400000_NS6detail17trampoline_kernelINS0_14default_configENS1_27upper_bound_config_selectorIflEEZNS1_14transform_implILb0ES3_S5_N6thrust23THRUST_200600_302600_NS6detail15normal_iteratorINS8_7pointerIfNS8_11hip_rocprim5par_tENS8_11use_defaultESE_EEEENSA_INSB_IlSD_SE_SE_EEEEZNS1_13binary_searchIS3_S5_NSA_INS8_10device_ptrIfEEEESG_SI_NS1_21upper_bound_search_opENS9_16wrapped_functionINS8_6system6detail7generic6detail18binary_search_lessEbEEEE10hipError_tPvRmT1_T2_T3_mmT4_T5_P12ihipStream_tbEUlRKfE_EESV_SZ_S10_mS11_S14_bEUlT_E_NS1_11comp_targetILNS1_3genE10ELNS1_11target_archE1201ELNS1_3gpuE5ELNS1_3repE0EEENS1_30default_config_static_selectorELNS0_4arch9wavefront6targetE1EEEvSY_.has_indirect_call, 0
	.section	.AMDGPU.csdata,"",@progbits
; Kernel info:
; codeLenInByte = 0
; TotalNumSgprs: 4
; NumVgprs: 0
; ScratchSize: 0
; MemoryBound: 0
; FloatMode: 240
; IeeeMode: 1
; LDSByteSize: 0 bytes/workgroup (compile time only)
; SGPRBlocks: 0
; VGPRBlocks: 0
; NumSGPRsForWavesPerEU: 4
; NumVGPRsForWavesPerEU: 1
; Occupancy: 10
; WaveLimiterHint : 0
; COMPUTE_PGM_RSRC2:SCRATCH_EN: 0
; COMPUTE_PGM_RSRC2:USER_SGPR: 6
; COMPUTE_PGM_RSRC2:TRAP_HANDLER: 0
; COMPUTE_PGM_RSRC2:TGID_X_EN: 1
; COMPUTE_PGM_RSRC2:TGID_Y_EN: 0
; COMPUTE_PGM_RSRC2:TGID_Z_EN: 0
; COMPUTE_PGM_RSRC2:TIDIG_COMP_CNT: 0
	.section	.text._ZN7rocprim17ROCPRIM_400000_NS6detail17trampoline_kernelINS0_14default_configENS1_27upper_bound_config_selectorIflEEZNS1_14transform_implILb0ES3_S5_N6thrust23THRUST_200600_302600_NS6detail15normal_iteratorINS8_7pointerIfNS8_11hip_rocprim5par_tENS8_11use_defaultESE_EEEENSA_INSB_IlSD_SE_SE_EEEEZNS1_13binary_searchIS3_S5_NSA_INS8_10device_ptrIfEEEESG_SI_NS1_21upper_bound_search_opENS9_16wrapped_functionINS8_6system6detail7generic6detail18binary_search_lessEbEEEE10hipError_tPvRmT1_T2_T3_mmT4_T5_P12ihipStream_tbEUlRKfE_EESV_SZ_S10_mS11_S14_bEUlT_E_NS1_11comp_targetILNS1_3genE10ELNS1_11target_archE1200ELNS1_3gpuE4ELNS1_3repE0EEENS1_30default_config_static_selectorELNS0_4arch9wavefront6targetE1EEEvSY_,"axG",@progbits,_ZN7rocprim17ROCPRIM_400000_NS6detail17trampoline_kernelINS0_14default_configENS1_27upper_bound_config_selectorIflEEZNS1_14transform_implILb0ES3_S5_N6thrust23THRUST_200600_302600_NS6detail15normal_iteratorINS8_7pointerIfNS8_11hip_rocprim5par_tENS8_11use_defaultESE_EEEENSA_INSB_IlSD_SE_SE_EEEEZNS1_13binary_searchIS3_S5_NSA_INS8_10device_ptrIfEEEESG_SI_NS1_21upper_bound_search_opENS9_16wrapped_functionINS8_6system6detail7generic6detail18binary_search_lessEbEEEE10hipError_tPvRmT1_T2_T3_mmT4_T5_P12ihipStream_tbEUlRKfE_EESV_SZ_S10_mS11_S14_bEUlT_E_NS1_11comp_targetILNS1_3genE10ELNS1_11target_archE1200ELNS1_3gpuE4ELNS1_3repE0EEENS1_30default_config_static_selectorELNS0_4arch9wavefront6targetE1EEEvSY_,comdat
	.protected	_ZN7rocprim17ROCPRIM_400000_NS6detail17trampoline_kernelINS0_14default_configENS1_27upper_bound_config_selectorIflEEZNS1_14transform_implILb0ES3_S5_N6thrust23THRUST_200600_302600_NS6detail15normal_iteratorINS8_7pointerIfNS8_11hip_rocprim5par_tENS8_11use_defaultESE_EEEENSA_INSB_IlSD_SE_SE_EEEEZNS1_13binary_searchIS3_S5_NSA_INS8_10device_ptrIfEEEESG_SI_NS1_21upper_bound_search_opENS9_16wrapped_functionINS8_6system6detail7generic6detail18binary_search_lessEbEEEE10hipError_tPvRmT1_T2_T3_mmT4_T5_P12ihipStream_tbEUlRKfE_EESV_SZ_S10_mS11_S14_bEUlT_E_NS1_11comp_targetILNS1_3genE10ELNS1_11target_archE1200ELNS1_3gpuE4ELNS1_3repE0EEENS1_30default_config_static_selectorELNS0_4arch9wavefront6targetE1EEEvSY_ ; -- Begin function _ZN7rocprim17ROCPRIM_400000_NS6detail17trampoline_kernelINS0_14default_configENS1_27upper_bound_config_selectorIflEEZNS1_14transform_implILb0ES3_S5_N6thrust23THRUST_200600_302600_NS6detail15normal_iteratorINS8_7pointerIfNS8_11hip_rocprim5par_tENS8_11use_defaultESE_EEEENSA_INSB_IlSD_SE_SE_EEEEZNS1_13binary_searchIS3_S5_NSA_INS8_10device_ptrIfEEEESG_SI_NS1_21upper_bound_search_opENS9_16wrapped_functionINS8_6system6detail7generic6detail18binary_search_lessEbEEEE10hipError_tPvRmT1_T2_T3_mmT4_T5_P12ihipStream_tbEUlRKfE_EESV_SZ_S10_mS11_S14_bEUlT_E_NS1_11comp_targetILNS1_3genE10ELNS1_11target_archE1200ELNS1_3gpuE4ELNS1_3repE0EEENS1_30default_config_static_selectorELNS0_4arch9wavefront6targetE1EEEvSY_
	.globl	_ZN7rocprim17ROCPRIM_400000_NS6detail17trampoline_kernelINS0_14default_configENS1_27upper_bound_config_selectorIflEEZNS1_14transform_implILb0ES3_S5_N6thrust23THRUST_200600_302600_NS6detail15normal_iteratorINS8_7pointerIfNS8_11hip_rocprim5par_tENS8_11use_defaultESE_EEEENSA_INSB_IlSD_SE_SE_EEEEZNS1_13binary_searchIS3_S5_NSA_INS8_10device_ptrIfEEEESG_SI_NS1_21upper_bound_search_opENS9_16wrapped_functionINS8_6system6detail7generic6detail18binary_search_lessEbEEEE10hipError_tPvRmT1_T2_T3_mmT4_T5_P12ihipStream_tbEUlRKfE_EESV_SZ_S10_mS11_S14_bEUlT_E_NS1_11comp_targetILNS1_3genE10ELNS1_11target_archE1200ELNS1_3gpuE4ELNS1_3repE0EEENS1_30default_config_static_selectorELNS0_4arch9wavefront6targetE1EEEvSY_
	.p2align	8
	.type	_ZN7rocprim17ROCPRIM_400000_NS6detail17trampoline_kernelINS0_14default_configENS1_27upper_bound_config_selectorIflEEZNS1_14transform_implILb0ES3_S5_N6thrust23THRUST_200600_302600_NS6detail15normal_iteratorINS8_7pointerIfNS8_11hip_rocprim5par_tENS8_11use_defaultESE_EEEENSA_INSB_IlSD_SE_SE_EEEEZNS1_13binary_searchIS3_S5_NSA_INS8_10device_ptrIfEEEESG_SI_NS1_21upper_bound_search_opENS9_16wrapped_functionINS8_6system6detail7generic6detail18binary_search_lessEbEEEE10hipError_tPvRmT1_T2_T3_mmT4_T5_P12ihipStream_tbEUlRKfE_EESV_SZ_S10_mS11_S14_bEUlT_E_NS1_11comp_targetILNS1_3genE10ELNS1_11target_archE1200ELNS1_3gpuE4ELNS1_3repE0EEENS1_30default_config_static_selectorELNS0_4arch9wavefront6targetE1EEEvSY_,@function
_ZN7rocprim17ROCPRIM_400000_NS6detail17trampoline_kernelINS0_14default_configENS1_27upper_bound_config_selectorIflEEZNS1_14transform_implILb0ES3_S5_N6thrust23THRUST_200600_302600_NS6detail15normal_iteratorINS8_7pointerIfNS8_11hip_rocprim5par_tENS8_11use_defaultESE_EEEENSA_INSB_IlSD_SE_SE_EEEEZNS1_13binary_searchIS3_S5_NSA_INS8_10device_ptrIfEEEESG_SI_NS1_21upper_bound_search_opENS9_16wrapped_functionINS8_6system6detail7generic6detail18binary_search_lessEbEEEE10hipError_tPvRmT1_T2_T3_mmT4_T5_P12ihipStream_tbEUlRKfE_EESV_SZ_S10_mS11_S14_bEUlT_E_NS1_11comp_targetILNS1_3genE10ELNS1_11target_archE1200ELNS1_3gpuE4ELNS1_3repE0EEENS1_30default_config_static_selectorELNS0_4arch9wavefront6targetE1EEEvSY_: ; @_ZN7rocprim17ROCPRIM_400000_NS6detail17trampoline_kernelINS0_14default_configENS1_27upper_bound_config_selectorIflEEZNS1_14transform_implILb0ES3_S5_N6thrust23THRUST_200600_302600_NS6detail15normal_iteratorINS8_7pointerIfNS8_11hip_rocprim5par_tENS8_11use_defaultESE_EEEENSA_INSB_IlSD_SE_SE_EEEEZNS1_13binary_searchIS3_S5_NSA_INS8_10device_ptrIfEEEESG_SI_NS1_21upper_bound_search_opENS9_16wrapped_functionINS8_6system6detail7generic6detail18binary_search_lessEbEEEE10hipError_tPvRmT1_T2_T3_mmT4_T5_P12ihipStream_tbEUlRKfE_EESV_SZ_S10_mS11_S14_bEUlT_E_NS1_11comp_targetILNS1_3genE10ELNS1_11target_archE1200ELNS1_3gpuE4ELNS1_3repE0EEENS1_30default_config_static_selectorELNS0_4arch9wavefront6targetE1EEEvSY_
; %bb.0:
	.section	.rodata,"a",@progbits
	.p2align	6, 0x0
	.amdhsa_kernel _ZN7rocprim17ROCPRIM_400000_NS6detail17trampoline_kernelINS0_14default_configENS1_27upper_bound_config_selectorIflEEZNS1_14transform_implILb0ES3_S5_N6thrust23THRUST_200600_302600_NS6detail15normal_iteratorINS8_7pointerIfNS8_11hip_rocprim5par_tENS8_11use_defaultESE_EEEENSA_INSB_IlSD_SE_SE_EEEEZNS1_13binary_searchIS3_S5_NSA_INS8_10device_ptrIfEEEESG_SI_NS1_21upper_bound_search_opENS9_16wrapped_functionINS8_6system6detail7generic6detail18binary_search_lessEbEEEE10hipError_tPvRmT1_T2_T3_mmT4_T5_P12ihipStream_tbEUlRKfE_EESV_SZ_S10_mS11_S14_bEUlT_E_NS1_11comp_targetILNS1_3genE10ELNS1_11target_archE1200ELNS1_3gpuE4ELNS1_3repE0EEENS1_30default_config_static_selectorELNS0_4arch9wavefront6targetE1EEEvSY_
		.amdhsa_group_segment_fixed_size 0
		.amdhsa_private_segment_fixed_size 0
		.amdhsa_kernarg_size 56
		.amdhsa_user_sgpr_count 6
		.amdhsa_user_sgpr_private_segment_buffer 1
		.amdhsa_user_sgpr_dispatch_ptr 0
		.amdhsa_user_sgpr_queue_ptr 0
		.amdhsa_user_sgpr_kernarg_segment_ptr 1
		.amdhsa_user_sgpr_dispatch_id 0
		.amdhsa_user_sgpr_flat_scratch_init 0
		.amdhsa_user_sgpr_private_segment_size 0
		.amdhsa_uses_dynamic_stack 0
		.amdhsa_system_sgpr_private_segment_wavefront_offset 0
		.amdhsa_system_sgpr_workgroup_id_x 1
		.amdhsa_system_sgpr_workgroup_id_y 0
		.amdhsa_system_sgpr_workgroup_id_z 0
		.amdhsa_system_sgpr_workgroup_info 0
		.amdhsa_system_vgpr_workitem_id 0
		.amdhsa_next_free_vgpr 1
		.amdhsa_next_free_sgpr 0
		.amdhsa_reserve_vcc 0
		.amdhsa_reserve_flat_scratch 0
		.amdhsa_float_round_mode_32 0
		.amdhsa_float_round_mode_16_64 0
		.amdhsa_float_denorm_mode_32 3
		.amdhsa_float_denorm_mode_16_64 3
		.amdhsa_dx10_clamp 1
		.amdhsa_ieee_mode 1
		.amdhsa_fp16_overflow 0
		.amdhsa_exception_fp_ieee_invalid_op 0
		.amdhsa_exception_fp_denorm_src 0
		.amdhsa_exception_fp_ieee_div_zero 0
		.amdhsa_exception_fp_ieee_overflow 0
		.amdhsa_exception_fp_ieee_underflow 0
		.amdhsa_exception_fp_ieee_inexact 0
		.amdhsa_exception_int_div_zero 0
	.end_amdhsa_kernel
	.section	.text._ZN7rocprim17ROCPRIM_400000_NS6detail17trampoline_kernelINS0_14default_configENS1_27upper_bound_config_selectorIflEEZNS1_14transform_implILb0ES3_S5_N6thrust23THRUST_200600_302600_NS6detail15normal_iteratorINS8_7pointerIfNS8_11hip_rocprim5par_tENS8_11use_defaultESE_EEEENSA_INSB_IlSD_SE_SE_EEEEZNS1_13binary_searchIS3_S5_NSA_INS8_10device_ptrIfEEEESG_SI_NS1_21upper_bound_search_opENS9_16wrapped_functionINS8_6system6detail7generic6detail18binary_search_lessEbEEEE10hipError_tPvRmT1_T2_T3_mmT4_T5_P12ihipStream_tbEUlRKfE_EESV_SZ_S10_mS11_S14_bEUlT_E_NS1_11comp_targetILNS1_3genE10ELNS1_11target_archE1200ELNS1_3gpuE4ELNS1_3repE0EEENS1_30default_config_static_selectorELNS0_4arch9wavefront6targetE1EEEvSY_,"axG",@progbits,_ZN7rocprim17ROCPRIM_400000_NS6detail17trampoline_kernelINS0_14default_configENS1_27upper_bound_config_selectorIflEEZNS1_14transform_implILb0ES3_S5_N6thrust23THRUST_200600_302600_NS6detail15normal_iteratorINS8_7pointerIfNS8_11hip_rocprim5par_tENS8_11use_defaultESE_EEEENSA_INSB_IlSD_SE_SE_EEEEZNS1_13binary_searchIS3_S5_NSA_INS8_10device_ptrIfEEEESG_SI_NS1_21upper_bound_search_opENS9_16wrapped_functionINS8_6system6detail7generic6detail18binary_search_lessEbEEEE10hipError_tPvRmT1_T2_T3_mmT4_T5_P12ihipStream_tbEUlRKfE_EESV_SZ_S10_mS11_S14_bEUlT_E_NS1_11comp_targetILNS1_3genE10ELNS1_11target_archE1200ELNS1_3gpuE4ELNS1_3repE0EEENS1_30default_config_static_selectorELNS0_4arch9wavefront6targetE1EEEvSY_,comdat
.Lfunc_end533:
	.size	_ZN7rocprim17ROCPRIM_400000_NS6detail17trampoline_kernelINS0_14default_configENS1_27upper_bound_config_selectorIflEEZNS1_14transform_implILb0ES3_S5_N6thrust23THRUST_200600_302600_NS6detail15normal_iteratorINS8_7pointerIfNS8_11hip_rocprim5par_tENS8_11use_defaultESE_EEEENSA_INSB_IlSD_SE_SE_EEEEZNS1_13binary_searchIS3_S5_NSA_INS8_10device_ptrIfEEEESG_SI_NS1_21upper_bound_search_opENS9_16wrapped_functionINS8_6system6detail7generic6detail18binary_search_lessEbEEEE10hipError_tPvRmT1_T2_T3_mmT4_T5_P12ihipStream_tbEUlRKfE_EESV_SZ_S10_mS11_S14_bEUlT_E_NS1_11comp_targetILNS1_3genE10ELNS1_11target_archE1200ELNS1_3gpuE4ELNS1_3repE0EEENS1_30default_config_static_selectorELNS0_4arch9wavefront6targetE1EEEvSY_, .Lfunc_end533-_ZN7rocprim17ROCPRIM_400000_NS6detail17trampoline_kernelINS0_14default_configENS1_27upper_bound_config_selectorIflEEZNS1_14transform_implILb0ES3_S5_N6thrust23THRUST_200600_302600_NS6detail15normal_iteratorINS8_7pointerIfNS8_11hip_rocprim5par_tENS8_11use_defaultESE_EEEENSA_INSB_IlSD_SE_SE_EEEEZNS1_13binary_searchIS3_S5_NSA_INS8_10device_ptrIfEEEESG_SI_NS1_21upper_bound_search_opENS9_16wrapped_functionINS8_6system6detail7generic6detail18binary_search_lessEbEEEE10hipError_tPvRmT1_T2_T3_mmT4_T5_P12ihipStream_tbEUlRKfE_EESV_SZ_S10_mS11_S14_bEUlT_E_NS1_11comp_targetILNS1_3genE10ELNS1_11target_archE1200ELNS1_3gpuE4ELNS1_3repE0EEENS1_30default_config_static_selectorELNS0_4arch9wavefront6targetE1EEEvSY_
                                        ; -- End function
	.set _ZN7rocprim17ROCPRIM_400000_NS6detail17trampoline_kernelINS0_14default_configENS1_27upper_bound_config_selectorIflEEZNS1_14transform_implILb0ES3_S5_N6thrust23THRUST_200600_302600_NS6detail15normal_iteratorINS8_7pointerIfNS8_11hip_rocprim5par_tENS8_11use_defaultESE_EEEENSA_INSB_IlSD_SE_SE_EEEEZNS1_13binary_searchIS3_S5_NSA_INS8_10device_ptrIfEEEESG_SI_NS1_21upper_bound_search_opENS9_16wrapped_functionINS8_6system6detail7generic6detail18binary_search_lessEbEEEE10hipError_tPvRmT1_T2_T3_mmT4_T5_P12ihipStream_tbEUlRKfE_EESV_SZ_S10_mS11_S14_bEUlT_E_NS1_11comp_targetILNS1_3genE10ELNS1_11target_archE1200ELNS1_3gpuE4ELNS1_3repE0EEENS1_30default_config_static_selectorELNS0_4arch9wavefront6targetE1EEEvSY_.num_vgpr, 0
	.set _ZN7rocprim17ROCPRIM_400000_NS6detail17trampoline_kernelINS0_14default_configENS1_27upper_bound_config_selectorIflEEZNS1_14transform_implILb0ES3_S5_N6thrust23THRUST_200600_302600_NS6detail15normal_iteratorINS8_7pointerIfNS8_11hip_rocprim5par_tENS8_11use_defaultESE_EEEENSA_INSB_IlSD_SE_SE_EEEEZNS1_13binary_searchIS3_S5_NSA_INS8_10device_ptrIfEEEESG_SI_NS1_21upper_bound_search_opENS9_16wrapped_functionINS8_6system6detail7generic6detail18binary_search_lessEbEEEE10hipError_tPvRmT1_T2_T3_mmT4_T5_P12ihipStream_tbEUlRKfE_EESV_SZ_S10_mS11_S14_bEUlT_E_NS1_11comp_targetILNS1_3genE10ELNS1_11target_archE1200ELNS1_3gpuE4ELNS1_3repE0EEENS1_30default_config_static_selectorELNS0_4arch9wavefront6targetE1EEEvSY_.num_agpr, 0
	.set _ZN7rocprim17ROCPRIM_400000_NS6detail17trampoline_kernelINS0_14default_configENS1_27upper_bound_config_selectorIflEEZNS1_14transform_implILb0ES3_S5_N6thrust23THRUST_200600_302600_NS6detail15normal_iteratorINS8_7pointerIfNS8_11hip_rocprim5par_tENS8_11use_defaultESE_EEEENSA_INSB_IlSD_SE_SE_EEEEZNS1_13binary_searchIS3_S5_NSA_INS8_10device_ptrIfEEEESG_SI_NS1_21upper_bound_search_opENS9_16wrapped_functionINS8_6system6detail7generic6detail18binary_search_lessEbEEEE10hipError_tPvRmT1_T2_T3_mmT4_T5_P12ihipStream_tbEUlRKfE_EESV_SZ_S10_mS11_S14_bEUlT_E_NS1_11comp_targetILNS1_3genE10ELNS1_11target_archE1200ELNS1_3gpuE4ELNS1_3repE0EEENS1_30default_config_static_selectorELNS0_4arch9wavefront6targetE1EEEvSY_.numbered_sgpr, 0
	.set _ZN7rocprim17ROCPRIM_400000_NS6detail17trampoline_kernelINS0_14default_configENS1_27upper_bound_config_selectorIflEEZNS1_14transform_implILb0ES3_S5_N6thrust23THRUST_200600_302600_NS6detail15normal_iteratorINS8_7pointerIfNS8_11hip_rocprim5par_tENS8_11use_defaultESE_EEEENSA_INSB_IlSD_SE_SE_EEEEZNS1_13binary_searchIS3_S5_NSA_INS8_10device_ptrIfEEEESG_SI_NS1_21upper_bound_search_opENS9_16wrapped_functionINS8_6system6detail7generic6detail18binary_search_lessEbEEEE10hipError_tPvRmT1_T2_T3_mmT4_T5_P12ihipStream_tbEUlRKfE_EESV_SZ_S10_mS11_S14_bEUlT_E_NS1_11comp_targetILNS1_3genE10ELNS1_11target_archE1200ELNS1_3gpuE4ELNS1_3repE0EEENS1_30default_config_static_selectorELNS0_4arch9wavefront6targetE1EEEvSY_.num_named_barrier, 0
	.set _ZN7rocprim17ROCPRIM_400000_NS6detail17trampoline_kernelINS0_14default_configENS1_27upper_bound_config_selectorIflEEZNS1_14transform_implILb0ES3_S5_N6thrust23THRUST_200600_302600_NS6detail15normal_iteratorINS8_7pointerIfNS8_11hip_rocprim5par_tENS8_11use_defaultESE_EEEENSA_INSB_IlSD_SE_SE_EEEEZNS1_13binary_searchIS3_S5_NSA_INS8_10device_ptrIfEEEESG_SI_NS1_21upper_bound_search_opENS9_16wrapped_functionINS8_6system6detail7generic6detail18binary_search_lessEbEEEE10hipError_tPvRmT1_T2_T3_mmT4_T5_P12ihipStream_tbEUlRKfE_EESV_SZ_S10_mS11_S14_bEUlT_E_NS1_11comp_targetILNS1_3genE10ELNS1_11target_archE1200ELNS1_3gpuE4ELNS1_3repE0EEENS1_30default_config_static_selectorELNS0_4arch9wavefront6targetE1EEEvSY_.private_seg_size, 0
	.set _ZN7rocprim17ROCPRIM_400000_NS6detail17trampoline_kernelINS0_14default_configENS1_27upper_bound_config_selectorIflEEZNS1_14transform_implILb0ES3_S5_N6thrust23THRUST_200600_302600_NS6detail15normal_iteratorINS8_7pointerIfNS8_11hip_rocprim5par_tENS8_11use_defaultESE_EEEENSA_INSB_IlSD_SE_SE_EEEEZNS1_13binary_searchIS3_S5_NSA_INS8_10device_ptrIfEEEESG_SI_NS1_21upper_bound_search_opENS9_16wrapped_functionINS8_6system6detail7generic6detail18binary_search_lessEbEEEE10hipError_tPvRmT1_T2_T3_mmT4_T5_P12ihipStream_tbEUlRKfE_EESV_SZ_S10_mS11_S14_bEUlT_E_NS1_11comp_targetILNS1_3genE10ELNS1_11target_archE1200ELNS1_3gpuE4ELNS1_3repE0EEENS1_30default_config_static_selectorELNS0_4arch9wavefront6targetE1EEEvSY_.uses_vcc, 0
	.set _ZN7rocprim17ROCPRIM_400000_NS6detail17trampoline_kernelINS0_14default_configENS1_27upper_bound_config_selectorIflEEZNS1_14transform_implILb0ES3_S5_N6thrust23THRUST_200600_302600_NS6detail15normal_iteratorINS8_7pointerIfNS8_11hip_rocprim5par_tENS8_11use_defaultESE_EEEENSA_INSB_IlSD_SE_SE_EEEEZNS1_13binary_searchIS3_S5_NSA_INS8_10device_ptrIfEEEESG_SI_NS1_21upper_bound_search_opENS9_16wrapped_functionINS8_6system6detail7generic6detail18binary_search_lessEbEEEE10hipError_tPvRmT1_T2_T3_mmT4_T5_P12ihipStream_tbEUlRKfE_EESV_SZ_S10_mS11_S14_bEUlT_E_NS1_11comp_targetILNS1_3genE10ELNS1_11target_archE1200ELNS1_3gpuE4ELNS1_3repE0EEENS1_30default_config_static_selectorELNS0_4arch9wavefront6targetE1EEEvSY_.uses_flat_scratch, 0
	.set _ZN7rocprim17ROCPRIM_400000_NS6detail17trampoline_kernelINS0_14default_configENS1_27upper_bound_config_selectorIflEEZNS1_14transform_implILb0ES3_S5_N6thrust23THRUST_200600_302600_NS6detail15normal_iteratorINS8_7pointerIfNS8_11hip_rocprim5par_tENS8_11use_defaultESE_EEEENSA_INSB_IlSD_SE_SE_EEEEZNS1_13binary_searchIS3_S5_NSA_INS8_10device_ptrIfEEEESG_SI_NS1_21upper_bound_search_opENS9_16wrapped_functionINS8_6system6detail7generic6detail18binary_search_lessEbEEEE10hipError_tPvRmT1_T2_T3_mmT4_T5_P12ihipStream_tbEUlRKfE_EESV_SZ_S10_mS11_S14_bEUlT_E_NS1_11comp_targetILNS1_3genE10ELNS1_11target_archE1200ELNS1_3gpuE4ELNS1_3repE0EEENS1_30default_config_static_selectorELNS0_4arch9wavefront6targetE1EEEvSY_.has_dyn_sized_stack, 0
	.set _ZN7rocprim17ROCPRIM_400000_NS6detail17trampoline_kernelINS0_14default_configENS1_27upper_bound_config_selectorIflEEZNS1_14transform_implILb0ES3_S5_N6thrust23THRUST_200600_302600_NS6detail15normal_iteratorINS8_7pointerIfNS8_11hip_rocprim5par_tENS8_11use_defaultESE_EEEENSA_INSB_IlSD_SE_SE_EEEEZNS1_13binary_searchIS3_S5_NSA_INS8_10device_ptrIfEEEESG_SI_NS1_21upper_bound_search_opENS9_16wrapped_functionINS8_6system6detail7generic6detail18binary_search_lessEbEEEE10hipError_tPvRmT1_T2_T3_mmT4_T5_P12ihipStream_tbEUlRKfE_EESV_SZ_S10_mS11_S14_bEUlT_E_NS1_11comp_targetILNS1_3genE10ELNS1_11target_archE1200ELNS1_3gpuE4ELNS1_3repE0EEENS1_30default_config_static_selectorELNS0_4arch9wavefront6targetE1EEEvSY_.has_recursion, 0
	.set _ZN7rocprim17ROCPRIM_400000_NS6detail17trampoline_kernelINS0_14default_configENS1_27upper_bound_config_selectorIflEEZNS1_14transform_implILb0ES3_S5_N6thrust23THRUST_200600_302600_NS6detail15normal_iteratorINS8_7pointerIfNS8_11hip_rocprim5par_tENS8_11use_defaultESE_EEEENSA_INSB_IlSD_SE_SE_EEEEZNS1_13binary_searchIS3_S5_NSA_INS8_10device_ptrIfEEEESG_SI_NS1_21upper_bound_search_opENS9_16wrapped_functionINS8_6system6detail7generic6detail18binary_search_lessEbEEEE10hipError_tPvRmT1_T2_T3_mmT4_T5_P12ihipStream_tbEUlRKfE_EESV_SZ_S10_mS11_S14_bEUlT_E_NS1_11comp_targetILNS1_3genE10ELNS1_11target_archE1200ELNS1_3gpuE4ELNS1_3repE0EEENS1_30default_config_static_selectorELNS0_4arch9wavefront6targetE1EEEvSY_.has_indirect_call, 0
	.section	.AMDGPU.csdata,"",@progbits
; Kernel info:
; codeLenInByte = 0
; TotalNumSgprs: 4
; NumVgprs: 0
; ScratchSize: 0
; MemoryBound: 0
; FloatMode: 240
; IeeeMode: 1
; LDSByteSize: 0 bytes/workgroup (compile time only)
; SGPRBlocks: 0
; VGPRBlocks: 0
; NumSGPRsForWavesPerEU: 4
; NumVGPRsForWavesPerEU: 1
; Occupancy: 10
; WaveLimiterHint : 0
; COMPUTE_PGM_RSRC2:SCRATCH_EN: 0
; COMPUTE_PGM_RSRC2:USER_SGPR: 6
; COMPUTE_PGM_RSRC2:TRAP_HANDLER: 0
; COMPUTE_PGM_RSRC2:TGID_X_EN: 1
; COMPUTE_PGM_RSRC2:TGID_Y_EN: 0
; COMPUTE_PGM_RSRC2:TGID_Z_EN: 0
; COMPUTE_PGM_RSRC2:TIDIG_COMP_CNT: 0
	.section	.text._ZN7rocprim17ROCPRIM_400000_NS6detail17trampoline_kernelINS0_14default_configENS1_27upper_bound_config_selectorIflEEZNS1_14transform_implILb0ES3_S5_N6thrust23THRUST_200600_302600_NS6detail15normal_iteratorINS8_7pointerIfNS8_11hip_rocprim5par_tENS8_11use_defaultESE_EEEENSA_INSB_IlSD_SE_SE_EEEEZNS1_13binary_searchIS3_S5_NSA_INS8_10device_ptrIfEEEESG_SI_NS1_21upper_bound_search_opENS9_16wrapped_functionINS8_6system6detail7generic6detail18binary_search_lessEbEEEE10hipError_tPvRmT1_T2_T3_mmT4_T5_P12ihipStream_tbEUlRKfE_EESV_SZ_S10_mS11_S14_bEUlT_E_NS1_11comp_targetILNS1_3genE9ELNS1_11target_archE1100ELNS1_3gpuE3ELNS1_3repE0EEENS1_30default_config_static_selectorELNS0_4arch9wavefront6targetE1EEEvSY_,"axG",@progbits,_ZN7rocprim17ROCPRIM_400000_NS6detail17trampoline_kernelINS0_14default_configENS1_27upper_bound_config_selectorIflEEZNS1_14transform_implILb0ES3_S5_N6thrust23THRUST_200600_302600_NS6detail15normal_iteratorINS8_7pointerIfNS8_11hip_rocprim5par_tENS8_11use_defaultESE_EEEENSA_INSB_IlSD_SE_SE_EEEEZNS1_13binary_searchIS3_S5_NSA_INS8_10device_ptrIfEEEESG_SI_NS1_21upper_bound_search_opENS9_16wrapped_functionINS8_6system6detail7generic6detail18binary_search_lessEbEEEE10hipError_tPvRmT1_T2_T3_mmT4_T5_P12ihipStream_tbEUlRKfE_EESV_SZ_S10_mS11_S14_bEUlT_E_NS1_11comp_targetILNS1_3genE9ELNS1_11target_archE1100ELNS1_3gpuE3ELNS1_3repE0EEENS1_30default_config_static_selectorELNS0_4arch9wavefront6targetE1EEEvSY_,comdat
	.protected	_ZN7rocprim17ROCPRIM_400000_NS6detail17trampoline_kernelINS0_14default_configENS1_27upper_bound_config_selectorIflEEZNS1_14transform_implILb0ES3_S5_N6thrust23THRUST_200600_302600_NS6detail15normal_iteratorINS8_7pointerIfNS8_11hip_rocprim5par_tENS8_11use_defaultESE_EEEENSA_INSB_IlSD_SE_SE_EEEEZNS1_13binary_searchIS3_S5_NSA_INS8_10device_ptrIfEEEESG_SI_NS1_21upper_bound_search_opENS9_16wrapped_functionINS8_6system6detail7generic6detail18binary_search_lessEbEEEE10hipError_tPvRmT1_T2_T3_mmT4_T5_P12ihipStream_tbEUlRKfE_EESV_SZ_S10_mS11_S14_bEUlT_E_NS1_11comp_targetILNS1_3genE9ELNS1_11target_archE1100ELNS1_3gpuE3ELNS1_3repE0EEENS1_30default_config_static_selectorELNS0_4arch9wavefront6targetE1EEEvSY_ ; -- Begin function _ZN7rocprim17ROCPRIM_400000_NS6detail17trampoline_kernelINS0_14default_configENS1_27upper_bound_config_selectorIflEEZNS1_14transform_implILb0ES3_S5_N6thrust23THRUST_200600_302600_NS6detail15normal_iteratorINS8_7pointerIfNS8_11hip_rocprim5par_tENS8_11use_defaultESE_EEEENSA_INSB_IlSD_SE_SE_EEEEZNS1_13binary_searchIS3_S5_NSA_INS8_10device_ptrIfEEEESG_SI_NS1_21upper_bound_search_opENS9_16wrapped_functionINS8_6system6detail7generic6detail18binary_search_lessEbEEEE10hipError_tPvRmT1_T2_T3_mmT4_T5_P12ihipStream_tbEUlRKfE_EESV_SZ_S10_mS11_S14_bEUlT_E_NS1_11comp_targetILNS1_3genE9ELNS1_11target_archE1100ELNS1_3gpuE3ELNS1_3repE0EEENS1_30default_config_static_selectorELNS0_4arch9wavefront6targetE1EEEvSY_
	.globl	_ZN7rocprim17ROCPRIM_400000_NS6detail17trampoline_kernelINS0_14default_configENS1_27upper_bound_config_selectorIflEEZNS1_14transform_implILb0ES3_S5_N6thrust23THRUST_200600_302600_NS6detail15normal_iteratorINS8_7pointerIfNS8_11hip_rocprim5par_tENS8_11use_defaultESE_EEEENSA_INSB_IlSD_SE_SE_EEEEZNS1_13binary_searchIS3_S5_NSA_INS8_10device_ptrIfEEEESG_SI_NS1_21upper_bound_search_opENS9_16wrapped_functionINS8_6system6detail7generic6detail18binary_search_lessEbEEEE10hipError_tPvRmT1_T2_T3_mmT4_T5_P12ihipStream_tbEUlRKfE_EESV_SZ_S10_mS11_S14_bEUlT_E_NS1_11comp_targetILNS1_3genE9ELNS1_11target_archE1100ELNS1_3gpuE3ELNS1_3repE0EEENS1_30default_config_static_selectorELNS0_4arch9wavefront6targetE1EEEvSY_
	.p2align	8
	.type	_ZN7rocprim17ROCPRIM_400000_NS6detail17trampoline_kernelINS0_14default_configENS1_27upper_bound_config_selectorIflEEZNS1_14transform_implILb0ES3_S5_N6thrust23THRUST_200600_302600_NS6detail15normal_iteratorINS8_7pointerIfNS8_11hip_rocprim5par_tENS8_11use_defaultESE_EEEENSA_INSB_IlSD_SE_SE_EEEEZNS1_13binary_searchIS3_S5_NSA_INS8_10device_ptrIfEEEESG_SI_NS1_21upper_bound_search_opENS9_16wrapped_functionINS8_6system6detail7generic6detail18binary_search_lessEbEEEE10hipError_tPvRmT1_T2_T3_mmT4_T5_P12ihipStream_tbEUlRKfE_EESV_SZ_S10_mS11_S14_bEUlT_E_NS1_11comp_targetILNS1_3genE9ELNS1_11target_archE1100ELNS1_3gpuE3ELNS1_3repE0EEENS1_30default_config_static_selectorELNS0_4arch9wavefront6targetE1EEEvSY_,@function
_ZN7rocprim17ROCPRIM_400000_NS6detail17trampoline_kernelINS0_14default_configENS1_27upper_bound_config_selectorIflEEZNS1_14transform_implILb0ES3_S5_N6thrust23THRUST_200600_302600_NS6detail15normal_iteratorINS8_7pointerIfNS8_11hip_rocprim5par_tENS8_11use_defaultESE_EEEENSA_INSB_IlSD_SE_SE_EEEEZNS1_13binary_searchIS3_S5_NSA_INS8_10device_ptrIfEEEESG_SI_NS1_21upper_bound_search_opENS9_16wrapped_functionINS8_6system6detail7generic6detail18binary_search_lessEbEEEE10hipError_tPvRmT1_T2_T3_mmT4_T5_P12ihipStream_tbEUlRKfE_EESV_SZ_S10_mS11_S14_bEUlT_E_NS1_11comp_targetILNS1_3genE9ELNS1_11target_archE1100ELNS1_3gpuE3ELNS1_3repE0EEENS1_30default_config_static_selectorELNS0_4arch9wavefront6targetE1EEEvSY_: ; @_ZN7rocprim17ROCPRIM_400000_NS6detail17trampoline_kernelINS0_14default_configENS1_27upper_bound_config_selectorIflEEZNS1_14transform_implILb0ES3_S5_N6thrust23THRUST_200600_302600_NS6detail15normal_iteratorINS8_7pointerIfNS8_11hip_rocprim5par_tENS8_11use_defaultESE_EEEENSA_INSB_IlSD_SE_SE_EEEEZNS1_13binary_searchIS3_S5_NSA_INS8_10device_ptrIfEEEESG_SI_NS1_21upper_bound_search_opENS9_16wrapped_functionINS8_6system6detail7generic6detail18binary_search_lessEbEEEE10hipError_tPvRmT1_T2_T3_mmT4_T5_P12ihipStream_tbEUlRKfE_EESV_SZ_S10_mS11_S14_bEUlT_E_NS1_11comp_targetILNS1_3genE9ELNS1_11target_archE1100ELNS1_3gpuE3ELNS1_3repE0EEENS1_30default_config_static_selectorELNS0_4arch9wavefront6targetE1EEEvSY_
; %bb.0:
	.section	.rodata,"a",@progbits
	.p2align	6, 0x0
	.amdhsa_kernel _ZN7rocprim17ROCPRIM_400000_NS6detail17trampoline_kernelINS0_14default_configENS1_27upper_bound_config_selectorIflEEZNS1_14transform_implILb0ES3_S5_N6thrust23THRUST_200600_302600_NS6detail15normal_iteratorINS8_7pointerIfNS8_11hip_rocprim5par_tENS8_11use_defaultESE_EEEENSA_INSB_IlSD_SE_SE_EEEEZNS1_13binary_searchIS3_S5_NSA_INS8_10device_ptrIfEEEESG_SI_NS1_21upper_bound_search_opENS9_16wrapped_functionINS8_6system6detail7generic6detail18binary_search_lessEbEEEE10hipError_tPvRmT1_T2_T3_mmT4_T5_P12ihipStream_tbEUlRKfE_EESV_SZ_S10_mS11_S14_bEUlT_E_NS1_11comp_targetILNS1_3genE9ELNS1_11target_archE1100ELNS1_3gpuE3ELNS1_3repE0EEENS1_30default_config_static_selectorELNS0_4arch9wavefront6targetE1EEEvSY_
		.amdhsa_group_segment_fixed_size 0
		.amdhsa_private_segment_fixed_size 0
		.amdhsa_kernarg_size 56
		.amdhsa_user_sgpr_count 6
		.amdhsa_user_sgpr_private_segment_buffer 1
		.amdhsa_user_sgpr_dispatch_ptr 0
		.amdhsa_user_sgpr_queue_ptr 0
		.amdhsa_user_sgpr_kernarg_segment_ptr 1
		.amdhsa_user_sgpr_dispatch_id 0
		.amdhsa_user_sgpr_flat_scratch_init 0
		.amdhsa_user_sgpr_private_segment_size 0
		.amdhsa_uses_dynamic_stack 0
		.amdhsa_system_sgpr_private_segment_wavefront_offset 0
		.amdhsa_system_sgpr_workgroup_id_x 1
		.amdhsa_system_sgpr_workgroup_id_y 0
		.amdhsa_system_sgpr_workgroup_id_z 0
		.amdhsa_system_sgpr_workgroup_info 0
		.amdhsa_system_vgpr_workitem_id 0
		.amdhsa_next_free_vgpr 1
		.amdhsa_next_free_sgpr 0
		.amdhsa_reserve_vcc 0
		.amdhsa_reserve_flat_scratch 0
		.amdhsa_float_round_mode_32 0
		.amdhsa_float_round_mode_16_64 0
		.amdhsa_float_denorm_mode_32 3
		.amdhsa_float_denorm_mode_16_64 3
		.amdhsa_dx10_clamp 1
		.amdhsa_ieee_mode 1
		.amdhsa_fp16_overflow 0
		.amdhsa_exception_fp_ieee_invalid_op 0
		.amdhsa_exception_fp_denorm_src 0
		.amdhsa_exception_fp_ieee_div_zero 0
		.amdhsa_exception_fp_ieee_overflow 0
		.amdhsa_exception_fp_ieee_underflow 0
		.amdhsa_exception_fp_ieee_inexact 0
		.amdhsa_exception_int_div_zero 0
	.end_amdhsa_kernel
	.section	.text._ZN7rocprim17ROCPRIM_400000_NS6detail17trampoline_kernelINS0_14default_configENS1_27upper_bound_config_selectorIflEEZNS1_14transform_implILb0ES3_S5_N6thrust23THRUST_200600_302600_NS6detail15normal_iteratorINS8_7pointerIfNS8_11hip_rocprim5par_tENS8_11use_defaultESE_EEEENSA_INSB_IlSD_SE_SE_EEEEZNS1_13binary_searchIS3_S5_NSA_INS8_10device_ptrIfEEEESG_SI_NS1_21upper_bound_search_opENS9_16wrapped_functionINS8_6system6detail7generic6detail18binary_search_lessEbEEEE10hipError_tPvRmT1_T2_T3_mmT4_T5_P12ihipStream_tbEUlRKfE_EESV_SZ_S10_mS11_S14_bEUlT_E_NS1_11comp_targetILNS1_3genE9ELNS1_11target_archE1100ELNS1_3gpuE3ELNS1_3repE0EEENS1_30default_config_static_selectorELNS0_4arch9wavefront6targetE1EEEvSY_,"axG",@progbits,_ZN7rocprim17ROCPRIM_400000_NS6detail17trampoline_kernelINS0_14default_configENS1_27upper_bound_config_selectorIflEEZNS1_14transform_implILb0ES3_S5_N6thrust23THRUST_200600_302600_NS6detail15normal_iteratorINS8_7pointerIfNS8_11hip_rocprim5par_tENS8_11use_defaultESE_EEEENSA_INSB_IlSD_SE_SE_EEEEZNS1_13binary_searchIS3_S5_NSA_INS8_10device_ptrIfEEEESG_SI_NS1_21upper_bound_search_opENS9_16wrapped_functionINS8_6system6detail7generic6detail18binary_search_lessEbEEEE10hipError_tPvRmT1_T2_T3_mmT4_T5_P12ihipStream_tbEUlRKfE_EESV_SZ_S10_mS11_S14_bEUlT_E_NS1_11comp_targetILNS1_3genE9ELNS1_11target_archE1100ELNS1_3gpuE3ELNS1_3repE0EEENS1_30default_config_static_selectorELNS0_4arch9wavefront6targetE1EEEvSY_,comdat
.Lfunc_end534:
	.size	_ZN7rocprim17ROCPRIM_400000_NS6detail17trampoline_kernelINS0_14default_configENS1_27upper_bound_config_selectorIflEEZNS1_14transform_implILb0ES3_S5_N6thrust23THRUST_200600_302600_NS6detail15normal_iteratorINS8_7pointerIfNS8_11hip_rocprim5par_tENS8_11use_defaultESE_EEEENSA_INSB_IlSD_SE_SE_EEEEZNS1_13binary_searchIS3_S5_NSA_INS8_10device_ptrIfEEEESG_SI_NS1_21upper_bound_search_opENS9_16wrapped_functionINS8_6system6detail7generic6detail18binary_search_lessEbEEEE10hipError_tPvRmT1_T2_T3_mmT4_T5_P12ihipStream_tbEUlRKfE_EESV_SZ_S10_mS11_S14_bEUlT_E_NS1_11comp_targetILNS1_3genE9ELNS1_11target_archE1100ELNS1_3gpuE3ELNS1_3repE0EEENS1_30default_config_static_selectorELNS0_4arch9wavefront6targetE1EEEvSY_, .Lfunc_end534-_ZN7rocprim17ROCPRIM_400000_NS6detail17trampoline_kernelINS0_14default_configENS1_27upper_bound_config_selectorIflEEZNS1_14transform_implILb0ES3_S5_N6thrust23THRUST_200600_302600_NS6detail15normal_iteratorINS8_7pointerIfNS8_11hip_rocprim5par_tENS8_11use_defaultESE_EEEENSA_INSB_IlSD_SE_SE_EEEEZNS1_13binary_searchIS3_S5_NSA_INS8_10device_ptrIfEEEESG_SI_NS1_21upper_bound_search_opENS9_16wrapped_functionINS8_6system6detail7generic6detail18binary_search_lessEbEEEE10hipError_tPvRmT1_T2_T3_mmT4_T5_P12ihipStream_tbEUlRKfE_EESV_SZ_S10_mS11_S14_bEUlT_E_NS1_11comp_targetILNS1_3genE9ELNS1_11target_archE1100ELNS1_3gpuE3ELNS1_3repE0EEENS1_30default_config_static_selectorELNS0_4arch9wavefront6targetE1EEEvSY_
                                        ; -- End function
	.set _ZN7rocprim17ROCPRIM_400000_NS6detail17trampoline_kernelINS0_14default_configENS1_27upper_bound_config_selectorIflEEZNS1_14transform_implILb0ES3_S5_N6thrust23THRUST_200600_302600_NS6detail15normal_iteratorINS8_7pointerIfNS8_11hip_rocprim5par_tENS8_11use_defaultESE_EEEENSA_INSB_IlSD_SE_SE_EEEEZNS1_13binary_searchIS3_S5_NSA_INS8_10device_ptrIfEEEESG_SI_NS1_21upper_bound_search_opENS9_16wrapped_functionINS8_6system6detail7generic6detail18binary_search_lessEbEEEE10hipError_tPvRmT1_T2_T3_mmT4_T5_P12ihipStream_tbEUlRKfE_EESV_SZ_S10_mS11_S14_bEUlT_E_NS1_11comp_targetILNS1_3genE9ELNS1_11target_archE1100ELNS1_3gpuE3ELNS1_3repE0EEENS1_30default_config_static_selectorELNS0_4arch9wavefront6targetE1EEEvSY_.num_vgpr, 0
	.set _ZN7rocprim17ROCPRIM_400000_NS6detail17trampoline_kernelINS0_14default_configENS1_27upper_bound_config_selectorIflEEZNS1_14transform_implILb0ES3_S5_N6thrust23THRUST_200600_302600_NS6detail15normal_iteratorINS8_7pointerIfNS8_11hip_rocprim5par_tENS8_11use_defaultESE_EEEENSA_INSB_IlSD_SE_SE_EEEEZNS1_13binary_searchIS3_S5_NSA_INS8_10device_ptrIfEEEESG_SI_NS1_21upper_bound_search_opENS9_16wrapped_functionINS8_6system6detail7generic6detail18binary_search_lessEbEEEE10hipError_tPvRmT1_T2_T3_mmT4_T5_P12ihipStream_tbEUlRKfE_EESV_SZ_S10_mS11_S14_bEUlT_E_NS1_11comp_targetILNS1_3genE9ELNS1_11target_archE1100ELNS1_3gpuE3ELNS1_3repE0EEENS1_30default_config_static_selectorELNS0_4arch9wavefront6targetE1EEEvSY_.num_agpr, 0
	.set _ZN7rocprim17ROCPRIM_400000_NS6detail17trampoline_kernelINS0_14default_configENS1_27upper_bound_config_selectorIflEEZNS1_14transform_implILb0ES3_S5_N6thrust23THRUST_200600_302600_NS6detail15normal_iteratorINS8_7pointerIfNS8_11hip_rocprim5par_tENS8_11use_defaultESE_EEEENSA_INSB_IlSD_SE_SE_EEEEZNS1_13binary_searchIS3_S5_NSA_INS8_10device_ptrIfEEEESG_SI_NS1_21upper_bound_search_opENS9_16wrapped_functionINS8_6system6detail7generic6detail18binary_search_lessEbEEEE10hipError_tPvRmT1_T2_T3_mmT4_T5_P12ihipStream_tbEUlRKfE_EESV_SZ_S10_mS11_S14_bEUlT_E_NS1_11comp_targetILNS1_3genE9ELNS1_11target_archE1100ELNS1_3gpuE3ELNS1_3repE0EEENS1_30default_config_static_selectorELNS0_4arch9wavefront6targetE1EEEvSY_.numbered_sgpr, 0
	.set _ZN7rocprim17ROCPRIM_400000_NS6detail17trampoline_kernelINS0_14default_configENS1_27upper_bound_config_selectorIflEEZNS1_14transform_implILb0ES3_S5_N6thrust23THRUST_200600_302600_NS6detail15normal_iteratorINS8_7pointerIfNS8_11hip_rocprim5par_tENS8_11use_defaultESE_EEEENSA_INSB_IlSD_SE_SE_EEEEZNS1_13binary_searchIS3_S5_NSA_INS8_10device_ptrIfEEEESG_SI_NS1_21upper_bound_search_opENS9_16wrapped_functionINS8_6system6detail7generic6detail18binary_search_lessEbEEEE10hipError_tPvRmT1_T2_T3_mmT4_T5_P12ihipStream_tbEUlRKfE_EESV_SZ_S10_mS11_S14_bEUlT_E_NS1_11comp_targetILNS1_3genE9ELNS1_11target_archE1100ELNS1_3gpuE3ELNS1_3repE0EEENS1_30default_config_static_selectorELNS0_4arch9wavefront6targetE1EEEvSY_.num_named_barrier, 0
	.set _ZN7rocprim17ROCPRIM_400000_NS6detail17trampoline_kernelINS0_14default_configENS1_27upper_bound_config_selectorIflEEZNS1_14transform_implILb0ES3_S5_N6thrust23THRUST_200600_302600_NS6detail15normal_iteratorINS8_7pointerIfNS8_11hip_rocprim5par_tENS8_11use_defaultESE_EEEENSA_INSB_IlSD_SE_SE_EEEEZNS1_13binary_searchIS3_S5_NSA_INS8_10device_ptrIfEEEESG_SI_NS1_21upper_bound_search_opENS9_16wrapped_functionINS8_6system6detail7generic6detail18binary_search_lessEbEEEE10hipError_tPvRmT1_T2_T3_mmT4_T5_P12ihipStream_tbEUlRKfE_EESV_SZ_S10_mS11_S14_bEUlT_E_NS1_11comp_targetILNS1_3genE9ELNS1_11target_archE1100ELNS1_3gpuE3ELNS1_3repE0EEENS1_30default_config_static_selectorELNS0_4arch9wavefront6targetE1EEEvSY_.private_seg_size, 0
	.set _ZN7rocprim17ROCPRIM_400000_NS6detail17trampoline_kernelINS0_14default_configENS1_27upper_bound_config_selectorIflEEZNS1_14transform_implILb0ES3_S5_N6thrust23THRUST_200600_302600_NS6detail15normal_iteratorINS8_7pointerIfNS8_11hip_rocprim5par_tENS8_11use_defaultESE_EEEENSA_INSB_IlSD_SE_SE_EEEEZNS1_13binary_searchIS3_S5_NSA_INS8_10device_ptrIfEEEESG_SI_NS1_21upper_bound_search_opENS9_16wrapped_functionINS8_6system6detail7generic6detail18binary_search_lessEbEEEE10hipError_tPvRmT1_T2_T3_mmT4_T5_P12ihipStream_tbEUlRKfE_EESV_SZ_S10_mS11_S14_bEUlT_E_NS1_11comp_targetILNS1_3genE9ELNS1_11target_archE1100ELNS1_3gpuE3ELNS1_3repE0EEENS1_30default_config_static_selectorELNS0_4arch9wavefront6targetE1EEEvSY_.uses_vcc, 0
	.set _ZN7rocprim17ROCPRIM_400000_NS6detail17trampoline_kernelINS0_14default_configENS1_27upper_bound_config_selectorIflEEZNS1_14transform_implILb0ES3_S5_N6thrust23THRUST_200600_302600_NS6detail15normal_iteratorINS8_7pointerIfNS8_11hip_rocprim5par_tENS8_11use_defaultESE_EEEENSA_INSB_IlSD_SE_SE_EEEEZNS1_13binary_searchIS3_S5_NSA_INS8_10device_ptrIfEEEESG_SI_NS1_21upper_bound_search_opENS9_16wrapped_functionINS8_6system6detail7generic6detail18binary_search_lessEbEEEE10hipError_tPvRmT1_T2_T3_mmT4_T5_P12ihipStream_tbEUlRKfE_EESV_SZ_S10_mS11_S14_bEUlT_E_NS1_11comp_targetILNS1_3genE9ELNS1_11target_archE1100ELNS1_3gpuE3ELNS1_3repE0EEENS1_30default_config_static_selectorELNS0_4arch9wavefront6targetE1EEEvSY_.uses_flat_scratch, 0
	.set _ZN7rocprim17ROCPRIM_400000_NS6detail17trampoline_kernelINS0_14default_configENS1_27upper_bound_config_selectorIflEEZNS1_14transform_implILb0ES3_S5_N6thrust23THRUST_200600_302600_NS6detail15normal_iteratorINS8_7pointerIfNS8_11hip_rocprim5par_tENS8_11use_defaultESE_EEEENSA_INSB_IlSD_SE_SE_EEEEZNS1_13binary_searchIS3_S5_NSA_INS8_10device_ptrIfEEEESG_SI_NS1_21upper_bound_search_opENS9_16wrapped_functionINS8_6system6detail7generic6detail18binary_search_lessEbEEEE10hipError_tPvRmT1_T2_T3_mmT4_T5_P12ihipStream_tbEUlRKfE_EESV_SZ_S10_mS11_S14_bEUlT_E_NS1_11comp_targetILNS1_3genE9ELNS1_11target_archE1100ELNS1_3gpuE3ELNS1_3repE0EEENS1_30default_config_static_selectorELNS0_4arch9wavefront6targetE1EEEvSY_.has_dyn_sized_stack, 0
	.set _ZN7rocprim17ROCPRIM_400000_NS6detail17trampoline_kernelINS0_14default_configENS1_27upper_bound_config_selectorIflEEZNS1_14transform_implILb0ES3_S5_N6thrust23THRUST_200600_302600_NS6detail15normal_iteratorINS8_7pointerIfNS8_11hip_rocprim5par_tENS8_11use_defaultESE_EEEENSA_INSB_IlSD_SE_SE_EEEEZNS1_13binary_searchIS3_S5_NSA_INS8_10device_ptrIfEEEESG_SI_NS1_21upper_bound_search_opENS9_16wrapped_functionINS8_6system6detail7generic6detail18binary_search_lessEbEEEE10hipError_tPvRmT1_T2_T3_mmT4_T5_P12ihipStream_tbEUlRKfE_EESV_SZ_S10_mS11_S14_bEUlT_E_NS1_11comp_targetILNS1_3genE9ELNS1_11target_archE1100ELNS1_3gpuE3ELNS1_3repE0EEENS1_30default_config_static_selectorELNS0_4arch9wavefront6targetE1EEEvSY_.has_recursion, 0
	.set _ZN7rocprim17ROCPRIM_400000_NS6detail17trampoline_kernelINS0_14default_configENS1_27upper_bound_config_selectorIflEEZNS1_14transform_implILb0ES3_S5_N6thrust23THRUST_200600_302600_NS6detail15normal_iteratorINS8_7pointerIfNS8_11hip_rocprim5par_tENS8_11use_defaultESE_EEEENSA_INSB_IlSD_SE_SE_EEEEZNS1_13binary_searchIS3_S5_NSA_INS8_10device_ptrIfEEEESG_SI_NS1_21upper_bound_search_opENS9_16wrapped_functionINS8_6system6detail7generic6detail18binary_search_lessEbEEEE10hipError_tPvRmT1_T2_T3_mmT4_T5_P12ihipStream_tbEUlRKfE_EESV_SZ_S10_mS11_S14_bEUlT_E_NS1_11comp_targetILNS1_3genE9ELNS1_11target_archE1100ELNS1_3gpuE3ELNS1_3repE0EEENS1_30default_config_static_selectorELNS0_4arch9wavefront6targetE1EEEvSY_.has_indirect_call, 0
	.section	.AMDGPU.csdata,"",@progbits
; Kernel info:
; codeLenInByte = 0
; TotalNumSgprs: 4
; NumVgprs: 0
; ScratchSize: 0
; MemoryBound: 0
; FloatMode: 240
; IeeeMode: 1
; LDSByteSize: 0 bytes/workgroup (compile time only)
; SGPRBlocks: 0
; VGPRBlocks: 0
; NumSGPRsForWavesPerEU: 4
; NumVGPRsForWavesPerEU: 1
; Occupancy: 10
; WaveLimiterHint : 0
; COMPUTE_PGM_RSRC2:SCRATCH_EN: 0
; COMPUTE_PGM_RSRC2:USER_SGPR: 6
; COMPUTE_PGM_RSRC2:TRAP_HANDLER: 0
; COMPUTE_PGM_RSRC2:TGID_X_EN: 1
; COMPUTE_PGM_RSRC2:TGID_Y_EN: 0
; COMPUTE_PGM_RSRC2:TGID_Z_EN: 0
; COMPUTE_PGM_RSRC2:TIDIG_COMP_CNT: 0
	.section	.text._ZN7rocprim17ROCPRIM_400000_NS6detail17trampoline_kernelINS0_14default_configENS1_27upper_bound_config_selectorIflEEZNS1_14transform_implILb0ES3_S5_N6thrust23THRUST_200600_302600_NS6detail15normal_iteratorINS8_7pointerIfNS8_11hip_rocprim5par_tENS8_11use_defaultESE_EEEENSA_INSB_IlSD_SE_SE_EEEEZNS1_13binary_searchIS3_S5_NSA_INS8_10device_ptrIfEEEESG_SI_NS1_21upper_bound_search_opENS9_16wrapped_functionINS8_6system6detail7generic6detail18binary_search_lessEbEEEE10hipError_tPvRmT1_T2_T3_mmT4_T5_P12ihipStream_tbEUlRKfE_EESV_SZ_S10_mS11_S14_bEUlT_E_NS1_11comp_targetILNS1_3genE8ELNS1_11target_archE1030ELNS1_3gpuE2ELNS1_3repE0EEENS1_30default_config_static_selectorELNS0_4arch9wavefront6targetE1EEEvSY_,"axG",@progbits,_ZN7rocprim17ROCPRIM_400000_NS6detail17trampoline_kernelINS0_14default_configENS1_27upper_bound_config_selectorIflEEZNS1_14transform_implILb0ES3_S5_N6thrust23THRUST_200600_302600_NS6detail15normal_iteratorINS8_7pointerIfNS8_11hip_rocprim5par_tENS8_11use_defaultESE_EEEENSA_INSB_IlSD_SE_SE_EEEEZNS1_13binary_searchIS3_S5_NSA_INS8_10device_ptrIfEEEESG_SI_NS1_21upper_bound_search_opENS9_16wrapped_functionINS8_6system6detail7generic6detail18binary_search_lessEbEEEE10hipError_tPvRmT1_T2_T3_mmT4_T5_P12ihipStream_tbEUlRKfE_EESV_SZ_S10_mS11_S14_bEUlT_E_NS1_11comp_targetILNS1_3genE8ELNS1_11target_archE1030ELNS1_3gpuE2ELNS1_3repE0EEENS1_30default_config_static_selectorELNS0_4arch9wavefront6targetE1EEEvSY_,comdat
	.protected	_ZN7rocprim17ROCPRIM_400000_NS6detail17trampoline_kernelINS0_14default_configENS1_27upper_bound_config_selectorIflEEZNS1_14transform_implILb0ES3_S5_N6thrust23THRUST_200600_302600_NS6detail15normal_iteratorINS8_7pointerIfNS8_11hip_rocprim5par_tENS8_11use_defaultESE_EEEENSA_INSB_IlSD_SE_SE_EEEEZNS1_13binary_searchIS3_S5_NSA_INS8_10device_ptrIfEEEESG_SI_NS1_21upper_bound_search_opENS9_16wrapped_functionINS8_6system6detail7generic6detail18binary_search_lessEbEEEE10hipError_tPvRmT1_T2_T3_mmT4_T5_P12ihipStream_tbEUlRKfE_EESV_SZ_S10_mS11_S14_bEUlT_E_NS1_11comp_targetILNS1_3genE8ELNS1_11target_archE1030ELNS1_3gpuE2ELNS1_3repE0EEENS1_30default_config_static_selectorELNS0_4arch9wavefront6targetE1EEEvSY_ ; -- Begin function _ZN7rocprim17ROCPRIM_400000_NS6detail17trampoline_kernelINS0_14default_configENS1_27upper_bound_config_selectorIflEEZNS1_14transform_implILb0ES3_S5_N6thrust23THRUST_200600_302600_NS6detail15normal_iteratorINS8_7pointerIfNS8_11hip_rocprim5par_tENS8_11use_defaultESE_EEEENSA_INSB_IlSD_SE_SE_EEEEZNS1_13binary_searchIS3_S5_NSA_INS8_10device_ptrIfEEEESG_SI_NS1_21upper_bound_search_opENS9_16wrapped_functionINS8_6system6detail7generic6detail18binary_search_lessEbEEEE10hipError_tPvRmT1_T2_T3_mmT4_T5_P12ihipStream_tbEUlRKfE_EESV_SZ_S10_mS11_S14_bEUlT_E_NS1_11comp_targetILNS1_3genE8ELNS1_11target_archE1030ELNS1_3gpuE2ELNS1_3repE0EEENS1_30default_config_static_selectorELNS0_4arch9wavefront6targetE1EEEvSY_
	.globl	_ZN7rocprim17ROCPRIM_400000_NS6detail17trampoline_kernelINS0_14default_configENS1_27upper_bound_config_selectorIflEEZNS1_14transform_implILb0ES3_S5_N6thrust23THRUST_200600_302600_NS6detail15normal_iteratorINS8_7pointerIfNS8_11hip_rocprim5par_tENS8_11use_defaultESE_EEEENSA_INSB_IlSD_SE_SE_EEEEZNS1_13binary_searchIS3_S5_NSA_INS8_10device_ptrIfEEEESG_SI_NS1_21upper_bound_search_opENS9_16wrapped_functionINS8_6system6detail7generic6detail18binary_search_lessEbEEEE10hipError_tPvRmT1_T2_T3_mmT4_T5_P12ihipStream_tbEUlRKfE_EESV_SZ_S10_mS11_S14_bEUlT_E_NS1_11comp_targetILNS1_3genE8ELNS1_11target_archE1030ELNS1_3gpuE2ELNS1_3repE0EEENS1_30default_config_static_selectorELNS0_4arch9wavefront6targetE1EEEvSY_
	.p2align	8
	.type	_ZN7rocprim17ROCPRIM_400000_NS6detail17trampoline_kernelINS0_14default_configENS1_27upper_bound_config_selectorIflEEZNS1_14transform_implILb0ES3_S5_N6thrust23THRUST_200600_302600_NS6detail15normal_iteratorINS8_7pointerIfNS8_11hip_rocprim5par_tENS8_11use_defaultESE_EEEENSA_INSB_IlSD_SE_SE_EEEEZNS1_13binary_searchIS3_S5_NSA_INS8_10device_ptrIfEEEESG_SI_NS1_21upper_bound_search_opENS9_16wrapped_functionINS8_6system6detail7generic6detail18binary_search_lessEbEEEE10hipError_tPvRmT1_T2_T3_mmT4_T5_P12ihipStream_tbEUlRKfE_EESV_SZ_S10_mS11_S14_bEUlT_E_NS1_11comp_targetILNS1_3genE8ELNS1_11target_archE1030ELNS1_3gpuE2ELNS1_3repE0EEENS1_30default_config_static_selectorELNS0_4arch9wavefront6targetE1EEEvSY_,@function
_ZN7rocprim17ROCPRIM_400000_NS6detail17trampoline_kernelINS0_14default_configENS1_27upper_bound_config_selectorIflEEZNS1_14transform_implILb0ES3_S5_N6thrust23THRUST_200600_302600_NS6detail15normal_iteratorINS8_7pointerIfNS8_11hip_rocprim5par_tENS8_11use_defaultESE_EEEENSA_INSB_IlSD_SE_SE_EEEEZNS1_13binary_searchIS3_S5_NSA_INS8_10device_ptrIfEEEESG_SI_NS1_21upper_bound_search_opENS9_16wrapped_functionINS8_6system6detail7generic6detail18binary_search_lessEbEEEE10hipError_tPvRmT1_T2_T3_mmT4_T5_P12ihipStream_tbEUlRKfE_EESV_SZ_S10_mS11_S14_bEUlT_E_NS1_11comp_targetILNS1_3genE8ELNS1_11target_archE1030ELNS1_3gpuE2ELNS1_3repE0EEENS1_30default_config_static_selectorELNS0_4arch9wavefront6targetE1EEEvSY_: ; @_ZN7rocprim17ROCPRIM_400000_NS6detail17trampoline_kernelINS0_14default_configENS1_27upper_bound_config_selectorIflEEZNS1_14transform_implILb0ES3_S5_N6thrust23THRUST_200600_302600_NS6detail15normal_iteratorINS8_7pointerIfNS8_11hip_rocprim5par_tENS8_11use_defaultESE_EEEENSA_INSB_IlSD_SE_SE_EEEEZNS1_13binary_searchIS3_S5_NSA_INS8_10device_ptrIfEEEESG_SI_NS1_21upper_bound_search_opENS9_16wrapped_functionINS8_6system6detail7generic6detail18binary_search_lessEbEEEE10hipError_tPvRmT1_T2_T3_mmT4_T5_P12ihipStream_tbEUlRKfE_EESV_SZ_S10_mS11_S14_bEUlT_E_NS1_11comp_targetILNS1_3genE8ELNS1_11target_archE1030ELNS1_3gpuE2ELNS1_3repE0EEENS1_30default_config_static_selectorELNS0_4arch9wavefront6targetE1EEEvSY_
; %bb.0:
	.section	.rodata,"a",@progbits
	.p2align	6, 0x0
	.amdhsa_kernel _ZN7rocprim17ROCPRIM_400000_NS6detail17trampoline_kernelINS0_14default_configENS1_27upper_bound_config_selectorIflEEZNS1_14transform_implILb0ES3_S5_N6thrust23THRUST_200600_302600_NS6detail15normal_iteratorINS8_7pointerIfNS8_11hip_rocprim5par_tENS8_11use_defaultESE_EEEENSA_INSB_IlSD_SE_SE_EEEEZNS1_13binary_searchIS3_S5_NSA_INS8_10device_ptrIfEEEESG_SI_NS1_21upper_bound_search_opENS9_16wrapped_functionINS8_6system6detail7generic6detail18binary_search_lessEbEEEE10hipError_tPvRmT1_T2_T3_mmT4_T5_P12ihipStream_tbEUlRKfE_EESV_SZ_S10_mS11_S14_bEUlT_E_NS1_11comp_targetILNS1_3genE8ELNS1_11target_archE1030ELNS1_3gpuE2ELNS1_3repE0EEENS1_30default_config_static_selectorELNS0_4arch9wavefront6targetE1EEEvSY_
		.amdhsa_group_segment_fixed_size 0
		.amdhsa_private_segment_fixed_size 0
		.amdhsa_kernarg_size 56
		.amdhsa_user_sgpr_count 6
		.amdhsa_user_sgpr_private_segment_buffer 1
		.amdhsa_user_sgpr_dispatch_ptr 0
		.amdhsa_user_sgpr_queue_ptr 0
		.amdhsa_user_sgpr_kernarg_segment_ptr 1
		.amdhsa_user_sgpr_dispatch_id 0
		.amdhsa_user_sgpr_flat_scratch_init 0
		.amdhsa_user_sgpr_private_segment_size 0
		.amdhsa_uses_dynamic_stack 0
		.amdhsa_system_sgpr_private_segment_wavefront_offset 0
		.amdhsa_system_sgpr_workgroup_id_x 1
		.amdhsa_system_sgpr_workgroup_id_y 0
		.amdhsa_system_sgpr_workgroup_id_z 0
		.amdhsa_system_sgpr_workgroup_info 0
		.amdhsa_system_vgpr_workitem_id 0
		.amdhsa_next_free_vgpr 1
		.amdhsa_next_free_sgpr 0
		.amdhsa_reserve_vcc 0
		.amdhsa_reserve_flat_scratch 0
		.amdhsa_float_round_mode_32 0
		.amdhsa_float_round_mode_16_64 0
		.amdhsa_float_denorm_mode_32 3
		.amdhsa_float_denorm_mode_16_64 3
		.amdhsa_dx10_clamp 1
		.amdhsa_ieee_mode 1
		.amdhsa_fp16_overflow 0
		.amdhsa_exception_fp_ieee_invalid_op 0
		.amdhsa_exception_fp_denorm_src 0
		.amdhsa_exception_fp_ieee_div_zero 0
		.amdhsa_exception_fp_ieee_overflow 0
		.amdhsa_exception_fp_ieee_underflow 0
		.amdhsa_exception_fp_ieee_inexact 0
		.amdhsa_exception_int_div_zero 0
	.end_amdhsa_kernel
	.section	.text._ZN7rocprim17ROCPRIM_400000_NS6detail17trampoline_kernelINS0_14default_configENS1_27upper_bound_config_selectorIflEEZNS1_14transform_implILb0ES3_S5_N6thrust23THRUST_200600_302600_NS6detail15normal_iteratorINS8_7pointerIfNS8_11hip_rocprim5par_tENS8_11use_defaultESE_EEEENSA_INSB_IlSD_SE_SE_EEEEZNS1_13binary_searchIS3_S5_NSA_INS8_10device_ptrIfEEEESG_SI_NS1_21upper_bound_search_opENS9_16wrapped_functionINS8_6system6detail7generic6detail18binary_search_lessEbEEEE10hipError_tPvRmT1_T2_T3_mmT4_T5_P12ihipStream_tbEUlRKfE_EESV_SZ_S10_mS11_S14_bEUlT_E_NS1_11comp_targetILNS1_3genE8ELNS1_11target_archE1030ELNS1_3gpuE2ELNS1_3repE0EEENS1_30default_config_static_selectorELNS0_4arch9wavefront6targetE1EEEvSY_,"axG",@progbits,_ZN7rocprim17ROCPRIM_400000_NS6detail17trampoline_kernelINS0_14default_configENS1_27upper_bound_config_selectorIflEEZNS1_14transform_implILb0ES3_S5_N6thrust23THRUST_200600_302600_NS6detail15normal_iteratorINS8_7pointerIfNS8_11hip_rocprim5par_tENS8_11use_defaultESE_EEEENSA_INSB_IlSD_SE_SE_EEEEZNS1_13binary_searchIS3_S5_NSA_INS8_10device_ptrIfEEEESG_SI_NS1_21upper_bound_search_opENS9_16wrapped_functionINS8_6system6detail7generic6detail18binary_search_lessEbEEEE10hipError_tPvRmT1_T2_T3_mmT4_T5_P12ihipStream_tbEUlRKfE_EESV_SZ_S10_mS11_S14_bEUlT_E_NS1_11comp_targetILNS1_3genE8ELNS1_11target_archE1030ELNS1_3gpuE2ELNS1_3repE0EEENS1_30default_config_static_selectorELNS0_4arch9wavefront6targetE1EEEvSY_,comdat
.Lfunc_end535:
	.size	_ZN7rocprim17ROCPRIM_400000_NS6detail17trampoline_kernelINS0_14default_configENS1_27upper_bound_config_selectorIflEEZNS1_14transform_implILb0ES3_S5_N6thrust23THRUST_200600_302600_NS6detail15normal_iteratorINS8_7pointerIfNS8_11hip_rocprim5par_tENS8_11use_defaultESE_EEEENSA_INSB_IlSD_SE_SE_EEEEZNS1_13binary_searchIS3_S5_NSA_INS8_10device_ptrIfEEEESG_SI_NS1_21upper_bound_search_opENS9_16wrapped_functionINS8_6system6detail7generic6detail18binary_search_lessEbEEEE10hipError_tPvRmT1_T2_T3_mmT4_T5_P12ihipStream_tbEUlRKfE_EESV_SZ_S10_mS11_S14_bEUlT_E_NS1_11comp_targetILNS1_3genE8ELNS1_11target_archE1030ELNS1_3gpuE2ELNS1_3repE0EEENS1_30default_config_static_selectorELNS0_4arch9wavefront6targetE1EEEvSY_, .Lfunc_end535-_ZN7rocprim17ROCPRIM_400000_NS6detail17trampoline_kernelINS0_14default_configENS1_27upper_bound_config_selectorIflEEZNS1_14transform_implILb0ES3_S5_N6thrust23THRUST_200600_302600_NS6detail15normal_iteratorINS8_7pointerIfNS8_11hip_rocprim5par_tENS8_11use_defaultESE_EEEENSA_INSB_IlSD_SE_SE_EEEEZNS1_13binary_searchIS3_S5_NSA_INS8_10device_ptrIfEEEESG_SI_NS1_21upper_bound_search_opENS9_16wrapped_functionINS8_6system6detail7generic6detail18binary_search_lessEbEEEE10hipError_tPvRmT1_T2_T3_mmT4_T5_P12ihipStream_tbEUlRKfE_EESV_SZ_S10_mS11_S14_bEUlT_E_NS1_11comp_targetILNS1_3genE8ELNS1_11target_archE1030ELNS1_3gpuE2ELNS1_3repE0EEENS1_30default_config_static_selectorELNS0_4arch9wavefront6targetE1EEEvSY_
                                        ; -- End function
	.set _ZN7rocprim17ROCPRIM_400000_NS6detail17trampoline_kernelINS0_14default_configENS1_27upper_bound_config_selectorIflEEZNS1_14transform_implILb0ES3_S5_N6thrust23THRUST_200600_302600_NS6detail15normal_iteratorINS8_7pointerIfNS8_11hip_rocprim5par_tENS8_11use_defaultESE_EEEENSA_INSB_IlSD_SE_SE_EEEEZNS1_13binary_searchIS3_S5_NSA_INS8_10device_ptrIfEEEESG_SI_NS1_21upper_bound_search_opENS9_16wrapped_functionINS8_6system6detail7generic6detail18binary_search_lessEbEEEE10hipError_tPvRmT1_T2_T3_mmT4_T5_P12ihipStream_tbEUlRKfE_EESV_SZ_S10_mS11_S14_bEUlT_E_NS1_11comp_targetILNS1_3genE8ELNS1_11target_archE1030ELNS1_3gpuE2ELNS1_3repE0EEENS1_30default_config_static_selectorELNS0_4arch9wavefront6targetE1EEEvSY_.num_vgpr, 0
	.set _ZN7rocprim17ROCPRIM_400000_NS6detail17trampoline_kernelINS0_14default_configENS1_27upper_bound_config_selectorIflEEZNS1_14transform_implILb0ES3_S5_N6thrust23THRUST_200600_302600_NS6detail15normal_iteratorINS8_7pointerIfNS8_11hip_rocprim5par_tENS8_11use_defaultESE_EEEENSA_INSB_IlSD_SE_SE_EEEEZNS1_13binary_searchIS3_S5_NSA_INS8_10device_ptrIfEEEESG_SI_NS1_21upper_bound_search_opENS9_16wrapped_functionINS8_6system6detail7generic6detail18binary_search_lessEbEEEE10hipError_tPvRmT1_T2_T3_mmT4_T5_P12ihipStream_tbEUlRKfE_EESV_SZ_S10_mS11_S14_bEUlT_E_NS1_11comp_targetILNS1_3genE8ELNS1_11target_archE1030ELNS1_3gpuE2ELNS1_3repE0EEENS1_30default_config_static_selectorELNS0_4arch9wavefront6targetE1EEEvSY_.num_agpr, 0
	.set _ZN7rocprim17ROCPRIM_400000_NS6detail17trampoline_kernelINS0_14default_configENS1_27upper_bound_config_selectorIflEEZNS1_14transform_implILb0ES3_S5_N6thrust23THRUST_200600_302600_NS6detail15normal_iteratorINS8_7pointerIfNS8_11hip_rocprim5par_tENS8_11use_defaultESE_EEEENSA_INSB_IlSD_SE_SE_EEEEZNS1_13binary_searchIS3_S5_NSA_INS8_10device_ptrIfEEEESG_SI_NS1_21upper_bound_search_opENS9_16wrapped_functionINS8_6system6detail7generic6detail18binary_search_lessEbEEEE10hipError_tPvRmT1_T2_T3_mmT4_T5_P12ihipStream_tbEUlRKfE_EESV_SZ_S10_mS11_S14_bEUlT_E_NS1_11comp_targetILNS1_3genE8ELNS1_11target_archE1030ELNS1_3gpuE2ELNS1_3repE0EEENS1_30default_config_static_selectorELNS0_4arch9wavefront6targetE1EEEvSY_.numbered_sgpr, 0
	.set _ZN7rocprim17ROCPRIM_400000_NS6detail17trampoline_kernelINS0_14default_configENS1_27upper_bound_config_selectorIflEEZNS1_14transform_implILb0ES3_S5_N6thrust23THRUST_200600_302600_NS6detail15normal_iteratorINS8_7pointerIfNS8_11hip_rocprim5par_tENS8_11use_defaultESE_EEEENSA_INSB_IlSD_SE_SE_EEEEZNS1_13binary_searchIS3_S5_NSA_INS8_10device_ptrIfEEEESG_SI_NS1_21upper_bound_search_opENS9_16wrapped_functionINS8_6system6detail7generic6detail18binary_search_lessEbEEEE10hipError_tPvRmT1_T2_T3_mmT4_T5_P12ihipStream_tbEUlRKfE_EESV_SZ_S10_mS11_S14_bEUlT_E_NS1_11comp_targetILNS1_3genE8ELNS1_11target_archE1030ELNS1_3gpuE2ELNS1_3repE0EEENS1_30default_config_static_selectorELNS0_4arch9wavefront6targetE1EEEvSY_.num_named_barrier, 0
	.set _ZN7rocprim17ROCPRIM_400000_NS6detail17trampoline_kernelINS0_14default_configENS1_27upper_bound_config_selectorIflEEZNS1_14transform_implILb0ES3_S5_N6thrust23THRUST_200600_302600_NS6detail15normal_iteratorINS8_7pointerIfNS8_11hip_rocprim5par_tENS8_11use_defaultESE_EEEENSA_INSB_IlSD_SE_SE_EEEEZNS1_13binary_searchIS3_S5_NSA_INS8_10device_ptrIfEEEESG_SI_NS1_21upper_bound_search_opENS9_16wrapped_functionINS8_6system6detail7generic6detail18binary_search_lessEbEEEE10hipError_tPvRmT1_T2_T3_mmT4_T5_P12ihipStream_tbEUlRKfE_EESV_SZ_S10_mS11_S14_bEUlT_E_NS1_11comp_targetILNS1_3genE8ELNS1_11target_archE1030ELNS1_3gpuE2ELNS1_3repE0EEENS1_30default_config_static_selectorELNS0_4arch9wavefront6targetE1EEEvSY_.private_seg_size, 0
	.set _ZN7rocprim17ROCPRIM_400000_NS6detail17trampoline_kernelINS0_14default_configENS1_27upper_bound_config_selectorIflEEZNS1_14transform_implILb0ES3_S5_N6thrust23THRUST_200600_302600_NS6detail15normal_iteratorINS8_7pointerIfNS8_11hip_rocprim5par_tENS8_11use_defaultESE_EEEENSA_INSB_IlSD_SE_SE_EEEEZNS1_13binary_searchIS3_S5_NSA_INS8_10device_ptrIfEEEESG_SI_NS1_21upper_bound_search_opENS9_16wrapped_functionINS8_6system6detail7generic6detail18binary_search_lessEbEEEE10hipError_tPvRmT1_T2_T3_mmT4_T5_P12ihipStream_tbEUlRKfE_EESV_SZ_S10_mS11_S14_bEUlT_E_NS1_11comp_targetILNS1_3genE8ELNS1_11target_archE1030ELNS1_3gpuE2ELNS1_3repE0EEENS1_30default_config_static_selectorELNS0_4arch9wavefront6targetE1EEEvSY_.uses_vcc, 0
	.set _ZN7rocprim17ROCPRIM_400000_NS6detail17trampoline_kernelINS0_14default_configENS1_27upper_bound_config_selectorIflEEZNS1_14transform_implILb0ES3_S5_N6thrust23THRUST_200600_302600_NS6detail15normal_iteratorINS8_7pointerIfNS8_11hip_rocprim5par_tENS8_11use_defaultESE_EEEENSA_INSB_IlSD_SE_SE_EEEEZNS1_13binary_searchIS3_S5_NSA_INS8_10device_ptrIfEEEESG_SI_NS1_21upper_bound_search_opENS9_16wrapped_functionINS8_6system6detail7generic6detail18binary_search_lessEbEEEE10hipError_tPvRmT1_T2_T3_mmT4_T5_P12ihipStream_tbEUlRKfE_EESV_SZ_S10_mS11_S14_bEUlT_E_NS1_11comp_targetILNS1_3genE8ELNS1_11target_archE1030ELNS1_3gpuE2ELNS1_3repE0EEENS1_30default_config_static_selectorELNS0_4arch9wavefront6targetE1EEEvSY_.uses_flat_scratch, 0
	.set _ZN7rocprim17ROCPRIM_400000_NS6detail17trampoline_kernelINS0_14default_configENS1_27upper_bound_config_selectorIflEEZNS1_14transform_implILb0ES3_S5_N6thrust23THRUST_200600_302600_NS6detail15normal_iteratorINS8_7pointerIfNS8_11hip_rocprim5par_tENS8_11use_defaultESE_EEEENSA_INSB_IlSD_SE_SE_EEEEZNS1_13binary_searchIS3_S5_NSA_INS8_10device_ptrIfEEEESG_SI_NS1_21upper_bound_search_opENS9_16wrapped_functionINS8_6system6detail7generic6detail18binary_search_lessEbEEEE10hipError_tPvRmT1_T2_T3_mmT4_T5_P12ihipStream_tbEUlRKfE_EESV_SZ_S10_mS11_S14_bEUlT_E_NS1_11comp_targetILNS1_3genE8ELNS1_11target_archE1030ELNS1_3gpuE2ELNS1_3repE0EEENS1_30default_config_static_selectorELNS0_4arch9wavefront6targetE1EEEvSY_.has_dyn_sized_stack, 0
	.set _ZN7rocprim17ROCPRIM_400000_NS6detail17trampoline_kernelINS0_14default_configENS1_27upper_bound_config_selectorIflEEZNS1_14transform_implILb0ES3_S5_N6thrust23THRUST_200600_302600_NS6detail15normal_iteratorINS8_7pointerIfNS8_11hip_rocprim5par_tENS8_11use_defaultESE_EEEENSA_INSB_IlSD_SE_SE_EEEEZNS1_13binary_searchIS3_S5_NSA_INS8_10device_ptrIfEEEESG_SI_NS1_21upper_bound_search_opENS9_16wrapped_functionINS8_6system6detail7generic6detail18binary_search_lessEbEEEE10hipError_tPvRmT1_T2_T3_mmT4_T5_P12ihipStream_tbEUlRKfE_EESV_SZ_S10_mS11_S14_bEUlT_E_NS1_11comp_targetILNS1_3genE8ELNS1_11target_archE1030ELNS1_3gpuE2ELNS1_3repE0EEENS1_30default_config_static_selectorELNS0_4arch9wavefront6targetE1EEEvSY_.has_recursion, 0
	.set _ZN7rocprim17ROCPRIM_400000_NS6detail17trampoline_kernelINS0_14default_configENS1_27upper_bound_config_selectorIflEEZNS1_14transform_implILb0ES3_S5_N6thrust23THRUST_200600_302600_NS6detail15normal_iteratorINS8_7pointerIfNS8_11hip_rocprim5par_tENS8_11use_defaultESE_EEEENSA_INSB_IlSD_SE_SE_EEEEZNS1_13binary_searchIS3_S5_NSA_INS8_10device_ptrIfEEEESG_SI_NS1_21upper_bound_search_opENS9_16wrapped_functionINS8_6system6detail7generic6detail18binary_search_lessEbEEEE10hipError_tPvRmT1_T2_T3_mmT4_T5_P12ihipStream_tbEUlRKfE_EESV_SZ_S10_mS11_S14_bEUlT_E_NS1_11comp_targetILNS1_3genE8ELNS1_11target_archE1030ELNS1_3gpuE2ELNS1_3repE0EEENS1_30default_config_static_selectorELNS0_4arch9wavefront6targetE1EEEvSY_.has_indirect_call, 0
	.section	.AMDGPU.csdata,"",@progbits
; Kernel info:
; codeLenInByte = 0
; TotalNumSgprs: 4
; NumVgprs: 0
; ScratchSize: 0
; MemoryBound: 0
; FloatMode: 240
; IeeeMode: 1
; LDSByteSize: 0 bytes/workgroup (compile time only)
; SGPRBlocks: 0
; VGPRBlocks: 0
; NumSGPRsForWavesPerEU: 4
; NumVGPRsForWavesPerEU: 1
; Occupancy: 10
; WaveLimiterHint : 0
; COMPUTE_PGM_RSRC2:SCRATCH_EN: 0
; COMPUTE_PGM_RSRC2:USER_SGPR: 6
; COMPUTE_PGM_RSRC2:TRAP_HANDLER: 0
; COMPUTE_PGM_RSRC2:TGID_X_EN: 1
; COMPUTE_PGM_RSRC2:TGID_Y_EN: 0
; COMPUTE_PGM_RSRC2:TGID_Z_EN: 0
; COMPUTE_PGM_RSRC2:TIDIG_COMP_CNT: 0
	.section	.text._ZN7rocprim17ROCPRIM_400000_NS6detail17trampoline_kernelINS0_14default_configENS1_27upper_bound_config_selectorIylEEZNS1_14transform_implILb0ES3_S5_N6thrust23THRUST_200600_302600_NS6detail15normal_iteratorINS8_7pointerIyNS8_11hip_rocprim5par_tENS8_11use_defaultESE_EEEENSA_INSB_IlSD_SE_SE_EEEEZNS1_13binary_searchIS3_S5_NSA_INS8_10device_ptrIyEEEESG_SI_NS1_21upper_bound_search_opENS9_16wrapped_functionINS8_6system6detail7generic6detail18binary_search_lessEbEEEE10hipError_tPvRmT1_T2_T3_mmT4_T5_P12ihipStream_tbEUlRKyE_EESV_SZ_S10_mS11_S14_bEUlT_E_NS1_11comp_targetILNS1_3genE0ELNS1_11target_archE4294967295ELNS1_3gpuE0ELNS1_3repE0EEENS1_30default_config_static_selectorELNS0_4arch9wavefront6targetE1EEEvSY_,"axG",@progbits,_ZN7rocprim17ROCPRIM_400000_NS6detail17trampoline_kernelINS0_14default_configENS1_27upper_bound_config_selectorIylEEZNS1_14transform_implILb0ES3_S5_N6thrust23THRUST_200600_302600_NS6detail15normal_iteratorINS8_7pointerIyNS8_11hip_rocprim5par_tENS8_11use_defaultESE_EEEENSA_INSB_IlSD_SE_SE_EEEEZNS1_13binary_searchIS3_S5_NSA_INS8_10device_ptrIyEEEESG_SI_NS1_21upper_bound_search_opENS9_16wrapped_functionINS8_6system6detail7generic6detail18binary_search_lessEbEEEE10hipError_tPvRmT1_T2_T3_mmT4_T5_P12ihipStream_tbEUlRKyE_EESV_SZ_S10_mS11_S14_bEUlT_E_NS1_11comp_targetILNS1_3genE0ELNS1_11target_archE4294967295ELNS1_3gpuE0ELNS1_3repE0EEENS1_30default_config_static_selectorELNS0_4arch9wavefront6targetE1EEEvSY_,comdat
	.protected	_ZN7rocprim17ROCPRIM_400000_NS6detail17trampoline_kernelINS0_14default_configENS1_27upper_bound_config_selectorIylEEZNS1_14transform_implILb0ES3_S5_N6thrust23THRUST_200600_302600_NS6detail15normal_iteratorINS8_7pointerIyNS8_11hip_rocprim5par_tENS8_11use_defaultESE_EEEENSA_INSB_IlSD_SE_SE_EEEEZNS1_13binary_searchIS3_S5_NSA_INS8_10device_ptrIyEEEESG_SI_NS1_21upper_bound_search_opENS9_16wrapped_functionINS8_6system6detail7generic6detail18binary_search_lessEbEEEE10hipError_tPvRmT1_T2_T3_mmT4_T5_P12ihipStream_tbEUlRKyE_EESV_SZ_S10_mS11_S14_bEUlT_E_NS1_11comp_targetILNS1_3genE0ELNS1_11target_archE4294967295ELNS1_3gpuE0ELNS1_3repE0EEENS1_30default_config_static_selectorELNS0_4arch9wavefront6targetE1EEEvSY_ ; -- Begin function _ZN7rocprim17ROCPRIM_400000_NS6detail17trampoline_kernelINS0_14default_configENS1_27upper_bound_config_selectorIylEEZNS1_14transform_implILb0ES3_S5_N6thrust23THRUST_200600_302600_NS6detail15normal_iteratorINS8_7pointerIyNS8_11hip_rocprim5par_tENS8_11use_defaultESE_EEEENSA_INSB_IlSD_SE_SE_EEEEZNS1_13binary_searchIS3_S5_NSA_INS8_10device_ptrIyEEEESG_SI_NS1_21upper_bound_search_opENS9_16wrapped_functionINS8_6system6detail7generic6detail18binary_search_lessEbEEEE10hipError_tPvRmT1_T2_T3_mmT4_T5_P12ihipStream_tbEUlRKyE_EESV_SZ_S10_mS11_S14_bEUlT_E_NS1_11comp_targetILNS1_3genE0ELNS1_11target_archE4294967295ELNS1_3gpuE0ELNS1_3repE0EEENS1_30default_config_static_selectorELNS0_4arch9wavefront6targetE1EEEvSY_
	.globl	_ZN7rocprim17ROCPRIM_400000_NS6detail17trampoline_kernelINS0_14default_configENS1_27upper_bound_config_selectorIylEEZNS1_14transform_implILb0ES3_S5_N6thrust23THRUST_200600_302600_NS6detail15normal_iteratorINS8_7pointerIyNS8_11hip_rocprim5par_tENS8_11use_defaultESE_EEEENSA_INSB_IlSD_SE_SE_EEEEZNS1_13binary_searchIS3_S5_NSA_INS8_10device_ptrIyEEEESG_SI_NS1_21upper_bound_search_opENS9_16wrapped_functionINS8_6system6detail7generic6detail18binary_search_lessEbEEEE10hipError_tPvRmT1_T2_T3_mmT4_T5_P12ihipStream_tbEUlRKyE_EESV_SZ_S10_mS11_S14_bEUlT_E_NS1_11comp_targetILNS1_3genE0ELNS1_11target_archE4294967295ELNS1_3gpuE0ELNS1_3repE0EEENS1_30default_config_static_selectorELNS0_4arch9wavefront6targetE1EEEvSY_
	.p2align	8
	.type	_ZN7rocprim17ROCPRIM_400000_NS6detail17trampoline_kernelINS0_14default_configENS1_27upper_bound_config_selectorIylEEZNS1_14transform_implILb0ES3_S5_N6thrust23THRUST_200600_302600_NS6detail15normal_iteratorINS8_7pointerIyNS8_11hip_rocprim5par_tENS8_11use_defaultESE_EEEENSA_INSB_IlSD_SE_SE_EEEEZNS1_13binary_searchIS3_S5_NSA_INS8_10device_ptrIyEEEESG_SI_NS1_21upper_bound_search_opENS9_16wrapped_functionINS8_6system6detail7generic6detail18binary_search_lessEbEEEE10hipError_tPvRmT1_T2_T3_mmT4_T5_P12ihipStream_tbEUlRKyE_EESV_SZ_S10_mS11_S14_bEUlT_E_NS1_11comp_targetILNS1_3genE0ELNS1_11target_archE4294967295ELNS1_3gpuE0ELNS1_3repE0EEENS1_30default_config_static_selectorELNS0_4arch9wavefront6targetE1EEEvSY_,@function
_ZN7rocprim17ROCPRIM_400000_NS6detail17trampoline_kernelINS0_14default_configENS1_27upper_bound_config_selectorIylEEZNS1_14transform_implILb0ES3_S5_N6thrust23THRUST_200600_302600_NS6detail15normal_iteratorINS8_7pointerIyNS8_11hip_rocprim5par_tENS8_11use_defaultESE_EEEENSA_INSB_IlSD_SE_SE_EEEEZNS1_13binary_searchIS3_S5_NSA_INS8_10device_ptrIyEEEESG_SI_NS1_21upper_bound_search_opENS9_16wrapped_functionINS8_6system6detail7generic6detail18binary_search_lessEbEEEE10hipError_tPvRmT1_T2_T3_mmT4_T5_P12ihipStream_tbEUlRKyE_EESV_SZ_S10_mS11_S14_bEUlT_E_NS1_11comp_targetILNS1_3genE0ELNS1_11target_archE4294967295ELNS1_3gpuE0ELNS1_3repE0EEENS1_30default_config_static_selectorELNS0_4arch9wavefront6targetE1EEEvSY_: ; @_ZN7rocprim17ROCPRIM_400000_NS6detail17trampoline_kernelINS0_14default_configENS1_27upper_bound_config_selectorIylEEZNS1_14transform_implILb0ES3_S5_N6thrust23THRUST_200600_302600_NS6detail15normal_iteratorINS8_7pointerIyNS8_11hip_rocprim5par_tENS8_11use_defaultESE_EEEENSA_INSB_IlSD_SE_SE_EEEEZNS1_13binary_searchIS3_S5_NSA_INS8_10device_ptrIyEEEESG_SI_NS1_21upper_bound_search_opENS9_16wrapped_functionINS8_6system6detail7generic6detail18binary_search_lessEbEEEE10hipError_tPvRmT1_T2_T3_mmT4_T5_P12ihipStream_tbEUlRKyE_EESV_SZ_S10_mS11_S14_bEUlT_E_NS1_11comp_targetILNS1_3genE0ELNS1_11target_archE4294967295ELNS1_3gpuE0ELNS1_3repE0EEENS1_30default_config_static_selectorELNS0_4arch9wavefront6targetE1EEEvSY_
; %bb.0:
	.section	.rodata,"a",@progbits
	.p2align	6, 0x0
	.amdhsa_kernel _ZN7rocprim17ROCPRIM_400000_NS6detail17trampoline_kernelINS0_14default_configENS1_27upper_bound_config_selectorIylEEZNS1_14transform_implILb0ES3_S5_N6thrust23THRUST_200600_302600_NS6detail15normal_iteratorINS8_7pointerIyNS8_11hip_rocprim5par_tENS8_11use_defaultESE_EEEENSA_INSB_IlSD_SE_SE_EEEEZNS1_13binary_searchIS3_S5_NSA_INS8_10device_ptrIyEEEESG_SI_NS1_21upper_bound_search_opENS9_16wrapped_functionINS8_6system6detail7generic6detail18binary_search_lessEbEEEE10hipError_tPvRmT1_T2_T3_mmT4_T5_P12ihipStream_tbEUlRKyE_EESV_SZ_S10_mS11_S14_bEUlT_E_NS1_11comp_targetILNS1_3genE0ELNS1_11target_archE4294967295ELNS1_3gpuE0ELNS1_3repE0EEENS1_30default_config_static_selectorELNS0_4arch9wavefront6targetE1EEEvSY_
		.amdhsa_group_segment_fixed_size 0
		.amdhsa_private_segment_fixed_size 0
		.amdhsa_kernarg_size 56
		.amdhsa_user_sgpr_count 6
		.amdhsa_user_sgpr_private_segment_buffer 1
		.amdhsa_user_sgpr_dispatch_ptr 0
		.amdhsa_user_sgpr_queue_ptr 0
		.amdhsa_user_sgpr_kernarg_segment_ptr 1
		.amdhsa_user_sgpr_dispatch_id 0
		.amdhsa_user_sgpr_flat_scratch_init 0
		.amdhsa_user_sgpr_private_segment_size 0
		.amdhsa_uses_dynamic_stack 0
		.amdhsa_system_sgpr_private_segment_wavefront_offset 0
		.amdhsa_system_sgpr_workgroup_id_x 1
		.amdhsa_system_sgpr_workgroup_id_y 0
		.amdhsa_system_sgpr_workgroup_id_z 0
		.amdhsa_system_sgpr_workgroup_info 0
		.amdhsa_system_vgpr_workitem_id 0
		.amdhsa_next_free_vgpr 1
		.amdhsa_next_free_sgpr 0
		.amdhsa_reserve_vcc 0
		.amdhsa_reserve_flat_scratch 0
		.amdhsa_float_round_mode_32 0
		.amdhsa_float_round_mode_16_64 0
		.amdhsa_float_denorm_mode_32 3
		.amdhsa_float_denorm_mode_16_64 3
		.amdhsa_dx10_clamp 1
		.amdhsa_ieee_mode 1
		.amdhsa_fp16_overflow 0
		.amdhsa_exception_fp_ieee_invalid_op 0
		.amdhsa_exception_fp_denorm_src 0
		.amdhsa_exception_fp_ieee_div_zero 0
		.amdhsa_exception_fp_ieee_overflow 0
		.amdhsa_exception_fp_ieee_underflow 0
		.amdhsa_exception_fp_ieee_inexact 0
		.amdhsa_exception_int_div_zero 0
	.end_amdhsa_kernel
	.section	.text._ZN7rocprim17ROCPRIM_400000_NS6detail17trampoline_kernelINS0_14default_configENS1_27upper_bound_config_selectorIylEEZNS1_14transform_implILb0ES3_S5_N6thrust23THRUST_200600_302600_NS6detail15normal_iteratorINS8_7pointerIyNS8_11hip_rocprim5par_tENS8_11use_defaultESE_EEEENSA_INSB_IlSD_SE_SE_EEEEZNS1_13binary_searchIS3_S5_NSA_INS8_10device_ptrIyEEEESG_SI_NS1_21upper_bound_search_opENS9_16wrapped_functionINS8_6system6detail7generic6detail18binary_search_lessEbEEEE10hipError_tPvRmT1_T2_T3_mmT4_T5_P12ihipStream_tbEUlRKyE_EESV_SZ_S10_mS11_S14_bEUlT_E_NS1_11comp_targetILNS1_3genE0ELNS1_11target_archE4294967295ELNS1_3gpuE0ELNS1_3repE0EEENS1_30default_config_static_selectorELNS0_4arch9wavefront6targetE1EEEvSY_,"axG",@progbits,_ZN7rocprim17ROCPRIM_400000_NS6detail17trampoline_kernelINS0_14default_configENS1_27upper_bound_config_selectorIylEEZNS1_14transform_implILb0ES3_S5_N6thrust23THRUST_200600_302600_NS6detail15normal_iteratorINS8_7pointerIyNS8_11hip_rocprim5par_tENS8_11use_defaultESE_EEEENSA_INSB_IlSD_SE_SE_EEEEZNS1_13binary_searchIS3_S5_NSA_INS8_10device_ptrIyEEEESG_SI_NS1_21upper_bound_search_opENS9_16wrapped_functionINS8_6system6detail7generic6detail18binary_search_lessEbEEEE10hipError_tPvRmT1_T2_T3_mmT4_T5_P12ihipStream_tbEUlRKyE_EESV_SZ_S10_mS11_S14_bEUlT_E_NS1_11comp_targetILNS1_3genE0ELNS1_11target_archE4294967295ELNS1_3gpuE0ELNS1_3repE0EEENS1_30default_config_static_selectorELNS0_4arch9wavefront6targetE1EEEvSY_,comdat
.Lfunc_end536:
	.size	_ZN7rocprim17ROCPRIM_400000_NS6detail17trampoline_kernelINS0_14default_configENS1_27upper_bound_config_selectorIylEEZNS1_14transform_implILb0ES3_S5_N6thrust23THRUST_200600_302600_NS6detail15normal_iteratorINS8_7pointerIyNS8_11hip_rocprim5par_tENS8_11use_defaultESE_EEEENSA_INSB_IlSD_SE_SE_EEEEZNS1_13binary_searchIS3_S5_NSA_INS8_10device_ptrIyEEEESG_SI_NS1_21upper_bound_search_opENS9_16wrapped_functionINS8_6system6detail7generic6detail18binary_search_lessEbEEEE10hipError_tPvRmT1_T2_T3_mmT4_T5_P12ihipStream_tbEUlRKyE_EESV_SZ_S10_mS11_S14_bEUlT_E_NS1_11comp_targetILNS1_3genE0ELNS1_11target_archE4294967295ELNS1_3gpuE0ELNS1_3repE0EEENS1_30default_config_static_selectorELNS0_4arch9wavefront6targetE1EEEvSY_, .Lfunc_end536-_ZN7rocprim17ROCPRIM_400000_NS6detail17trampoline_kernelINS0_14default_configENS1_27upper_bound_config_selectorIylEEZNS1_14transform_implILb0ES3_S5_N6thrust23THRUST_200600_302600_NS6detail15normal_iteratorINS8_7pointerIyNS8_11hip_rocprim5par_tENS8_11use_defaultESE_EEEENSA_INSB_IlSD_SE_SE_EEEEZNS1_13binary_searchIS3_S5_NSA_INS8_10device_ptrIyEEEESG_SI_NS1_21upper_bound_search_opENS9_16wrapped_functionINS8_6system6detail7generic6detail18binary_search_lessEbEEEE10hipError_tPvRmT1_T2_T3_mmT4_T5_P12ihipStream_tbEUlRKyE_EESV_SZ_S10_mS11_S14_bEUlT_E_NS1_11comp_targetILNS1_3genE0ELNS1_11target_archE4294967295ELNS1_3gpuE0ELNS1_3repE0EEENS1_30default_config_static_selectorELNS0_4arch9wavefront6targetE1EEEvSY_
                                        ; -- End function
	.set _ZN7rocprim17ROCPRIM_400000_NS6detail17trampoline_kernelINS0_14default_configENS1_27upper_bound_config_selectorIylEEZNS1_14transform_implILb0ES3_S5_N6thrust23THRUST_200600_302600_NS6detail15normal_iteratorINS8_7pointerIyNS8_11hip_rocprim5par_tENS8_11use_defaultESE_EEEENSA_INSB_IlSD_SE_SE_EEEEZNS1_13binary_searchIS3_S5_NSA_INS8_10device_ptrIyEEEESG_SI_NS1_21upper_bound_search_opENS9_16wrapped_functionINS8_6system6detail7generic6detail18binary_search_lessEbEEEE10hipError_tPvRmT1_T2_T3_mmT4_T5_P12ihipStream_tbEUlRKyE_EESV_SZ_S10_mS11_S14_bEUlT_E_NS1_11comp_targetILNS1_3genE0ELNS1_11target_archE4294967295ELNS1_3gpuE0ELNS1_3repE0EEENS1_30default_config_static_selectorELNS0_4arch9wavefront6targetE1EEEvSY_.num_vgpr, 0
	.set _ZN7rocprim17ROCPRIM_400000_NS6detail17trampoline_kernelINS0_14default_configENS1_27upper_bound_config_selectorIylEEZNS1_14transform_implILb0ES3_S5_N6thrust23THRUST_200600_302600_NS6detail15normal_iteratorINS8_7pointerIyNS8_11hip_rocprim5par_tENS8_11use_defaultESE_EEEENSA_INSB_IlSD_SE_SE_EEEEZNS1_13binary_searchIS3_S5_NSA_INS8_10device_ptrIyEEEESG_SI_NS1_21upper_bound_search_opENS9_16wrapped_functionINS8_6system6detail7generic6detail18binary_search_lessEbEEEE10hipError_tPvRmT1_T2_T3_mmT4_T5_P12ihipStream_tbEUlRKyE_EESV_SZ_S10_mS11_S14_bEUlT_E_NS1_11comp_targetILNS1_3genE0ELNS1_11target_archE4294967295ELNS1_3gpuE0ELNS1_3repE0EEENS1_30default_config_static_selectorELNS0_4arch9wavefront6targetE1EEEvSY_.num_agpr, 0
	.set _ZN7rocprim17ROCPRIM_400000_NS6detail17trampoline_kernelINS0_14default_configENS1_27upper_bound_config_selectorIylEEZNS1_14transform_implILb0ES3_S5_N6thrust23THRUST_200600_302600_NS6detail15normal_iteratorINS8_7pointerIyNS8_11hip_rocprim5par_tENS8_11use_defaultESE_EEEENSA_INSB_IlSD_SE_SE_EEEEZNS1_13binary_searchIS3_S5_NSA_INS8_10device_ptrIyEEEESG_SI_NS1_21upper_bound_search_opENS9_16wrapped_functionINS8_6system6detail7generic6detail18binary_search_lessEbEEEE10hipError_tPvRmT1_T2_T3_mmT4_T5_P12ihipStream_tbEUlRKyE_EESV_SZ_S10_mS11_S14_bEUlT_E_NS1_11comp_targetILNS1_3genE0ELNS1_11target_archE4294967295ELNS1_3gpuE0ELNS1_3repE0EEENS1_30default_config_static_selectorELNS0_4arch9wavefront6targetE1EEEvSY_.numbered_sgpr, 0
	.set _ZN7rocprim17ROCPRIM_400000_NS6detail17trampoline_kernelINS0_14default_configENS1_27upper_bound_config_selectorIylEEZNS1_14transform_implILb0ES3_S5_N6thrust23THRUST_200600_302600_NS6detail15normal_iteratorINS8_7pointerIyNS8_11hip_rocprim5par_tENS8_11use_defaultESE_EEEENSA_INSB_IlSD_SE_SE_EEEEZNS1_13binary_searchIS3_S5_NSA_INS8_10device_ptrIyEEEESG_SI_NS1_21upper_bound_search_opENS9_16wrapped_functionINS8_6system6detail7generic6detail18binary_search_lessEbEEEE10hipError_tPvRmT1_T2_T3_mmT4_T5_P12ihipStream_tbEUlRKyE_EESV_SZ_S10_mS11_S14_bEUlT_E_NS1_11comp_targetILNS1_3genE0ELNS1_11target_archE4294967295ELNS1_3gpuE0ELNS1_3repE0EEENS1_30default_config_static_selectorELNS0_4arch9wavefront6targetE1EEEvSY_.num_named_barrier, 0
	.set _ZN7rocprim17ROCPRIM_400000_NS6detail17trampoline_kernelINS0_14default_configENS1_27upper_bound_config_selectorIylEEZNS1_14transform_implILb0ES3_S5_N6thrust23THRUST_200600_302600_NS6detail15normal_iteratorINS8_7pointerIyNS8_11hip_rocprim5par_tENS8_11use_defaultESE_EEEENSA_INSB_IlSD_SE_SE_EEEEZNS1_13binary_searchIS3_S5_NSA_INS8_10device_ptrIyEEEESG_SI_NS1_21upper_bound_search_opENS9_16wrapped_functionINS8_6system6detail7generic6detail18binary_search_lessEbEEEE10hipError_tPvRmT1_T2_T3_mmT4_T5_P12ihipStream_tbEUlRKyE_EESV_SZ_S10_mS11_S14_bEUlT_E_NS1_11comp_targetILNS1_3genE0ELNS1_11target_archE4294967295ELNS1_3gpuE0ELNS1_3repE0EEENS1_30default_config_static_selectorELNS0_4arch9wavefront6targetE1EEEvSY_.private_seg_size, 0
	.set _ZN7rocprim17ROCPRIM_400000_NS6detail17trampoline_kernelINS0_14default_configENS1_27upper_bound_config_selectorIylEEZNS1_14transform_implILb0ES3_S5_N6thrust23THRUST_200600_302600_NS6detail15normal_iteratorINS8_7pointerIyNS8_11hip_rocprim5par_tENS8_11use_defaultESE_EEEENSA_INSB_IlSD_SE_SE_EEEEZNS1_13binary_searchIS3_S5_NSA_INS8_10device_ptrIyEEEESG_SI_NS1_21upper_bound_search_opENS9_16wrapped_functionINS8_6system6detail7generic6detail18binary_search_lessEbEEEE10hipError_tPvRmT1_T2_T3_mmT4_T5_P12ihipStream_tbEUlRKyE_EESV_SZ_S10_mS11_S14_bEUlT_E_NS1_11comp_targetILNS1_3genE0ELNS1_11target_archE4294967295ELNS1_3gpuE0ELNS1_3repE0EEENS1_30default_config_static_selectorELNS0_4arch9wavefront6targetE1EEEvSY_.uses_vcc, 0
	.set _ZN7rocprim17ROCPRIM_400000_NS6detail17trampoline_kernelINS0_14default_configENS1_27upper_bound_config_selectorIylEEZNS1_14transform_implILb0ES3_S5_N6thrust23THRUST_200600_302600_NS6detail15normal_iteratorINS8_7pointerIyNS8_11hip_rocprim5par_tENS8_11use_defaultESE_EEEENSA_INSB_IlSD_SE_SE_EEEEZNS1_13binary_searchIS3_S5_NSA_INS8_10device_ptrIyEEEESG_SI_NS1_21upper_bound_search_opENS9_16wrapped_functionINS8_6system6detail7generic6detail18binary_search_lessEbEEEE10hipError_tPvRmT1_T2_T3_mmT4_T5_P12ihipStream_tbEUlRKyE_EESV_SZ_S10_mS11_S14_bEUlT_E_NS1_11comp_targetILNS1_3genE0ELNS1_11target_archE4294967295ELNS1_3gpuE0ELNS1_3repE0EEENS1_30default_config_static_selectorELNS0_4arch9wavefront6targetE1EEEvSY_.uses_flat_scratch, 0
	.set _ZN7rocprim17ROCPRIM_400000_NS6detail17trampoline_kernelINS0_14default_configENS1_27upper_bound_config_selectorIylEEZNS1_14transform_implILb0ES3_S5_N6thrust23THRUST_200600_302600_NS6detail15normal_iteratorINS8_7pointerIyNS8_11hip_rocprim5par_tENS8_11use_defaultESE_EEEENSA_INSB_IlSD_SE_SE_EEEEZNS1_13binary_searchIS3_S5_NSA_INS8_10device_ptrIyEEEESG_SI_NS1_21upper_bound_search_opENS9_16wrapped_functionINS8_6system6detail7generic6detail18binary_search_lessEbEEEE10hipError_tPvRmT1_T2_T3_mmT4_T5_P12ihipStream_tbEUlRKyE_EESV_SZ_S10_mS11_S14_bEUlT_E_NS1_11comp_targetILNS1_3genE0ELNS1_11target_archE4294967295ELNS1_3gpuE0ELNS1_3repE0EEENS1_30default_config_static_selectorELNS0_4arch9wavefront6targetE1EEEvSY_.has_dyn_sized_stack, 0
	.set _ZN7rocprim17ROCPRIM_400000_NS6detail17trampoline_kernelINS0_14default_configENS1_27upper_bound_config_selectorIylEEZNS1_14transform_implILb0ES3_S5_N6thrust23THRUST_200600_302600_NS6detail15normal_iteratorINS8_7pointerIyNS8_11hip_rocprim5par_tENS8_11use_defaultESE_EEEENSA_INSB_IlSD_SE_SE_EEEEZNS1_13binary_searchIS3_S5_NSA_INS8_10device_ptrIyEEEESG_SI_NS1_21upper_bound_search_opENS9_16wrapped_functionINS8_6system6detail7generic6detail18binary_search_lessEbEEEE10hipError_tPvRmT1_T2_T3_mmT4_T5_P12ihipStream_tbEUlRKyE_EESV_SZ_S10_mS11_S14_bEUlT_E_NS1_11comp_targetILNS1_3genE0ELNS1_11target_archE4294967295ELNS1_3gpuE0ELNS1_3repE0EEENS1_30default_config_static_selectorELNS0_4arch9wavefront6targetE1EEEvSY_.has_recursion, 0
	.set _ZN7rocprim17ROCPRIM_400000_NS6detail17trampoline_kernelINS0_14default_configENS1_27upper_bound_config_selectorIylEEZNS1_14transform_implILb0ES3_S5_N6thrust23THRUST_200600_302600_NS6detail15normal_iteratorINS8_7pointerIyNS8_11hip_rocprim5par_tENS8_11use_defaultESE_EEEENSA_INSB_IlSD_SE_SE_EEEEZNS1_13binary_searchIS3_S5_NSA_INS8_10device_ptrIyEEEESG_SI_NS1_21upper_bound_search_opENS9_16wrapped_functionINS8_6system6detail7generic6detail18binary_search_lessEbEEEE10hipError_tPvRmT1_T2_T3_mmT4_T5_P12ihipStream_tbEUlRKyE_EESV_SZ_S10_mS11_S14_bEUlT_E_NS1_11comp_targetILNS1_3genE0ELNS1_11target_archE4294967295ELNS1_3gpuE0ELNS1_3repE0EEENS1_30default_config_static_selectorELNS0_4arch9wavefront6targetE1EEEvSY_.has_indirect_call, 0
	.section	.AMDGPU.csdata,"",@progbits
; Kernel info:
; codeLenInByte = 0
; TotalNumSgprs: 4
; NumVgprs: 0
; ScratchSize: 0
; MemoryBound: 0
; FloatMode: 240
; IeeeMode: 1
; LDSByteSize: 0 bytes/workgroup (compile time only)
; SGPRBlocks: 0
; VGPRBlocks: 0
; NumSGPRsForWavesPerEU: 4
; NumVGPRsForWavesPerEU: 1
; Occupancy: 10
; WaveLimiterHint : 0
; COMPUTE_PGM_RSRC2:SCRATCH_EN: 0
; COMPUTE_PGM_RSRC2:USER_SGPR: 6
; COMPUTE_PGM_RSRC2:TRAP_HANDLER: 0
; COMPUTE_PGM_RSRC2:TGID_X_EN: 1
; COMPUTE_PGM_RSRC2:TGID_Y_EN: 0
; COMPUTE_PGM_RSRC2:TGID_Z_EN: 0
; COMPUTE_PGM_RSRC2:TIDIG_COMP_CNT: 0
	.section	.text._ZN7rocprim17ROCPRIM_400000_NS6detail17trampoline_kernelINS0_14default_configENS1_27upper_bound_config_selectorIylEEZNS1_14transform_implILb0ES3_S5_N6thrust23THRUST_200600_302600_NS6detail15normal_iteratorINS8_7pointerIyNS8_11hip_rocprim5par_tENS8_11use_defaultESE_EEEENSA_INSB_IlSD_SE_SE_EEEEZNS1_13binary_searchIS3_S5_NSA_INS8_10device_ptrIyEEEESG_SI_NS1_21upper_bound_search_opENS9_16wrapped_functionINS8_6system6detail7generic6detail18binary_search_lessEbEEEE10hipError_tPvRmT1_T2_T3_mmT4_T5_P12ihipStream_tbEUlRKyE_EESV_SZ_S10_mS11_S14_bEUlT_E_NS1_11comp_targetILNS1_3genE5ELNS1_11target_archE942ELNS1_3gpuE9ELNS1_3repE0EEENS1_30default_config_static_selectorELNS0_4arch9wavefront6targetE1EEEvSY_,"axG",@progbits,_ZN7rocprim17ROCPRIM_400000_NS6detail17trampoline_kernelINS0_14default_configENS1_27upper_bound_config_selectorIylEEZNS1_14transform_implILb0ES3_S5_N6thrust23THRUST_200600_302600_NS6detail15normal_iteratorINS8_7pointerIyNS8_11hip_rocprim5par_tENS8_11use_defaultESE_EEEENSA_INSB_IlSD_SE_SE_EEEEZNS1_13binary_searchIS3_S5_NSA_INS8_10device_ptrIyEEEESG_SI_NS1_21upper_bound_search_opENS9_16wrapped_functionINS8_6system6detail7generic6detail18binary_search_lessEbEEEE10hipError_tPvRmT1_T2_T3_mmT4_T5_P12ihipStream_tbEUlRKyE_EESV_SZ_S10_mS11_S14_bEUlT_E_NS1_11comp_targetILNS1_3genE5ELNS1_11target_archE942ELNS1_3gpuE9ELNS1_3repE0EEENS1_30default_config_static_selectorELNS0_4arch9wavefront6targetE1EEEvSY_,comdat
	.protected	_ZN7rocprim17ROCPRIM_400000_NS6detail17trampoline_kernelINS0_14default_configENS1_27upper_bound_config_selectorIylEEZNS1_14transform_implILb0ES3_S5_N6thrust23THRUST_200600_302600_NS6detail15normal_iteratorINS8_7pointerIyNS8_11hip_rocprim5par_tENS8_11use_defaultESE_EEEENSA_INSB_IlSD_SE_SE_EEEEZNS1_13binary_searchIS3_S5_NSA_INS8_10device_ptrIyEEEESG_SI_NS1_21upper_bound_search_opENS9_16wrapped_functionINS8_6system6detail7generic6detail18binary_search_lessEbEEEE10hipError_tPvRmT1_T2_T3_mmT4_T5_P12ihipStream_tbEUlRKyE_EESV_SZ_S10_mS11_S14_bEUlT_E_NS1_11comp_targetILNS1_3genE5ELNS1_11target_archE942ELNS1_3gpuE9ELNS1_3repE0EEENS1_30default_config_static_selectorELNS0_4arch9wavefront6targetE1EEEvSY_ ; -- Begin function _ZN7rocprim17ROCPRIM_400000_NS6detail17trampoline_kernelINS0_14default_configENS1_27upper_bound_config_selectorIylEEZNS1_14transform_implILb0ES3_S5_N6thrust23THRUST_200600_302600_NS6detail15normal_iteratorINS8_7pointerIyNS8_11hip_rocprim5par_tENS8_11use_defaultESE_EEEENSA_INSB_IlSD_SE_SE_EEEEZNS1_13binary_searchIS3_S5_NSA_INS8_10device_ptrIyEEEESG_SI_NS1_21upper_bound_search_opENS9_16wrapped_functionINS8_6system6detail7generic6detail18binary_search_lessEbEEEE10hipError_tPvRmT1_T2_T3_mmT4_T5_P12ihipStream_tbEUlRKyE_EESV_SZ_S10_mS11_S14_bEUlT_E_NS1_11comp_targetILNS1_3genE5ELNS1_11target_archE942ELNS1_3gpuE9ELNS1_3repE0EEENS1_30default_config_static_selectorELNS0_4arch9wavefront6targetE1EEEvSY_
	.globl	_ZN7rocprim17ROCPRIM_400000_NS6detail17trampoline_kernelINS0_14default_configENS1_27upper_bound_config_selectorIylEEZNS1_14transform_implILb0ES3_S5_N6thrust23THRUST_200600_302600_NS6detail15normal_iteratorINS8_7pointerIyNS8_11hip_rocprim5par_tENS8_11use_defaultESE_EEEENSA_INSB_IlSD_SE_SE_EEEEZNS1_13binary_searchIS3_S5_NSA_INS8_10device_ptrIyEEEESG_SI_NS1_21upper_bound_search_opENS9_16wrapped_functionINS8_6system6detail7generic6detail18binary_search_lessEbEEEE10hipError_tPvRmT1_T2_T3_mmT4_T5_P12ihipStream_tbEUlRKyE_EESV_SZ_S10_mS11_S14_bEUlT_E_NS1_11comp_targetILNS1_3genE5ELNS1_11target_archE942ELNS1_3gpuE9ELNS1_3repE0EEENS1_30default_config_static_selectorELNS0_4arch9wavefront6targetE1EEEvSY_
	.p2align	8
	.type	_ZN7rocprim17ROCPRIM_400000_NS6detail17trampoline_kernelINS0_14default_configENS1_27upper_bound_config_selectorIylEEZNS1_14transform_implILb0ES3_S5_N6thrust23THRUST_200600_302600_NS6detail15normal_iteratorINS8_7pointerIyNS8_11hip_rocprim5par_tENS8_11use_defaultESE_EEEENSA_INSB_IlSD_SE_SE_EEEEZNS1_13binary_searchIS3_S5_NSA_INS8_10device_ptrIyEEEESG_SI_NS1_21upper_bound_search_opENS9_16wrapped_functionINS8_6system6detail7generic6detail18binary_search_lessEbEEEE10hipError_tPvRmT1_T2_T3_mmT4_T5_P12ihipStream_tbEUlRKyE_EESV_SZ_S10_mS11_S14_bEUlT_E_NS1_11comp_targetILNS1_3genE5ELNS1_11target_archE942ELNS1_3gpuE9ELNS1_3repE0EEENS1_30default_config_static_selectorELNS0_4arch9wavefront6targetE1EEEvSY_,@function
_ZN7rocprim17ROCPRIM_400000_NS6detail17trampoline_kernelINS0_14default_configENS1_27upper_bound_config_selectorIylEEZNS1_14transform_implILb0ES3_S5_N6thrust23THRUST_200600_302600_NS6detail15normal_iteratorINS8_7pointerIyNS8_11hip_rocprim5par_tENS8_11use_defaultESE_EEEENSA_INSB_IlSD_SE_SE_EEEEZNS1_13binary_searchIS3_S5_NSA_INS8_10device_ptrIyEEEESG_SI_NS1_21upper_bound_search_opENS9_16wrapped_functionINS8_6system6detail7generic6detail18binary_search_lessEbEEEE10hipError_tPvRmT1_T2_T3_mmT4_T5_P12ihipStream_tbEUlRKyE_EESV_SZ_S10_mS11_S14_bEUlT_E_NS1_11comp_targetILNS1_3genE5ELNS1_11target_archE942ELNS1_3gpuE9ELNS1_3repE0EEENS1_30default_config_static_selectorELNS0_4arch9wavefront6targetE1EEEvSY_: ; @_ZN7rocprim17ROCPRIM_400000_NS6detail17trampoline_kernelINS0_14default_configENS1_27upper_bound_config_selectorIylEEZNS1_14transform_implILb0ES3_S5_N6thrust23THRUST_200600_302600_NS6detail15normal_iteratorINS8_7pointerIyNS8_11hip_rocprim5par_tENS8_11use_defaultESE_EEEENSA_INSB_IlSD_SE_SE_EEEEZNS1_13binary_searchIS3_S5_NSA_INS8_10device_ptrIyEEEESG_SI_NS1_21upper_bound_search_opENS9_16wrapped_functionINS8_6system6detail7generic6detail18binary_search_lessEbEEEE10hipError_tPvRmT1_T2_T3_mmT4_T5_P12ihipStream_tbEUlRKyE_EESV_SZ_S10_mS11_S14_bEUlT_E_NS1_11comp_targetILNS1_3genE5ELNS1_11target_archE942ELNS1_3gpuE9ELNS1_3repE0EEENS1_30default_config_static_selectorELNS0_4arch9wavefront6targetE1EEEvSY_
; %bb.0:
	.section	.rodata,"a",@progbits
	.p2align	6, 0x0
	.amdhsa_kernel _ZN7rocprim17ROCPRIM_400000_NS6detail17trampoline_kernelINS0_14default_configENS1_27upper_bound_config_selectorIylEEZNS1_14transform_implILb0ES3_S5_N6thrust23THRUST_200600_302600_NS6detail15normal_iteratorINS8_7pointerIyNS8_11hip_rocprim5par_tENS8_11use_defaultESE_EEEENSA_INSB_IlSD_SE_SE_EEEEZNS1_13binary_searchIS3_S5_NSA_INS8_10device_ptrIyEEEESG_SI_NS1_21upper_bound_search_opENS9_16wrapped_functionINS8_6system6detail7generic6detail18binary_search_lessEbEEEE10hipError_tPvRmT1_T2_T3_mmT4_T5_P12ihipStream_tbEUlRKyE_EESV_SZ_S10_mS11_S14_bEUlT_E_NS1_11comp_targetILNS1_3genE5ELNS1_11target_archE942ELNS1_3gpuE9ELNS1_3repE0EEENS1_30default_config_static_selectorELNS0_4arch9wavefront6targetE1EEEvSY_
		.amdhsa_group_segment_fixed_size 0
		.amdhsa_private_segment_fixed_size 0
		.amdhsa_kernarg_size 56
		.amdhsa_user_sgpr_count 6
		.amdhsa_user_sgpr_private_segment_buffer 1
		.amdhsa_user_sgpr_dispatch_ptr 0
		.amdhsa_user_sgpr_queue_ptr 0
		.amdhsa_user_sgpr_kernarg_segment_ptr 1
		.amdhsa_user_sgpr_dispatch_id 0
		.amdhsa_user_sgpr_flat_scratch_init 0
		.amdhsa_user_sgpr_private_segment_size 0
		.amdhsa_uses_dynamic_stack 0
		.amdhsa_system_sgpr_private_segment_wavefront_offset 0
		.amdhsa_system_sgpr_workgroup_id_x 1
		.amdhsa_system_sgpr_workgroup_id_y 0
		.amdhsa_system_sgpr_workgroup_id_z 0
		.amdhsa_system_sgpr_workgroup_info 0
		.amdhsa_system_vgpr_workitem_id 0
		.amdhsa_next_free_vgpr 1
		.amdhsa_next_free_sgpr 0
		.amdhsa_reserve_vcc 0
		.amdhsa_reserve_flat_scratch 0
		.amdhsa_float_round_mode_32 0
		.amdhsa_float_round_mode_16_64 0
		.amdhsa_float_denorm_mode_32 3
		.amdhsa_float_denorm_mode_16_64 3
		.amdhsa_dx10_clamp 1
		.amdhsa_ieee_mode 1
		.amdhsa_fp16_overflow 0
		.amdhsa_exception_fp_ieee_invalid_op 0
		.amdhsa_exception_fp_denorm_src 0
		.amdhsa_exception_fp_ieee_div_zero 0
		.amdhsa_exception_fp_ieee_overflow 0
		.amdhsa_exception_fp_ieee_underflow 0
		.amdhsa_exception_fp_ieee_inexact 0
		.amdhsa_exception_int_div_zero 0
	.end_amdhsa_kernel
	.section	.text._ZN7rocprim17ROCPRIM_400000_NS6detail17trampoline_kernelINS0_14default_configENS1_27upper_bound_config_selectorIylEEZNS1_14transform_implILb0ES3_S5_N6thrust23THRUST_200600_302600_NS6detail15normal_iteratorINS8_7pointerIyNS8_11hip_rocprim5par_tENS8_11use_defaultESE_EEEENSA_INSB_IlSD_SE_SE_EEEEZNS1_13binary_searchIS3_S5_NSA_INS8_10device_ptrIyEEEESG_SI_NS1_21upper_bound_search_opENS9_16wrapped_functionINS8_6system6detail7generic6detail18binary_search_lessEbEEEE10hipError_tPvRmT1_T2_T3_mmT4_T5_P12ihipStream_tbEUlRKyE_EESV_SZ_S10_mS11_S14_bEUlT_E_NS1_11comp_targetILNS1_3genE5ELNS1_11target_archE942ELNS1_3gpuE9ELNS1_3repE0EEENS1_30default_config_static_selectorELNS0_4arch9wavefront6targetE1EEEvSY_,"axG",@progbits,_ZN7rocprim17ROCPRIM_400000_NS6detail17trampoline_kernelINS0_14default_configENS1_27upper_bound_config_selectorIylEEZNS1_14transform_implILb0ES3_S5_N6thrust23THRUST_200600_302600_NS6detail15normal_iteratorINS8_7pointerIyNS8_11hip_rocprim5par_tENS8_11use_defaultESE_EEEENSA_INSB_IlSD_SE_SE_EEEEZNS1_13binary_searchIS3_S5_NSA_INS8_10device_ptrIyEEEESG_SI_NS1_21upper_bound_search_opENS9_16wrapped_functionINS8_6system6detail7generic6detail18binary_search_lessEbEEEE10hipError_tPvRmT1_T2_T3_mmT4_T5_P12ihipStream_tbEUlRKyE_EESV_SZ_S10_mS11_S14_bEUlT_E_NS1_11comp_targetILNS1_3genE5ELNS1_11target_archE942ELNS1_3gpuE9ELNS1_3repE0EEENS1_30default_config_static_selectorELNS0_4arch9wavefront6targetE1EEEvSY_,comdat
.Lfunc_end537:
	.size	_ZN7rocprim17ROCPRIM_400000_NS6detail17trampoline_kernelINS0_14default_configENS1_27upper_bound_config_selectorIylEEZNS1_14transform_implILb0ES3_S5_N6thrust23THRUST_200600_302600_NS6detail15normal_iteratorINS8_7pointerIyNS8_11hip_rocprim5par_tENS8_11use_defaultESE_EEEENSA_INSB_IlSD_SE_SE_EEEEZNS1_13binary_searchIS3_S5_NSA_INS8_10device_ptrIyEEEESG_SI_NS1_21upper_bound_search_opENS9_16wrapped_functionINS8_6system6detail7generic6detail18binary_search_lessEbEEEE10hipError_tPvRmT1_T2_T3_mmT4_T5_P12ihipStream_tbEUlRKyE_EESV_SZ_S10_mS11_S14_bEUlT_E_NS1_11comp_targetILNS1_3genE5ELNS1_11target_archE942ELNS1_3gpuE9ELNS1_3repE0EEENS1_30default_config_static_selectorELNS0_4arch9wavefront6targetE1EEEvSY_, .Lfunc_end537-_ZN7rocprim17ROCPRIM_400000_NS6detail17trampoline_kernelINS0_14default_configENS1_27upper_bound_config_selectorIylEEZNS1_14transform_implILb0ES3_S5_N6thrust23THRUST_200600_302600_NS6detail15normal_iteratorINS8_7pointerIyNS8_11hip_rocprim5par_tENS8_11use_defaultESE_EEEENSA_INSB_IlSD_SE_SE_EEEEZNS1_13binary_searchIS3_S5_NSA_INS8_10device_ptrIyEEEESG_SI_NS1_21upper_bound_search_opENS9_16wrapped_functionINS8_6system6detail7generic6detail18binary_search_lessEbEEEE10hipError_tPvRmT1_T2_T3_mmT4_T5_P12ihipStream_tbEUlRKyE_EESV_SZ_S10_mS11_S14_bEUlT_E_NS1_11comp_targetILNS1_3genE5ELNS1_11target_archE942ELNS1_3gpuE9ELNS1_3repE0EEENS1_30default_config_static_selectorELNS0_4arch9wavefront6targetE1EEEvSY_
                                        ; -- End function
	.set _ZN7rocprim17ROCPRIM_400000_NS6detail17trampoline_kernelINS0_14default_configENS1_27upper_bound_config_selectorIylEEZNS1_14transform_implILb0ES3_S5_N6thrust23THRUST_200600_302600_NS6detail15normal_iteratorINS8_7pointerIyNS8_11hip_rocprim5par_tENS8_11use_defaultESE_EEEENSA_INSB_IlSD_SE_SE_EEEEZNS1_13binary_searchIS3_S5_NSA_INS8_10device_ptrIyEEEESG_SI_NS1_21upper_bound_search_opENS9_16wrapped_functionINS8_6system6detail7generic6detail18binary_search_lessEbEEEE10hipError_tPvRmT1_T2_T3_mmT4_T5_P12ihipStream_tbEUlRKyE_EESV_SZ_S10_mS11_S14_bEUlT_E_NS1_11comp_targetILNS1_3genE5ELNS1_11target_archE942ELNS1_3gpuE9ELNS1_3repE0EEENS1_30default_config_static_selectorELNS0_4arch9wavefront6targetE1EEEvSY_.num_vgpr, 0
	.set _ZN7rocprim17ROCPRIM_400000_NS6detail17trampoline_kernelINS0_14default_configENS1_27upper_bound_config_selectorIylEEZNS1_14transform_implILb0ES3_S5_N6thrust23THRUST_200600_302600_NS6detail15normal_iteratorINS8_7pointerIyNS8_11hip_rocprim5par_tENS8_11use_defaultESE_EEEENSA_INSB_IlSD_SE_SE_EEEEZNS1_13binary_searchIS3_S5_NSA_INS8_10device_ptrIyEEEESG_SI_NS1_21upper_bound_search_opENS9_16wrapped_functionINS8_6system6detail7generic6detail18binary_search_lessEbEEEE10hipError_tPvRmT1_T2_T3_mmT4_T5_P12ihipStream_tbEUlRKyE_EESV_SZ_S10_mS11_S14_bEUlT_E_NS1_11comp_targetILNS1_3genE5ELNS1_11target_archE942ELNS1_3gpuE9ELNS1_3repE0EEENS1_30default_config_static_selectorELNS0_4arch9wavefront6targetE1EEEvSY_.num_agpr, 0
	.set _ZN7rocprim17ROCPRIM_400000_NS6detail17trampoline_kernelINS0_14default_configENS1_27upper_bound_config_selectorIylEEZNS1_14transform_implILb0ES3_S5_N6thrust23THRUST_200600_302600_NS6detail15normal_iteratorINS8_7pointerIyNS8_11hip_rocprim5par_tENS8_11use_defaultESE_EEEENSA_INSB_IlSD_SE_SE_EEEEZNS1_13binary_searchIS3_S5_NSA_INS8_10device_ptrIyEEEESG_SI_NS1_21upper_bound_search_opENS9_16wrapped_functionINS8_6system6detail7generic6detail18binary_search_lessEbEEEE10hipError_tPvRmT1_T2_T3_mmT4_T5_P12ihipStream_tbEUlRKyE_EESV_SZ_S10_mS11_S14_bEUlT_E_NS1_11comp_targetILNS1_3genE5ELNS1_11target_archE942ELNS1_3gpuE9ELNS1_3repE0EEENS1_30default_config_static_selectorELNS0_4arch9wavefront6targetE1EEEvSY_.numbered_sgpr, 0
	.set _ZN7rocprim17ROCPRIM_400000_NS6detail17trampoline_kernelINS0_14default_configENS1_27upper_bound_config_selectorIylEEZNS1_14transform_implILb0ES3_S5_N6thrust23THRUST_200600_302600_NS6detail15normal_iteratorINS8_7pointerIyNS8_11hip_rocprim5par_tENS8_11use_defaultESE_EEEENSA_INSB_IlSD_SE_SE_EEEEZNS1_13binary_searchIS3_S5_NSA_INS8_10device_ptrIyEEEESG_SI_NS1_21upper_bound_search_opENS9_16wrapped_functionINS8_6system6detail7generic6detail18binary_search_lessEbEEEE10hipError_tPvRmT1_T2_T3_mmT4_T5_P12ihipStream_tbEUlRKyE_EESV_SZ_S10_mS11_S14_bEUlT_E_NS1_11comp_targetILNS1_3genE5ELNS1_11target_archE942ELNS1_3gpuE9ELNS1_3repE0EEENS1_30default_config_static_selectorELNS0_4arch9wavefront6targetE1EEEvSY_.num_named_barrier, 0
	.set _ZN7rocprim17ROCPRIM_400000_NS6detail17trampoline_kernelINS0_14default_configENS1_27upper_bound_config_selectorIylEEZNS1_14transform_implILb0ES3_S5_N6thrust23THRUST_200600_302600_NS6detail15normal_iteratorINS8_7pointerIyNS8_11hip_rocprim5par_tENS8_11use_defaultESE_EEEENSA_INSB_IlSD_SE_SE_EEEEZNS1_13binary_searchIS3_S5_NSA_INS8_10device_ptrIyEEEESG_SI_NS1_21upper_bound_search_opENS9_16wrapped_functionINS8_6system6detail7generic6detail18binary_search_lessEbEEEE10hipError_tPvRmT1_T2_T3_mmT4_T5_P12ihipStream_tbEUlRKyE_EESV_SZ_S10_mS11_S14_bEUlT_E_NS1_11comp_targetILNS1_3genE5ELNS1_11target_archE942ELNS1_3gpuE9ELNS1_3repE0EEENS1_30default_config_static_selectorELNS0_4arch9wavefront6targetE1EEEvSY_.private_seg_size, 0
	.set _ZN7rocprim17ROCPRIM_400000_NS6detail17trampoline_kernelINS0_14default_configENS1_27upper_bound_config_selectorIylEEZNS1_14transform_implILb0ES3_S5_N6thrust23THRUST_200600_302600_NS6detail15normal_iteratorINS8_7pointerIyNS8_11hip_rocprim5par_tENS8_11use_defaultESE_EEEENSA_INSB_IlSD_SE_SE_EEEEZNS1_13binary_searchIS3_S5_NSA_INS8_10device_ptrIyEEEESG_SI_NS1_21upper_bound_search_opENS9_16wrapped_functionINS8_6system6detail7generic6detail18binary_search_lessEbEEEE10hipError_tPvRmT1_T2_T3_mmT4_T5_P12ihipStream_tbEUlRKyE_EESV_SZ_S10_mS11_S14_bEUlT_E_NS1_11comp_targetILNS1_3genE5ELNS1_11target_archE942ELNS1_3gpuE9ELNS1_3repE0EEENS1_30default_config_static_selectorELNS0_4arch9wavefront6targetE1EEEvSY_.uses_vcc, 0
	.set _ZN7rocprim17ROCPRIM_400000_NS6detail17trampoline_kernelINS0_14default_configENS1_27upper_bound_config_selectorIylEEZNS1_14transform_implILb0ES3_S5_N6thrust23THRUST_200600_302600_NS6detail15normal_iteratorINS8_7pointerIyNS8_11hip_rocprim5par_tENS8_11use_defaultESE_EEEENSA_INSB_IlSD_SE_SE_EEEEZNS1_13binary_searchIS3_S5_NSA_INS8_10device_ptrIyEEEESG_SI_NS1_21upper_bound_search_opENS9_16wrapped_functionINS8_6system6detail7generic6detail18binary_search_lessEbEEEE10hipError_tPvRmT1_T2_T3_mmT4_T5_P12ihipStream_tbEUlRKyE_EESV_SZ_S10_mS11_S14_bEUlT_E_NS1_11comp_targetILNS1_3genE5ELNS1_11target_archE942ELNS1_3gpuE9ELNS1_3repE0EEENS1_30default_config_static_selectorELNS0_4arch9wavefront6targetE1EEEvSY_.uses_flat_scratch, 0
	.set _ZN7rocprim17ROCPRIM_400000_NS6detail17trampoline_kernelINS0_14default_configENS1_27upper_bound_config_selectorIylEEZNS1_14transform_implILb0ES3_S5_N6thrust23THRUST_200600_302600_NS6detail15normal_iteratorINS8_7pointerIyNS8_11hip_rocprim5par_tENS8_11use_defaultESE_EEEENSA_INSB_IlSD_SE_SE_EEEEZNS1_13binary_searchIS3_S5_NSA_INS8_10device_ptrIyEEEESG_SI_NS1_21upper_bound_search_opENS9_16wrapped_functionINS8_6system6detail7generic6detail18binary_search_lessEbEEEE10hipError_tPvRmT1_T2_T3_mmT4_T5_P12ihipStream_tbEUlRKyE_EESV_SZ_S10_mS11_S14_bEUlT_E_NS1_11comp_targetILNS1_3genE5ELNS1_11target_archE942ELNS1_3gpuE9ELNS1_3repE0EEENS1_30default_config_static_selectorELNS0_4arch9wavefront6targetE1EEEvSY_.has_dyn_sized_stack, 0
	.set _ZN7rocprim17ROCPRIM_400000_NS6detail17trampoline_kernelINS0_14default_configENS1_27upper_bound_config_selectorIylEEZNS1_14transform_implILb0ES3_S5_N6thrust23THRUST_200600_302600_NS6detail15normal_iteratorINS8_7pointerIyNS8_11hip_rocprim5par_tENS8_11use_defaultESE_EEEENSA_INSB_IlSD_SE_SE_EEEEZNS1_13binary_searchIS3_S5_NSA_INS8_10device_ptrIyEEEESG_SI_NS1_21upper_bound_search_opENS9_16wrapped_functionINS8_6system6detail7generic6detail18binary_search_lessEbEEEE10hipError_tPvRmT1_T2_T3_mmT4_T5_P12ihipStream_tbEUlRKyE_EESV_SZ_S10_mS11_S14_bEUlT_E_NS1_11comp_targetILNS1_3genE5ELNS1_11target_archE942ELNS1_3gpuE9ELNS1_3repE0EEENS1_30default_config_static_selectorELNS0_4arch9wavefront6targetE1EEEvSY_.has_recursion, 0
	.set _ZN7rocprim17ROCPRIM_400000_NS6detail17trampoline_kernelINS0_14default_configENS1_27upper_bound_config_selectorIylEEZNS1_14transform_implILb0ES3_S5_N6thrust23THRUST_200600_302600_NS6detail15normal_iteratorINS8_7pointerIyNS8_11hip_rocprim5par_tENS8_11use_defaultESE_EEEENSA_INSB_IlSD_SE_SE_EEEEZNS1_13binary_searchIS3_S5_NSA_INS8_10device_ptrIyEEEESG_SI_NS1_21upper_bound_search_opENS9_16wrapped_functionINS8_6system6detail7generic6detail18binary_search_lessEbEEEE10hipError_tPvRmT1_T2_T3_mmT4_T5_P12ihipStream_tbEUlRKyE_EESV_SZ_S10_mS11_S14_bEUlT_E_NS1_11comp_targetILNS1_3genE5ELNS1_11target_archE942ELNS1_3gpuE9ELNS1_3repE0EEENS1_30default_config_static_selectorELNS0_4arch9wavefront6targetE1EEEvSY_.has_indirect_call, 0
	.section	.AMDGPU.csdata,"",@progbits
; Kernel info:
; codeLenInByte = 0
; TotalNumSgprs: 4
; NumVgprs: 0
; ScratchSize: 0
; MemoryBound: 0
; FloatMode: 240
; IeeeMode: 1
; LDSByteSize: 0 bytes/workgroup (compile time only)
; SGPRBlocks: 0
; VGPRBlocks: 0
; NumSGPRsForWavesPerEU: 4
; NumVGPRsForWavesPerEU: 1
; Occupancy: 10
; WaveLimiterHint : 0
; COMPUTE_PGM_RSRC2:SCRATCH_EN: 0
; COMPUTE_PGM_RSRC2:USER_SGPR: 6
; COMPUTE_PGM_RSRC2:TRAP_HANDLER: 0
; COMPUTE_PGM_RSRC2:TGID_X_EN: 1
; COMPUTE_PGM_RSRC2:TGID_Y_EN: 0
; COMPUTE_PGM_RSRC2:TGID_Z_EN: 0
; COMPUTE_PGM_RSRC2:TIDIG_COMP_CNT: 0
	.section	.text._ZN7rocprim17ROCPRIM_400000_NS6detail17trampoline_kernelINS0_14default_configENS1_27upper_bound_config_selectorIylEEZNS1_14transform_implILb0ES3_S5_N6thrust23THRUST_200600_302600_NS6detail15normal_iteratorINS8_7pointerIyNS8_11hip_rocprim5par_tENS8_11use_defaultESE_EEEENSA_INSB_IlSD_SE_SE_EEEEZNS1_13binary_searchIS3_S5_NSA_INS8_10device_ptrIyEEEESG_SI_NS1_21upper_bound_search_opENS9_16wrapped_functionINS8_6system6detail7generic6detail18binary_search_lessEbEEEE10hipError_tPvRmT1_T2_T3_mmT4_T5_P12ihipStream_tbEUlRKyE_EESV_SZ_S10_mS11_S14_bEUlT_E_NS1_11comp_targetILNS1_3genE4ELNS1_11target_archE910ELNS1_3gpuE8ELNS1_3repE0EEENS1_30default_config_static_selectorELNS0_4arch9wavefront6targetE1EEEvSY_,"axG",@progbits,_ZN7rocprim17ROCPRIM_400000_NS6detail17trampoline_kernelINS0_14default_configENS1_27upper_bound_config_selectorIylEEZNS1_14transform_implILb0ES3_S5_N6thrust23THRUST_200600_302600_NS6detail15normal_iteratorINS8_7pointerIyNS8_11hip_rocprim5par_tENS8_11use_defaultESE_EEEENSA_INSB_IlSD_SE_SE_EEEEZNS1_13binary_searchIS3_S5_NSA_INS8_10device_ptrIyEEEESG_SI_NS1_21upper_bound_search_opENS9_16wrapped_functionINS8_6system6detail7generic6detail18binary_search_lessEbEEEE10hipError_tPvRmT1_T2_T3_mmT4_T5_P12ihipStream_tbEUlRKyE_EESV_SZ_S10_mS11_S14_bEUlT_E_NS1_11comp_targetILNS1_3genE4ELNS1_11target_archE910ELNS1_3gpuE8ELNS1_3repE0EEENS1_30default_config_static_selectorELNS0_4arch9wavefront6targetE1EEEvSY_,comdat
	.protected	_ZN7rocprim17ROCPRIM_400000_NS6detail17trampoline_kernelINS0_14default_configENS1_27upper_bound_config_selectorIylEEZNS1_14transform_implILb0ES3_S5_N6thrust23THRUST_200600_302600_NS6detail15normal_iteratorINS8_7pointerIyNS8_11hip_rocprim5par_tENS8_11use_defaultESE_EEEENSA_INSB_IlSD_SE_SE_EEEEZNS1_13binary_searchIS3_S5_NSA_INS8_10device_ptrIyEEEESG_SI_NS1_21upper_bound_search_opENS9_16wrapped_functionINS8_6system6detail7generic6detail18binary_search_lessEbEEEE10hipError_tPvRmT1_T2_T3_mmT4_T5_P12ihipStream_tbEUlRKyE_EESV_SZ_S10_mS11_S14_bEUlT_E_NS1_11comp_targetILNS1_3genE4ELNS1_11target_archE910ELNS1_3gpuE8ELNS1_3repE0EEENS1_30default_config_static_selectorELNS0_4arch9wavefront6targetE1EEEvSY_ ; -- Begin function _ZN7rocprim17ROCPRIM_400000_NS6detail17trampoline_kernelINS0_14default_configENS1_27upper_bound_config_selectorIylEEZNS1_14transform_implILb0ES3_S5_N6thrust23THRUST_200600_302600_NS6detail15normal_iteratorINS8_7pointerIyNS8_11hip_rocprim5par_tENS8_11use_defaultESE_EEEENSA_INSB_IlSD_SE_SE_EEEEZNS1_13binary_searchIS3_S5_NSA_INS8_10device_ptrIyEEEESG_SI_NS1_21upper_bound_search_opENS9_16wrapped_functionINS8_6system6detail7generic6detail18binary_search_lessEbEEEE10hipError_tPvRmT1_T2_T3_mmT4_T5_P12ihipStream_tbEUlRKyE_EESV_SZ_S10_mS11_S14_bEUlT_E_NS1_11comp_targetILNS1_3genE4ELNS1_11target_archE910ELNS1_3gpuE8ELNS1_3repE0EEENS1_30default_config_static_selectorELNS0_4arch9wavefront6targetE1EEEvSY_
	.globl	_ZN7rocprim17ROCPRIM_400000_NS6detail17trampoline_kernelINS0_14default_configENS1_27upper_bound_config_selectorIylEEZNS1_14transform_implILb0ES3_S5_N6thrust23THRUST_200600_302600_NS6detail15normal_iteratorINS8_7pointerIyNS8_11hip_rocprim5par_tENS8_11use_defaultESE_EEEENSA_INSB_IlSD_SE_SE_EEEEZNS1_13binary_searchIS3_S5_NSA_INS8_10device_ptrIyEEEESG_SI_NS1_21upper_bound_search_opENS9_16wrapped_functionINS8_6system6detail7generic6detail18binary_search_lessEbEEEE10hipError_tPvRmT1_T2_T3_mmT4_T5_P12ihipStream_tbEUlRKyE_EESV_SZ_S10_mS11_S14_bEUlT_E_NS1_11comp_targetILNS1_3genE4ELNS1_11target_archE910ELNS1_3gpuE8ELNS1_3repE0EEENS1_30default_config_static_selectorELNS0_4arch9wavefront6targetE1EEEvSY_
	.p2align	8
	.type	_ZN7rocprim17ROCPRIM_400000_NS6detail17trampoline_kernelINS0_14default_configENS1_27upper_bound_config_selectorIylEEZNS1_14transform_implILb0ES3_S5_N6thrust23THRUST_200600_302600_NS6detail15normal_iteratorINS8_7pointerIyNS8_11hip_rocprim5par_tENS8_11use_defaultESE_EEEENSA_INSB_IlSD_SE_SE_EEEEZNS1_13binary_searchIS3_S5_NSA_INS8_10device_ptrIyEEEESG_SI_NS1_21upper_bound_search_opENS9_16wrapped_functionINS8_6system6detail7generic6detail18binary_search_lessEbEEEE10hipError_tPvRmT1_T2_T3_mmT4_T5_P12ihipStream_tbEUlRKyE_EESV_SZ_S10_mS11_S14_bEUlT_E_NS1_11comp_targetILNS1_3genE4ELNS1_11target_archE910ELNS1_3gpuE8ELNS1_3repE0EEENS1_30default_config_static_selectorELNS0_4arch9wavefront6targetE1EEEvSY_,@function
_ZN7rocprim17ROCPRIM_400000_NS6detail17trampoline_kernelINS0_14default_configENS1_27upper_bound_config_selectorIylEEZNS1_14transform_implILb0ES3_S5_N6thrust23THRUST_200600_302600_NS6detail15normal_iteratorINS8_7pointerIyNS8_11hip_rocprim5par_tENS8_11use_defaultESE_EEEENSA_INSB_IlSD_SE_SE_EEEEZNS1_13binary_searchIS3_S5_NSA_INS8_10device_ptrIyEEEESG_SI_NS1_21upper_bound_search_opENS9_16wrapped_functionINS8_6system6detail7generic6detail18binary_search_lessEbEEEE10hipError_tPvRmT1_T2_T3_mmT4_T5_P12ihipStream_tbEUlRKyE_EESV_SZ_S10_mS11_S14_bEUlT_E_NS1_11comp_targetILNS1_3genE4ELNS1_11target_archE910ELNS1_3gpuE8ELNS1_3repE0EEENS1_30default_config_static_selectorELNS0_4arch9wavefront6targetE1EEEvSY_: ; @_ZN7rocprim17ROCPRIM_400000_NS6detail17trampoline_kernelINS0_14default_configENS1_27upper_bound_config_selectorIylEEZNS1_14transform_implILb0ES3_S5_N6thrust23THRUST_200600_302600_NS6detail15normal_iteratorINS8_7pointerIyNS8_11hip_rocprim5par_tENS8_11use_defaultESE_EEEENSA_INSB_IlSD_SE_SE_EEEEZNS1_13binary_searchIS3_S5_NSA_INS8_10device_ptrIyEEEESG_SI_NS1_21upper_bound_search_opENS9_16wrapped_functionINS8_6system6detail7generic6detail18binary_search_lessEbEEEE10hipError_tPvRmT1_T2_T3_mmT4_T5_P12ihipStream_tbEUlRKyE_EESV_SZ_S10_mS11_S14_bEUlT_E_NS1_11comp_targetILNS1_3genE4ELNS1_11target_archE910ELNS1_3gpuE8ELNS1_3repE0EEENS1_30default_config_static_selectorELNS0_4arch9wavefront6targetE1EEEvSY_
; %bb.0:
	.section	.rodata,"a",@progbits
	.p2align	6, 0x0
	.amdhsa_kernel _ZN7rocprim17ROCPRIM_400000_NS6detail17trampoline_kernelINS0_14default_configENS1_27upper_bound_config_selectorIylEEZNS1_14transform_implILb0ES3_S5_N6thrust23THRUST_200600_302600_NS6detail15normal_iteratorINS8_7pointerIyNS8_11hip_rocprim5par_tENS8_11use_defaultESE_EEEENSA_INSB_IlSD_SE_SE_EEEEZNS1_13binary_searchIS3_S5_NSA_INS8_10device_ptrIyEEEESG_SI_NS1_21upper_bound_search_opENS9_16wrapped_functionINS8_6system6detail7generic6detail18binary_search_lessEbEEEE10hipError_tPvRmT1_T2_T3_mmT4_T5_P12ihipStream_tbEUlRKyE_EESV_SZ_S10_mS11_S14_bEUlT_E_NS1_11comp_targetILNS1_3genE4ELNS1_11target_archE910ELNS1_3gpuE8ELNS1_3repE0EEENS1_30default_config_static_selectorELNS0_4arch9wavefront6targetE1EEEvSY_
		.amdhsa_group_segment_fixed_size 0
		.amdhsa_private_segment_fixed_size 0
		.amdhsa_kernarg_size 56
		.amdhsa_user_sgpr_count 6
		.amdhsa_user_sgpr_private_segment_buffer 1
		.amdhsa_user_sgpr_dispatch_ptr 0
		.amdhsa_user_sgpr_queue_ptr 0
		.amdhsa_user_sgpr_kernarg_segment_ptr 1
		.amdhsa_user_sgpr_dispatch_id 0
		.amdhsa_user_sgpr_flat_scratch_init 0
		.amdhsa_user_sgpr_private_segment_size 0
		.amdhsa_uses_dynamic_stack 0
		.amdhsa_system_sgpr_private_segment_wavefront_offset 0
		.amdhsa_system_sgpr_workgroup_id_x 1
		.amdhsa_system_sgpr_workgroup_id_y 0
		.amdhsa_system_sgpr_workgroup_id_z 0
		.amdhsa_system_sgpr_workgroup_info 0
		.amdhsa_system_vgpr_workitem_id 0
		.amdhsa_next_free_vgpr 1
		.amdhsa_next_free_sgpr 0
		.amdhsa_reserve_vcc 0
		.amdhsa_reserve_flat_scratch 0
		.amdhsa_float_round_mode_32 0
		.amdhsa_float_round_mode_16_64 0
		.amdhsa_float_denorm_mode_32 3
		.amdhsa_float_denorm_mode_16_64 3
		.amdhsa_dx10_clamp 1
		.amdhsa_ieee_mode 1
		.amdhsa_fp16_overflow 0
		.amdhsa_exception_fp_ieee_invalid_op 0
		.amdhsa_exception_fp_denorm_src 0
		.amdhsa_exception_fp_ieee_div_zero 0
		.amdhsa_exception_fp_ieee_overflow 0
		.amdhsa_exception_fp_ieee_underflow 0
		.amdhsa_exception_fp_ieee_inexact 0
		.amdhsa_exception_int_div_zero 0
	.end_amdhsa_kernel
	.section	.text._ZN7rocprim17ROCPRIM_400000_NS6detail17trampoline_kernelINS0_14default_configENS1_27upper_bound_config_selectorIylEEZNS1_14transform_implILb0ES3_S5_N6thrust23THRUST_200600_302600_NS6detail15normal_iteratorINS8_7pointerIyNS8_11hip_rocprim5par_tENS8_11use_defaultESE_EEEENSA_INSB_IlSD_SE_SE_EEEEZNS1_13binary_searchIS3_S5_NSA_INS8_10device_ptrIyEEEESG_SI_NS1_21upper_bound_search_opENS9_16wrapped_functionINS8_6system6detail7generic6detail18binary_search_lessEbEEEE10hipError_tPvRmT1_T2_T3_mmT4_T5_P12ihipStream_tbEUlRKyE_EESV_SZ_S10_mS11_S14_bEUlT_E_NS1_11comp_targetILNS1_3genE4ELNS1_11target_archE910ELNS1_3gpuE8ELNS1_3repE0EEENS1_30default_config_static_selectorELNS0_4arch9wavefront6targetE1EEEvSY_,"axG",@progbits,_ZN7rocprim17ROCPRIM_400000_NS6detail17trampoline_kernelINS0_14default_configENS1_27upper_bound_config_selectorIylEEZNS1_14transform_implILb0ES3_S5_N6thrust23THRUST_200600_302600_NS6detail15normal_iteratorINS8_7pointerIyNS8_11hip_rocprim5par_tENS8_11use_defaultESE_EEEENSA_INSB_IlSD_SE_SE_EEEEZNS1_13binary_searchIS3_S5_NSA_INS8_10device_ptrIyEEEESG_SI_NS1_21upper_bound_search_opENS9_16wrapped_functionINS8_6system6detail7generic6detail18binary_search_lessEbEEEE10hipError_tPvRmT1_T2_T3_mmT4_T5_P12ihipStream_tbEUlRKyE_EESV_SZ_S10_mS11_S14_bEUlT_E_NS1_11comp_targetILNS1_3genE4ELNS1_11target_archE910ELNS1_3gpuE8ELNS1_3repE0EEENS1_30default_config_static_selectorELNS0_4arch9wavefront6targetE1EEEvSY_,comdat
.Lfunc_end538:
	.size	_ZN7rocprim17ROCPRIM_400000_NS6detail17trampoline_kernelINS0_14default_configENS1_27upper_bound_config_selectorIylEEZNS1_14transform_implILb0ES3_S5_N6thrust23THRUST_200600_302600_NS6detail15normal_iteratorINS8_7pointerIyNS8_11hip_rocprim5par_tENS8_11use_defaultESE_EEEENSA_INSB_IlSD_SE_SE_EEEEZNS1_13binary_searchIS3_S5_NSA_INS8_10device_ptrIyEEEESG_SI_NS1_21upper_bound_search_opENS9_16wrapped_functionINS8_6system6detail7generic6detail18binary_search_lessEbEEEE10hipError_tPvRmT1_T2_T3_mmT4_T5_P12ihipStream_tbEUlRKyE_EESV_SZ_S10_mS11_S14_bEUlT_E_NS1_11comp_targetILNS1_3genE4ELNS1_11target_archE910ELNS1_3gpuE8ELNS1_3repE0EEENS1_30default_config_static_selectorELNS0_4arch9wavefront6targetE1EEEvSY_, .Lfunc_end538-_ZN7rocprim17ROCPRIM_400000_NS6detail17trampoline_kernelINS0_14default_configENS1_27upper_bound_config_selectorIylEEZNS1_14transform_implILb0ES3_S5_N6thrust23THRUST_200600_302600_NS6detail15normal_iteratorINS8_7pointerIyNS8_11hip_rocprim5par_tENS8_11use_defaultESE_EEEENSA_INSB_IlSD_SE_SE_EEEEZNS1_13binary_searchIS3_S5_NSA_INS8_10device_ptrIyEEEESG_SI_NS1_21upper_bound_search_opENS9_16wrapped_functionINS8_6system6detail7generic6detail18binary_search_lessEbEEEE10hipError_tPvRmT1_T2_T3_mmT4_T5_P12ihipStream_tbEUlRKyE_EESV_SZ_S10_mS11_S14_bEUlT_E_NS1_11comp_targetILNS1_3genE4ELNS1_11target_archE910ELNS1_3gpuE8ELNS1_3repE0EEENS1_30default_config_static_selectorELNS0_4arch9wavefront6targetE1EEEvSY_
                                        ; -- End function
	.set _ZN7rocprim17ROCPRIM_400000_NS6detail17trampoline_kernelINS0_14default_configENS1_27upper_bound_config_selectorIylEEZNS1_14transform_implILb0ES3_S5_N6thrust23THRUST_200600_302600_NS6detail15normal_iteratorINS8_7pointerIyNS8_11hip_rocprim5par_tENS8_11use_defaultESE_EEEENSA_INSB_IlSD_SE_SE_EEEEZNS1_13binary_searchIS3_S5_NSA_INS8_10device_ptrIyEEEESG_SI_NS1_21upper_bound_search_opENS9_16wrapped_functionINS8_6system6detail7generic6detail18binary_search_lessEbEEEE10hipError_tPvRmT1_T2_T3_mmT4_T5_P12ihipStream_tbEUlRKyE_EESV_SZ_S10_mS11_S14_bEUlT_E_NS1_11comp_targetILNS1_3genE4ELNS1_11target_archE910ELNS1_3gpuE8ELNS1_3repE0EEENS1_30default_config_static_selectorELNS0_4arch9wavefront6targetE1EEEvSY_.num_vgpr, 0
	.set _ZN7rocprim17ROCPRIM_400000_NS6detail17trampoline_kernelINS0_14default_configENS1_27upper_bound_config_selectorIylEEZNS1_14transform_implILb0ES3_S5_N6thrust23THRUST_200600_302600_NS6detail15normal_iteratorINS8_7pointerIyNS8_11hip_rocprim5par_tENS8_11use_defaultESE_EEEENSA_INSB_IlSD_SE_SE_EEEEZNS1_13binary_searchIS3_S5_NSA_INS8_10device_ptrIyEEEESG_SI_NS1_21upper_bound_search_opENS9_16wrapped_functionINS8_6system6detail7generic6detail18binary_search_lessEbEEEE10hipError_tPvRmT1_T2_T3_mmT4_T5_P12ihipStream_tbEUlRKyE_EESV_SZ_S10_mS11_S14_bEUlT_E_NS1_11comp_targetILNS1_3genE4ELNS1_11target_archE910ELNS1_3gpuE8ELNS1_3repE0EEENS1_30default_config_static_selectorELNS0_4arch9wavefront6targetE1EEEvSY_.num_agpr, 0
	.set _ZN7rocprim17ROCPRIM_400000_NS6detail17trampoline_kernelINS0_14default_configENS1_27upper_bound_config_selectorIylEEZNS1_14transform_implILb0ES3_S5_N6thrust23THRUST_200600_302600_NS6detail15normal_iteratorINS8_7pointerIyNS8_11hip_rocprim5par_tENS8_11use_defaultESE_EEEENSA_INSB_IlSD_SE_SE_EEEEZNS1_13binary_searchIS3_S5_NSA_INS8_10device_ptrIyEEEESG_SI_NS1_21upper_bound_search_opENS9_16wrapped_functionINS8_6system6detail7generic6detail18binary_search_lessEbEEEE10hipError_tPvRmT1_T2_T3_mmT4_T5_P12ihipStream_tbEUlRKyE_EESV_SZ_S10_mS11_S14_bEUlT_E_NS1_11comp_targetILNS1_3genE4ELNS1_11target_archE910ELNS1_3gpuE8ELNS1_3repE0EEENS1_30default_config_static_selectorELNS0_4arch9wavefront6targetE1EEEvSY_.numbered_sgpr, 0
	.set _ZN7rocprim17ROCPRIM_400000_NS6detail17trampoline_kernelINS0_14default_configENS1_27upper_bound_config_selectorIylEEZNS1_14transform_implILb0ES3_S5_N6thrust23THRUST_200600_302600_NS6detail15normal_iteratorINS8_7pointerIyNS8_11hip_rocprim5par_tENS8_11use_defaultESE_EEEENSA_INSB_IlSD_SE_SE_EEEEZNS1_13binary_searchIS3_S5_NSA_INS8_10device_ptrIyEEEESG_SI_NS1_21upper_bound_search_opENS9_16wrapped_functionINS8_6system6detail7generic6detail18binary_search_lessEbEEEE10hipError_tPvRmT1_T2_T3_mmT4_T5_P12ihipStream_tbEUlRKyE_EESV_SZ_S10_mS11_S14_bEUlT_E_NS1_11comp_targetILNS1_3genE4ELNS1_11target_archE910ELNS1_3gpuE8ELNS1_3repE0EEENS1_30default_config_static_selectorELNS0_4arch9wavefront6targetE1EEEvSY_.num_named_barrier, 0
	.set _ZN7rocprim17ROCPRIM_400000_NS6detail17trampoline_kernelINS0_14default_configENS1_27upper_bound_config_selectorIylEEZNS1_14transform_implILb0ES3_S5_N6thrust23THRUST_200600_302600_NS6detail15normal_iteratorINS8_7pointerIyNS8_11hip_rocprim5par_tENS8_11use_defaultESE_EEEENSA_INSB_IlSD_SE_SE_EEEEZNS1_13binary_searchIS3_S5_NSA_INS8_10device_ptrIyEEEESG_SI_NS1_21upper_bound_search_opENS9_16wrapped_functionINS8_6system6detail7generic6detail18binary_search_lessEbEEEE10hipError_tPvRmT1_T2_T3_mmT4_T5_P12ihipStream_tbEUlRKyE_EESV_SZ_S10_mS11_S14_bEUlT_E_NS1_11comp_targetILNS1_3genE4ELNS1_11target_archE910ELNS1_3gpuE8ELNS1_3repE0EEENS1_30default_config_static_selectorELNS0_4arch9wavefront6targetE1EEEvSY_.private_seg_size, 0
	.set _ZN7rocprim17ROCPRIM_400000_NS6detail17trampoline_kernelINS0_14default_configENS1_27upper_bound_config_selectorIylEEZNS1_14transform_implILb0ES3_S5_N6thrust23THRUST_200600_302600_NS6detail15normal_iteratorINS8_7pointerIyNS8_11hip_rocprim5par_tENS8_11use_defaultESE_EEEENSA_INSB_IlSD_SE_SE_EEEEZNS1_13binary_searchIS3_S5_NSA_INS8_10device_ptrIyEEEESG_SI_NS1_21upper_bound_search_opENS9_16wrapped_functionINS8_6system6detail7generic6detail18binary_search_lessEbEEEE10hipError_tPvRmT1_T2_T3_mmT4_T5_P12ihipStream_tbEUlRKyE_EESV_SZ_S10_mS11_S14_bEUlT_E_NS1_11comp_targetILNS1_3genE4ELNS1_11target_archE910ELNS1_3gpuE8ELNS1_3repE0EEENS1_30default_config_static_selectorELNS0_4arch9wavefront6targetE1EEEvSY_.uses_vcc, 0
	.set _ZN7rocprim17ROCPRIM_400000_NS6detail17trampoline_kernelINS0_14default_configENS1_27upper_bound_config_selectorIylEEZNS1_14transform_implILb0ES3_S5_N6thrust23THRUST_200600_302600_NS6detail15normal_iteratorINS8_7pointerIyNS8_11hip_rocprim5par_tENS8_11use_defaultESE_EEEENSA_INSB_IlSD_SE_SE_EEEEZNS1_13binary_searchIS3_S5_NSA_INS8_10device_ptrIyEEEESG_SI_NS1_21upper_bound_search_opENS9_16wrapped_functionINS8_6system6detail7generic6detail18binary_search_lessEbEEEE10hipError_tPvRmT1_T2_T3_mmT4_T5_P12ihipStream_tbEUlRKyE_EESV_SZ_S10_mS11_S14_bEUlT_E_NS1_11comp_targetILNS1_3genE4ELNS1_11target_archE910ELNS1_3gpuE8ELNS1_3repE0EEENS1_30default_config_static_selectorELNS0_4arch9wavefront6targetE1EEEvSY_.uses_flat_scratch, 0
	.set _ZN7rocprim17ROCPRIM_400000_NS6detail17trampoline_kernelINS0_14default_configENS1_27upper_bound_config_selectorIylEEZNS1_14transform_implILb0ES3_S5_N6thrust23THRUST_200600_302600_NS6detail15normal_iteratorINS8_7pointerIyNS8_11hip_rocprim5par_tENS8_11use_defaultESE_EEEENSA_INSB_IlSD_SE_SE_EEEEZNS1_13binary_searchIS3_S5_NSA_INS8_10device_ptrIyEEEESG_SI_NS1_21upper_bound_search_opENS9_16wrapped_functionINS8_6system6detail7generic6detail18binary_search_lessEbEEEE10hipError_tPvRmT1_T2_T3_mmT4_T5_P12ihipStream_tbEUlRKyE_EESV_SZ_S10_mS11_S14_bEUlT_E_NS1_11comp_targetILNS1_3genE4ELNS1_11target_archE910ELNS1_3gpuE8ELNS1_3repE0EEENS1_30default_config_static_selectorELNS0_4arch9wavefront6targetE1EEEvSY_.has_dyn_sized_stack, 0
	.set _ZN7rocprim17ROCPRIM_400000_NS6detail17trampoline_kernelINS0_14default_configENS1_27upper_bound_config_selectorIylEEZNS1_14transform_implILb0ES3_S5_N6thrust23THRUST_200600_302600_NS6detail15normal_iteratorINS8_7pointerIyNS8_11hip_rocprim5par_tENS8_11use_defaultESE_EEEENSA_INSB_IlSD_SE_SE_EEEEZNS1_13binary_searchIS3_S5_NSA_INS8_10device_ptrIyEEEESG_SI_NS1_21upper_bound_search_opENS9_16wrapped_functionINS8_6system6detail7generic6detail18binary_search_lessEbEEEE10hipError_tPvRmT1_T2_T3_mmT4_T5_P12ihipStream_tbEUlRKyE_EESV_SZ_S10_mS11_S14_bEUlT_E_NS1_11comp_targetILNS1_3genE4ELNS1_11target_archE910ELNS1_3gpuE8ELNS1_3repE0EEENS1_30default_config_static_selectorELNS0_4arch9wavefront6targetE1EEEvSY_.has_recursion, 0
	.set _ZN7rocprim17ROCPRIM_400000_NS6detail17trampoline_kernelINS0_14default_configENS1_27upper_bound_config_selectorIylEEZNS1_14transform_implILb0ES3_S5_N6thrust23THRUST_200600_302600_NS6detail15normal_iteratorINS8_7pointerIyNS8_11hip_rocprim5par_tENS8_11use_defaultESE_EEEENSA_INSB_IlSD_SE_SE_EEEEZNS1_13binary_searchIS3_S5_NSA_INS8_10device_ptrIyEEEESG_SI_NS1_21upper_bound_search_opENS9_16wrapped_functionINS8_6system6detail7generic6detail18binary_search_lessEbEEEE10hipError_tPvRmT1_T2_T3_mmT4_T5_P12ihipStream_tbEUlRKyE_EESV_SZ_S10_mS11_S14_bEUlT_E_NS1_11comp_targetILNS1_3genE4ELNS1_11target_archE910ELNS1_3gpuE8ELNS1_3repE0EEENS1_30default_config_static_selectorELNS0_4arch9wavefront6targetE1EEEvSY_.has_indirect_call, 0
	.section	.AMDGPU.csdata,"",@progbits
; Kernel info:
; codeLenInByte = 0
; TotalNumSgprs: 4
; NumVgprs: 0
; ScratchSize: 0
; MemoryBound: 0
; FloatMode: 240
; IeeeMode: 1
; LDSByteSize: 0 bytes/workgroup (compile time only)
; SGPRBlocks: 0
; VGPRBlocks: 0
; NumSGPRsForWavesPerEU: 4
; NumVGPRsForWavesPerEU: 1
; Occupancy: 10
; WaveLimiterHint : 0
; COMPUTE_PGM_RSRC2:SCRATCH_EN: 0
; COMPUTE_PGM_RSRC2:USER_SGPR: 6
; COMPUTE_PGM_RSRC2:TRAP_HANDLER: 0
; COMPUTE_PGM_RSRC2:TGID_X_EN: 1
; COMPUTE_PGM_RSRC2:TGID_Y_EN: 0
; COMPUTE_PGM_RSRC2:TGID_Z_EN: 0
; COMPUTE_PGM_RSRC2:TIDIG_COMP_CNT: 0
	.section	.text._ZN7rocprim17ROCPRIM_400000_NS6detail17trampoline_kernelINS0_14default_configENS1_27upper_bound_config_selectorIylEEZNS1_14transform_implILb0ES3_S5_N6thrust23THRUST_200600_302600_NS6detail15normal_iteratorINS8_7pointerIyNS8_11hip_rocprim5par_tENS8_11use_defaultESE_EEEENSA_INSB_IlSD_SE_SE_EEEEZNS1_13binary_searchIS3_S5_NSA_INS8_10device_ptrIyEEEESG_SI_NS1_21upper_bound_search_opENS9_16wrapped_functionINS8_6system6detail7generic6detail18binary_search_lessEbEEEE10hipError_tPvRmT1_T2_T3_mmT4_T5_P12ihipStream_tbEUlRKyE_EESV_SZ_S10_mS11_S14_bEUlT_E_NS1_11comp_targetILNS1_3genE3ELNS1_11target_archE908ELNS1_3gpuE7ELNS1_3repE0EEENS1_30default_config_static_selectorELNS0_4arch9wavefront6targetE1EEEvSY_,"axG",@progbits,_ZN7rocprim17ROCPRIM_400000_NS6detail17trampoline_kernelINS0_14default_configENS1_27upper_bound_config_selectorIylEEZNS1_14transform_implILb0ES3_S5_N6thrust23THRUST_200600_302600_NS6detail15normal_iteratorINS8_7pointerIyNS8_11hip_rocprim5par_tENS8_11use_defaultESE_EEEENSA_INSB_IlSD_SE_SE_EEEEZNS1_13binary_searchIS3_S5_NSA_INS8_10device_ptrIyEEEESG_SI_NS1_21upper_bound_search_opENS9_16wrapped_functionINS8_6system6detail7generic6detail18binary_search_lessEbEEEE10hipError_tPvRmT1_T2_T3_mmT4_T5_P12ihipStream_tbEUlRKyE_EESV_SZ_S10_mS11_S14_bEUlT_E_NS1_11comp_targetILNS1_3genE3ELNS1_11target_archE908ELNS1_3gpuE7ELNS1_3repE0EEENS1_30default_config_static_selectorELNS0_4arch9wavefront6targetE1EEEvSY_,comdat
	.protected	_ZN7rocprim17ROCPRIM_400000_NS6detail17trampoline_kernelINS0_14default_configENS1_27upper_bound_config_selectorIylEEZNS1_14transform_implILb0ES3_S5_N6thrust23THRUST_200600_302600_NS6detail15normal_iteratorINS8_7pointerIyNS8_11hip_rocprim5par_tENS8_11use_defaultESE_EEEENSA_INSB_IlSD_SE_SE_EEEEZNS1_13binary_searchIS3_S5_NSA_INS8_10device_ptrIyEEEESG_SI_NS1_21upper_bound_search_opENS9_16wrapped_functionINS8_6system6detail7generic6detail18binary_search_lessEbEEEE10hipError_tPvRmT1_T2_T3_mmT4_T5_P12ihipStream_tbEUlRKyE_EESV_SZ_S10_mS11_S14_bEUlT_E_NS1_11comp_targetILNS1_3genE3ELNS1_11target_archE908ELNS1_3gpuE7ELNS1_3repE0EEENS1_30default_config_static_selectorELNS0_4arch9wavefront6targetE1EEEvSY_ ; -- Begin function _ZN7rocprim17ROCPRIM_400000_NS6detail17trampoline_kernelINS0_14default_configENS1_27upper_bound_config_selectorIylEEZNS1_14transform_implILb0ES3_S5_N6thrust23THRUST_200600_302600_NS6detail15normal_iteratorINS8_7pointerIyNS8_11hip_rocprim5par_tENS8_11use_defaultESE_EEEENSA_INSB_IlSD_SE_SE_EEEEZNS1_13binary_searchIS3_S5_NSA_INS8_10device_ptrIyEEEESG_SI_NS1_21upper_bound_search_opENS9_16wrapped_functionINS8_6system6detail7generic6detail18binary_search_lessEbEEEE10hipError_tPvRmT1_T2_T3_mmT4_T5_P12ihipStream_tbEUlRKyE_EESV_SZ_S10_mS11_S14_bEUlT_E_NS1_11comp_targetILNS1_3genE3ELNS1_11target_archE908ELNS1_3gpuE7ELNS1_3repE0EEENS1_30default_config_static_selectorELNS0_4arch9wavefront6targetE1EEEvSY_
	.globl	_ZN7rocprim17ROCPRIM_400000_NS6detail17trampoline_kernelINS0_14default_configENS1_27upper_bound_config_selectorIylEEZNS1_14transform_implILb0ES3_S5_N6thrust23THRUST_200600_302600_NS6detail15normal_iteratorINS8_7pointerIyNS8_11hip_rocprim5par_tENS8_11use_defaultESE_EEEENSA_INSB_IlSD_SE_SE_EEEEZNS1_13binary_searchIS3_S5_NSA_INS8_10device_ptrIyEEEESG_SI_NS1_21upper_bound_search_opENS9_16wrapped_functionINS8_6system6detail7generic6detail18binary_search_lessEbEEEE10hipError_tPvRmT1_T2_T3_mmT4_T5_P12ihipStream_tbEUlRKyE_EESV_SZ_S10_mS11_S14_bEUlT_E_NS1_11comp_targetILNS1_3genE3ELNS1_11target_archE908ELNS1_3gpuE7ELNS1_3repE0EEENS1_30default_config_static_selectorELNS0_4arch9wavefront6targetE1EEEvSY_
	.p2align	8
	.type	_ZN7rocprim17ROCPRIM_400000_NS6detail17trampoline_kernelINS0_14default_configENS1_27upper_bound_config_selectorIylEEZNS1_14transform_implILb0ES3_S5_N6thrust23THRUST_200600_302600_NS6detail15normal_iteratorINS8_7pointerIyNS8_11hip_rocprim5par_tENS8_11use_defaultESE_EEEENSA_INSB_IlSD_SE_SE_EEEEZNS1_13binary_searchIS3_S5_NSA_INS8_10device_ptrIyEEEESG_SI_NS1_21upper_bound_search_opENS9_16wrapped_functionINS8_6system6detail7generic6detail18binary_search_lessEbEEEE10hipError_tPvRmT1_T2_T3_mmT4_T5_P12ihipStream_tbEUlRKyE_EESV_SZ_S10_mS11_S14_bEUlT_E_NS1_11comp_targetILNS1_3genE3ELNS1_11target_archE908ELNS1_3gpuE7ELNS1_3repE0EEENS1_30default_config_static_selectorELNS0_4arch9wavefront6targetE1EEEvSY_,@function
_ZN7rocprim17ROCPRIM_400000_NS6detail17trampoline_kernelINS0_14default_configENS1_27upper_bound_config_selectorIylEEZNS1_14transform_implILb0ES3_S5_N6thrust23THRUST_200600_302600_NS6detail15normal_iteratorINS8_7pointerIyNS8_11hip_rocprim5par_tENS8_11use_defaultESE_EEEENSA_INSB_IlSD_SE_SE_EEEEZNS1_13binary_searchIS3_S5_NSA_INS8_10device_ptrIyEEEESG_SI_NS1_21upper_bound_search_opENS9_16wrapped_functionINS8_6system6detail7generic6detail18binary_search_lessEbEEEE10hipError_tPvRmT1_T2_T3_mmT4_T5_P12ihipStream_tbEUlRKyE_EESV_SZ_S10_mS11_S14_bEUlT_E_NS1_11comp_targetILNS1_3genE3ELNS1_11target_archE908ELNS1_3gpuE7ELNS1_3repE0EEENS1_30default_config_static_selectorELNS0_4arch9wavefront6targetE1EEEvSY_: ; @_ZN7rocprim17ROCPRIM_400000_NS6detail17trampoline_kernelINS0_14default_configENS1_27upper_bound_config_selectorIylEEZNS1_14transform_implILb0ES3_S5_N6thrust23THRUST_200600_302600_NS6detail15normal_iteratorINS8_7pointerIyNS8_11hip_rocprim5par_tENS8_11use_defaultESE_EEEENSA_INSB_IlSD_SE_SE_EEEEZNS1_13binary_searchIS3_S5_NSA_INS8_10device_ptrIyEEEESG_SI_NS1_21upper_bound_search_opENS9_16wrapped_functionINS8_6system6detail7generic6detail18binary_search_lessEbEEEE10hipError_tPvRmT1_T2_T3_mmT4_T5_P12ihipStream_tbEUlRKyE_EESV_SZ_S10_mS11_S14_bEUlT_E_NS1_11comp_targetILNS1_3genE3ELNS1_11target_archE908ELNS1_3gpuE7ELNS1_3repE0EEENS1_30default_config_static_selectorELNS0_4arch9wavefront6targetE1EEEvSY_
; %bb.0:
	.section	.rodata,"a",@progbits
	.p2align	6, 0x0
	.amdhsa_kernel _ZN7rocprim17ROCPRIM_400000_NS6detail17trampoline_kernelINS0_14default_configENS1_27upper_bound_config_selectorIylEEZNS1_14transform_implILb0ES3_S5_N6thrust23THRUST_200600_302600_NS6detail15normal_iteratorINS8_7pointerIyNS8_11hip_rocprim5par_tENS8_11use_defaultESE_EEEENSA_INSB_IlSD_SE_SE_EEEEZNS1_13binary_searchIS3_S5_NSA_INS8_10device_ptrIyEEEESG_SI_NS1_21upper_bound_search_opENS9_16wrapped_functionINS8_6system6detail7generic6detail18binary_search_lessEbEEEE10hipError_tPvRmT1_T2_T3_mmT4_T5_P12ihipStream_tbEUlRKyE_EESV_SZ_S10_mS11_S14_bEUlT_E_NS1_11comp_targetILNS1_3genE3ELNS1_11target_archE908ELNS1_3gpuE7ELNS1_3repE0EEENS1_30default_config_static_selectorELNS0_4arch9wavefront6targetE1EEEvSY_
		.amdhsa_group_segment_fixed_size 0
		.amdhsa_private_segment_fixed_size 0
		.amdhsa_kernarg_size 56
		.amdhsa_user_sgpr_count 6
		.amdhsa_user_sgpr_private_segment_buffer 1
		.amdhsa_user_sgpr_dispatch_ptr 0
		.amdhsa_user_sgpr_queue_ptr 0
		.amdhsa_user_sgpr_kernarg_segment_ptr 1
		.amdhsa_user_sgpr_dispatch_id 0
		.amdhsa_user_sgpr_flat_scratch_init 0
		.amdhsa_user_sgpr_private_segment_size 0
		.amdhsa_uses_dynamic_stack 0
		.amdhsa_system_sgpr_private_segment_wavefront_offset 0
		.amdhsa_system_sgpr_workgroup_id_x 1
		.amdhsa_system_sgpr_workgroup_id_y 0
		.amdhsa_system_sgpr_workgroup_id_z 0
		.amdhsa_system_sgpr_workgroup_info 0
		.amdhsa_system_vgpr_workitem_id 0
		.amdhsa_next_free_vgpr 1
		.amdhsa_next_free_sgpr 0
		.amdhsa_reserve_vcc 0
		.amdhsa_reserve_flat_scratch 0
		.amdhsa_float_round_mode_32 0
		.amdhsa_float_round_mode_16_64 0
		.amdhsa_float_denorm_mode_32 3
		.amdhsa_float_denorm_mode_16_64 3
		.amdhsa_dx10_clamp 1
		.amdhsa_ieee_mode 1
		.amdhsa_fp16_overflow 0
		.amdhsa_exception_fp_ieee_invalid_op 0
		.amdhsa_exception_fp_denorm_src 0
		.amdhsa_exception_fp_ieee_div_zero 0
		.amdhsa_exception_fp_ieee_overflow 0
		.amdhsa_exception_fp_ieee_underflow 0
		.amdhsa_exception_fp_ieee_inexact 0
		.amdhsa_exception_int_div_zero 0
	.end_amdhsa_kernel
	.section	.text._ZN7rocprim17ROCPRIM_400000_NS6detail17trampoline_kernelINS0_14default_configENS1_27upper_bound_config_selectorIylEEZNS1_14transform_implILb0ES3_S5_N6thrust23THRUST_200600_302600_NS6detail15normal_iteratorINS8_7pointerIyNS8_11hip_rocprim5par_tENS8_11use_defaultESE_EEEENSA_INSB_IlSD_SE_SE_EEEEZNS1_13binary_searchIS3_S5_NSA_INS8_10device_ptrIyEEEESG_SI_NS1_21upper_bound_search_opENS9_16wrapped_functionINS8_6system6detail7generic6detail18binary_search_lessEbEEEE10hipError_tPvRmT1_T2_T3_mmT4_T5_P12ihipStream_tbEUlRKyE_EESV_SZ_S10_mS11_S14_bEUlT_E_NS1_11comp_targetILNS1_3genE3ELNS1_11target_archE908ELNS1_3gpuE7ELNS1_3repE0EEENS1_30default_config_static_selectorELNS0_4arch9wavefront6targetE1EEEvSY_,"axG",@progbits,_ZN7rocprim17ROCPRIM_400000_NS6detail17trampoline_kernelINS0_14default_configENS1_27upper_bound_config_selectorIylEEZNS1_14transform_implILb0ES3_S5_N6thrust23THRUST_200600_302600_NS6detail15normal_iteratorINS8_7pointerIyNS8_11hip_rocprim5par_tENS8_11use_defaultESE_EEEENSA_INSB_IlSD_SE_SE_EEEEZNS1_13binary_searchIS3_S5_NSA_INS8_10device_ptrIyEEEESG_SI_NS1_21upper_bound_search_opENS9_16wrapped_functionINS8_6system6detail7generic6detail18binary_search_lessEbEEEE10hipError_tPvRmT1_T2_T3_mmT4_T5_P12ihipStream_tbEUlRKyE_EESV_SZ_S10_mS11_S14_bEUlT_E_NS1_11comp_targetILNS1_3genE3ELNS1_11target_archE908ELNS1_3gpuE7ELNS1_3repE0EEENS1_30default_config_static_selectorELNS0_4arch9wavefront6targetE1EEEvSY_,comdat
.Lfunc_end539:
	.size	_ZN7rocprim17ROCPRIM_400000_NS6detail17trampoline_kernelINS0_14default_configENS1_27upper_bound_config_selectorIylEEZNS1_14transform_implILb0ES3_S5_N6thrust23THRUST_200600_302600_NS6detail15normal_iteratorINS8_7pointerIyNS8_11hip_rocprim5par_tENS8_11use_defaultESE_EEEENSA_INSB_IlSD_SE_SE_EEEEZNS1_13binary_searchIS3_S5_NSA_INS8_10device_ptrIyEEEESG_SI_NS1_21upper_bound_search_opENS9_16wrapped_functionINS8_6system6detail7generic6detail18binary_search_lessEbEEEE10hipError_tPvRmT1_T2_T3_mmT4_T5_P12ihipStream_tbEUlRKyE_EESV_SZ_S10_mS11_S14_bEUlT_E_NS1_11comp_targetILNS1_3genE3ELNS1_11target_archE908ELNS1_3gpuE7ELNS1_3repE0EEENS1_30default_config_static_selectorELNS0_4arch9wavefront6targetE1EEEvSY_, .Lfunc_end539-_ZN7rocprim17ROCPRIM_400000_NS6detail17trampoline_kernelINS0_14default_configENS1_27upper_bound_config_selectorIylEEZNS1_14transform_implILb0ES3_S5_N6thrust23THRUST_200600_302600_NS6detail15normal_iteratorINS8_7pointerIyNS8_11hip_rocprim5par_tENS8_11use_defaultESE_EEEENSA_INSB_IlSD_SE_SE_EEEEZNS1_13binary_searchIS3_S5_NSA_INS8_10device_ptrIyEEEESG_SI_NS1_21upper_bound_search_opENS9_16wrapped_functionINS8_6system6detail7generic6detail18binary_search_lessEbEEEE10hipError_tPvRmT1_T2_T3_mmT4_T5_P12ihipStream_tbEUlRKyE_EESV_SZ_S10_mS11_S14_bEUlT_E_NS1_11comp_targetILNS1_3genE3ELNS1_11target_archE908ELNS1_3gpuE7ELNS1_3repE0EEENS1_30default_config_static_selectorELNS0_4arch9wavefront6targetE1EEEvSY_
                                        ; -- End function
	.set _ZN7rocprim17ROCPRIM_400000_NS6detail17trampoline_kernelINS0_14default_configENS1_27upper_bound_config_selectorIylEEZNS1_14transform_implILb0ES3_S5_N6thrust23THRUST_200600_302600_NS6detail15normal_iteratorINS8_7pointerIyNS8_11hip_rocprim5par_tENS8_11use_defaultESE_EEEENSA_INSB_IlSD_SE_SE_EEEEZNS1_13binary_searchIS3_S5_NSA_INS8_10device_ptrIyEEEESG_SI_NS1_21upper_bound_search_opENS9_16wrapped_functionINS8_6system6detail7generic6detail18binary_search_lessEbEEEE10hipError_tPvRmT1_T2_T3_mmT4_T5_P12ihipStream_tbEUlRKyE_EESV_SZ_S10_mS11_S14_bEUlT_E_NS1_11comp_targetILNS1_3genE3ELNS1_11target_archE908ELNS1_3gpuE7ELNS1_3repE0EEENS1_30default_config_static_selectorELNS0_4arch9wavefront6targetE1EEEvSY_.num_vgpr, 0
	.set _ZN7rocprim17ROCPRIM_400000_NS6detail17trampoline_kernelINS0_14default_configENS1_27upper_bound_config_selectorIylEEZNS1_14transform_implILb0ES3_S5_N6thrust23THRUST_200600_302600_NS6detail15normal_iteratorINS8_7pointerIyNS8_11hip_rocprim5par_tENS8_11use_defaultESE_EEEENSA_INSB_IlSD_SE_SE_EEEEZNS1_13binary_searchIS3_S5_NSA_INS8_10device_ptrIyEEEESG_SI_NS1_21upper_bound_search_opENS9_16wrapped_functionINS8_6system6detail7generic6detail18binary_search_lessEbEEEE10hipError_tPvRmT1_T2_T3_mmT4_T5_P12ihipStream_tbEUlRKyE_EESV_SZ_S10_mS11_S14_bEUlT_E_NS1_11comp_targetILNS1_3genE3ELNS1_11target_archE908ELNS1_3gpuE7ELNS1_3repE0EEENS1_30default_config_static_selectorELNS0_4arch9wavefront6targetE1EEEvSY_.num_agpr, 0
	.set _ZN7rocprim17ROCPRIM_400000_NS6detail17trampoline_kernelINS0_14default_configENS1_27upper_bound_config_selectorIylEEZNS1_14transform_implILb0ES3_S5_N6thrust23THRUST_200600_302600_NS6detail15normal_iteratorINS8_7pointerIyNS8_11hip_rocprim5par_tENS8_11use_defaultESE_EEEENSA_INSB_IlSD_SE_SE_EEEEZNS1_13binary_searchIS3_S5_NSA_INS8_10device_ptrIyEEEESG_SI_NS1_21upper_bound_search_opENS9_16wrapped_functionINS8_6system6detail7generic6detail18binary_search_lessEbEEEE10hipError_tPvRmT1_T2_T3_mmT4_T5_P12ihipStream_tbEUlRKyE_EESV_SZ_S10_mS11_S14_bEUlT_E_NS1_11comp_targetILNS1_3genE3ELNS1_11target_archE908ELNS1_3gpuE7ELNS1_3repE0EEENS1_30default_config_static_selectorELNS0_4arch9wavefront6targetE1EEEvSY_.numbered_sgpr, 0
	.set _ZN7rocprim17ROCPRIM_400000_NS6detail17trampoline_kernelINS0_14default_configENS1_27upper_bound_config_selectorIylEEZNS1_14transform_implILb0ES3_S5_N6thrust23THRUST_200600_302600_NS6detail15normal_iteratorINS8_7pointerIyNS8_11hip_rocprim5par_tENS8_11use_defaultESE_EEEENSA_INSB_IlSD_SE_SE_EEEEZNS1_13binary_searchIS3_S5_NSA_INS8_10device_ptrIyEEEESG_SI_NS1_21upper_bound_search_opENS9_16wrapped_functionINS8_6system6detail7generic6detail18binary_search_lessEbEEEE10hipError_tPvRmT1_T2_T3_mmT4_T5_P12ihipStream_tbEUlRKyE_EESV_SZ_S10_mS11_S14_bEUlT_E_NS1_11comp_targetILNS1_3genE3ELNS1_11target_archE908ELNS1_3gpuE7ELNS1_3repE0EEENS1_30default_config_static_selectorELNS0_4arch9wavefront6targetE1EEEvSY_.num_named_barrier, 0
	.set _ZN7rocprim17ROCPRIM_400000_NS6detail17trampoline_kernelINS0_14default_configENS1_27upper_bound_config_selectorIylEEZNS1_14transform_implILb0ES3_S5_N6thrust23THRUST_200600_302600_NS6detail15normal_iteratorINS8_7pointerIyNS8_11hip_rocprim5par_tENS8_11use_defaultESE_EEEENSA_INSB_IlSD_SE_SE_EEEEZNS1_13binary_searchIS3_S5_NSA_INS8_10device_ptrIyEEEESG_SI_NS1_21upper_bound_search_opENS9_16wrapped_functionINS8_6system6detail7generic6detail18binary_search_lessEbEEEE10hipError_tPvRmT1_T2_T3_mmT4_T5_P12ihipStream_tbEUlRKyE_EESV_SZ_S10_mS11_S14_bEUlT_E_NS1_11comp_targetILNS1_3genE3ELNS1_11target_archE908ELNS1_3gpuE7ELNS1_3repE0EEENS1_30default_config_static_selectorELNS0_4arch9wavefront6targetE1EEEvSY_.private_seg_size, 0
	.set _ZN7rocprim17ROCPRIM_400000_NS6detail17trampoline_kernelINS0_14default_configENS1_27upper_bound_config_selectorIylEEZNS1_14transform_implILb0ES3_S5_N6thrust23THRUST_200600_302600_NS6detail15normal_iteratorINS8_7pointerIyNS8_11hip_rocprim5par_tENS8_11use_defaultESE_EEEENSA_INSB_IlSD_SE_SE_EEEEZNS1_13binary_searchIS3_S5_NSA_INS8_10device_ptrIyEEEESG_SI_NS1_21upper_bound_search_opENS9_16wrapped_functionINS8_6system6detail7generic6detail18binary_search_lessEbEEEE10hipError_tPvRmT1_T2_T3_mmT4_T5_P12ihipStream_tbEUlRKyE_EESV_SZ_S10_mS11_S14_bEUlT_E_NS1_11comp_targetILNS1_3genE3ELNS1_11target_archE908ELNS1_3gpuE7ELNS1_3repE0EEENS1_30default_config_static_selectorELNS0_4arch9wavefront6targetE1EEEvSY_.uses_vcc, 0
	.set _ZN7rocprim17ROCPRIM_400000_NS6detail17trampoline_kernelINS0_14default_configENS1_27upper_bound_config_selectorIylEEZNS1_14transform_implILb0ES3_S5_N6thrust23THRUST_200600_302600_NS6detail15normal_iteratorINS8_7pointerIyNS8_11hip_rocprim5par_tENS8_11use_defaultESE_EEEENSA_INSB_IlSD_SE_SE_EEEEZNS1_13binary_searchIS3_S5_NSA_INS8_10device_ptrIyEEEESG_SI_NS1_21upper_bound_search_opENS9_16wrapped_functionINS8_6system6detail7generic6detail18binary_search_lessEbEEEE10hipError_tPvRmT1_T2_T3_mmT4_T5_P12ihipStream_tbEUlRKyE_EESV_SZ_S10_mS11_S14_bEUlT_E_NS1_11comp_targetILNS1_3genE3ELNS1_11target_archE908ELNS1_3gpuE7ELNS1_3repE0EEENS1_30default_config_static_selectorELNS0_4arch9wavefront6targetE1EEEvSY_.uses_flat_scratch, 0
	.set _ZN7rocprim17ROCPRIM_400000_NS6detail17trampoline_kernelINS0_14default_configENS1_27upper_bound_config_selectorIylEEZNS1_14transform_implILb0ES3_S5_N6thrust23THRUST_200600_302600_NS6detail15normal_iteratorINS8_7pointerIyNS8_11hip_rocprim5par_tENS8_11use_defaultESE_EEEENSA_INSB_IlSD_SE_SE_EEEEZNS1_13binary_searchIS3_S5_NSA_INS8_10device_ptrIyEEEESG_SI_NS1_21upper_bound_search_opENS9_16wrapped_functionINS8_6system6detail7generic6detail18binary_search_lessEbEEEE10hipError_tPvRmT1_T2_T3_mmT4_T5_P12ihipStream_tbEUlRKyE_EESV_SZ_S10_mS11_S14_bEUlT_E_NS1_11comp_targetILNS1_3genE3ELNS1_11target_archE908ELNS1_3gpuE7ELNS1_3repE0EEENS1_30default_config_static_selectorELNS0_4arch9wavefront6targetE1EEEvSY_.has_dyn_sized_stack, 0
	.set _ZN7rocprim17ROCPRIM_400000_NS6detail17trampoline_kernelINS0_14default_configENS1_27upper_bound_config_selectorIylEEZNS1_14transform_implILb0ES3_S5_N6thrust23THRUST_200600_302600_NS6detail15normal_iteratorINS8_7pointerIyNS8_11hip_rocprim5par_tENS8_11use_defaultESE_EEEENSA_INSB_IlSD_SE_SE_EEEEZNS1_13binary_searchIS3_S5_NSA_INS8_10device_ptrIyEEEESG_SI_NS1_21upper_bound_search_opENS9_16wrapped_functionINS8_6system6detail7generic6detail18binary_search_lessEbEEEE10hipError_tPvRmT1_T2_T3_mmT4_T5_P12ihipStream_tbEUlRKyE_EESV_SZ_S10_mS11_S14_bEUlT_E_NS1_11comp_targetILNS1_3genE3ELNS1_11target_archE908ELNS1_3gpuE7ELNS1_3repE0EEENS1_30default_config_static_selectorELNS0_4arch9wavefront6targetE1EEEvSY_.has_recursion, 0
	.set _ZN7rocprim17ROCPRIM_400000_NS6detail17trampoline_kernelINS0_14default_configENS1_27upper_bound_config_selectorIylEEZNS1_14transform_implILb0ES3_S5_N6thrust23THRUST_200600_302600_NS6detail15normal_iteratorINS8_7pointerIyNS8_11hip_rocprim5par_tENS8_11use_defaultESE_EEEENSA_INSB_IlSD_SE_SE_EEEEZNS1_13binary_searchIS3_S5_NSA_INS8_10device_ptrIyEEEESG_SI_NS1_21upper_bound_search_opENS9_16wrapped_functionINS8_6system6detail7generic6detail18binary_search_lessEbEEEE10hipError_tPvRmT1_T2_T3_mmT4_T5_P12ihipStream_tbEUlRKyE_EESV_SZ_S10_mS11_S14_bEUlT_E_NS1_11comp_targetILNS1_3genE3ELNS1_11target_archE908ELNS1_3gpuE7ELNS1_3repE0EEENS1_30default_config_static_selectorELNS0_4arch9wavefront6targetE1EEEvSY_.has_indirect_call, 0
	.section	.AMDGPU.csdata,"",@progbits
; Kernel info:
; codeLenInByte = 0
; TotalNumSgprs: 4
; NumVgprs: 0
; ScratchSize: 0
; MemoryBound: 0
; FloatMode: 240
; IeeeMode: 1
; LDSByteSize: 0 bytes/workgroup (compile time only)
; SGPRBlocks: 0
; VGPRBlocks: 0
; NumSGPRsForWavesPerEU: 4
; NumVGPRsForWavesPerEU: 1
; Occupancy: 10
; WaveLimiterHint : 0
; COMPUTE_PGM_RSRC2:SCRATCH_EN: 0
; COMPUTE_PGM_RSRC2:USER_SGPR: 6
; COMPUTE_PGM_RSRC2:TRAP_HANDLER: 0
; COMPUTE_PGM_RSRC2:TGID_X_EN: 1
; COMPUTE_PGM_RSRC2:TGID_Y_EN: 0
; COMPUTE_PGM_RSRC2:TGID_Z_EN: 0
; COMPUTE_PGM_RSRC2:TIDIG_COMP_CNT: 0
	.section	.text._ZN7rocprim17ROCPRIM_400000_NS6detail17trampoline_kernelINS0_14default_configENS1_27upper_bound_config_selectorIylEEZNS1_14transform_implILb0ES3_S5_N6thrust23THRUST_200600_302600_NS6detail15normal_iteratorINS8_7pointerIyNS8_11hip_rocprim5par_tENS8_11use_defaultESE_EEEENSA_INSB_IlSD_SE_SE_EEEEZNS1_13binary_searchIS3_S5_NSA_INS8_10device_ptrIyEEEESG_SI_NS1_21upper_bound_search_opENS9_16wrapped_functionINS8_6system6detail7generic6detail18binary_search_lessEbEEEE10hipError_tPvRmT1_T2_T3_mmT4_T5_P12ihipStream_tbEUlRKyE_EESV_SZ_S10_mS11_S14_bEUlT_E_NS1_11comp_targetILNS1_3genE2ELNS1_11target_archE906ELNS1_3gpuE6ELNS1_3repE0EEENS1_30default_config_static_selectorELNS0_4arch9wavefront6targetE1EEEvSY_,"axG",@progbits,_ZN7rocprim17ROCPRIM_400000_NS6detail17trampoline_kernelINS0_14default_configENS1_27upper_bound_config_selectorIylEEZNS1_14transform_implILb0ES3_S5_N6thrust23THRUST_200600_302600_NS6detail15normal_iteratorINS8_7pointerIyNS8_11hip_rocprim5par_tENS8_11use_defaultESE_EEEENSA_INSB_IlSD_SE_SE_EEEEZNS1_13binary_searchIS3_S5_NSA_INS8_10device_ptrIyEEEESG_SI_NS1_21upper_bound_search_opENS9_16wrapped_functionINS8_6system6detail7generic6detail18binary_search_lessEbEEEE10hipError_tPvRmT1_T2_T3_mmT4_T5_P12ihipStream_tbEUlRKyE_EESV_SZ_S10_mS11_S14_bEUlT_E_NS1_11comp_targetILNS1_3genE2ELNS1_11target_archE906ELNS1_3gpuE6ELNS1_3repE0EEENS1_30default_config_static_selectorELNS0_4arch9wavefront6targetE1EEEvSY_,comdat
	.protected	_ZN7rocprim17ROCPRIM_400000_NS6detail17trampoline_kernelINS0_14default_configENS1_27upper_bound_config_selectorIylEEZNS1_14transform_implILb0ES3_S5_N6thrust23THRUST_200600_302600_NS6detail15normal_iteratorINS8_7pointerIyNS8_11hip_rocprim5par_tENS8_11use_defaultESE_EEEENSA_INSB_IlSD_SE_SE_EEEEZNS1_13binary_searchIS3_S5_NSA_INS8_10device_ptrIyEEEESG_SI_NS1_21upper_bound_search_opENS9_16wrapped_functionINS8_6system6detail7generic6detail18binary_search_lessEbEEEE10hipError_tPvRmT1_T2_T3_mmT4_T5_P12ihipStream_tbEUlRKyE_EESV_SZ_S10_mS11_S14_bEUlT_E_NS1_11comp_targetILNS1_3genE2ELNS1_11target_archE906ELNS1_3gpuE6ELNS1_3repE0EEENS1_30default_config_static_selectorELNS0_4arch9wavefront6targetE1EEEvSY_ ; -- Begin function _ZN7rocprim17ROCPRIM_400000_NS6detail17trampoline_kernelINS0_14default_configENS1_27upper_bound_config_selectorIylEEZNS1_14transform_implILb0ES3_S5_N6thrust23THRUST_200600_302600_NS6detail15normal_iteratorINS8_7pointerIyNS8_11hip_rocprim5par_tENS8_11use_defaultESE_EEEENSA_INSB_IlSD_SE_SE_EEEEZNS1_13binary_searchIS3_S5_NSA_INS8_10device_ptrIyEEEESG_SI_NS1_21upper_bound_search_opENS9_16wrapped_functionINS8_6system6detail7generic6detail18binary_search_lessEbEEEE10hipError_tPvRmT1_T2_T3_mmT4_T5_P12ihipStream_tbEUlRKyE_EESV_SZ_S10_mS11_S14_bEUlT_E_NS1_11comp_targetILNS1_3genE2ELNS1_11target_archE906ELNS1_3gpuE6ELNS1_3repE0EEENS1_30default_config_static_selectorELNS0_4arch9wavefront6targetE1EEEvSY_
	.globl	_ZN7rocprim17ROCPRIM_400000_NS6detail17trampoline_kernelINS0_14default_configENS1_27upper_bound_config_selectorIylEEZNS1_14transform_implILb0ES3_S5_N6thrust23THRUST_200600_302600_NS6detail15normal_iteratorINS8_7pointerIyNS8_11hip_rocprim5par_tENS8_11use_defaultESE_EEEENSA_INSB_IlSD_SE_SE_EEEEZNS1_13binary_searchIS3_S5_NSA_INS8_10device_ptrIyEEEESG_SI_NS1_21upper_bound_search_opENS9_16wrapped_functionINS8_6system6detail7generic6detail18binary_search_lessEbEEEE10hipError_tPvRmT1_T2_T3_mmT4_T5_P12ihipStream_tbEUlRKyE_EESV_SZ_S10_mS11_S14_bEUlT_E_NS1_11comp_targetILNS1_3genE2ELNS1_11target_archE906ELNS1_3gpuE6ELNS1_3repE0EEENS1_30default_config_static_selectorELNS0_4arch9wavefront6targetE1EEEvSY_
	.p2align	8
	.type	_ZN7rocprim17ROCPRIM_400000_NS6detail17trampoline_kernelINS0_14default_configENS1_27upper_bound_config_selectorIylEEZNS1_14transform_implILb0ES3_S5_N6thrust23THRUST_200600_302600_NS6detail15normal_iteratorINS8_7pointerIyNS8_11hip_rocprim5par_tENS8_11use_defaultESE_EEEENSA_INSB_IlSD_SE_SE_EEEEZNS1_13binary_searchIS3_S5_NSA_INS8_10device_ptrIyEEEESG_SI_NS1_21upper_bound_search_opENS9_16wrapped_functionINS8_6system6detail7generic6detail18binary_search_lessEbEEEE10hipError_tPvRmT1_T2_T3_mmT4_T5_P12ihipStream_tbEUlRKyE_EESV_SZ_S10_mS11_S14_bEUlT_E_NS1_11comp_targetILNS1_3genE2ELNS1_11target_archE906ELNS1_3gpuE6ELNS1_3repE0EEENS1_30default_config_static_selectorELNS0_4arch9wavefront6targetE1EEEvSY_,@function
_ZN7rocprim17ROCPRIM_400000_NS6detail17trampoline_kernelINS0_14default_configENS1_27upper_bound_config_selectorIylEEZNS1_14transform_implILb0ES3_S5_N6thrust23THRUST_200600_302600_NS6detail15normal_iteratorINS8_7pointerIyNS8_11hip_rocprim5par_tENS8_11use_defaultESE_EEEENSA_INSB_IlSD_SE_SE_EEEEZNS1_13binary_searchIS3_S5_NSA_INS8_10device_ptrIyEEEESG_SI_NS1_21upper_bound_search_opENS9_16wrapped_functionINS8_6system6detail7generic6detail18binary_search_lessEbEEEE10hipError_tPvRmT1_T2_T3_mmT4_T5_P12ihipStream_tbEUlRKyE_EESV_SZ_S10_mS11_S14_bEUlT_E_NS1_11comp_targetILNS1_3genE2ELNS1_11target_archE906ELNS1_3gpuE6ELNS1_3repE0EEENS1_30default_config_static_selectorELNS0_4arch9wavefront6targetE1EEEvSY_: ; @_ZN7rocprim17ROCPRIM_400000_NS6detail17trampoline_kernelINS0_14default_configENS1_27upper_bound_config_selectorIylEEZNS1_14transform_implILb0ES3_S5_N6thrust23THRUST_200600_302600_NS6detail15normal_iteratorINS8_7pointerIyNS8_11hip_rocprim5par_tENS8_11use_defaultESE_EEEENSA_INSB_IlSD_SE_SE_EEEEZNS1_13binary_searchIS3_S5_NSA_INS8_10device_ptrIyEEEESG_SI_NS1_21upper_bound_search_opENS9_16wrapped_functionINS8_6system6detail7generic6detail18binary_search_lessEbEEEE10hipError_tPvRmT1_T2_T3_mmT4_T5_P12ihipStream_tbEUlRKyE_EESV_SZ_S10_mS11_S14_bEUlT_E_NS1_11comp_targetILNS1_3genE2ELNS1_11target_archE906ELNS1_3gpuE6ELNS1_3repE0EEENS1_30default_config_static_selectorELNS0_4arch9wavefront6targetE1EEEvSY_
; %bb.0:
	s_load_dwordx4 s[0:3], s[4:5], 0x0
	s_load_dwordx4 s[8:11], s[4:5], 0x18
	s_load_dwordx2 s[12:13], s[4:5], 0x28
	s_load_dword s16, s[4:5], 0x38
	s_waitcnt lgkmcnt(0)
	s_lshl_b64 s[14:15], s[2:3], 3
	s_add_u32 s2, s0, s14
	s_addc_u32 s3, s1, s15
	s_add_u32 s7, s8, s14
	s_addc_u32 s14, s9, s15
	s_lshl_b32 s8, s6, 8
	s_add_i32 s16, s16, -1
	s_mov_b32 s9, 0
	s_cmp_lg_u32 s6, s16
	s_mov_b64 s[0:1], -1
	s_cbranch_scc0 .LBB540_7
; %bb.1:
	s_cmp_eq_u64 s[12:13], 0
	s_mov_b64 s[0:1], 0
	s_cbranch_scc1 .LBB540_5
; %bb.2:
	s_lshl_b64 s[16:17], s[8:9], 3
	s_add_u32 s6, s2, s16
	s_addc_u32 s15, s3, s17
	v_lshlrev_b32_e32 v1, 3, v0
	v_mov_b32_e32 v2, s15
	v_add_co_u32_e32 v1, vcc, s6, v1
	v_addc_co_u32_e32 v2, vcc, 0, v2, vcc
	flat_load_dwordx2 v[3:4], v[1:2]
	v_mov_b32_e32 v1, 0
	v_mov_b32_e32 v5, s12
	;; [unrolled: 1-line block ×5, first 2 shown]
.LBB540_3:                              ; =>This Inner Loop Header: Depth=1
	v_sub_co_u32_e32 v8, vcc, v5, v1
	v_subb_co_u32_e32 v9, vcc, v6, v2, vcc
	v_lshrrev_b64 v[10:11], 1, v[8:9]
	v_lshrrev_b64 v[8:9], 6, v[8:9]
	v_add_co_u32_e32 v10, vcc, v10, v1
	v_addc_co_u32_e32 v11, vcc, v11, v2, vcc
	v_add_co_u32_e32 v8, vcc, v10, v8
	v_addc_co_u32_e32 v9, vcc, v11, v9, vcc
	v_lshlrev_b64 v[10:11], 3, v[8:9]
	v_add_co_u32_e32 v10, vcc, s10, v10
	v_addc_co_u32_e32 v11, vcc, v7, v11, vcc
	global_load_dwordx2 v[10:11], v[10:11], off
	v_add_co_u32_e32 v12, vcc, 1, v8
	v_addc_co_u32_e32 v13, vcc, 0, v9, vcc
	s_waitcnt vmcnt(0) lgkmcnt(0)
	v_cmp_lt_u64_e32 vcc, v[3:4], v[10:11]
	v_cndmask_b32_e32 v6, v6, v9, vcc
	v_cndmask_b32_e32 v5, v5, v8, vcc
	;; [unrolled: 1-line block ×4, first 2 shown]
	v_cmp_ge_u64_e32 vcc, v[1:2], v[5:6]
	s_or_b64 s[0:1], vcc, s[0:1]
	s_andn2_b64 exec, exec, s[0:1]
	s_cbranch_execnz .LBB540_3
; %bb.4:
	s_or_b64 exec, exec, s[0:1]
	s_branch .LBB540_6
.LBB540_5:
	v_mov_b32_e32 v1, 0
	v_mov_b32_e32 v2, 0
.LBB540_6:
	s_lshl_b64 s[0:1], s[8:9], 3
	s_add_u32 s0, s7, s0
	s_addc_u32 s1, s14, s1
	v_lshlrev_b32_e32 v3, 3, v0
	v_mov_b32_e32 v4, s1
	v_add_co_u32_e32 v3, vcc, s0, v3
	v_addc_co_u32_e32 v4, vcc, 0, v4, vcc
	s_mov_b64 s[0:1], 0
	flat_store_dwordx2 v[3:4], v[1:2]
.LBB540_7:
	s_and_b64 vcc, exec, s[0:1]
	s_cbranch_vccz .LBB540_16
; %bb.8:
	s_load_dword s0, s[4:5], 0x10
                                        ; implicit-def: $vgpr3_vgpr4
	s_waitcnt lgkmcnt(0)
	s_sub_i32 s4, s0, s8
	v_cmp_le_u32_e64 s[0:1], s4, v0
	v_cmp_gt_u32_e32 vcc, s4, v0
	s_and_saveexec_b64 s[4:5], vcc
	s_cbranch_execz .LBB540_10
; %bb.9:
	s_lshl_b64 s[16:17], s[8:9], 3
	s_add_u32 s2, s2, s16
	s_addc_u32 s3, s3, s17
	v_lshlrev_b32_e32 v1, 3, v0
	v_mov_b32_e32 v2, s3
	v_add_co_u32_e64 v1, s[2:3], s2, v1
	v_addc_co_u32_e64 v2, s[2:3], 0, v2, s[2:3]
	flat_load_dwordx2 v[3:4], v[1:2]
.LBB540_10:
	s_or_b64 exec, exec, s[4:5]
	s_cmp_lg_u64 s[12:13], 0
	s_cselect_b64 s[4:5], -1, 0
	s_xor_b64 s[0:1], s[0:1], -1
	v_mov_b32_e32 v1, 0
	s_mov_b64 s[2:3], 0
	v_mov_b32_e32 v2, 0
	s_and_b64 s[0:1], s[0:1], s[4:5]
	s_and_saveexec_b64 s[4:5], s[0:1]
	s_cbranch_execz .LBB540_14
; %bb.11:
	v_mov_b32_e32 v1, 0
	v_mov_b32_e32 v5, s12
	;; [unrolled: 1-line block ×5, first 2 shown]
.LBB540_12:                             ; =>This Inner Loop Header: Depth=1
	v_sub_co_u32_e64 v8, s[0:1], v5, v1
	v_subb_co_u32_e64 v9, s[0:1], v6, v2, s[0:1]
	v_lshrrev_b64 v[10:11], 1, v[8:9]
	v_lshrrev_b64 v[8:9], 6, v[8:9]
	v_add_co_u32_e64 v10, s[0:1], v10, v1
	v_addc_co_u32_e64 v11, s[0:1], v11, v2, s[0:1]
	v_add_co_u32_e64 v8, s[0:1], v10, v8
	v_addc_co_u32_e64 v9, s[0:1], v11, v9, s[0:1]
	v_lshlrev_b64 v[10:11], 3, v[8:9]
	v_add_co_u32_e64 v10, s[0:1], s10, v10
	v_addc_co_u32_e64 v11, s[0:1], v7, v11, s[0:1]
	global_load_dwordx2 v[10:11], v[10:11], off
	v_add_co_u32_e64 v12, s[0:1], 1, v8
	v_addc_co_u32_e64 v13, s[0:1], 0, v9, s[0:1]
	s_waitcnt vmcnt(0) lgkmcnt(0)
	v_cmp_lt_u64_e64 s[0:1], v[3:4], v[10:11]
	v_cndmask_b32_e64 v6, v6, v9, s[0:1]
	v_cndmask_b32_e64 v5, v5, v8, s[0:1]
	;; [unrolled: 1-line block ×4, first 2 shown]
	v_cmp_ge_u64_e64 s[0:1], v[1:2], v[5:6]
	s_or_b64 s[2:3], s[0:1], s[2:3]
	s_andn2_b64 exec, exec, s[2:3]
	s_cbranch_execnz .LBB540_12
; %bb.13:
	s_or_b64 exec, exec, s[2:3]
.LBB540_14:
	s_or_b64 exec, exec, s[4:5]
	s_and_saveexec_b64 s[0:1], vcc
	s_cbranch_execz .LBB540_16
; %bb.15:
	s_lshl_b64 s[0:1], s[8:9], 3
	s_add_u32 s0, s7, s0
	s_addc_u32 s1, s14, s1
	v_lshlrev_b32_e32 v0, 3, v0
	s_waitcnt vmcnt(0) lgkmcnt(0)
	v_mov_b32_e32 v4, s1
	v_add_co_u32_e32 v3, vcc, s0, v0
	v_addc_co_u32_e32 v4, vcc, 0, v4, vcc
	flat_store_dwordx2 v[3:4], v[1:2]
.LBB540_16:
	s_endpgm
	.section	.rodata,"a",@progbits
	.p2align	6, 0x0
	.amdhsa_kernel _ZN7rocprim17ROCPRIM_400000_NS6detail17trampoline_kernelINS0_14default_configENS1_27upper_bound_config_selectorIylEEZNS1_14transform_implILb0ES3_S5_N6thrust23THRUST_200600_302600_NS6detail15normal_iteratorINS8_7pointerIyNS8_11hip_rocprim5par_tENS8_11use_defaultESE_EEEENSA_INSB_IlSD_SE_SE_EEEEZNS1_13binary_searchIS3_S5_NSA_INS8_10device_ptrIyEEEESG_SI_NS1_21upper_bound_search_opENS9_16wrapped_functionINS8_6system6detail7generic6detail18binary_search_lessEbEEEE10hipError_tPvRmT1_T2_T3_mmT4_T5_P12ihipStream_tbEUlRKyE_EESV_SZ_S10_mS11_S14_bEUlT_E_NS1_11comp_targetILNS1_3genE2ELNS1_11target_archE906ELNS1_3gpuE6ELNS1_3repE0EEENS1_30default_config_static_selectorELNS0_4arch9wavefront6targetE1EEEvSY_
		.amdhsa_group_segment_fixed_size 0
		.amdhsa_private_segment_fixed_size 0
		.amdhsa_kernarg_size 312
		.amdhsa_user_sgpr_count 6
		.amdhsa_user_sgpr_private_segment_buffer 1
		.amdhsa_user_sgpr_dispatch_ptr 0
		.amdhsa_user_sgpr_queue_ptr 0
		.amdhsa_user_sgpr_kernarg_segment_ptr 1
		.amdhsa_user_sgpr_dispatch_id 0
		.amdhsa_user_sgpr_flat_scratch_init 0
		.amdhsa_user_sgpr_private_segment_size 0
		.amdhsa_uses_dynamic_stack 0
		.amdhsa_system_sgpr_private_segment_wavefront_offset 0
		.amdhsa_system_sgpr_workgroup_id_x 1
		.amdhsa_system_sgpr_workgroup_id_y 0
		.amdhsa_system_sgpr_workgroup_id_z 0
		.amdhsa_system_sgpr_workgroup_info 0
		.amdhsa_system_vgpr_workitem_id 0
		.amdhsa_next_free_vgpr 14
		.amdhsa_next_free_sgpr 18
		.amdhsa_reserve_vcc 1
		.amdhsa_reserve_flat_scratch 0
		.amdhsa_float_round_mode_32 0
		.amdhsa_float_round_mode_16_64 0
		.amdhsa_float_denorm_mode_32 3
		.amdhsa_float_denorm_mode_16_64 3
		.amdhsa_dx10_clamp 1
		.amdhsa_ieee_mode 1
		.amdhsa_fp16_overflow 0
		.amdhsa_exception_fp_ieee_invalid_op 0
		.amdhsa_exception_fp_denorm_src 0
		.amdhsa_exception_fp_ieee_div_zero 0
		.amdhsa_exception_fp_ieee_overflow 0
		.amdhsa_exception_fp_ieee_underflow 0
		.amdhsa_exception_fp_ieee_inexact 0
		.amdhsa_exception_int_div_zero 0
	.end_amdhsa_kernel
	.section	.text._ZN7rocprim17ROCPRIM_400000_NS6detail17trampoline_kernelINS0_14default_configENS1_27upper_bound_config_selectorIylEEZNS1_14transform_implILb0ES3_S5_N6thrust23THRUST_200600_302600_NS6detail15normal_iteratorINS8_7pointerIyNS8_11hip_rocprim5par_tENS8_11use_defaultESE_EEEENSA_INSB_IlSD_SE_SE_EEEEZNS1_13binary_searchIS3_S5_NSA_INS8_10device_ptrIyEEEESG_SI_NS1_21upper_bound_search_opENS9_16wrapped_functionINS8_6system6detail7generic6detail18binary_search_lessEbEEEE10hipError_tPvRmT1_T2_T3_mmT4_T5_P12ihipStream_tbEUlRKyE_EESV_SZ_S10_mS11_S14_bEUlT_E_NS1_11comp_targetILNS1_3genE2ELNS1_11target_archE906ELNS1_3gpuE6ELNS1_3repE0EEENS1_30default_config_static_selectorELNS0_4arch9wavefront6targetE1EEEvSY_,"axG",@progbits,_ZN7rocprim17ROCPRIM_400000_NS6detail17trampoline_kernelINS0_14default_configENS1_27upper_bound_config_selectorIylEEZNS1_14transform_implILb0ES3_S5_N6thrust23THRUST_200600_302600_NS6detail15normal_iteratorINS8_7pointerIyNS8_11hip_rocprim5par_tENS8_11use_defaultESE_EEEENSA_INSB_IlSD_SE_SE_EEEEZNS1_13binary_searchIS3_S5_NSA_INS8_10device_ptrIyEEEESG_SI_NS1_21upper_bound_search_opENS9_16wrapped_functionINS8_6system6detail7generic6detail18binary_search_lessEbEEEE10hipError_tPvRmT1_T2_T3_mmT4_T5_P12ihipStream_tbEUlRKyE_EESV_SZ_S10_mS11_S14_bEUlT_E_NS1_11comp_targetILNS1_3genE2ELNS1_11target_archE906ELNS1_3gpuE6ELNS1_3repE0EEENS1_30default_config_static_selectorELNS0_4arch9wavefront6targetE1EEEvSY_,comdat
.Lfunc_end540:
	.size	_ZN7rocprim17ROCPRIM_400000_NS6detail17trampoline_kernelINS0_14default_configENS1_27upper_bound_config_selectorIylEEZNS1_14transform_implILb0ES3_S5_N6thrust23THRUST_200600_302600_NS6detail15normal_iteratorINS8_7pointerIyNS8_11hip_rocprim5par_tENS8_11use_defaultESE_EEEENSA_INSB_IlSD_SE_SE_EEEEZNS1_13binary_searchIS3_S5_NSA_INS8_10device_ptrIyEEEESG_SI_NS1_21upper_bound_search_opENS9_16wrapped_functionINS8_6system6detail7generic6detail18binary_search_lessEbEEEE10hipError_tPvRmT1_T2_T3_mmT4_T5_P12ihipStream_tbEUlRKyE_EESV_SZ_S10_mS11_S14_bEUlT_E_NS1_11comp_targetILNS1_3genE2ELNS1_11target_archE906ELNS1_3gpuE6ELNS1_3repE0EEENS1_30default_config_static_selectorELNS0_4arch9wavefront6targetE1EEEvSY_, .Lfunc_end540-_ZN7rocprim17ROCPRIM_400000_NS6detail17trampoline_kernelINS0_14default_configENS1_27upper_bound_config_selectorIylEEZNS1_14transform_implILb0ES3_S5_N6thrust23THRUST_200600_302600_NS6detail15normal_iteratorINS8_7pointerIyNS8_11hip_rocprim5par_tENS8_11use_defaultESE_EEEENSA_INSB_IlSD_SE_SE_EEEEZNS1_13binary_searchIS3_S5_NSA_INS8_10device_ptrIyEEEESG_SI_NS1_21upper_bound_search_opENS9_16wrapped_functionINS8_6system6detail7generic6detail18binary_search_lessEbEEEE10hipError_tPvRmT1_T2_T3_mmT4_T5_P12ihipStream_tbEUlRKyE_EESV_SZ_S10_mS11_S14_bEUlT_E_NS1_11comp_targetILNS1_3genE2ELNS1_11target_archE906ELNS1_3gpuE6ELNS1_3repE0EEENS1_30default_config_static_selectorELNS0_4arch9wavefront6targetE1EEEvSY_
                                        ; -- End function
	.set _ZN7rocprim17ROCPRIM_400000_NS6detail17trampoline_kernelINS0_14default_configENS1_27upper_bound_config_selectorIylEEZNS1_14transform_implILb0ES3_S5_N6thrust23THRUST_200600_302600_NS6detail15normal_iteratorINS8_7pointerIyNS8_11hip_rocprim5par_tENS8_11use_defaultESE_EEEENSA_INSB_IlSD_SE_SE_EEEEZNS1_13binary_searchIS3_S5_NSA_INS8_10device_ptrIyEEEESG_SI_NS1_21upper_bound_search_opENS9_16wrapped_functionINS8_6system6detail7generic6detail18binary_search_lessEbEEEE10hipError_tPvRmT1_T2_T3_mmT4_T5_P12ihipStream_tbEUlRKyE_EESV_SZ_S10_mS11_S14_bEUlT_E_NS1_11comp_targetILNS1_3genE2ELNS1_11target_archE906ELNS1_3gpuE6ELNS1_3repE0EEENS1_30default_config_static_selectorELNS0_4arch9wavefront6targetE1EEEvSY_.num_vgpr, 14
	.set _ZN7rocprim17ROCPRIM_400000_NS6detail17trampoline_kernelINS0_14default_configENS1_27upper_bound_config_selectorIylEEZNS1_14transform_implILb0ES3_S5_N6thrust23THRUST_200600_302600_NS6detail15normal_iteratorINS8_7pointerIyNS8_11hip_rocprim5par_tENS8_11use_defaultESE_EEEENSA_INSB_IlSD_SE_SE_EEEEZNS1_13binary_searchIS3_S5_NSA_INS8_10device_ptrIyEEEESG_SI_NS1_21upper_bound_search_opENS9_16wrapped_functionINS8_6system6detail7generic6detail18binary_search_lessEbEEEE10hipError_tPvRmT1_T2_T3_mmT4_T5_P12ihipStream_tbEUlRKyE_EESV_SZ_S10_mS11_S14_bEUlT_E_NS1_11comp_targetILNS1_3genE2ELNS1_11target_archE906ELNS1_3gpuE6ELNS1_3repE0EEENS1_30default_config_static_selectorELNS0_4arch9wavefront6targetE1EEEvSY_.num_agpr, 0
	.set _ZN7rocprim17ROCPRIM_400000_NS6detail17trampoline_kernelINS0_14default_configENS1_27upper_bound_config_selectorIylEEZNS1_14transform_implILb0ES3_S5_N6thrust23THRUST_200600_302600_NS6detail15normal_iteratorINS8_7pointerIyNS8_11hip_rocprim5par_tENS8_11use_defaultESE_EEEENSA_INSB_IlSD_SE_SE_EEEEZNS1_13binary_searchIS3_S5_NSA_INS8_10device_ptrIyEEEESG_SI_NS1_21upper_bound_search_opENS9_16wrapped_functionINS8_6system6detail7generic6detail18binary_search_lessEbEEEE10hipError_tPvRmT1_T2_T3_mmT4_T5_P12ihipStream_tbEUlRKyE_EESV_SZ_S10_mS11_S14_bEUlT_E_NS1_11comp_targetILNS1_3genE2ELNS1_11target_archE906ELNS1_3gpuE6ELNS1_3repE0EEENS1_30default_config_static_selectorELNS0_4arch9wavefront6targetE1EEEvSY_.numbered_sgpr, 18
	.set _ZN7rocprim17ROCPRIM_400000_NS6detail17trampoline_kernelINS0_14default_configENS1_27upper_bound_config_selectorIylEEZNS1_14transform_implILb0ES3_S5_N6thrust23THRUST_200600_302600_NS6detail15normal_iteratorINS8_7pointerIyNS8_11hip_rocprim5par_tENS8_11use_defaultESE_EEEENSA_INSB_IlSD_SE_SE_EEEEZNS1_13binary_searchIS3_S5_NSA_INS8_10device_ptrIyEEEESG_SI_NS1_21upper_bound_search_opENS9_16wrapped_functionINS8_6system6detail7generic6detail18binary_search_lessEbEEEE10hipError_tPvRmT1_T2_T3_mmT4_T5_P12ihipStream_tbEUlRKyE_EESV_SZ_S10_mS11_S14_bEUlT_E_NS1_11comp_targetILNS1_3genE2ELNS1_11target_archE906ELNS1_3gpuE6ELNS1_3repE0EEENS1_30default_config_static_selectorELNS0_4arch9wavefront6targetE1EEEvSY_.num_named_barrier, 0
	.set _ZN7rocprim17ROCPRIM_400000_NS6detail17trampoline_kernelINS0_14default_configENS1_27upper_bound_config_selectorIylEEZNS1_14transform_implILb0ES3_S5_N6thrust23THRUST_200600_302600_NS6detail15normal_iteratorINS8_7pointerIyNS8_11hip_rocprim5par_tENS8_11use_defaultESE_EEEENSA_INSB_IlSD_SE_SE_EEEEZNS1_13binary_searchIS3_S5_NSA_INS8_10device_ptrIyEEEESG_SI_NS1_21upper_bound_search_opENS9_16wrapped_functionINS8_6system6detail7generic6detail18binary_search_lessEbEEEE10hipError_tPvRmT1_T2_T3_mmT4_T5_P12ihipStream_tbEUlRKyE_EESV_SZ_S10_mS11_S14_bEUlT_E_NS1_11comp_targetILNS1_3genE2ELNS1_11target_archE906ELNS1_3gpuE6ELNS1_3repE0EEENS1_30default_config_static_selectorELNS0_4arch9wavefront6targetE1EEEvSY_.private_seg_size, 0
	.set _ZN7rocprim17ROCPRIM_400000_NS6detail17trampoline_kernelINS0_14default_configENS1_27upper_bound_config_selectorIylEEZNS1_14transform_implILb0ES3_S5_N6thrust23THRUST_200600_302600_NS6detail15normal_iteratorINS8_7pointerIyNS8_11hip_rocprim5par_tENS8_11use_defaultESE_EEEENSA_INSB_IlSD_SE_SE_EEEEZNS1_13binary_searchIS3_S5_NSA_INS8_10device_ptrIyEEEESG_SI_NS1_21upper_bound_search_opENS9_16wrapped_functionINS8_6system6detail7generic6detail18binary_search_lessEbEEEE10hipError_tPvRmT1_T2_T3_mmT4_T5_P12ihipStream_tbEUlRKyE_EESV_SZ_S10_mS11_S14_bEUlT_E_NS1_11comp_targetILNS1_3genE2ELNS1_11target_archE906ELNS1_3gpuE6ELNS1_3repE0EEENS1_30default_config_static_selectorELNS0_4arch9wavefront6targetE1EEEvSY_.uses_vcc, 1
	.set _ZN7rocprim17ROCPRIM_400000_NS6detail17trampoline_kernelINS0_14default_configENS1_27upper_bound_config_selectorIylEEZNS1_14transform_implILb0ES3_S5_N6thrust23THRUST_200600_302600_NS6detail15normal_iteratorINS8_7pointerIyNS8_11hip_rocprim5par_tENS8_11use_defaultESE_EEEENSA_INSB_IlSD_SE_SE_EEEEZNS1_13binary_searchIS3_S5_NSA_INS8_10device_ptrIyEEEESG_SI_NS1_21upper_bound_search_opENS9_16wrapped_functionINS8_6system6detail7generic6detail18binary_search_lessEbEEEE10hipError_tPvRmT1_T2_T3_mmT4_T5_P12ihipStream_tbEUlRKyE_EESV_SZ_S10_mS11_S14_bEUlT_E_NS1_11comp_targetILNS1_3genE2ELNS1_11target_archE906ELNS1_3gpuE6ELNS1_3repE0EEENS1_30default_config_static_selectorELNS0_4arch9wavefront6targetE1EEEvSY_.uses_flat_scratch, 0
	.set _ZN7rocprim17ROCPRIM_400000_NS6detail17trampoline_kernelINS0_14default_configENS1_27upper_bound_config_selectorIylEEZNS1_14transform_implILb0ES3_S5_N6thrust23THRUST_200600_302600_NS6detail15normal_iteratorINS8_7pointerIyNS8_11hip_rocprim5par_tENS8_11use_defaultESE_EEEENSA_INSB_IlSD_SE_SE_EEEEZNS1_13binary_searchIS3_S5_NSA_INS8_10device_ptrIyEEEESG_SI_NS1_21upper_bound_search_opENS9_16wrapped_functionINS8_6system6detail7generic6detail18binary_search_lessEbEEEE10hipError_tPvRmT1_T2_T3_mmT4_T5_P12ihipStream_tbEUlRKyE_EESV_SZ_S10_mS11_S14_bEUlT_E_NS1_11comp_targetILNS1_3genE2ELNS1_11target_archE906ELNS1_3gpuE6ELNS1_3repE0EEENS1_30default_config_static_selectorELNS0_4arch9wavefront6targetE1EEEvSY_.has_dyn_sized_stack, 0
	.set _ZN7rocprim17ROCPRIM_400000_NS6detail17trampoline_kernelINS0_14default_configENS1_27upper_bound_config_selectorIylEEZNS1_14transform_implILb0ES3_S5_N6thrust23THRUST_200600_302600_NS6detail15normal_iteratorINS8_7pointerIyNS8_11hip_rocprim5par_tENS8_11use_defaultESE_EEEENSA_INSB_IlSD_SE_SE_EEEEZNS1_13binary_searchIS3_S5_NSA_INS8_10device_ptrIyEEEESG_SI_NS1_21upper_bound_search_opENS9_16wrapped_functionINS8_6system6detail7generic6detail18binary_search_lessEbEEEE10hipError_tPvRmT1_T2_T3_mmT4_T5_P12ihipStream_tbEUlRKyE_EESV_SZ_S10_mS11_S14_bEUlT_E_NS1_11comp_targetILNS1_3genE2ELNS1_11target_archE906ELNS1_3gpuE6ELNS1_3repE0EEENS1_30default_config_static_selectorELNS0_4arch9wavefront6targetE1EEEvSY_.has_recursion, 0
	.set _ZN7rocprim17ROCPRIM_400000_NS6detail17trampoline_kernelINS0_14default_configENS1_27upper_bound_config_selectorIylEEZNS1_14transform_implILb0ES3_S5_N6thrust23THRUST_200600_302600_NS6detail15normal_iteratorINS8_7pointerIyNS8_11hip_rocprim5par_tENS8_11use_defaultESE_EEEENSA_INSB_IlSD_SE_SE_EEEEZNS1_13binary_searchIS3_S5_NSA_INS8_10device_ptrIyEEEESG_SI_NS1_21upper_bound_search_opENS9_16wrapped_functionINS8_6system6detail7generic6detail18binary_search_lessEbEEEE10hipError_tPvRmT1_T2_T3_mmT4_T5_P12ihipStream_tbEUlRKyE_EESV_SZ_S10_mS11_S14_bEUlT_E_NS1_11comp_targetILNS1_3genE2ELNS1_11target_archE906ELNS1_3gpuE6ELNS1_3repE0EEENS1_30default_config_static_selectorELNS0_4arch9wavefront6targetE1EEEvSY_.has_indirect_call, 0
	.section	.AMDGPU.csdata,"",@progbits
; Kernel info:
; codeLenInByte = 700
; TotalNumSgprs: 22
; NumVgprs: 14
; ScratchSize: 0
; MemoryBound: 0
; FloatMode: 240
; IeeeMode: 1
; LDSByteSize: 0 bytes/workgroup (compile time only)
; SGPRBlocks: 2
; VGPRBlocks: 3
; NumSGPRsForWavesPerEU: 22
; NumVGPRsForWavesPerEU: 14
; Occupancy: 10
; WaveLimiterHint : 0
; COMPUTE_PGM_RSRC2:SCRATCH_EN: 0
; COMPUTE_PGM_RSRC2:USER_SGPR: 6
; COMPUTE_PGM_RSRC2:TRAP_HANDLER: 0
; COMPUTE_PGM_RSRC2:TGID_X_EN: 1
; COMPUTE_PGM_RSRC2:TGID_Y_EN: 0
; COMPUTE_PGM_RSRC2:TGID_Z_EN: 0
; COMPUTE_PGM_RSRC2:TIDIG_COMP_CNT: 0
	.section	.text._ZN7rocprim17ROCPRIM_400000_NS6detail17trampoline_kernelINS0_14default_configENS1_27upper_bound_config_selectorIylEEZNS1_14transform_implILb0ES3_S5_N6thrust23THRUST_200600_302600_NS6detail15normal_iteratorINS8_7pointerIyNS8_11hip_rocprim5par_tENS8_11use_defaultESE_EEEENSA_INSB_IlSD_SE_SE_EEEEZNS1_13binary_searchIS3_S5_NSA_INS8_10device_ptrIyEEEESG_SI_NS1_21upper_bound_search_opENS9_16wrapped_functionINS8_6system6detail7generic6detail18binary_search_lessEbEEEE10hipError_tPvRmT1_T2_T3_mmT4_T5_P12ihipStream_tbEUlRKyE_EESV_SZ_S10_mS11_S14_bEUlT_E_NS1_11comp_targetILNS1_3genE10ELNS1_11target_archE1201ELNS1_3gpuE5ELNS1_3repE0EEENS1_30default_config_static_selectorELNS0_4arch9wavefront6targetE1EEEvSY_,"axG",@progbits,_ZN7rocprim17ROCPRIM_400000_NS6detail17trampoline_kernelINS0_14default_configENS1_27upper_bound_config_selectorIylEEZNS1_14transform_implILb0ES3_S5_N6thrust23THRUST_200600_302600_NS6detail15normal_iteratorINS8_7pointerIyNS8_11hip_rocprim5par_tENS8_11use_defaultESE_EEEENSA_INSB_IlSD_SE_SE_EEEEZNS1_13binary_searchIS3_S5_NSA_INS8_10device_ptrIyEEEESG_SI_NS1_21upper_bound_search_opENS9_16wrapped_functionINS8_6system6detail7generic6detail18binary_search_lessEbEEEE10hipError_tPvRmT1_T2_T3_mmT4_T5_P12ihipStream_tbEUlRKyE_EESV_SZ_S10_mS11_S14_bEUlT_E_NS1_11comp_targetILNS1_3genE10ELNS1_11target_archE1201ELNS1_3gpuE5ELNS1_3repE0EEENS1_30default_config_static_selectorELNS0_4arch9wavefront6targetE1EEEvSY_,comdat
	.protected	_ZN7rocprim17ROCPRIM_400000_NS6detail17trampoline_kernelINS0_14default_configENS1_27upper_bound_config_selectorIylEEZNS1_14transform_implILb0ES3_S5_N6thrust23THRUST_200600_302600_NS6detail15normal_iteratorINS8_7pointerIyNS8_11hip_rocprim5par_tENS8_11use_defaultESE_EEEENSA_INSB_IlSD_SE_SE_EEEEZNS1_13binary_searchIS3_S5_NSA_INS8_10device_ptrIyEEEESG_SI_NS1_21upper_bound_search_opENS9_16wrapped_functionINS8_6system6detail7generic6detail18binary_search_lessEbEEEE10hipError_tPvRmT1_T2_T3_mmT4_T5_P12ihipStream_tbEUlRKyE_EESV_SZ_S10_mS11_S14_bEUlT_E_NS1_11comp_targetILNS1_3genE10ELNS1_11target_archE1201ELNS1_3gpuE5ELNS1_3repE0EEENS1_30default_config_static_selectorELNS0_4arch9wavefront6targetE1EEEvSY_ ; -- Begin function _ZN7rocprim17ROCPRIM_400000_NS6detail17trampoline_kernelINS0_14default_configENS1_27upper_bound_config_selectorIylEEZNS1_14transform_implILb0ES3_S5_N6thrust23THRUST_200600_302600_NS6detail15normal_iteratorINS8_7pointerIyNS8_11hip_rocprim5par_tENS8_11use_defaultESE_EEEENSA_INSB_IlSD_SE_SE_EEEEZNS1_13binary_searchIS3_S5_NSA_INS8_10device_ptrIyEEEESG_SI_NS1_21upper_bound_search_opENS9_16wrapped_functionINS8_6system6detail7generic6detail18binary_search_lessEbEEEE10hipError_tPvRmT1_T2_T3_mmT4_T5_P12ihipStream_tbEUlRKyE_EESV_SZ_S10_mS11_S14_bEUlT_E_NS1_11comp_targetILNS1_3genE10ELNS1_11target_archE1201ELNS1_3gpuE5ELNS1_3repE0EEENS1_30default_config_static_selectorELNS0_4arch9wavefront6targetE1EEEvSY_
	.globl	_ZN7rocprim17ROCPRIM_400000_NS6detail17trampoline_kernelINS0_14default_configENS1_27upper_bound_config_selectorIylEEZNS1_14transform_implILb0ES3_S5_N6thrust23THRUST_200600_302600_NS6detail15normal_iteratorINS8_7pointerIyNS8_11hip_rocprim5par_tENS8_11use_defaultESE_EEEENSA_INSB_IlSD_SE_SE_EEEEZNS1_13binary_searchIS3_S5_NSA_INS8_10device_ptrIyEEEESG_SI_NS1_21upper_bound_search_opENS9_16wrapped_functionINS8_6system6detail7generic6detail18binary_search_lessEbEEEE10hipError_tPvRmT1_T2_T3_mmT4_T5_P12ihipStream_tbEUlRKyE_EESV_SZ_S10_mS11_S14_bEUlT_E_NS1_11comp_targetILNS1_3genE10ELNS1_11target_archE1201ELNS1_3gpuE5ELNS1_3repE0EEENS1_30default_config_static_selectorELNS0_4arch9wavefront6targetE1EEEvSY_
	.p2align	8
	.type	_ZN7rocprim17ROCPRIM_400000_NS6detail17trampoline_kernelINS0_14default_configENS1_27upper_bound_config_selectorIylEEZNS1_14transform_implILb0ES3_S5_N6thrust23THRUST_200600_302600_NS6detail15normal_iteratorINS8_7pointerIyNS8_11hip_rocprim5par_tENS8_11use_defaultESE_EEEENSA_INSB_IlSD_SE_SE_EEEEZNS1_13binary_searchIS3_S5_NSA_INS8_10device_ptrIyEEEESG_SI_NS1_21upper_bound_search_opENS9_16wrapped_functionINS8_6system6detail7generic6detail18binary_search_lessEbEEEE10hipError_tPvRmT1_T2_T3_mmT4_T5_P12ihipStream_tbEUlRKyE_EESV_SZ_S10_mS11_S14_bEUlT_E_NS1_11comp_targetILNS1_3genE10ELNS1_11target_archE1201ELNS1_3gpuE5ELNS1_3repE0EEENS1_30default_config_static_selectorELNS0_4arch9wavefront6targetE1EEEvSY_,@function
_ZN7rocprim17ROCPRIM_400000_NS6detail17trampoline_kernelINS0_14default_configENS1_27upper_bound_config_selectorIylEEZNS1_14transform_implILb0ES3_S5_N6thrust23THRUST_200600_302600_NS6detail15normal_iteratorINS8_7pointerIyNS8_11hip_rocprim5par_tENS8_11use_defaultESE_EEEENSA_INSB_IlSD_SE_SE_EEEEZNS1_13binary_searchIS3_S5_NSA_INS8_10device_ptrIyEEEESG_SI_NS1_21upper_bound_search_opENS9_16wrapped_functionINS8_6system6detail7generic6detail18binary_search_lessEbEEEE10hipError_tPvRmT1_T2_T3_mmT4_T5_P12ihipStream_tbEUlRKyE_EESV_SZ_S10_mS11_S14_bEUlT_E_NS1_11comp_targetILNS1_3genE10ELNS1_11target_archE1201ELNS1_3gpuE5ELNS1_3repE0EEENS1_30default_config_static_selectorELNS0_4arch9wavefront6targetE1EEEvSY_: ; @_ZN7rocprim17ROCPRIM_400000_NS6detail17trampoline_kernelINS0_14default_configENS1_27upper_bound_config_selectorIylEEZNS1_14transform_implILb0ES3_S5_N6thrust23THRUST_200600_302600_NS6detail15normal_iteratorINS8_7pointerIyNS8_11hip_rocprim5par_tENS8_11use_defaultESE_EEEENSA_INSB_IlSD_SE_SE_EEEEZNS1_13binary_searchIS3_S5_NSA_INS8_10device_ptrIyEEEESG_SI_NS1_21upper_bound_search_opENS9_16wrapped_functionINS8_6system6detail7generic6detail18binary_search_lessEbEEEE10hipError_tPvRmT1_T2_T3_mmT4_T5_P12ihipStream_tbEUlRKyE_EESV_SZ_S10_mS11_S14_bEUlT_E_NS1_11comp_targetILNS1_3genE10ELNS1_11target_archE1201ELNS1_3gpuE5ELNS1_3repE0EEENS1_30default_config_static_selectorELNS0_4arch9wavefront6targetE1EEEvSY_
; %bb.0:
	.section	.rodata,"a",@progbits
	.p2align	6, 0x0
	.amdhsa_kernel _ZN7rocprim17ROCPRIM_400000_NS6detail17trampoline_kernelINS0_14default_configENS1_27upper_bound_config_selectorIylEEZNS1_14transform_implILb0ES3_S5_N6thrust23THRUST_200600_302600_NS6detail15normal_iteratorINS8_7pointerIyNS8_11hip_rocprim5par_tENS8_11use_defaultESE_EEEENSA_INSB_IlSD_SE_SE_EEEEZNS1_13binary_searchIS3_S5_NSA_INS8_10device_ptrIyEEEESG_SI_NS1_21upper_bound_search_opENS9_16wrapped_functionINS8_6system6detail7generic6detail18binary_search_lessEbEEEE10hipError_tPvRmT1_T2_T3_mmT4_T5_P12ihipStream_tbEUlRKyE_EESV_SZ_S10_mS11_S14_bEUlT_E_NS1_11comp_targetILNS1_3genE10ELNS1_11target_archE1201ELNS1_3gpuE5ELNS1_3repE0EEENS1_30default_config_static_selectorELNS0_4arch9wavefront6targetE1EEEvSY_
		.amdhsa_group_segment_fixed_size 0
		.amdhsa_private_segment_fixed_size 0
		.amdhsa_kernarg_size 56
		.amdhsa_user_sgpr_count 6
		.amdhsa_user_sgpr_private_segment_buffer 1
		.amdhsa_user_sgpr_dispatch_ptr 0
		.amdhsa_user_sgpr_queue_ptr 0
		.amdhsa_user_sgpr_kernarg_segment_ptr 1
		.amdhsa_user_sgpr_dispatch_id 0
		.amdhsa_user_sgpr_flat_scratch_init 0
		.amdhsa_user_sgpr_private_segment_size 0
		.amdhsa_uses_dynamic_stack 0
		.amdhsa_system_sgpr_private_segment_wavefront_offset 0
		.amdhsa_system_sgpr_workgroup_id_x 1
		.amdhsa_system_sgpr_workgroup_id_y 0
		.amdhsa_system_sgpr_workgroup_id_z 0
		.amdhsa_system_sgpr_workgroup_info 0
		.amdhsa_system_vgpr_workitem_id 0
		.amdhsa_next_free_vgpr 1
		.amdhsa_next_free_sgpr 0
		.amdhsa_reserve_vcc 0
		.amdhsa_reserve_flat_scratch 0
		.amdhsa_float_round_mode_32 0
		.amdhsa_float_round_mode_16_64 0
		.amdhsa_float_denorm_mode_32 3
		.amdhsa_float_denorm_mode_16_64 3
		.amdhsa_dx10_clamp 1
		.amdhsa_ieee_mode 1
		.amdhsa_fp16_overflow 0
		.amdhsa_exception_fp_ieee_invalid_op 0
		.amdhsa_exception_fp_denorm_src 0
		.amdhsa_exception_fp_ieee_div_zero 0
		.amdhsa_exception_fp_ieee_overflow 0
		.amdhsa_exception_fp_ieee_underflow 0
		.amdhsa_exception_fp_ieee_inexact 0
		.amdhsa_exception_int_div_zero 0
	.end_amdhsa_kernel
	.section	.text._ZN7rocprim17ROCPRIM_400000_NS6detail17trampoline_kernelINS0_14default_configENS1_27upper_bound_config_selectorIylEEZNS1_14transform_implILb0ES3_S5_N6thrust23THRUST_200600_302600_NS6detail15normal_iteratorINS8_7pointerIyNS8_11hip_rocprim5par_tENS8_11use_defaultESE_EEEENSA_INSB_IlSD_SE_SE_EEEEZNS1_13binary_searchIS3_S5_NSA_INS8_10device_ptrIyEEEESG_SI_NS1_21upper_bound_search_opENS9_16wrapped_functionINS8_6system6detail7generic6detail18binary_search_lessEbEEEE10hipError_tPvRmT1_T2_T3_mmT4_T5_P12ihipStream_tbEUlRKyE_EESV_SZ_S10_mS11_S14_bEUlT_E_NS1_11comp_targetILNS1_3genE10ELNS1_11target_archE1201ELNS1_3gpuE5ELNS1_3repE0EEENS1_30default_config_static_selectorELNS0_4arch9wavefront6targetE1EEEvSY_,"axG",@progbits,_ZN7rocprim17ROCPRIM_400000_NS6detail17trampoline_kernelINS0_14default_configENS1_27upper_bound_config_selectorIylEEZNS1_14transform_implILb0ES3_S5_N6thrust23THRUST_200600_302600_NS6detail15normal_iteratorINS8_7pointerIyNS8_11hip_rocprim5par_tENS8_11use_defaultESE_EEEENSA_INSB_IlSD_SE_SE_EEEEZNS1_13binary_searchIS3_S5_NSA_INS8_10device_ptrIyEEEESG_SI_NS1_21upper_bound_search_opENS9_16wrapped_functionINS8_6system6detail7generic6detail18binary_search_lessEbEEEE10hipError_tPvRmT1_T2_T3_mmT4_T5_P12ihipStream_tbEUlRKyE_EESV_SZ_S10_mS11_S14_bEUlT_E_NS1_11comp_targetILNS1_3genE10ELNS1_11target_archE1201ELNS1_3gpuE5ELNS1_3repE0EEENS1_30default_config_static_selectorELNS0_4arch9wavefront6targetE1EEEvSY_,comdat
.Lfunc_end541:
	.size	_ZN7rocprim17ROCPRIM_400000_NS6detail17trampoline_kernelINS0_14default_configENS1_27upper_bound_config_selectorIylEEZNS1_14transform_implILb0ES3_S5_N6thrust23THRUST_200600_302600_NS6detail15normal_iteratorINS8_7pointerIyNS8_11hip_rocprim5par_tENS8_11use_defaultESE_EEEENSA_INSB_IlSD_SE_SE_EEEEZNS1_13binary_searchIS3_S5_NSA_INS8_10device_ptrIyEEEESG_SI_NS1_21upper_bound_search_opENS9_16wrapped_functionINS8_6system6detail7generic6detail18binary_search_lessEbEEEE10hipError_tPvRmT1_T2_T3_mmT4_T5_P12ihipStream_tbEUlRKyE_EESV_SZ_S10_mS11_S14_bEUlT_E_NS1_11comp_targetILNS1_3genE10ELNS1_11target_archE1201ELNS1_3gpuE5ELNS1_3repE0EEENS1_30default_config_static_selectorELNS0_4arch9wavefront6targetE1EEEvSY_, .Lfunc_end541-_ZN7rocprim17ROCPRIM_400000_NS6detail17trampoline_kernelINS0_14default_configENS1_27upper_bound_config_selectorIylEEZNS1_14transform_implILb0ES3_S5_N6thrust23THRUST_200600_302600_NS6detail15normal_iteratorINS8_7pointerIyNS8_11hip_rocprim5par_tENS8_11use_defaultESE_EEEENSA_INSB_IlSD_SE_SE_EEEEZNS1_13binary_searchIS3_S5_NSA_INS8_10device_ptrIyEEEESG_SI_NS1_21upper_bound_search_opENS9_16wrapped_functionINS8_6system6detail7generic6detail18binary_search_lessEbEEEE10hipError_tPvRmT1_T2_T3_mmT4_T5_P12ihipStream_tbEUlRKyE_EESV_SZ_S10_mS11_S14_bEUlT_E_NS1_11comp_targetILNS1_3genE10ELNS1_11target_archE1201ELNS1_3gpuE5ELNS1_3repE0EEENS1_30default_config_static_selectorELNS0_4arch9wavefront6targetE1EEEvSY_
                                        ; -- End function
	.set _ZN7rocprim17ROCPRIM_400000_NS6detail17trampoline_kernelINS0_14default_configENS1_27upper_bound_config_selectorIylEEZNS1_14transform_implILb0ES3_S5_N6thrust23THRUST_200600_302600_NS6detail15normal_iteratorINS8_7pointerIyNS8_11hip_rocprim5par_tENS8_11use_defaultESE_EEEENSA_INSB_IlSD_SE_SE_EEEEZNS1_13binary_searchIS3_S5_NSA_INS8_10device_ptrIyEEEESG_SI_NS1_21upper_bound_search_opENS9_16wrapped_functionINS8_6system6detail7generic6detail18binary_search_lessEbEEEE10hipError_tPvRmT1_T2_T3_mmT4_T5_P12ihipStream_tbEUlRKyE_EESV_SZ_S10_mS11_S14_bEUlT_E_NS1_11comp_targetILNS1_3genE10ELNS1_11target_archE1201ELNS1_3gpuE5ELNS1_3repE0EEENS1_30default_config_static_selectorELNS0_4arch9wavefront6targetE1EEEvSY_.num_vgpr, 0
	.set _ZN7rocprim17ROCPRIM_400000_NS6detail17trampoline_kernelINS0_14default_configENS1_27upper_bound_config_selectorIylEEZNS1_14transform_implILb0ES3_S5_N6thrust23THRUST_200600_302600_NS6detail15normal_iteratorINS8_7pointerIyNS8_11hip_rocprim5par_tENS8_11use_defaultESE_EEEENSA_INSB_IlSD_SE_SE_EEEEZNS1_13binary_searchIS3_S5_NSA_INS8_10device_ptrIyEEEESG_SI_NS1_21upper_bound_search_opENS9_16wrapped_functionINS8_6system6detail7generic6detail18binary_search_lessEbEEEE10hipError_tPvRmT1_T2_T3_mmT4_T5_P12ihipStream_tbEUlRKyE_EESV_SZ_S10_mS11_S14_bEUlT_E_NS1_11comp_targetILNS1_3genE10ELNS1_11target_archE1201ELNS1_3gpuE5ELNS1_3repE0EEENS1_30default_config_static_selectorELNS0_4arch9wavefront6targetE1EEEvSY_.num_agpr, 0
	.set _ZN7rocprim17ROCPRIM_400000_NS6detail17trampoline_kernelINS0_14default_configENS1_27upper_bound_config_selectorIylEEZNS1_14transform_implILb0ES3_S5_N6thrust23THRUST_200600_302600_NS6detail15normal_iteratorINS8_7pointerIyNS8_11hip_rocprim5par_tENS8_11use_defaultESE_EEEENSA_INSB_IlSD_SE_SE_EEEEZNS1_13binary_searchIS3_S5_NSA_INS8_10device_ptrIyEEEESG_SI_NS1_21upper_bound_search_opENS9_16wrapped_functionINS8_6system6detail7generic6detail18binary_search_lessEbEEEE10hipError_tPvRmT1_T2_T3_mmT4_T5_P12ihipStream_tbEUlRKyE_EESV_SZ_S10_mS11_S14_bEUlT_E_NS1_11comp_targetILNS1_3genE10ELNS1_11target_archE1201ELNS1_3gpuE5ELNS1_3repE0EEENS1_30default_config_static_selectorELNS0_4arch9wavefront6targetE1EEEvSY_.numbered_sgpr, 0
	.set _ZN7rocprim17ROCPRIM_400000_NS6detail17trampoline_kernelINS0_14default_configENS1_27upper_bound_config_selectorIylEEZNS1_14transform_implILb0ES3_S5_N6thrust23THRUST_200600_302600_NS6detail15normal_iteratorINS8_7pointerIyNS8_11hip_rocprim5par_tENS8_11use_defaultESE_EEEENSA_INSB_IlSD_SE_SE_EEEEZNS1_13binary_searchIS3_S5_NSA_INS8_10device_ptrIyEEEESG_SI_NS1_21upper_bound_search_opENS9_16wrapped_functionINS8_6system6detail7generic6detail18binary_search_lessEbEEEE10hipError_tPvRmT1_T2_T3_mmT4_T5_P12ihipStream_tbEUlRKyE_EESV_SZ_S10_mS11_S14_bEUlT_E_NS1_11comp_targetILNS1_3genE10ELNS1_11target_archE1201ELNS1_3gpuE5ELNS1_3repE0EEENS1_30default_config_static_selectorELNS0_4arch9wavefront6targetE1EEEvSY_.num_named_barrier, 0
	.set _ZN7rocprim17ROCPRIM_400000_NS6detail17trampoline_kernelINS0_14default_configENS1_27upper_bound_config_selectorIylEEZNS1_14transform_implILb0ES3_S5_N6thrust23THRUST_200600_302600_NS6detail15normal_iteratorINS8_7pointerIyNS8_11hip_rocprim5par_tENS8_11use_defaultESE_EEEENSA_INSB_IlSD_SE_SE_EEEEZNS1_13binary_searchIS3_S5_NSA_INS8_10device_ptrIyEEEESG_SI_NS1_21upper_bound_search_opENS9_16wrapped_functionINS8_6system6detail7generic6detail18binary_search_lessEbEEEE10hipError_tPvRmT1_T2_T3_mmT4_T5_P12ihipStream_tbEUlRKyE_EESV_SZ_S10_mS11_S14_bEUlT_E_NS1_11comp_targetILNS1_3genE10ELNS1_11target_archE1201ELNS1_3gpuE5ELNS1_3repE0EEENS1_30default_config_static_selectorELNS0_4arch9wavefront6targetE1EEEvSY_.private_seg_size, 0
	.set _ZN7rocprim17ROCPRIM_400000_NS6detail17trampoline_kernelINS0_14default_configENS1_27upper_bound_config_selectorIylEEZNS1_14transform_implILb0ES3_S5_N6thrust23THRUST_200600_302600_NS6detail15normal_iteratorINS8_7pointerIyNS8_11hip_rocprim5par_tENS8_11use_defaultESE_EEEENSA_INSB_IlSD_SE_SE_EEEEZNS1_13binary_searchIS3_S5_NSA_INS8_10device_ptrIyEEEESG_SI_NS1_21upper_bound_search_opENS9_16wrapped_functionINS8_6system6detail7generic6detail18binary_search_lessEbEEEE10hipError_tPvRmT1_T2_T3_mmT4_T5_P12ihipStream_tbEUlRKyE_EESV_SZ_S10_mS11_S14_bEUlT_E_NS1_11comp_targetILNS1_3genE10ELNS1_11target_archE1201ELNS1_3gpuE5ELNS1_3repE0EEENS1_30default_config_static_selectorELNS0_4arch9wavefront6targetE1EEEvSY_.uses_vcc, 0
	.set _ZN7rocprim17ROCPRIM_400000_NS6detail17trampoline_kernelINS0_14default_configENS1_27upper_bound_config_selectorIylEEZNS1_14transform_implILb0ES3_S5_N6thrust23THRUST_200600_302600_NS6detail15normal_iteratorINS8_7pointerIyNS8_11hip_rocprim5par_tENS8_11use_defaultESE_EEEENSA_INSB_IlSD_SE_SE_EEEEZNS1_13binary_searchIS3_S5_NSA_INS8_10device_ptrIyEEEESG_SI_NS1_21upper_bound_search_opENS9_16wrapped_functionINS8_6system6detail7generic6detail18binary_search_lessEbEEEE10hipError_tPvRmT1_T2_T3_mmT4_T5_P12ihipStream_tbEUlRKyE_EESV_SZ_S10_mS11_S14_bEUlT_E_NS1_11comp_targetILNS1_3genE10ELNS1_11target_archE1201ELNS1_3gpuE5ELNS1_3repE0EEENS1_30default_config_static_selectorELNS0_4arch9wavefront6targetE1EEEvSY_.uses_flat_scratch, 0
	.set _ZN7rocprim17ROCPRIM_400000_NS6detail17trampoline_kernelINS0_14default_configENS1_27upper_bound_config_selectorIylEEZNS1_14transform_implILb0ES3_S5_N6thrust23THRUST_200600_302600_NS6detail15normal_iteratorINS8_7pointerIyNS8_11hip_rocprim5par_tENS8_11use_defaultESE_EEEENSA_INSB_IlSD_SE_SE_EEEEZNS1_13binary_searchIS3_S5_NSA_INS8_10device_ptrIyEEEESG_SI_NS1_21upper_bound_search_opENS9_16wrapped_functionINS8_6system6detail7generic6detail18binary_search_lessEbEEEE10hipError_tPvRmT1_T2_T3_mmT4_T5_P12ihipStream_tbEUlRKyE_EESV_SZ_S10_mS11_S14_bEUlT_E_NS1_11comp_targetILNS1_3genE10ELNS1_11target_archE1201ELNS1_3gpuE5ELNS1_3repE0EEENS1_30default_config_static_selectorELNS0_4arch9wavefront6targetE1EEEvSY_.has_dyn_sized_stack, 0
	.set _ZN7rocprim17ROCPRIM_400000_NS6detail17trampoline_kernelINS0_14default_configENS1_27upper_bound_config_selectorIylEEZNS1_14transform_implILb0ES3_S5_N6thrust23THRUST_200600_302600_NS6detail15normal_iteratorINS8_7pointerIyNS8_11hip_rocprim5par_tENS8_11use_defaultESE_EEEENSA_INSB_IlSD_SE_SE_EEEEZNS1_13binary_searchIS3_S5_NSA_INS8_10device_ptrIyEEEESG_SI_NS1_21upper_bound_search_opENS9_16wrapped_functionINS8_6system6detail7generic6detail18binary_search_lessEbEEEE10hipError_tPvRmT1_T2_T3_mmT4_T5_P12ihipStream_tbEUlRKyE_EESV_SZ_S10_mS11_S14_bEUlT_E_NS1_11comp_targetILNS1_3genE10ELNS1_11target_archE1201ELNS1_3gpuE5ELNS1_3repE0EEENS1_30default_config_static_selectorELNS0_4arch9wavefront6targetE1EEEvSY_.has_recursion, 0
	.set _ZN7rocprim17ROCPRIM_400000_NS6detail17trampoline_kernelINS0_14default_configENS1_27upper_bound_config_selectorIylEEZNS1_14transform_implILb0ES3_S5_N6thrust23THRUST_200600_302600_NS6detail15normal_iteratorINS8_7pointerIyNS8_11hip_rocprim5par_tENS8_11use_defaultESE_EEEENSA_INSB_IlSD_SE_SE_EEEEZNS1_13binary_searchIS3_S5_NSA_INS8_10device_ptrIyEEEESG_SI_NS1_21upper_bound_search_opENS9_16wrapped_functionINS8_6system6detail7generic6detail18binary_search_lessEbEEEE10hipError_tPvRmT1_T2_T3_mmT4_T5_P12ihipStream_tbEUlRKyE_EESV_SZ_S10_mS11_S14_bEUlT_E_NS1_11comp_targetILNS1_3genE10ELNS1_11target_archE1201ELNS1_3gpuE5ELNS1_3repE0EEENS1_30default_config_static_selectorELNS0_4arch9wavefront6targetE1EEEvSY_.has_indirect_call, 0
	.section	.AMDGPU.csdata,"",@progbits
; Kernel info:
; codeLenInByte = 0
; TotalNumSgprs: 4
; NumVgprs: 0
; ScratchSize: 0
; MemoryBound: 0
; FloatMode: 240
; IeeeMode: 1
; LDSByteSize: 0 bytes/workgroup (compile time only)
; SGPRBlocks: 0
; VGPRBlocks: 0
; NumSGPRsForWavesPerEU: 4
; NumVGPRsForWavesPerEU: 1
; Occupancy: 10
; WaveLimiterHint : 0
; COMPUTE_PGM_RSRC2:SCRATCH_EN: 0
; COMPUTE_PGM_RSRC2:USER_SGPR: 6
; COMPUTE_PGM_RSRC2:TRAP_HANDLER: 0
; COMPUTE_PGM_RSRC2:TGID_X_EN: 1
; COMPUTE_PGM_RSRC2:TGID_Y_EN: 0
; COMPUTE_PGM_RSRC2:TGID_Z_EN: 0
; COMPUTE_PGM_RSRC2:TIDIG_COMP_CNT: 0
	.section	.text._ZN7rocprim17ROCPRIM_400000_NS6detail17trampoline_kernelINS0_14default_configENS1_27upper_bound_config_selectorIylEEZNS1_14transform_implILb0ES3_S5_N6thrust23THRUST_200600_302600_NS6detail15normal_iteratorINS8_7pointerIyNS8_11hip_rocprim5par_tENS8_11use_defaultESE_EEEENSA_INSB_IlSD_SE_SE_EEEEZNS1_13binary_searchIS3_S5_NSA_INS8_10device_ptrIyEEEESG_SI_NS1_21upper_bound_search_opENS9_16wrapped_functionINS8_6system6detail7generic6detail18binary_search_lessEbEEEE10hipError_tPvRmT1_T2_T3_mmT4_T5_P12ihipStream_tbEUlRKyE_EESV_SZ_S10_mS11_S14_bEUlT_E_NS1_11comp_targetILNS1_3genE10ELNS1_11target_archE1200ELNS1_3gpuE4ELNS1_3repE0EEENS1_30default_config_static_selectorELNS0_4arch9wavefront6targetE1EEEvSY_,"axG",@progbits,_ZN7rocprim17ROCPRIM_400000_NS6detail17trampoline_kernelINS0_14default_configENS1_27upper_bound_config_selectorIylEEZNS1_14transform_implILb0ES3_S5_N6thrust23THRUST_200600_302600_NS6detail15normal_iteratorINS8_7pointerIyNS8_11hip_rocprim5par_tENS8_11use_defaultESE_EEEENSA_INSB_IlSD_SE_SE_EEEEZNS1_13binary_searchIS3_S5_NSA_INS8_10device_ptrIyEEEESG_SI_NS1_21upper_bound_search_opENS9_16wrapped_functionINS8_6system6detail7generic6detail18binary_search_lessEbEEEE10hipError_tPvRmT1_T2_T3_mmT4_T5_P12ihipStream_tbEUlRKyE_EESV_SZ_S10_mS11_S14_bEUlT_E_NS1_11comp_targetILNS1_3genE10ELNS1_11target_archE1200ELNS1_3gpuE4ELNS1_3repE0EEENS1_30default_config_static_selectorELNS0_4arch9wavefront6targetE1EEEvSY_,comdat
	.protected	_ZN7rocprim17ROCPRIM_400000_NS6detail17trampoline_kernelINS0_14default_configENS1_27upper_bound_config_selectorIylEEZNS1_14transform_implILb0ES3_S5_N6thrust23THRUST_200600_302600_NS6detail15normal_iteratorINS8_7pointerIyNS8_11hip_rocprim5par_tENS8_11use_defaultESE_EEEENSA_INSB_IlSD_SE_SE_EEEEZNS1_13binary_searchIS3_S5_NSA_INS8_10device_ptrIyEEEESG_SI_NS1_21upper_bound_search_opENS9_16wrapped_functionINS8_6system6detail7generic6detail18binary_search_lessEbEEEE10hipError_tPvRmT1_T2_T3_mmT4_T5_P12ihipStream_tbEUlRKyE_EESV_SZ_S10_mS11_S14_bEUlT_E_NS1_11comp_targetILNS1_3genE10ELNS1_11target_archE1200ELNS1_3gpuE4ELNS1_3repE0EEENS1_30default_config_static_selectorELNS0_4arch9wavefront6targetE1EEEvSY_ ; -- Begin function _ZN7rocprim17ROCPRIM_400000_NS6detail17trampoline_kernelINS0_14default_configENS1_27upper_bound_config_selectorIylEEZNS1_14transform_implILb0ES3_S5_N6thrust23THRUST_200600_302600_NS6detail15normal_iteratorINS8_7pointerIyNS8_11hip_rocprim5par_tENS8_11use_defaultESE_EEEENSA_INSB_IlSD_SE_SE_EEEEZNS1_13binary_searchIS3_S5_NSA_INS8_10device_ptrIyEEEESG_SI_NS1_21upper_bound_search_opENS9_16wrapped_functionINS8_6system6detail7generic6detail18binary_search_lessEbEEEE10hipError_tPvRmT1_T2_T3_mmT4_T5_P12ihipStream_tbEUlRKyE_EESV_SZ_S10_mS11_S14_bEUlT_E_NS1_11comp_targetILNS1_3genE10ELNS1_11target_archE1200ELNS1_3gpuE4ELNS1_3repE0EEENS1_30default_config_static_selectorELNS0_4arch9wavefront6targetE1EEEvSY_
	.globl	_ZN7rocprim17ROCPRIM_400000_NS6detail17trampoline_kernelINS0_14default_configENS1_27upper_bound_config_selectorIylEEZNS1_14transform_implILb0ES3_S5_N6thrust23THRUST_200600_302600_NS6detail15normal_iteratorINS8_7pointerIyNS8_11hip_rocprim5par_tENS8_11use_defaultESE_EEEENSA_INSB_IlSD_SE_SE_EEEEZNS1_13binary_searchIS3_S5_NSA_INS8_10device_ptrIyEEEESG_SI_NS1_21upper_bound_search_opENS9_16wrapped_functionINS8_6system6detail7generic6detail18binary_search_lessEbEEEE10hipError_tPvRmT1_T2_T3_mmT4_T5_P12ihipStream_tbEUlRKyE_EESV_SZ_S10_mS11_S14_bEUlT_E_NS1_11comp_targetILNS1_3genE10ELNS1_11target_archE1200ELNS1_3gpuE4ELNS1_3repE0EEENS1_30default_config_static_selectorELNS0_4arch9wavefront6targetE1EEEvSY_
	.p2align	8
	.type	_ZN7rocprim17ROCPRIM_400000_NS6detail17trampoline_kernelINS0_14default_configENS1_27upper_bound_config_selectorIylEEZNS1_14transform_implILb0ES3_S5_N6thrust23THRUST_200600_302600_NS6detail15normal_iteratorINS8_7pointerIyNS8_11hip_rocprim5par_tENS8_11use_defaultESE_EEEENSA_INSB_IlSD_SE_SE_EEEEZNS1_13binary_searchIS3_S5_NSA_INS8_10device_ptrIyEEEESG_SI_NS1_21upper_bound_search_opENS9_16wrapped_functionINS8_6system6detail7generic6detail18binary_search_lessEbEEEE10hipError_tPvRmT1_T2_T3_mmT4_T5_P12ihipStream_tbEUlRKyE_EESV_SZ_S10_mS11_S14_bEUlT_E_NS1_11comp_targetILNS1_3genE10ELNS1_11target_archE1200ELNS1_3gpuE4ELNS1_3repE0EEENS1_30default_config_static_selectorELNS0_4arch9wavefront6targetE1EEEvSY_,@function
_ZN7rocprim17ROCPRIM_400000_NS6detail17trampoline_kernelINS0_14default_configENS1_27upper_bound_config_selectorIylEEZNS1_14transform_implILb0ES3_S5_N6thrust23THRUST_200600_302600_NS6detail15normal_iteratorINS8_7pointerIyNS8_11hip_rocprim5par_tENS8_11use_defaultESE_EEEENSA_INSB_IlSD_SE_SE_EEEEZNS1_13binary_searchIS3_S5_NSA_INS8_10device_ptrIyEEEESG_SI_NS1_21upper_bound_search_opENS9_16wrapped_functionINS8_6system6detail7generic6detail18binary_search_lessEbEEEE10hipError_tPvRmT1_T2_T3_mmT4_T5_P12ihipStream_tbEUlRKyE_EESV_SZ_S10_mS11_S14_bEUlT_E_NS1_11comp_targetILNS1_3genE10ELNS1_11target_archE1200ELNS1_3gpuE4ELNS1_3repE0EEENS1_30default_config_static_selectorELNS0_4arch9wavefront6targetE1EEEvSY_: ; @_ZN7rocprim17ROCPRIM_400000_NS6detail17trampoline_kernelINS0_14default_configENS1_27upper_bound_config_selectorIylEEZNS1_14transform_implILb0ES3_S5_N6thrust23THRUST_200600_302600_NS6detail15normal_iteratorINS8_7pointerIyNS8_11hip_rocprim5par_tENS8_11use_defaultESE_EEEENSA_INSB_IlSD_SE_SE_EEEEZNS1_13binary_searchIS3_S5_NSA_INS8_10device_ptrIyEEEESG_SI_NS1_21upper_bound_search_opENS9_16wrapped_functionINS8_6system6detail7generic6detail18binary_search_lessEbEEEE10hipError_tPvRmT1_T2_T3_mmT4_T5_P12ihipStream_tbEUlRKyE_EESV_SZ_S10_mS11_S14_bEUlT_E_NS1_11comp_targetILNS1_3genE10ELNS1_11target_archE1200ELNS1_3gpuE4ELNS1_3repE0EEENS1_30default_config_static_selectorELNS0_4arch9wavefront6targetE1EEEvSY_
; %bb.0:
	.section	.rodata,"a",@progbits
	.p2align	6, 0x0
	.amdhsa_kernel _ZN7rocprim17ROCPRIM_400000_NS6detail17trampoline_kernelINS0_14default_configENS1_27upper_bound_config_selectorIylEEZNS1_14transform_implILb0ES3_S5_N6thrust23THRUST_200600_302600_NS6detail15normal_iteratorINS8_7pointerIyNS8_11hip_rocprim5par_tENS8_11use_defaultESE_EEEENSA_INSB_IlSD_SE_SE_EEEEZNS1_13binary_searchIS3_S5_NSA_INS8_10device_ptrIyEEEESG_SI_NS1_21upper_bound_search_opENS9_16wrapped_functionINS8_6system6detail7generic6detail18binary_search_lessEbEEEE10hipError_tPvRmT1_T2_T3_mmT4_T5_P12ihipStream_tbEUlRKyE_EESV_SZ_S10_mS11_S14_bEUlT_E_NS1_11comp_targetILNS1_3genE10ELNS1_11target_archE1200ELNS1_3gpuE4ELNS1_3repE0EEENS1_30default_config_static_selectorELNS0_4arch9wavefront6targetE1EEEvSY_
		.amdhsa_group_segment_fixed_size 0
		.amdhsa_private_segment_fixed_size 0
		.amdhsa_kernarg_size 56
		.amdhsa_user_sgpr_count 6
		.amdhsa_user_sgpr_private_segment_buffer 1
		.amdhsa_user_sgpr_dispatch_ptr 0
		.amdhsa_user_sgpr_queue_ptr 0
		.amdhsa_user_sgpr_kernarg_segment_ptr 1
		.amdhsa_user_sgpr_dispatch_id 0
		.amdhsa_user_sgpr_flat_scratch_init 0
		.amdhsa_user_sgpr_private_segment_size 0
		.amdhsa_uses_dynamic_stack 0
		.amdhsa_system_sgpr_private_segment_wavefront_offset 0
		.amdhsa_system_sgpr_workgroup_id_x 1
		.amdhsa_system_sgpr_workgroup_id_y 0
		.amdhsa_system_sgpr_workgroup_id_z 0
		.amdhsa_system_sgpr_workgroup_info 0
		.amdhsa_system_vgpr_workitem_id 0
		.amdhsa_next_free_vgpr 1
		.amdhsa_next_free_sgpr 0
		.amdhsa_reserve_vcc 0
		.amdhsa_reserve_flat_scratch 0
		.amdhsa_float_round_mode_32 0
		.amdhsa_float_round_mode_16_64 0
		.amdhsa_float_denorm_mode_32 3
		.amdhsa_float_denorm_mode_16_64 3
		.amdhsa_dx10_clamp 1
		.amdhsa_ieee_mode 1
		.amdhsa_fp16_overflow 0
		.amdhsa_exception_fp_ieee_invalid_op 0
		.amdhsa_exception_fp_denorm_src 0
		.amdhsa_exception_fp_ieee_div_zero 0
		.amdhsa_exception_fp_ieee_overflow 0
		.amdhsa_exception_fp_ieee_underflow 0
		.amdhsa_exception_fp_ieee_inexact 0
		.amdhsa_exception_int_div_zero 0
	.end_amdhsa_kernel
	.section	.text._ZN7rocprim17ROCPRIM_400000_NS6detail17trampoline_kernelINS0_14default_configENS1_27upper_bound_config_selectorIylEEZNS1_14transform_implILb0ES3_S5_N6thrust23THRUST_200600_302600_NS6detail15normal_iteratorINS8_7pointerIyNS8_11hip_rocprim5par_tENS8_11use_defaultESE_EEEENSA_INSB_IlSD_SE_SE_EEEEZNS1_13binary_searchIS3_S5_NSA_INS8_10device_ptrIyEEEESG_SI_NS1_21upper_bound_search_opENS9_16wrapped_functionINS8_6system6detail7generic6detail18binary_search_lessEbEEEE10hipError_tPvRmT1_T2_T3_mmT4_T5_P12ihipStream_tbEUlRKyE_EESV_SZ_S10_mS11_S14_bEUlT_E_NS1_11comp_targetILNS1_3genE10ELNS1_11target_archE1200ELNS1_3gpuE4ELNS1_3repE0EEENS1_30default_config_static_selectorELNS0_4arch9wavefront6targetE1EEEvSY_,"axG",@progbits,_ZN7rocprim17ROCPRIM_400000_NS6detail17trampoline_kernelINS0_14default_configENS1_27upper_bound_config_selectorIylEEZNS1_14transform_implILb0ES3_S5_N6thrust23THRUST_200600_302600_NS6detail15normal_iteratorINS8_7pointerIyNS8_11hip_rocprim5par_tENS8_11use_defaultESE_EEEENSA_INSB_IlSD_SE_SE_EEEEZNS1_13binary_searchIS3_S5_NSA_INS8_10device_ptrIyEEEESG_SI_NS1_21upper_bound_search_opENS9_16wrapped_functionINS8_6system6detail7generic6detail18binary_search_lessEbEEEE10hipError_tPvRmT1_T2_T3_mmT4_T5_P12ihipStream_tbEUlRKyE_EESV_SZ_S10_mS11_S14_bEUlT_E_NS1_11comp_targetILNS1_3genE10ELNS1_11target_archE1200ELNS1_3gpuE4ELNS1_3repE0EEENS1_30default_config_static_selectorELNS0_4arch9wavefront6targetE1EEEvSY_,comdat
.Lfunc_end542:
	.size	_ZN7rocprim17ROCPRIM_400000_NS6detail17trampoline_kernelINS0_14default_configENS1_27upper_bound_config_selectorIylEEZNS1_14transform_implILb0ES3_S5_N6thrust23THRUST_200600_302600_NS6detail15normal_iteratorINS8_7pointerIyNS8_11hip_rocprim5par_tENS8_11use_defaultESE_EEEENSA_INSB_IlSD_SE_SE_EEEEZNS1_13binary_searchIS3_S5_NSA_INS8_10device_ptrIyEEEESG_SI_NS1_21upper_bound_search_opENS9_16wrapped_functionINS8_6system6detail7generic6detail18binary_search_lessEbEEEE10hipError_tPvRmT1_T2_T3_mmT4_T5_P12ihipStream_tbEUlRKyE_EESV_SZ_S10_mS11_S14_bEUlT_E_NS1_11comp_targetILNS1_3genE10ELNS1_11target_archE1200ELNS1_3gpuE4ELNS1_3repE0EEENS1_30default_config_static_selectorELNS0_4arch9wavefront6targetE1EEEvSY_, .Lfunc_end542-_ZN7rocprim17ROCPRIM_400000_NS6detail17trampoline_kernelINS0_14default_configENS1_27upper_bound_config_selectorIylEEZNS1_14transform_implILb0ES3_S5_N6thrust23THRUST_200600_302600_NS6detail15normal_iteratorINS8_7pointerIyNS8_11hip_rocprim5par_tENS8_11use_defaultESE_EEEENSA_INSB_IlSD_SE_SE_EEEEZNS1_13binary_searchIS3_S5_NSA_INS8_10device_ptrIyEEEESG_SI_NS1_21upper_bound_search_opENS9_16wrapped_functionINS8_6system6detail7generic6detail18binary_search_lessEbEEEE10hipError_tPvRmT1_T2_T3_mmT4_T5_P12ihipStream_tbEUlRKyE_EESV_SZ_S10_mS11_S14_bEUlT_E_NS1_11comp_targetILNS1_3genE10ELNS1_11target_archE1200ELNS1_3gpuE4ELNS1_3repE0EEENS1_30default_config_static_selectorELNS0_4arch9wavefront6targetE1EEEvSY_
                                        ; -- End function
	.set _ZN7rocprim17ROCPRIM_400000_NS6detail17trampoline_kernelINS0_14default_configENS1_27upper_bound_config_selectorIylEEZNS1_14transform_implILb0ES3_S5_N6thrust23THRUST_200600_302600_NS6detail15normal_iteratorINS8_7pointerIyNS8_11hip_rocprim5par_tENS8_11use_defaultESE_EEEENSA_INSB_IlSD_SE_SE_EEEEZNS1_13binary_searchIS3_S5_NSA_INS8_10device_ptrIyEEEESG_SI_NS1_21upper_bound_search_opENS9_16wrapped_functionINS8_6system6detail7generic6detail18binary_search_lessEbEEEE10hipError_tPvRmT1_T2_T3_mmT4_T5_P12ihipStream_tbEUlRKyE_EESV_SZ_S10_mS11_S14_bEUlT_E_NS1_11comp_targetILNS1_3genE10ELNS1_11target_archE1200ELNS1_3gpuE4ELNS1_3repE0EEENS1_30default_config_static_selectorELNS0_4arch9wavefront6targetE1EEEvSY_.num_vgpr, 0
	.set _ZN7rocprim17ROCPRIM_400000_NS6detail17trampoline_kernelINS0_14default_configENS1_27upper_bound_config_selectorIylEEZNS1_14transform_implILb0ES3_S5_N6thrust23THRUST_200600_302600_NS6detail15normal_iteratorINS8_7pointerIyNS8_11hip_rocprim5par_tENS8_11use_defaultESE_EEEENSA_INSB_IlSD_SE_SE_EEEEZNS1_13binary_searchIS3_S5_NSA_INS8_10device_ptrIyEEEESG_SI_NS1_21upper_bound_search_opENS9_16wrapped_functionINS8_6system6detail7generic6detail18binary_search_lessEbEEEE10hipError_tPvRmT1_T2_T3_mmT4_T5_P12ihipStream_tbEUlRKyE_EESV_SZ_S10_mS11_S14_bEUlT_E_NS1_11comp_targetILNS1_3genE10ELNS1_11target_archE1200ELNS1_3gpuE4ELNS1_3repE0EEENS1_30default_config_static_selectorELNS0_4arch9wavefront6targetE1EEEvSY_.num_agpr, 0
	.set _ZN7rocprim17ROCPRIM_400000_NS6detail17trampoline_kernelINS0_14default_configENS1_27upper_bound_config_selectorIylEEZNS1_14transform_implILb0ES3_S5_N6thrust23THRUST_200600_302600_NS6detail15normal_iteratorINS8_7pointerIyNS8_11hip_rocprim5par_tENS8_11use_defaultESE_EEEENSA_INSB_IlSD_SE_SE_EEEEZNS1_13binary_searchIS3_S5_NSA_INS8_10device_ptrIyEEEESG_SI_NS1_21upper_bound_search_opENS9_16wrapped_functionINS8_6system6detail7generic6detail18binary_search_lessEbEEEE10hipError_tPvRmT1_T2_T3_mmT4_T5_P12ihipStream_tbEUlRKyE_EESV_SZ_S10_mS11_S14_bEUlT_E_NS1_11comp_targetILNS1_3genE10ELNS1_11target_archE1200ELNS1_3gpuE4ELNS1_3repE0EEENS1_30default_config_static_selectorELNS0_4arch9wavefront6targetE1EEEvSY_.numbered_sgpr, 0
	.set _ZN7rocprim17ROCPRIM_400000_NS6detail17trampoline_kernelINS0_14default_configENS1_27upper_bound_config_selectorIylEEZNS1_14transform_implILb0ES3_S5_N6thrust23THRUST_200600_302600_NS6detail15normal_iteratorINS8_7pointerIyNS8_11hip_rocprim5par_tENS8_11use_defaultESE_EEEENSA_INSB_IlSD_SE_SE_EEEEZNS1_13binary_searchIS3_S5_NSA_INS8_10device_ptrIyEEEESG_SI_NS1_21upper_bound_search_opENS9_16wrapped_functionINS8_6system6detail7generic6detail18binary_search_lessEbEEEE10hipError_tPvRmT1_T2_T3_mmT4_T5_P12ihipStream_tbEUlRKyE_EESV_SZ_S10_mS11_S14_bEUlT_E_NS1_11comp_targetILNS1_3genE10ELNS1_11target_archE1200ELNS1_3gpuE4ELNS1_3repE0EEENS1_30default_config_static_selectorELNS0_4arch9wavefront6targetE1EEEvSY_.num_named_barrier, 0
	.set _ZN7rocprim17ROCPRIM_400000_NS6detail17trampoline_kernelINS0_14default_configENS1_27upper_bound_config_selectorIylEEZNS1_14transform_implILb0ES3_S5_N6thrust23THRUST_200600_302600_NS6detail15normal_iteratorINS8_7pointerIyNS8_11hip_rocprim5par_tENS8_11use_defaultESE_EEEENSA_INSB_IlSD_SE_SE_EEEEZNS1_13binary_searchIS3_S5_NSA_INS8_10device_ptrIyEEEESG_SI_NS1_21upper_bound_search_opENS9_16wrapped_functionINS8_6system6detail7generic6detail18binary_search_lessEbEEEE10hipError_tPvRmT1_T2_T3_mmT4_T5_P12ihipStream_tbEUlRKyE_EESV_SZ_S10_mS11_S14_bEUlT_E_NS1_11comp_targetILNS1_3genE10ELNS1_11target_archE1200ELNS1_3gpuE4ELNS1_3repE0EEENS1_30default_config_static_selectorELNS0_4arch9wavefront6targetE1EEEvSY_.private_seg_size, 0
	.set _ZN7rocprim17ROCPRIM_400000_NS6detail17trampoline_kernelINS0_14default_configENS1_27upper_bound_config_selectorIylEEZNS1_14transform_implILb0ES3_S5_N6thrust23THRUST_200600_302600_NS6detail15normal_iteratorINS8_7pointerIyNS8_11hip_rocprim5par_tENS8_11use_defaultESE_EEEENSA_INSB_IlSD_SE_SE_EEEEZNS1_13binary_searchIS3_S5_NSA_INS8_10device_ptrIyEEEESG_SI_NS1_21upper_bound_search_opENS9_16wrapped_functionINS8_6system6detail7generic6detail18binary_search_lessEbEEEE10hipError_tPvRmT1_T2_T3_mmT4_T5_P12ihipStream_tbEUlRKyE_EESV_SZ_S10_mS11_S14_bEUlT_E_NS1_11comp_targetILNS1_3genE10ELNS1_11target_archE1200ELNS1_3gpuE4ELNS1_3repE0EEENS1_30default_config_static_selectorELNS0_4arch9wavefront6targetE1EEEvSY_.uses_vcc, 0
	.set _ZN7rocprim17ROCPRIM_400000_NS6detail17trampoline_kernelINS0_14default_configENS1_27upper_bound_config_selectorIylEEZNS1_14transform_implILb0ES3_S5_N6thrust23THRUST_200600_302600_NS6detail15normal_iteratorINS8_7pointerIyNS8_11hip_rocprim5par_tENS8_11use_defaultESE_EEEENSA_INSB_IlSD_SE_SE_EEEEZNS1_13binary_searchIS3_S5_NSA_INS8_10device_ptrIyEEEESG_SI_NS1_21upper_bound_search_opENS9_16wrapped_functionINS8_6system6detail7generic6detail18binary_search_lessEbEEEE10hipError_tPvRmT1_T2_T3_mmT4_T5_P12ihipStream_tbEUlRKyE_EESV_SZ_S10_mS11_S14_bEUlT_E_NS1_11comp_targetILNS1_3genE10ELNS1_11target_archE1200ELNS1_3gpuE4ELNS1_3repE0EEENS1_30default_config_static_selectorELNS0_4arch9wavefront6targetE1EEEvSY_.uses_flat_scratch, 0
	.set _ZN7rocprim17ROCPRIM_400000_NS6detail17trampoline_kernelINS0_14default_configENS1_27upper_bound_config_selectorIylEEZNS1_14transform_implILb0ES3_S5_N6thrust23THRUST_200600_302600_NS6detail15normal_iteratorINS8_7pointerIyNS8_11hip_rocprim5par_tENS8_11use_defaultESE_EEEENSA_INSB_IlSD_SE_SE_EEEEZNS1_13binary_searchIS3_S5_NSA_INS8_10device_ptrIyEEEESG_SI_NS1_21upper_bound_search_opENS9_16wrapped_functionINS8_6system6detail7generic6detail18binary_search_lessEbEEEE10hipError_tPvRmT1_T2_T3_mmT4_T5_P12ihipStream_tbEUlRKyE_EESV_SZ_S10_mS11_S14_bEUlT_E_NS1_11comp_targetILNS1_3genE10ELNS1_11target_archE1200ELNS1_3gpuE4ELNS1_3repE0EEENS1_30default_config_static_selectorELNS0_4arch9wavefront6targetE1EEEvSY_.has_dyn_sized_stack, 0
	.set _ZN7rocprim17ROCPRIM_400000_NS6detail17trampoline_kernelINS0_14default_configENS1_27upper_bound_config_selectorIylEEZNS1_14transform_implILb0ES3_S5_N6thrust23THRUST_200600_302600_NS6detail15normal_iteratorINS8_7pointerIyNS8_11hip_rocprim5par_tENS8_11use_defaultESE_EEEENSA_INSB_IlSD_SE_SE_EEEEZNS1_13binary_searchIS3_S5_NSA_INS8_10device_ptrIyEEEESG_SI_NS1_21upper_bound_search_opENS9_16wrapped_functionINS8_6system6detail7generic6detail18binary_search_lessEbEEEE10hipError_tPvRmT1_T2_T3_mmT4_T5_P12ihipStream_tbEUlRKyE_EESV_SZ_S10_mS11_S14_bEUlT_E_NS1_11comp_targetILNS1_3genE10ELNS1_11target_archE1200ELNS1_3gpuE4ELNS1_3repE0EEENS1_30default_config_static_selectorELNS0_4arch9wavefront6targetE1EEEvSY_.has_recursion, 0
	.set _ZN7rocprim17ROCPRIM_400000_NS6detail17trampoline_kernelINS0_14default_configENS1_27upper_bound_config_selectorIylEEZNS1_14transform_implILb0ES3_S5_N6thrust23THRUST_200600_302600_NS6detail15normal_iteratorINS8_7pointerIyNS8_11hip_rocprim5par_tENS8_11use_defaultESE_EEEENSA_INSB_IlSD_SE_SE_EEEEZNS1_13binary_searchIS3_S5_NSA_INS8_10device_ptrIyEEEESG_SI_NS1_21upper_bound_search_opENS9_16wrapped_functionINS8_6system6detail7generic6detail18binary_search_lessEbEEEE10hipError_tPvRmT1_T2_T3_mmT4_T5_P12ihipStream_tbEUlRKyE_EESV_SZ_S10_mS11_S14_bEUlT_E_NS1_11comp_targetILNS1_3genE10ELNS1_11target_archE1200ELNS1_3gpuE4ELNS1_3repE0EEENS1_30default_config_static_selectorELNS0_4arch9wavefront6targetE1EEEvSY_.has_indirect_call, 0
	.section	.AMDGPU.csdata,"",@progbits
; Kernel info:
; codeLenInByte = 0
; TotalNumSgprs: 4
; NumVgprs: 0
; ScratchSize: 0
; MemoryBound: 0
; FloatMode: 240
; IeeeMode: 1
; LDSByteSize: 0 bytes/workgroup (compile time only)
; SGPRBlocks: 0
; VGPRBlocks: 0
; NumSGPRsForWavesPerEU: 4
; NumVGPRsForWavesPerEU: 1
; Occupancy: 10
; WaveLimiterHint : 0
; COMPUTE_PGM_RSRC2:SCRATCH_EN: 0
; COMPUTE_PGM_RSRC2:USER_SGPR: 6
; COMPUTE_PGM_RSRC2:TRAP_HANDLER: 0
; COMPUTE_PGM_RSRC2:TGID_X_EN: 1
; COMPUTE_PGM_RSRC2:TGID_Y_EN: 0
; COMPUTE_PGM_RSRC2:TGID_Z_EN: 0
; COMPUTE_PGM_RSRC2:TIDIG_COMP_CNT: 0
	.section	.text._ZN7rocprim17ROCPRIM_400000_NS6detail17trampoline_kernelINS0_14default_configENS1_27upper_bound_config_selectorIylEEZNS1_14transform_implILb0ES3_S5_N6thrust23THRUST_200600_302600_NS6detail15normal_iteratorINS8_7pointerIyNS8_11hip_rocprim5par_tENS8_11use_defaultESE_EEEENSA_INSB_IlSD_SE_SE_EEEEZNS1_13binary_searchIS3_S5_NSA_INS8_10device_ptrIyEEEESG_SI_NS1_21upper_bound_search_opENS9_16wrapped_functionINS8_6system6detail7generic6detail18binary_search_lessEbEEEE10hipError_tPvRmT1_T2_T3_mmT4_T5_P12ihipStream_tbEUlRKyE_EESV_SZ_S10_mS11_S14_bEUlT_E_NS1_11comp_targetILNS1_3genE9ELNS1_11target_archE1100ELNS1_3gpuE3ELNS1_3repE0EEENS1_30default_config_static_selectorELNS0_4arch9wavefront6targetE1EEEvSY_,"axG",@progbits,_ZN7rocprim17ROCPRIM_400000_NS6detail17trampoline_kernelINS0_14default_configENS1_27upper_bound_config_selectorIylEEZNS1_14transform_implILb0ES3_S5_N6thrust23THRUST_200600_302600_NS6detail15normal_iteratorINS8_7pointerIyNS8_11hip_rocprim5par_tENS8_11use_defaultESE_EEEENSA_INSB_IlSD_SE_SE_EEEEZNS1_13binary_searchIS3_S5_NSA_INS8_10device_ptrIyEEEESG_SI_NS1_21upper_bound_search_opENS9_16wrapped_functionINS8_6system6detail7generic6detail18binary_search_lessEbEEEE10hipError_tPvRmT1_T2_T3_mmT4_T5_P12ihipStream_tbEUlRKyE_EESV_SZ_S10_mS11_S14_bEUlT_E_NS1_11comp_targetILNS1_3genE9ELNS1_11target_archE1100ELNS1_3gpuE3ELNS1_3repE0EEENS1_30default_config_static_selectorELNS0_4arch9wavefront6targetE1EEEvSY_,comdat
	.protected	_ZN7rocprim17ROCPRIM_400000_NS6detail17trampoline_kernelINS0_14default_configENS1_27upper_bound_config_selectorIylEEZNS1_14transform_implILb0ES3_S5_N6thrust23THRUST_200600_302600_NS6detail15normal_iteratorINS8_7pointerIyNS8_11hip_rocprim5par_tENS8_11use_defaultESE_EEEENSA_INSB_IlSD_SE_SE_EEEEZNS1_13binary_searchIS3_S5_NSA_INS8_10device_ptrIyEEEESG_SI_NS1_21upper_bound_search_opENS9_16wrapped_functionINS8_6system6detail7generic6detail18binary_search_lessEbEEEE10hipError_tPvRmT1_T2_T3_mmT4_T5_P12ihipStream_tbEUlRKyE_EESV_SZ_S10_mS11_S14_bEUlT_E_NS1_11comp_targetILNS1_3genE9ELNS1_11target_archE1100ELNS1_3gpuE3ELNS1_3repE0EEENS1_30default_config_static_selectorELNS0_4arch9wavefront6targetE1EEEvSY_ ; -- Begin function _ZN7rocprim17ROCPRIM_400000_NS6detail17trampoline_kernelINS0_14default_configENS1_27upper_bound_config_selectorIylEEZNS1_14transform_implILb0ES3_S5_N6thrust23THRUST_200600_302600_NS6detail15normal_iteratorINS8_7pointerIyNS8_11hip_rocprim5par_tENS8_11use_defaultESE_EEEENSA_INSB_IlSD_SE_SE_EEEEZNS1_13binary_searchIS3_S5_NSA_INS8_10device_ptrIyEEEESG_SI_NS1_21upper_bound_search_opENS9_16wrapped_functionINS8_6system6detail7generic6detail18binary_search_lessEbEEEE10hipError_tPvRmT1_T2_T3_mmT4_T5_P12ihipStream_tbEUlRKyE_EESV_SZ_S10_mS11_S14_bEUlT_E_NS1_11comp_targetILNS1_3genE9ELNS1_11target_archE1100ELNS1_3gpuE3ELNS1_3repE0EEENS1_30default_config_static_selectorELNS0_4arch9wavefront6targetE1EEEvSY_
	.globl	_ZN7rocprim17ROCPRIM_400000_NS6detail17trampoline_kernelINS0_14default_configENS1_27upper_bound_config_selectorIylEEZNS1_14transform_implILb0ES3_S5_N6thrust23THRUST_200600_302600_NS6detail15normal_iteratorINS8_7pointerIyNS8_11hip_rocprim5par_tENS8_11use_defaultESE_EEEENSA_INSB_IlSD_SE_SE_EEEEZNS1_13binary_searchIS3_S5_NSA_INS8_10device_ptrIyEEEESG_SI_NS1_21upper_bound_search_opENS9_16wrapped_functionINS8_6system6detail7generic6detail18binary_search_lessEbEEEE10hipError_tPvRmT1_T2_T3_mmT4_T5_P12ihipStream_tbEUlRKyE_EESV_SZ_S10_mS11_S14_bEUlT_E_NS1_11comp_targetILNS1_3genE9ELNS1_11target_archE1100ELNS1_3gpuE3ELNS1_3repE0EEENS1_30default_config_static_selectorELNS0_4arch9wavefront6targetE1EEEvSY_
	.p2align	8
	.type	_ZN7rocprim17ROCPRIM_400000_NS6detail17trampoline_kernelINS0_14default_configENS1_27upper_bound_config_selectorIylEEZNS1_14transform_implILb0ES3_S5_N6thrust23THRUST_200600_302600_NS6detail15normal_iteratorINS8_7pointerIyNS8_11hip_rocprim5par_tENS8_11use_defaultESE_EEEENSA_INSB_IlSD_SE_SE_EEEEZNS1_13binary_searchIS3_S5_NSA_INS8_10device_ptrIyEEEESG_SI_NS1_21upper_bound_search_opENS9_16wrapped_functionINS8_6system6detail7generic6detail18binary_search_lessEbEEEE10hipError_tPvRmT1_T2_T3_mmT4_T5_P12ihipStream_tbEUlRKyE_EESV_SZ_S10_mS11_S14_bEUlT_E_NS1_11comp_targetILNS1_3genE9ELNS1_11target_archE1100ELNS1_3gpuE3ELNS1_3repE0EEENS1_30default_config_static_selectorELNS0_4arch9wavefront6targetE1EEEvSY_,@function
_ZN7rocprim17ROCPRIM_400000_NS6detail17trampoline_kernelINS0_14default_configENS1_27upper_bound_config_selectorIylEEZNS1_14transform_implILb0ES3_S5_N6thrust23THRUST_200600_302600_NS6detail15normal_iteratorINS8_7pointerIyNS8_11hip_rocprim5par_tENS8_11use_defaultESE_EEEENSA_INSB_IlSD_SE_SE_EEEEZNS1_13binary_searchIS3_S5_NSA_INS8_10device_ptrIyEEEESG_SI_NS1_21upper_bound_search_opENS9_16wrapped_functionINS8_6system6detail7generic6detail18binary_search_lessEbEEEE10hipError_tPvRmT1_T2_T3_mmT4_T5_P12ihipStream_tbEUlRKyE_EESV_SZ_S10_mS11_S14_bEUlT_E_NS1_11comp_targetILNS1_3genE9ELNS1_11target_archE1100ELNS1_3gpuE3ELNS1_3repE0EEENS1_30default_config_static_selectorELNS0_4arch9wavefront6targetE1EEEvSY_: ; @_ZN7rocprim17ROCPRIM_400000_NS6detail17trampoline_kernelINS0_14default_configENS1_27upper_bound_config_selectorIylEEZNS1_14transform_implILb0ES3_S5_N6thrust23THRUST_200600_302600_NS6detail15normal_iteratorINS8_7pointerIyNS8_11hip_rocprim5par_tENS8_11use_defaultESE_EEEENSA_INSB_IlSD_SE_SE_EEEEZNS1_13binary_searchIS3_S5_NSA_INS8_10device_ptrIyEEEESG_SI_NS1_21upper_bound_search_opENS9_16wrapped_functionINS8_6system6detail7generic6detail18binary_search_lessEbEEEE10hipError_tPvRmT1_T2_T3_mmT4_T5_P12ihipStream_tbEUlRKyE_EESV_SZ_S10_mS11_S14_bEUlT_E_NS1_11comp_targetILNS1_3genE9ELNS1_11target_archE1100ELNS1_3gpuE3ELNS1_3repE0EEENS1_30default_config_static_selectorELNS0_4arch9wavefront6targetE1EEEvSY_
; %bb.0:
	.section	.rodata,"a",@progbits
	.p2align	6, 0x0
	.amdhsa_kernel _ZN7rocprim17ROCPRIM_400000_NS6detail17trampoline_kernelINS0_14default_configENS1_27upper_bound_config_selectorIylEEZNS1_14transform_implILb0ES3_S5_N6thrust23THRUST_200600_302600_NS6detail15normal_iteratorINS8_7pointerIyNS8_11hip_rocprim5par_tENS8_11use_defaultESE_EEEENSA_INSB_IlSD_SE_SE_EEEEZNS1_13binary_searchIS3_S5_NSA_INS8_10device_ptrIyEEEESG_SI_NS1_21upper_bound_search_opENS9_16wrapped_functionINS8_6system6detail7generic6detail18binary_search_lessEbEEEE10hipError_tPvRmT1_T2_T3_mmT4_T5_P12ihipStream_tbEUlRKyE_EESV_SZ_S10_mS11_S14_bEUlT_E_NS1_11comp_targetILNS1_3genE9ELNS1_11target_archE1100ELNS1_3gpuE3ELNS1_3repE0EEENS1_30default_config_static_selectorELNS0_4arch9wavefront6targetE1EEEvSY_
		.amdhsa_group_segment_fixed_size 0
		.amdhsa_private_segment_fixed_size 0
		.amdhsa_kernarg_size 56
		.amdhsa_user_sgpr_count 6
		.amdhsa_user_sgpr_private_segment_buffer 1
		.amdhsa_user_sgpr_dispatch_ptr 0
		.amdhsa_user_sgpr_queue_ptr 0
		.amdhsa_user_sgpr_kernarg_segment_ptr 1
		.amdhsa_user_sgpr_dispatch_id 0
		.amdhsa_user_sgpr_flat_scratch_init 0
		.amdhsa_user_sgpr_private_segment_size 0
		.amdhsa_uses_dynamic_stack 0
		.amdhsa_system_sgpr_private_segment_wavefront_offset 0
		.amdhsa_system_sgpr_workgroup_id_x 1
		.amdhsa_system_sgpr_workgroup_id_y 0
		.amdhsa_system_sgpr_workgroup_id_z 0
		.amdhsa_system_sgpr_workgroup_info 0
		.amdhsa_system_vgpr_workitem_id 0
		.amdhsa_next_free_vgpr 1
		.amdhsa_next_free_sgpr 0
		.amdhsa_reserve_vcc 0
		.amdhsa_reserve_flat_scratch 0
		.amdhsa_float_round_mode_32 0
		.amdhsa_float_round_mode_16_64 0
		.amdhsa_float_denorm_mode_32 3
		.amdhsa_float_denorm_mode_16_64 3
		.amdhsa_dx10_clamp 1
		.amdhsa_ieee_mode 1
		.amdhsa_fp16_overflow 0
		.amdhsa_exception_fp_ieee_invalid_op 0
		.amdhsa_exception_fp_denorm_src 0
		.amdhsa_exception_fp_ieee_div_zero 0
		.amdhsa_exception_fp_ieee_overflow 0
		.amdhsa_exception_fp_ieee_underflow 0
		.amdhsa_exception_fp_ieee_inexact 0
		.amdhsa_exception_int_div_zero 0
	.end_amdhsa_kernel
	.section	.text._ZN7rocprim17ROCPRIM_400000_NS6detail17trampoline_kernelINS0_14default_configENS1_27upper_bound_config_selectorIylEEZNS1_14transform_implILb0ES3_S5_N6thrust23THRUST_200600_302600_NS6detail15normal_iteratorINS8_7pointerIyNS8_11hip_rocprim5par_tENS8_11use_defaultESE_EEEENSA_INSB_IlSD_SE_SE_EEEEZNS1_13binary_searchIS3_S5_NSA_INS8_10device_ptrIyEEEESG_SI_NS1_21upper_bound_search_opENS9_16wrapped_functionINS8_6system6detail7generic6detail18binary_search_lessEbEEEE10hipError_tPvRmT1_T2_T3_mmT4_T5_P12ihipStream_tbEUlRKyE_EESV_SZ_S10_mS11_S14_bEUlT_E_NS1_11comp_targetILNS1_3genE9ELNS1_11target_archE1100ELNS1_3gpuE3ELNS1_3repE0EEENS1_30default_config_static_selectorELNS0_4arch9wavefront6targetE1EEEvSY_,"axG",@progbits,_ZN7rocprim17ROCPRIM_400000_NS6detail17trampoline_kernelINS0_14default_configENS1_27upper_bound_config_selectorIylEEZNS1_14transform_implILb0ES3_S5_N6thrust23THRUST_200600_302600_NS6detail15normal_iteratorINS8_7pointerIyNS8_11hip_rocprim5par_tENS8_11use_defaultESE_EEEENSA_INSB_IlSD_SE_SE_EEEEZNS1_13binary_searchIS3_S5_NSA_INS8_10device_ptrIyEEEESG_SI_NS1_21upper_bound_search_opENS9_16wrapped_functionINS8_6system6detail7generic6detail18binary_search_lessEbEEEE10hipError_tPvRmT1_T2_T3_mmT4_T5_P12ihipStream_tbEUlRKyE_EESV_SZ_S10_mS11_S14_bEUlT_E_NS1_11comp_targetILNS1_3genE9ELNS1_11target_archE1100ELNS1_3gpuE3ELNS1_3repE0EEENS1_30default_config_static_selectorELNS0_4arch9wavefront6targetE1EEEvSY_,comdat
.Lfunc_end543:
	.size	_ZN7rocprim17ROCPRIM_400000_NS6detail17trampoline_kernelINS0_14default_configENS1_27upper_bound_config_selectorIylEEZNS1_14transform_implILb0ES3_S5_N6thrust23THRUST_200600_302600_NS6detail15normal_iteratorINS8_7pointerIyNS8_11hip_rocprim5par_tENS8_11use_defaultESE_EEEENSA_INSB_IlSD_SE_SE_EEEEZNS1_13binary_searchIS3_S5_NSA_INS8_10device_ptrIyEEEESG_SI_NS1_21upper_bound_search_opENS9_16wrapped_functionINS8_6system6detail7generic6detail18binary_search_lessEbEEEE10hipError_tPvRmT1_T2_T3_mmT4_T5_P12ihipStream_tbEUlRKyE_EESV_SZ_S10_mS11_S14_bEUlT_E_NS1_11comp_targetILNS1_3genE9ELNS1_11target_archE1100ELNS1_3gpuE3ELNS1_3repE0EEENS1_30default_config_static_selectorELNS0_4arch9wavefront6targetE1EEEvSY_, .Lfunc_end543-_ZN7rocprim17ROCPRIM_400000_NS6detail17trampoline_kernelINS0_14default_configENS1_27upper_bound_config_selectorIylEEZNS1_14transform_implILb0ES3_S5_N6thrust23THRUST_200600_302600_NS6detail15normal_iteratorINS8_7pointerIyNS8_11hip_rocprim5par_tENS8_11use_defaultESE_EEEENSA_INSB_IlSD_SE_SE_EEEEZNS1_13binary_searchIS3_S5_NSA_INS8_10device_ptrIyEEEESG_SI_NS1_21upper_bound_search_opENS9_16wrapped_functionINS8_6system6detail7generic6detail18binary_search_lessEbEEEE10hipError_tPvRmT1_T2_T3_mmT4_T5_P12ihipStream_tbEUlRKyE_EESV_SZ_S10_mS11_S14_bEUlT_E_NS1_11comp_targetILNS1_3genE9ELNS1_11target_archE1100ELNS1_3gpuE3ELNS1_3repE0EEENS1_30default_config_static_selectorELNS0_4arch9wavefront6targetE1EEEvSY_
                                        ; -- End function
	.set _ZN7rocprim17ROCPRIM_400000_NS6detail17trampoline_kernelINS0_14default_configENS1_27upper_bound_config_selectorIylEEZNS1_14transform_implILb0ES3_S5_N6thrust23THRUST_200600_302600_NS6detail15normal_iteratorINS8_7pointerIyNS8_11hip_rocprim5par_tENS8_11use_defaultESE_EEEENSA_INSB_IlSD_SE_SE_EEEEZNS1_13binary_searchIS3_S5_NSA_INS8_10device_ptrIyEEEESG_SI_NS1_21upper_bound_search_opENS9_16wrapped_functionINS8_6system6detail7generic6detail18binary_search_lessEbEEEE10hipError_tPvRmT1_T2_T3_mmT4_T5_P12ihipStream_tbEUlRKyE_EESV_SZ_S10_mS11_S14_bEUlT_E_NS1_11comp_targetILNS1_3genE9ELNS1_11target_archE1100ELNS1_3gpuE3ELNS1_3repE0EEENS1_30default_config_static_selectorELNS0_4arch9wavefront6targetE1EEEvSY_.num_vgpr, 0
	.set _ZN7rocprim17ROCPRIM_400000_NS6detail17trampoline_kernelINS0_14default_configENS1_27upper_bound_config_selectorIylEEZNS1_14transform_implILb0ES3_S5_N6thrust23THRUST_200600_302600_NS6detail15normal_iteratorINS8_7pointerIyNS8_11hip_rocprim5par_tENS8_11use_defaultESE_EEEENSA_INSB_IlSD_SE_SE_EEEEZNS1_13binary_searchIS3_S5_NSA_INS8_10device_ptrIyEEEESG_SI_NS1_21upper_bound_search_opENS9_16wrapped_functionINS8_6system6detail7generic6detail18binary_search_lessEbEEEE10hipError_tPvRmT1_T2_T3_mmT4_T5_P12ihipStream_tbEUlRKyE_EESV_SZ_S10_mS11_S14_bEUlT_E_NS1_11comp_targetILNS1_3genE9ELNS1_11target_archE1100ELNS1_3gpuE3ELNS1_3repE0EEENS1_30default_config_static_selectorELNS0_4arch9wavefront6targetE1EEEvSY_.num_agpr, 0
	.set _ZN7rocprim17ROCPRIM_400000_NS6detail17trampoline_kernelINS0_14default_configENS1_27upper_bound_config_selectorIylEEZNS1_14transform_implILb0ES3_S5_N6thrust23THRUST_200600_302600_NS6detail15normal_iteratorINS8_7pointerIyNS8_11hip_rocprim5par_tENS8_11use_defaultESE_EEEENSA_INSB_IlSD_SE_SE_EEEEZNS1_13binary_searchIS3_S5_NSA_INS8_10device_ptrIyEEEESG_SI_NS1_21upper_bound_search_opENS9_16wrapped_functionINS8_6system6detail7generic6detail18binary_search_lessEbEEEE10hipError_tPvRmT1_T2_T3_mmT4_T5_P12ihipStream_tbEUlRKyE_EESV_SZ_S10_mS11_S14_bEUlT_E_NS1_11comp_targetILNS1_3genE9ELNS1_11target_archE1100ELNS1_3gpuE3ELNS1_3repE0EEENS1_30default_config_static_selectorELNS0_4arch9wavefront6targetE1EEEvSY_.numbered_sgpr, 0
	.set _ZN7rocprim17ROCPRIM_400000_NS6detail17trampoline_kernelINS0_14default_configENS1_27upper_bound_config_selectorIylEEZNS1_14transform_implILb0ES3_S5_N6thrust23THRUST_200600_302600_NS6detail15normal_iteratorINS8_7pointerIyNS8_11hip_rocprim5par_tENS8_11use_defaultESE_EEEENSA_INSB_IlSD_SE_SE_EEEEZNS1_13binary_searchIS3_S5_NSA_INS8_10device_ptrIyEEEESG_SI_NS1_21upper_bound_search_opENS9_16wrapped_functionINS8_6system6detail7generic6detail18binary_search_lessEbEEEE10hipError_tPvRmT1_T2_T3_mmT4_T5_P12ihipStream_tbEUlRKyE_EESV_SZ_S10_mS11_S14_bEUlT_E_NS1_11comp_targetILNS1_3genE9ELNS1_11target_archE1100ELNS1_3gpuE3ELNS1_3repE0EEENS1_30default_config_static_selectorELNS0_4arch9wavefront6targetE1EEEvSY_.num_named_barrier, 0
	.set _ZN7rocprim17ROCPRIM_400000_NS6detail17trampoline_kernelINS0_14default_configENS1_27upper_bound_config_selectorIylEEZNS1_14transform_implILb0ES3_S5_N6thrust23THRUST_200600_302600_NS6detail15normal_iteratorINS8_7pointerIyNS8_11hip_rocprim5par_tENS8_11use_defaultESE_EEEENSA_INSB_IlSD_SE_SE_EEEEZNS1_13binary_searchIS3_S5_NSA_INS8_10device_ptrIyEEEESG_SI_NS1_21upper_bound_search_opENS9_16wrapped_functionINS8_6system6detail7generic6detail18binary_search_lessEbEEEE10hipError_tPvRmT1_T2_T3_mmT4_T5_P12ihipStream_tbEUlRKyE_EESV_SZ_S10_mS11_S14_bEUlT_E_NS1_11comp_targetILNS1_3genE9ELNS1_11target_archE1100ELNS1_3gpuE3ELNS1_3repE0EEENS1_30default_config_static_selectorELNS0_4arch9wavefront6targetE1EEEvSY_.private_seg_size, 0
	.set _ZN7rocprim17ROCPRIM_400000_NS6detail17trampoline_kernelINS0_14default_configENS1_27upper_bound_config_selectorIylEEZNS1_14transform_implILb0ES3_S5_N6thrust23THRUST_200600_302600_NS6detail15normal_iteratorINS8_7pointerIyNS8_11hip_rocprim5par_tENS8_11use_defaultESE_EEEENSA_INSB_IlSD_SE_SE_EEEEZNS1_13binary_searchIS3_S5_NSA_INS8_10device_ptrIyEEEESG_SI_NS1_21upper_bound_search_opENS9_16wrapped_functionINS8_6system6detail7generic6detail18binary_search_lessEbEEEE10hipError_tPvRmT1_T2_T3_mmT4_T5_P12ihipStream_tbEUlRKyE_EESV_SZ_S10_mS11_S14_bEUlT_E_NS1_11comp_targetILNS1_3genE9ELNS1_11target_archE1100ELNS1_3gpuE3ELNS1_3repE0EEENS1_30default_config_static_selectorELNS0_4arch9wavefront6targetE1EEEvSY_.uses_vcc, 0
	.set _ZN7rocprim17ROCPRIM_400000_NS6detail17trampoline_kernelINS0_14default_configENS1_27upper_bound_config_selectorIylEEZNS1_14transform_implILb0ES3_S5_N6thrust23THRUST_200600_302600_NS6detail15normal_iteratorINS8_7pointerIyNS8_11hip_rocprim5par_tENS8_11use_defaultESE_EEEENSA_INSB_IlSD_SE_SE_EEEEZNS1_13binary_searchIS3_S5_NSA_INS8_10device_ptrIyEEEESG_SI_NS1_21upper_bound_search_opENS9_16wrapped_functionINS8_6system6detail7generic6detail18binary_search_lessEbEEEE10hipError_tPvRmT1_T2_T3_mmT4_T5_P12ihipStream_tbEUlRKyE_EESV_SZ_S10_mS11_S14_bEUlT_E_NS1_11comp_targetILNS1_3genE9ELNS1_11target_archE1100ELNS1_3gpuE3ELNS1_3repE0EEENS1_30default_config_static_selectorELNS0_4arch9wavefront6targetE1EEEvSY_.uses_flat_scratch, 0
	.set _ZN7rocprim17ROCPRIM_400000_NS6detail17trampoline_kernelINS0_14default_configENS1_27upper_bound_config_selectorIylEEZNS1_14transform_implILb0ES3_S5_N6thrust23THRUST_200600_302600_NS6detail15normal_iteratorINS8_7pointerIyNS8_11hip_rocprim5par_tENS8_11use_defaultESE_EEEENSA_INSB_IlSD_SE_SE_EEEEZNS1_13binary_searchIS3_S5_NSA_INS8_10device_ptrIyEEEESG_SI_NS1_21upper_bound_search_opENS9_16wrapped_functionINS8_6system6detail7generic6detail18binary_search_lessEbEEEE10hipError_tPvRmT1_T2_T3_mmT4_T5_P12ihipStream_tbEUlRKyE_EESV_SZ_S10_mS11_S14_bEUlT_E_NS1_11comp_targetILNS1_3genE9ELNS1_11target_archE1100ELNS1_3gpuE3ELNS1_3repE0EEENS1_30default_config_static_selectorELNS0_4arch9wavefront6targetE1EEEvSY_.has_dyn_sized_stack, 0
	.set _ZN7rocprim17ROCPRIM_400000_NS6detail17trampoline_kernelINS0_14default_configENS1_27upper_bound_config_selectorIylEEZNS1_14transform_implILb0ES3_S5_N6thrust23THRUST_200600_302600_NS6detail15normal_iteratorINS8_7pointerIyNS8_11hip_rocprim5par_tENS8_11use_defaultESE_EEEENSA_INSB_IlSD_SE_SE_EEEEZNS1_13binary_searchIS3_S5_NSA_INS8_10device_ptrIyEEEESG_SI_NS1_21upper_bound_search_opENS9_16wrapped_functionINS8_6system6detail7generic6detail18binary_search_lessEbEEEE10hipError_tPvRmT1_T2_T3_mmT4_T5_P12ihipStream_tbEUlRKyE_EESV_SZ_S10_mS11_S14_bEUlT_E_NS1_11comp_targetILNS1_3genE9ELNS1_11target_archE1100ELNS1_3gpuE3ELNS1_3repE0EEENS1_30default_config_static_selectorELNS0_4arch9wavefront6targetE1EEEvSY_.has_recursion, 0
	.set _ZN7rocprim17ROCPRIM_400000_NS6detail17trampoline_kernelINS0_14default_configENS1_27upper_bound_config_selectorIylEEZNS1_14transform_implILb0ES3_S5_N6thrust23THRUST_200600_302600_NS6detail15normal_iteratorINS8_7pointerIyNS8_11hip_rocprim5par_tENS8_11use_defaultESE_EEEENSA_INSB_IlSD_SE_SE_EEEEZNS1_13binary_searchIS3_S5_NSA_INS8_10device_ptrIyEEEESG_SI_NS1_21upper_bound_search_opENS9_16wrapped_functionINS8_6system6detail7generic6detail18binary_search_lessEbEEEE10hipError_tPvRmT1_T2_T3_mmT4_T5_P12ihipStream_tbEUlRKyE_EESV_SZ_S10_mS11_S14_bEUlT_E_NS1_11comp_targetILNS1_3genE9ELNS1_11target_archE1100ELNS1_3gpuE3ELNS1_3repE0EEENS1_30default_config_static_selectorELNS0_4arch9wavefront6targetE1EEEvSY_.has_indirect_call, 0
	.section	.AMDGPU.csdata,"",@progbits
; Kernel info:
; codeLenInByte = 0
; TotalNumSgprs: 4
; NumVgprs: 0
; ScratchSize: 0
; MemoryBound: 0
; FloatMode: 240
; IeeeMode: 1
; LDSByteSize: 0 bytes/workgroup (compile time only)
; SGPRBlocks: 0
; VGPRBlocks: 0
; NumSGPRsForWavesPerEU: 4
; NumVGPRsForWavesPerEU: 1
; Occupancy: 10
; WaveLimiterHint : 0
; COMPUTE_PGM_RSRC2:SCRATCH_EN: 0
; COMPUTE_PGM_RSRC2:USER_SGPR: 6
; COMPUTE_PGM_RSRC2:TRAP_HANDLER: 0
; COMPUTE_PGM_RSRC2:TGID_X_EN: 1
; COMPUTE_PGM_RSRC2:TGID_Y_EN: 0
; COMPUTE_PGM_RSRC2:TGID_Z_EN: 0
; COMPUTE_PGM_RSRC2:TIDIG_COMP_CNT: 0
	.section	.text._ZN7rocprim17ROCPRIM_400000_NS6detail17trampoline_kernelINS0_14default_configENS1_27upper_bound_config_selectorIylEEZNS1_14transform_implILb0ES3_S5_N6thrust23THRUST_200600_302600_NS6detail15normal_iteratorINS8_7pointerIyNS8_11hip_rocprim5par_tENS8_11use_defaultESE_EEEENSA_INSB_IlSD_SE_SE_EEEEZNS1_13binary_searchIS3_S5_NSA_INS8_10device_ptrIyEEEESG_SI_NS1_21upper_bound_search_opENS9_16wrapped_functionINS8_6system6detail7generic6detail18binary_search_lessEbEEEE10hipError_tPvRmT1_T2_T3_mmT4_T5_P12ihipStream_tbEUlRKyE_EESV_SZ_S10_mS11_S14_bEUlT_E_NS1_11comp_targetILNS1_3genE8ELNS1_11target_archE1030ELNS1_3gpuE2ELNS1_3repE0EEENS1_30default_config_static_selectorELNS0_4arch9wavefront6targetE1EEEvSY_,"axG",@progbits,_ZN7rocprim17ROCPRIM_400000_NS6detail17trampoline_kernelINS0_14default_configENS1_27upper_bound_config_selectorIylEEZNS1_14transform_implILb0ES3_S5_N6thrust23THRUST_200600_302600_NS6detail15normal_iteratorINS8_7pointerIyNS8_11hip_rocprim5par_tENS8_11use_defaultESE_EEEENSA_INSB_IlSD_SE_SE_EEEEZNS1_13binary_searchIS3_S5_NSA_INS8_10device_ptrIyEEEESG_SI_NS1_21upper_bound_search_opENS9_16wrapped_functionINS8_6system6detail7generic6detail18binary_search_lessEbEEEE10hipError_tPvRmT1_T2_T3_mmT4_T5_P12ihipStream_tbEUlRKyE_EESV_SZ_S10_mS11_S14_bEUlT_E_NS1_11comp_targetILNS1_3genE8ELNS1_11target_archE1030ELNS1_3gpuE2ELNS1_3repE0EEENS1_30default_config_static_selectorELNS0_4arch9wavefront6targetE1EEEvSY_,comdat
	.protected	_ZN7rocprim17ROCPRIM_400000_NS6detail17trampoline_kernelINS0_14default_configENS1_27upper_bound_config_selectorIylEEZNS1_14transform_implILb0ES3_S5_N6thrust23THRUST_200600_302600_NS6detail15normal_iteratorINS8_7pointerIyNS8_11hip_rocprim5par_tENS8_11use_defaultESE_EEEENSA_INSB_IlSD_SE_SE_EEEEZNS1_13binary_searchIS3_S5_NSA_INS8_10device_ptrIyEEEESG_SI_NS1_21upper_bound_search_opENS9_16wrapped_functionINS8_6system6detail7generic6detail18binary_search_lessEbEEEE10hipError_tPvRmT1_T2_T3_mmT4_T5_P12ihipStream_tbEUlRKyE_EESV_SZ_S10_mS11_S14_bEUlT_E_NS1_11comp_targetILNS1_3genE8ELNS1_11target_archE1030ELNS1_3gpuE2ELNS1_3repE0EEENS1_30default_config_static_selectorELNS0_4arch9wavefront6targetE1EEEvSY_ ; -- Begin function _ZN7rocprim17ROCPRIM_400000_NS6detail17trampoline_kernelINS0_14default_configENS1_27upper_bound_config_selectorIylEEZNS1_14transform_implILb0ES3_S5_N6thrust23THRUST_200600_302600_NS6detail15normal_iteratorINS8_7pointerIyNS8_11hip_rocprim5par_tENS8_11use_defaultESE_EEEENSA_INSB_IlSD_SE_SE_EEEEZNS1_13binary_searchIS3_S5_NSA_INS8_10device_ptrIyEEEESG_SI_NS1_21upper_bound_search_opENS9_16wrapped_functionINS8_6system6detail7generic6detail18binary_search_lessEbEEEE10hipError_tPvRmT1_T2_T3_mmT4_T5_P12ihipStream_tbEUlRKyE_EESV_SZ_S10_mS11_S14_bEUlT_E_NS1_11comp_targetILNS1_3genE8ELNS1_11target_archE1030ELNS1_3gpuE2ELNS1_3repE0EEENS1_30default_config_static_selectorELNS0_4arch9wavefront6targetE1EEEvSY_
	.globl	_ZN7rocprim17ROCPRIM_400000_NS6detail17trampoline_kernelINS0_14default_configENS1_27upper_bound_config_selectorIylEEZNS1_14transform_implILb0ES3_S5_N6thrust23THRUST_200600_302600_NS6detail15normal_iteratorINS8_7pointerIyNS8_11hip_rocprim5par_tENS8_11use_defaultESE_EEEENSA_INSB_IlSD_SE_SE_EEEEZNS1_13binary_searchIS3_S5_NSA_INS8_10device_ptrIyEEEESG_SI_NS1_21upper_bound_search_opENS9_16wrapped_functionINS8_6system6detail7generic6detail18binary_search_lessEbEEEE10hipError_tPvRmT1_T2_T3_mmT4_T5_P12ihipStream_tbEUlRKyE_EESV_SZ_S10_mS11_S14_bEUlT_E_NS1_11comp_targetILNS1_3genE8ELNS1_11target_archE1030ELNS1_3gpuE2ELNS1_3repE0EEENS1_30default_config_static_selectorELNS0_4arch9wavefront6targetE1EEEvSY_
	.p2align	8
	.type	_ZN7rocprim17ROCPRIM_400000_NS6detail17trampoline_kernelINS0_14default_configENS1_27upper_bound_config_selectorIylEEZNS1_14transform_implILb0ES3_S5_N6thrust23THRUST_200600_302600_NS6detail15normal_iteratorINS8_7pointerIyNS8_11hip_rocprim5par_tENS8_11use_defaultESE_EEEENSA_INSB_IlSD_SE_SE_EEEEZNS1_13binary_searchIS3_S5_NSA_INS8_10device_ptrIyEEEESG_SI_NS1_21upper_bound_search_opENS9_16wrapped_functionINS8_6system6detail7generic6detail18binary_search_lessEbEEEE10hipError_tPvRmT1_T2_T3_mmT4_T5_P12ihipStream_tbEUlRKyE_EESV_SZ_S10_mS11_S14_bEUlT_E_NS1_11comp_targetILNS1_3genE8ELNS1_11target_archE1030ELNS1_3gpuE2ELNS1_3repE0EEENS1_30default_config_static_selectorELNS0_4arch9wavefront6targetE1EEEvSY_,@function
_ZN7rocprim17ROCPRIM_400000_NS6detail17trampoline_kernelINS0_14default_configENS1_27upper_bound_config_selectorIylEEZNS1_14transform_implILb0ES3_S5_N6thrust23THRUST_200600_302600_NS6detail15normal_iteratorINS8_7pointerIyNS8_11hip_rocprim5par_tENS8_11use_defaultESE_EEEENSA_INSB_IlSD_SE_SE_EEEEZNS1_13binary_searchIS3_S5_NSA_INS8_10device_ptrIyEEEESG_SI_NS1_21upper_bound_search_opENS9_16wrapped_functionINS8_6system6detail7generic6detail18binary_search_lessEbEEEE10hipError_tPvRmT1_T2_T3_mmT4_T5_P12ihipStream_tbEUlRKyE_EESV_SZ_S10_mS11_S14_bEUlT_E_NS1_11comp_targetILNS1_3genE8ELNS1_11target_archE1030ELNS1_3gpuE2ELNS1_3repE0EEENS1_30default_config_static_selectorELNS0_4arch9wavefront6targetE1EEEvSY_: ; @_ZN7rocprim17ROCPRIM_400000_NS6detail17trampoline_kernelINS0_14default_configENS1_27upper_bound_config_selectorIylEEZNS1_14transform_implILb0ES3_S5_N6thrust23THRUST_200600_302600_NS6detail15normal_iteratorINS8_7pointerIyNS8_11hip_rocprim5par_tENS8_11use_defaultESE_EEEENSA_INSB_IlSD_SE_SE_EEEEZNS1_13binary_searchIS3_S5_NSA_INS8_10device_ptrIyEEEESG_SI_NS1_21upper_bound_search_opENS9_16wrapped_functionINS8_6system6detail7generic6detail18binary_search_lessEbEEEE10hipError_tPvRmT1_T2_T3_mmT4_T5_P12ihipStream_tbEUlRKyE_EESV_SZ_S10_mS11_S14_bEUlT_E_NS1_11comp_targetILNS1_3genE8ELNS1_11target_archE1030ELNS1_3gpuE2ELNS1_3repE0EEENS1_30default_config_static_selectorELNS0_4arch9wavefront6targetE1EEEvSY_
; %bb.0:
	.section	.rodata,"a",@progbits
	.p2align	6, 0x0
	.amdhsa_kernel _ZN7rocprim17ROCPRIM_400000_NS6detail17trampoline_kernelINS0_14default_configENS1_27upper_bound_config_selectorIylEEZNS1_14transform_implILb0ES3_S5_N6thrust23THRUST_200600_302600_NS6detail15normal_iteratorINS8_7pointerIyNS8_11hip_rocprim5par_tENS8_11use_defaultESE_EEEENSA_INSB_IlSD_SE_SE_EEEEZNS1_13binary_searchIS3_S5_NSA_INS8_10device_ptrIyEEEESG_SI_NS1_21upper_bound_search_opENS9_16wrapped_functionINS8_6system6detail7generic6detail18binary_search_lessEbEEEE10hipError_tPvRmT1_T2_T3_mmT4_T5_P12ihipStream_tbEUlRKyE_EESV_SZ_S10_mS11_S14_bEUlT_E_NS1_11comp_targetILNS1_3genE8ELNS1_11target_archE1030ELNS1_3gpuE2ELNS1_3repE0EEENS1_30default_config_static_selectorELNS0_4arch9wavefront6targetE1EEEvSY_
		.amdhsa_group_segment_fixed_size 0
		.amdhsa_private_segment_fixed_size 0
		.amdhsa_kernarg_size 56
		.amdhsa_user_sgpr_count 6
		.amdhsa_user_sgpr_private_segment_buffer 1
		.amdhsa_user_sgpr_dispatch_ptr 0
		.amdhsa_user_sgpr_queue_ptr 0
		.amdhsa_user_sgpr_kernarg_segment_ptr 1
		.amdhsa_user_sgpr_dispatch_id 0
		.amdhsa_user_sgpr_flat_scratch_init 0
		.amdhsa_user_sgpr_private_segment_size 0
		.amdhsa_uses_dynamic_stack 0
		.amdhsa_system_sgpr_private_segment_wavefront_offset 0
		.amdhsa_system_sgpr_workgroup_id_x 1
		.amdhsa_system_sgpr_workgroup_id_y 0
		.amdhsa_system_sgpr_workgroup_id_z 0
		.amdhsa_system_sgpr_workgroup_info 0
		.amdhsa_system_vgpr_workitem_id 0
		.amdhsa_next_free_vgpr 1
		.amdhsa_next_free_sgpr 0
		.amdhsa_reserve_vcc 0
		.amdhsa_reserve_flat_scratch 0
		.amdhsa_float_round_mode_32 0
		.amdhsa_float_round_mode_16_64 0
		.amdhsa_float_denorm_mode_32 3
		.amdhsa_float_denorm_mode_16_64 3
		.amdhsa_dx10_clamp 1
		.amdhsa_ieee_mode 1
		.amdhsa_fp16_overflow 0
		.amdhsa_exception_fp_ieee_invalid_op 0
		.amdhsa_exception_fp_denorm_src 0
		.amdhsa_exception_fp_ieee_div_zero 0
		.amdhsa_exception_fp_ieee_overflow 0
		.amdhsa_exception_fp_ieee_underflow 0
		.amdhsa_exception_fp_ieee_inexact 0
		.amdhsa_exception_int_div_zero 0
	.end_amdhsa_kernel
	.section	.text._ZN7rocprim17ROCPRIM_400000_NS6detail17trampoline_kernelINS0_14default_configENS1_27upper_bound_config_selectorIylEEZNS1_14transform_implILb0ES3_S5_N6thrust23THRUST_200600_302600_NS6detail15normal_iteratorINS8_7pointerIyNS8_11hip_rocprim5par_tENS8_11use_defaultESE_EEEENSA_INSB_IlSD_SE_SE_EEEEZNS1_13binary_searchIS3_S5_NSA_INS8_10device_ptrIyEEEESG_SI_NS1_21upper_bound_search_opENS9_16wrapped_functionINS8_6system6detail7generic6detail18binary_search_lessEbEEEE10hipError_tPvRmT1_T2_T3_mmT4_T5_P12ihipStream_tbEUlRKyE_EESV_SZ_S10_mS11_S14_bEUlT_E_NS1_11comp_targetILNS1_3genE8ELNS1_11target_archE1030ELNS1_3gpuE2ELNS1_3repE0EEENS1_30default_config_static_selectorELNS0_4arch9wavefront6targetE1EEEvSY_,"axG",@progbits,_ZN7rocprim17ROCPRIM_400000_NS6detail17trampoline_kernelINS0_14default_configENS1_27upper_bound_config_selectorIylEEZNS1_14transform_implILb0ES3_S5_N6thrust23THRUST_200600_302600_NS6detail15normal_iteratorINS8_7pointerIyNS8_11hip_rocprim5par_tENS8_11use_defaultESE_EEEENSA_INSB_IlSD_SE_SE_EEEEZNS1_13binary_searchIS3_S5_NSA_INS8_10device_ptrIyEEEESG_SI_NS1_21upper_bound_search_opENS9_16wrapped_functionINS8_6system6detail7generic6detail18binary_search_lessEbEEEE10hipError_tPvRmT1_T2_T3_mmT4_T5_P12ihipStream_tbEUlRKyE_EESV_SZ_S10_mS11_S14_bEUlT_E_NS1_11comp_targetILNS1_3genE8ELNS1_11target_archE1030ELNS1_3gpuE2ELNS1_3repE0EEENS1_30default_config_static_selectorELNS0_4arch9wavefront6targetE1EEEvSY_,comdat
.Lfunc_end544:
	.size	_ZN7rocprim17ROCPRIM_400000_NS6detail17trampoline_kernelINS0_14default_configENS1_27upper_bound_config_selectorIylEEZNS1_14transform_implILb0ES3_S5_N6thrust23THRUST_200600_302600_NS6detail15normal_iteratorINS8_7pointerIyNS8_11hip_rocprim5par_tENS8_11use_defaultESE_EEEENSA_INSB_IlSD_SE_SE_EEEEZNS1_13binary_searchIS3_S5_NSA_INS8_10device_ptrIyEEEESG_SI_NS1_21upper_bound_search_opENS9_16wrapped_functionINS8_6system6detail7generic6detail18binary_search_lessEbEEEE10hipError_tPvRmT1_T2_T3_mmT4_T5_P12ihipStream_tbEUlRKyE_EESV_SZ_S10_mS11_S14_bEUlT_E_NS1_11comp_targetILNS1_3genE8ELNS1_11target_archE1030ELNS1_3gpuE2ELNS1_3repE0EEENS1_30default_config_static_selectorELNS0_4arch9wavefront6targetE1EEEvSY_, .Lfunc_end544-_ZN7rocprim17ROCPRIM_400000_NS6detail17trampoline_kernelINS0_14default_configENS1_27upper_bound_config_selectorIylEEZNS1_14transform_implILb0ES3_S5_N6thrust23THRUST_200600_302600_NS6detail15normal_iteratorINS8_7pointerIyNS8_11hip_rocprim5par_tENS8_11use_defaultESE_EEEENSA_INSB_IlSD_SE_SE_EEEEZNS1_13binary_searchIS3_S5_NSA_INS8_10device_ptrIyEEEESG_SI_NS1_21upper_bound_search_opENS9_16wrapped_functionINS8_6system6detail7generic6detail18binary_search_lessEbEEEE10hipError_tPvRmT1_T2_T3_mmT4_T5_P12ihipStream_tbEUlRKyE_EESV_SZ_S10_mS11_S14_bEUlT_E_NS1_11comp_targetILNS1_3genE8ELNS1_11target_archE1030ELNS1_3gpuE2ELNS1_3repE0EEENS1_30default_config_static_selectorELNS0_4arch9wavefront6targetE1EEEvSY_
                                        ; -- End function
	.set _ZN7rocprim17ROCPRIM_400000_NS6detail17trampoline_kernelINS0_14default_configENS1_27upper_bound_config_selectorIylEEZNS1_14transform_implILb0ES3_S5_N6thrust23THRUST_200600_302600_NS6detail15normal_iteratorINS8_7pointerIyNS8_11hip_rocprim5par_tENS8_11use_defaultESE_EEEENSA_INSB_IlSD_SE_SE_EEEEZNS1_13binary_searchIS3_S5_NSA_INS8_10device_ptrIyEEEESG_SI_NS1_21upper_bound_search_opENS9_16wrapped_functionINS8_6system6detail7generic6detail18binary_search_lessEbEEEE10hipError_tPvRmT1_T2_T3_mmT4_T5_P12ihipStream_tbEUlRKyE_EESV_SZ_S10_mS11_S14_bEUlT_E_NS1_11comp_targetILNS1_3genE8ELNS1_11target_archE1030ELNS1_3gpuE2ELNS1_3repE0EEENS1_30default_config_static_selectorELNS0_4arch9wavefront6targetE1EEEvSY_.num_vgpr, 0
	.set _ZN7rocprim17ROCPRIM_400000_NS6detail17trampoline_kernelINS0_14default_configENS1_27upper_bound_config_selectorIylEEZNS1_14transform_implILb0ES3_S5_N6thrust23THRUST_200600_302600_NS6detail15normal_iteratorINS8_7pointerIyNS8_11hip_rocprim5par_tENS8_11use_defaultESE_EEEENSA_INSB_IlSD_SE_SE_EEEEZNS1_13binary_searchIS3_S5_NSA_INS8_10device_ptrIyEEEESG_SI_NS1_21upper_bound_search_opENS9_16wrapped_functionINS8_6system6detail7generic6detail18binary_search_lessEbEEEE10hipError_tPvRmT1_T2_T3_mmT4_T5_P12ihipStream_tbEUlRKyE_EESV_SZ_S10_mS11_S14_bEUlT_E_NS1_11comp_targetILNS1_3genE8ELNS1_11target_archE1030ELNS1_3gpuE2ELNS1_3repE0EEENS1_30default_config_static_selectorELNS0_4arch9wavefront6targetE1EEEvSY_.num_agpr, 0
	.set _ZN7rocprim17ROCPRIM_400000_NS6detail17trampoline_kernelINS0_14default_configENS1_27upper_bound_config_selectorIylEEZNS1_14transform_implILb0ES3_S5_N6thrust23THRUST_200600_302600_NS6detail15normal_iteratorINS8_7pointerIyNS8_11hip_rocprim5par_tENS8_11use_defaultESE_EEEENSA_INSB_IlSD_SE_SE_EEEEZNS1_13binary_searchIS3_S5_NSA_INS8_10device_ptrIyEEEESG_SI_NS1_21upper_bound_search_opENS9_16wrapped_functionINS8_6system6detail7generic6detail18binary_search_lessEbEEEE10hipError_tPvRmT1_T2_T3_mmT4_T5_P12ihipStream_tbEUlRKyE_EESV_SZ_S10_mS11_S14_bEUlT_E_NS1_11comp_targetILNS1_3genE8ELNS1_11target_archE1030ELNS1_3gpuE2ELNS1_3repE0EEENS1_30default_config_static_selectorELNS0_4arch9wavefront6targetE1EEEvSY_.numbered_sgpr, 0
	.set _ZN7rocprim17ROCPRIM_400000_NS6detail17trampoline_kernelINS0_14default_configENS1_27upper_bound_config_selectorIylEEZNS1_14transform_implILb0ES3_S5_N6thrust23THRUST_200600_302600_NS6detail15normal_iteratorINS8_7pointerIyNS8_11hip_rocprim5par_tENS8_11use_defaultESE_EEEENSA_INSB_IlSD_SE_SE_EEEEZNS1_13binary_searchIS3_S5_NSA_INS8_10device_ptrIyEEEESG_SI_NS1_21upper_bound_search_opENS9_16wrapped_functionINS8_6system6detail7generic6detail18binary_search_lessEbEEEE10hipError_tPvRmT1_T2_T3_mmT4_T5_P12ihipStream_tbEUlRKyE_EESV_SZ_S10_mS11_S14_bEUlT_E_NS1_11comp_targetILNS1_3genE8ELNS1_11target_archE1030ELNS1_3gpuE2ELNS1_3repE0EEENS1_30default_config_static_selectorELNS0_4arch9wavefront6targetE1EEEvSY_.num_named_barrier, 0
	.set _ZN7rocprim17ROCPRIM_400000_NS6detail17trampoline_kernelINS0_14default_configENS1_27upper_bound_config_selectorIylEEZNS1_14transform_implILb0ES3_S5_N6thrust23THRUST_200600_302600_NS6detail15normal_iteratorINS8_7pointerIyNS8_11hip_rocprim5par_tENS8_11use_defaultESE_EEEENSA_INSB_IlSD_SE_SE_EEEEZNS1_13binary_searchIS3_S5_NSA_INS8_10device_ptrIyEEEESG_SI_NS1_21upper_bound_search_opENS9_16wrapped_functionINS8_6system6detail7generic6detail18binary_search_lessEbEEEE10hipError_tPvRmT1_T2_T3_mmT4_T5_P12ihipStream_tbEUlRKyE_EESV_SZ_S10_mS11_S14_bEUlT_E_NS1_11comp_targetILNS1_3genE8ELNS1_11target_archE1030ELNS1_3gpuE2ELNS1_3repE0EEENS1_30default_config_static_selectorELNS0_4arch9wavefront6targetE1EEEvSY_.private_seg_size, 0
	.set _ZN7rocprim17ROCPRIM_400000_NS6detail17trampoline_kernelINS0_14default_configENS1_27upper_bound_config_selectorIylEEZNS1_14transform_implILb0ES3_S5_N6thrust23THRUST_200600_302600_NS6detail15normal_iteratorINS8_7pointerIyNS8_11hip_rocprim5par_tENS8_11use_defaultESE_EEEENSA_INSB_IlSD_SE_SE_EEEEZNS1_13binary_searchIS3_S5_NSA_INS8_10device_ptrIyEEEESG_SI_NS1_21upper_bound_search_opENS9_16wrapped_functionINS8_6system6detail7generic6detail18binary_search_lessEbEEEE10hipError_tPvRmT1_T2_T3_mmT4_T5_P12ihipStream_tbEUlRKyE_EESV_SZ_S10_mS11_S14_bEUlT_E_NS1_11comp_targetILNS1_3genE8ELNS1_11target_archE1030ELNS1_3gpuE2ELNS1_3repE0EEENS1_30default_config_static_selectorELNS0_4arch9wavefront6targetE1EEEvSY_.uses_vcc, 0
	.set _ZN7rocprim17ROCPRIM_400000_NS6detail17trampoline_kernelINS0_14default_configENS1_27upper_bound_config_selectorIylEEZNS1_14transform_implILb0ES3_S5_N6thrust23THRUST_200600_302600_NS6detail15normal_iteratorINS8_7pointerIyNS8_11hip_rocprim5par_tENS8_11use_defaultESE_EEEENSA_INSB_IlSD_SE_SE_EEEEZNS1_13binary_searchIS3_S5_NSA_INS8_10device_ptrIyEEEESG_SI_NS1_21upper_bound_search_opENS9_16wrapped_functionINS8_6system6detail7generic6detail18binary_search_lessEbEEEE10hipError_tPvRmT1_T2_T3_mmT4_T5_P12ihipStream_tbEUlRKyE_EESV_SZ_S10_mS11_S14_bEUlT_E_NS1_11comp_targetILNS1_3genE8ELNS1_11target_archE1030ELNS1_3gpuE2ELNS1_3repE0EEENS1_30default_config_static_selectorELNS0_4arch9wavefront6targetE1EEEvSY_.uses_flat_scratch, 0
	.set _ZN7rocprim17ROCPRIM_400000_NS6detail17trampoline_kernelINS0_14default_configENS1_27upper_bound_config_selectorIylEEZNS1_14transform_implILb0ES3_S5_N6thrust23THRUST_200600_302600_NS6detail15normal_iteratorINS8_7pointerIyNS8_11hip_rocprim5par_tENS8_11use_defaultESE_EEEENSA_INSB_IlSD_SE_SE_EEEEZNS1_13binary_searchIS3_S5_NSA_INS8_10device_ptrIyEEEESG_SI_NS1_21upper_bound_search_opENS9_16wrapped_functionINS8_6system6detail7generic6detail18binary_search_lessEbEEEE10hipError_tPvRmT1_T2_T3_mmT4_T5_P12ihipStream_tbEUlRKyE_EESV_SZ_S10_mS11_S14_bEUlT_E_NS1_11comp_targetILNS1_3genE8ELNS1_11target_archE1030ELNS1_3gpuE2ELNS1_3repE0EEENS1_30default_config_static_selectorELNS0_4arch9wavefront6targetE1EEEvSY_.has_dyn_sized_stack, 0
	.set _ZN7rocprim17ROCPRIM_400000_NS6detail17trampoline_kernelINS0_14default_configENS1_27upper_bound_config_selectorIylEEZNS1_14transform_implILb0ES3_S5_N6thrust23THRUST_200600_302600_NS6detail15normal_iteratorINS8_7pointerIyNS8_11hip_rocprim5par_tENS8_11use_defaultESE_EEEENSA_INSB_IlSD_SE_SE_EEEEZNS1_13binary_searchIS3_S5_NSA_INS8_10device_ptrIyEEEESG_SI_NS1_21upper_bound_search_opENS9_16wrapped_functionINS8_6system6detail7generic6detail18binary_search_lessEbEEEE10hipError_tPvRmT1_T2_T3_mmT4_T5_P12ihipStream_tbEUlRKyE_EESV_SZ_S10_mS11_S14_bEUlT_E_NS1_11comp_targetILNS1_3genE8ELNS1_11target_archE1030ELNS1_3gpuE2ELNS1_3repE0EEENS1_30default_config_static_selectorELNS0_4arch9wavefront6targetE1EEEvSY_.has_recursion, 0
	.set _ZN7rocprim17ROCPRIM_400000_NS6detail17trampoline_kernelINS0_14default_configENS1_27upper_bound_config_selectorIylEEZNS1_14transform_implILb0ES3_S5_N6thrust23THRUST_200600_302600_NS6detail15normal_iteratorINS8_7pointerIyNS8_11hip_rocprim5par_tENS8_11use_defaultESE_EEEENSA_INSB_IlSD_SE_SE_EEEEZNS1_13binary_searchIS3_S5_NSA_INS8_10device_ptrIyEEEESG_SI_NS1_21upper_bound_search_opENS9_16wrapped_functionINS8_6system6detail7generic6detail18binary_search_lessEbEEEE10hipError_tPvRmT1_T2_T3_mmT4_T5_P12ihipStream_tbEUlRKyE_EESV_SZ_S10_mS11_S14_bEUlT_E_NS1_11comp_targetILNS1_3genE8ELNS1_11target_archE1030ELNS1_3gpuE2ELNS1_3repE0EEENS1_30default_config_static_selectorELNS0_4arch9wavefront6targetE1EEEvSY_.has_indirect_call, 0
	.section	.AMDGPU.csdata,"",@progbits
; Kernel info:
; codeLenInByte = 0
; TotalNumSgprs: 4
; NumVgprs: 0
; ScratchSize: 0
; MemoryBound: 0
; FloatMode: 240
; IeeeMode: 1
; LDSByteSize: 0 bytes/workgroup (compile time only)
; SGPRBlocks: 0
; VGPRBlocks: 0
; NumSGPRsForWavesPerEU: 4
; NumVGPRsForWavesPerEU: 1
; Occupancy: 10
; WaveLimiterHint : 0
; COMPUTE_PGM_RSRC2:SCRATCH_EN: 0
; COMPUTE_PGM_RSRC2:USER_SGPR: 6
; COMPUTE_PGM_RSRC2:TRAP_HANDLER: 0
; COMPUTE_PGM_RSRC2:TGID_X_EN: 1
; COMPUTE_PGM_RSRC2:TGID_Y_EN: 0
; COMPUTE_PGM_RSRC2:TGID_Z_EN: 0
; COMPUTE_PGM_RSRC2:TIDIG_COMP_CNT: 0
	.section	.text._ZN7rocprim17ROCPRIM_400000_NS6detail17trampoline_kernelINS0_14default_configENS1_27upper_bound_config_selectorIjlEEZNS1_14transform_implILb0ES3_S5_N6thrust23THRUST_200600_302600_NS6detail15normal_iteratorINS8_7pointerIjNS8_11hip_rocprim5par_tENS8_11use_defaultESE_EEEENSA_INSB_IlSD_SE_SE_EEEEZNS1_13binary_searchIS3_S5_NSA_INS8_10device_ptrIjEEEESG_SI_NS1_21upper_bound_search_opENS9_16wrapped_functionINS8_6system6detail7generic6detail18binary_search_lessEbEEEE10hipError_tPvRmT1_T2_T3_mmT4_T5_P12ihipStream_tbEUlRKjE_EESV_SZ_S10_mS11_S14_bEUlT_E_NS1_11comp_targetILNS1_3genE0ELNS1_11target_archE4294967295ELNS1_3gpuE0ELNS1_3repE0EEENS1_30default_config_static_selectorELNS0_4arch9wavefront6targetE1EEEvSY_,"axG",@progbits,_ZN7rocprim17ROCPRIM_400000_NS6detail17trampoline_kernelINS0_14default_configENS1_27upper_bound_config_selectorIjlEEZNS1_14transform_implILb0ES3_S5_N6thrust23THRUST_200600_302600_NS6detail15normal_iteratorINS8_7pointerIjNS8_11hip_rocprim5par_tENS8_11use_defaultESE_EEEENSA_INSB_IlSD_SE_SE_EEEEZNS1_13binary_searchIS3_S5_NSA_INS8_10device_ptrIjEEEESG_SI_NS1_21upper_bound_search_opENS9_16wrapped_functionINS8_6system6detail7generic6detail18binary_search_lessEbEEEE10hipError_tPvRmT1_T2_T3_mmT4_T5_P12ihipStream_tbEUlRKjE_EESV_SZ_S10_mS11_S14_bEUlT_E_NS1_11comp_targetILNS1_3genE0ELNS1_11target_archE4294967295ELNS1_3gpuE0ELNS1_3repE0EEENS1_30default_config_static_selectorELNS0_4arch9wavefront6targetE1EEEvSY_,comdat
	.protected	_ZN7rocprim17ROCPRIM_400000_NS6detail17trampoline_kernelINS0_14default_configENS1_27upper_bound_config_selectorIjlEEZNS1_14transform_implILb0ES3_S5_N6thrust23THRUST_200600_302600_NS6detail15normal_iteratorINS8_7pointerIjNS8_11hip_rocprim5par_tENS8_11use_defaultESE_EEEENSA_INSB_IlSD_SE_SE_EEEEZNS1_13binary_searchIS3_S5_NSA_INS8_10device_ptrIjEEEESG_SI_NS1_21upper_bound_search_opENS9_16wrapped_functionINS8_6system6detail7generic6detail18binary_search_lessEbEEEE10hipError_tPvRmT1_T2_T3_mmT4_T5_P12ihipStream_tbEUlRKjE_EESV_SZ_S10_mS11_S14_bEUlT_E_NS1_11comp_targetILNS1_3genE0ELNS1_11target_archE4294967295ELNS1_3gpuE0ELNS1_3repE0EEENS1_30default_config_static_selectorELNS0_4arch9wavefront6targetE1EEEvSY_ ; -- Begin function _ZN7rocprim17ROCPRIM_400000_NS6detail17trampoline_kernelINS0_14default_configENS1_27upper_bound_config_selectorIjlEEZNS1_14transform_implILb0ES3_S5_N6thrust23THRUST_200600_302600_NS6detail15normal_iteratorINS8_7pointerIjNS8_11hip_rocprim5par_tENS8_11use_defaultESE_EEEENSA_INSB_IlSD_SE_SE_EEEEZNS1_13binary_searchIS3_S5_NSA_INS8_10device_ptrIjEEEESG_SI_NS1_21upper_bound_search_opENS9_16wrapped_functionINS8_6system6detail7generic6detail18binary_search_lessEbEEEE10hipError_tPvRmT1_T2_T3_mmT4_T5_P12ihipStream_tbEUlRKjE_EESV_SZ_S10_mS11_S14_bEUlT_E_NS1_11comp_targetILNS1_3genE0ELNS1_11target_archE4294967295ELNS1_3gpuE0ELNS1_3repE0EEENS1_30default_config_static_selectorELNS0_4arch9wavefront6targetE1EEEvSY_
	.globl	_ZN7rocprim17ROCPRIM_400000_NS6detail17trampoline_kernelINS0_14default_configENS1_27upper_bound_config_selectorIjlEEZNS1_14transform_implILb0ES3_S5_N6thrust23THRUST_200600_302600_NS6detail15normal_iteratorINS8_7pointerIjNS8_11hip_rocprim5par_tENS8_11use_defaultESE_EEEENSA_INSB_IlSD_SE_SE_EEEEZNS1_13binary_searchIS3_S5_NSA_INS8_10device_ptrIjEEEESG_SI_NS1_21upper_bound_search_opENS9_16wrapped_functionINS8_6system6detail7generic6detail18binary_search_lessEbEEEE10hipError_tPvRmT1_T2_T3_mmT4_T5_P12ihipStream_tbEUlRKjE_EESV_SZ_S10_mS11_S14_bEUlT_E_NS1_11comp_targetILNS1_3genE0ELNS1_11target_archE4294967295ELNS1_3gpuE0ELNS1_3repE0EEENS1_30default_config_static_selectorELNS0_4arch9wavefront6targetE1EEEvSY_
	.p2align	8
	.type	_ZN7rocprim17ROCPRIM_400000_NS6detail17trampoline_kernelINS0_14default_configENS1_27upper_bound_config_selectorIjlEEZNS1_14transform_implILb0ES3_S5_N6thrust23THRUST_200600_302600_NS6detail15normal_iteratorINS8_7pointerIjNS8_11hip_rocprim5par_tENS8_11use_defaultESE_EEEENSA_INSB_IlSD_SE_SE_EEEEZNS1_13binary_searchIS3_S5_NSA_INS8_10device_ptrIjEEEESG_SI_NS1_21upper_bound_search_opENS9_16wrapped_functionINS8_6system6detail7generic6detail18binary_search_lessEbEEEE10hipError_tPvRmT1_T2_T3_mmT4_T5_P12ihipStream_tbEUlRKjE_EESV_SZ_S10_mS11_S14_bEUlT_E_NS1_11comp_targetILNS1_3genE0ELNS1_11target_archE4294967295ELNS1_3gpuE0ELNS1_3repE0EEENS1_30default_config_static_selectorELNS0_4arch9wavefront6targetE1EEEvSY_,@function
_ZN7rocprim17ROCPRIM_400000_NS6detail17trampoline_kernelINS0_14default_configENS1_27upper_bound_config_selectorIjlEEZNS1_14transform_implILb0ES3_S5_N6thrust23THRUST_200600_302600_NS6detail15normal_iteratorINS8_7pointerIjNS8_11hip_rocprim5par_tENS8_11use_defaultESE_EEEENSA_INSB_IlSD_SE_SE_EEEEZNS1_13binary_searchIS3_S5_NSA_INS8_10device_ptrIjEEEESG_SI_NS1_21upper_bound_search_opENS9_16wrapped_functionINS8_6system6detail7generic6detail18binary_search_lessEbEEEE10hipError_tPvRmT1_T2_T3_mmT4_T5_P12ihipStream_tbEUlRKjE_EESV_SZ_S10_mS11_S14_bEUlT_E_NS1_11comp_targetILNS1_3genE0ELNS1_11target_archE4294967295ELNS1_3gpuE0ELNS1_3repE0EEENS1_30default_config_static_selectorELNS0_4arch9wavefront6targetE1EEEvSY_: ; @_ZN7rocprim17ROCPRIM_400000_NS6detail17trampoline_kernelINS0_14default_configENS1_27upper_bound_config_selectorIjlEEZNS1_14transform_implILb0ES3_S5_N6thrust23THRUST_200600_302600_NS6detail15normal_iteratorINS8_7pointerIjNS8_11hip_rocprim5par_tENS8_11use_defaultESE_EEEENSA_INSB_IlSD_SE_SE_EEEEZNS1_13binary_searchIS3_S5_NSA_INS8_10device_ptrIjEEEESG_SI_NS1_21upper_bound_search_opENS9_16wrapped_functionINS8_6system6detail7generic6detail18binary_search_lessEbEEEE10hipError_tPvRmT1_T2_T3_mmT4_T5_P12ihipStream_tbEUlRKjE_EESV_SZ_S10_mS11_S14_bEUlT_E_NS1_11comp_targetILNS1_3genE0ELNS1_11target_archE4294967295ELNS1_3gpuE0ELNS1_3repE0EEENS1_30default_config_static_selectorELNS0_4arch9wavefront6targetE1EEEvSY_
; %bb.0:
	.section	.rodata,"a",@progbits
	.p2align	6, 0x0
	.amdhsa_kernel _ZN7rocprim17ROCPRIM_400000_NS6detail17trampoline_kernelINS0_14default_configENS1_27upper_bound_config_selectorIjlEEZNS1_14transform_implILb0ES3_S5_N6thrust23THRUST_200600_302600_NS6detail15normal_iteratorINS8_7pointerIjNS8_11hip_rocprim5par_tENS8_11use_defaultESE_EEEENSA_INSB_IlSD_SE_SE_EEEEZNS1_13binary_searchIS3_S5_NSA_INS8_10device_ptrIjEEEESG_SI_NS1_21upper_bound_search_opENS9_16wrapped_functionINS8_6system6detail7generic6detail18binary_search_lessEbEEEE10hipError_tPvRmT1_T2_T3_mmT4_T5_P12ihipStream_tbEUlRKjE_EESV_SZ_S10_mS11_S14_bEUlT_E_NS1_11comp_targetILNS1_3genE0ELNS1_11target_archE4294967295ELNS1_3gpuE0ELNS1_3repE0EEENS1_30default_config_static_selectorELNS0_4arch9wavefront6targetE1EEEvSY_
		.amdhsa_group_segment_fixed_size 0
		.amdhsa_private_segment_fixed_size 0
		.amdhsa_kernarg_size 56
		.amdhsa_user_sgpr_count 6
		.amdhsa_user_sgpr_private_segment_buffer 1
		.amdhsa_user_sgpr_dispatch_ptr 0
		.amdhsa_user_sgpr_queue_ptr 0
		.amdhsa_user_sgpr_kernarg_segment_ptr 1
		.amdhsa_user_sgpr_dispatch_id 0
		.amdhsa_user_sgpr_flat_scratch_init 0
		.amdhsa_user_sgpr_private_segment_size 0
		.amdhsa_uses_dynamic_stack 0
		.amdhsa_system_sgpr_private_segment_wavefront_offset 0
		.amdhsa_system_sgpr_workgroup_id_x 1
		.amdhsa_system_sgpr_workgroup_id_y 0
		.amdhsa_system_sgpr_workgroup_id_z 0
		.amdhsa_system_sgpr_workgroup_info 0
		.amdhsa_system_vgpr_workitem_id 0
		.amdhsa_next_free_vgpr 1
		.amdhsa_next_free_sgpr 0
		.amdhsa_reserve_vcc 0
		.amdhsa_reserve_flat_scratch 0
		.amdhsa_float_round_mode_32 0
		.amdhsa_float_round_mode_16_64 0
		.amdhsa_float_denorm_mode_32 3
		.amdhsa_float_denorm_mode_16_64 3
		.amdhsa_dx10_clamp 1
		.amdhsa_ieee_mode 1
		.amdhsa_fp16_overflow 0
		.amdhsa_exception_fp_ieee_invalid_op 0
		.amdhsa_exception_fp_denorm_src 0
		.amdhsa_exception_fp_ieee_div_zero 0
		.amdhsa_exception_fp_ieee_overflow 0
		.amdhsa_exception_fp_ieee_underflow 0
		.amdhsa_exception_fp_ieee_inexact 0
		.amdhsa_exception_int_div_zero 0
	.end_amdhsa_kernel
	.section	.text._ZN7rocprim17ROCPRIM_400000_NS6detail17trampoline_kernelINS0_14default_configENS1_27upper_bound_config_selectorIjlEEZNS1_14transform_implILb0ES3_S5_N6thrust23THRUST_200600_302600_NS6detail15normal_iteratorINS8_7pointerIjNS8_11hip_rocprim5par_tENS8_11use_defaultESE_EEEENSA_INSB_IlSD_SE_SE_EEEEZNS1_13binary_searchIS3_S5_NSA_INS8_10device_ptrIjEEEESG_SI_NS1_21upper_bound_search_opENS9_16wrapped_functionINS8_6system6detail7generic6detail18binary_search_lessEbEEEE10hipError_tPvRmT1_T2_T3_mmT4_T5_P12ihipStream_tbEUlRKjE_EESV_SZ_S10_mS11_S14_bEUlT_E_NS1_11comp_targetILNS1_3genE0ELNS1_11target_archE4294967295ELNS1_3gpuE0ELNS1_3repE0EEENS1_30default_config_static_selectorELNS0_4arch9wavefront6targetE1EEEvSY_,"axG",@progbits,_ZN7rocprim17ROCPRIM_400000_NS6detail17trampoline_kernelINS0_14default_configENS1_27upper_bound_config_selectorIjlEEZNS1_14transform_implILb0ES3_S5_N6thrust23THRUST_200600_302600_NS6detail15normal_iteratorINS8_7pointerIjNS8_11hip_rocprim5par_tENS8_11use_defaultESE_EEEENSA_INSB_IlSD_SE_SE_EEEEZNS1_13binary_searchIS3_S5_NSA_INS8_10device_ptrIjEEEESG_SI_NS1_21upper_bound_search_opENS9_16wrapped_functionINS8_6system6detail7generic6detail18binary_search_lessEbEEEE10hipError_tPvRmT1_T2_T3_mmT4_T5_P12ihipStream_tbEUlRKjE_EESV_SZ_S10_mS11_S14_bEUlT_E_NS1_11comp_targetILNS1_3genE0ELNS1_11target_archE4294967295ELNS1_3gpuE0ELNS1_3repE0EEENS1_30default_config_static_selectorELNS0_4arch9wavefront6targetE1EEEvSY_,comdat
.Lfunc_end545:
	.size	_ZN7rocprim17ROCPRIM_400000_NS6detail17trampoline_kernelINS0_14default_configENS1_27upper_bound_config_selectorIjlEEZNS1_14transform_implILb0ES3_S5_N6thrust23THRUST_200600_302600_NS6detail15normal_iteratorINS8_7pointerIjNS8_11hip_rocprim5par_tENS8_11use_defaultESE_EEEENSA_INSB_IlSD_SE_SE_EEEEZNS1_13binary_searchIS3_S5_NSA_INS8_10device_ptrIjEEEESG_SI_NS1_21upper_bound_search_opENS9_16wrapped_functionINS8_6system6detail7generic6detail18binary_search_lessEbEEEE10hipError_tPvRmT1_T2_T3_mmT4_T5_P12ihipStream_tbEUlRKjE_EESV_SZ_S10_mS11_S14_bEUlT_E_NS1_11comp_targetILNS1_3genE0ELNS1_11target_archE4294967295ELNS1_3gpuE0ELNS1_3repE0EEENS1_30default_config_static_selectorELNS0_4arch9wavefront6targetE1EEEvSY_, .Lfunc_end545-_ZN7rocprim17ROCPRIM_400000_NS6detail17trampoline_kernelINS0_14default_configENS1_27upper_bound_config_selectorIjlEEZNS1_14transform_implILb0ES3_S5_N6thrust23THRUST_200600_302600_NS6detail15normal_iteratorINS8_7pointerIjNS8_11hip_rocprim5par_tENS8_11use_defaultESE_EEEENSA_INSB_IlSD_SE_SE_EEEEZNS1_13binary_searchIS3_S5_NSA_INS8_10device_ptrIjEEEESG_SI_NS1_21upper_bound_search_opENS9_16wrapped_functionINS8_6system6detail7generic6detail18binary_search_lessEbEEEE10hipError_tPvRmT1_T2_T3_mmT4_T5_P12ihipStream_tbEUlRKjE_EESV_SZ_S10_mS11_S14_bEUlT_E_NS1_11comp_targetILNS1_3genE0ELNS1_11target_archE4294967295ELNS1_3gpuE0ELNS1_3repE0EEENS1_30default_config_static_selectorELNS0_4arch9wavefront6targetE1EEEvSY_
                                        ; -- End function
	.set _ZN7rocprim17ROCPRIM_400000_NS6detail17trampoline_kernelINS0_14default_configENS1_27upper_bound_config_selectorIjlEEZNS1_14transform_implILb0ES3_S5_N6thrust23THRUST_200600_302600_NS6detail15normal_iteratorINS8_7pointerIjNS8_11hip_rocprim5par_tENS8_11use_defaultESE_EEEENSA_INSB_IlSD_SE_SE_EEEEZNS1_13binary_searchIS3_S5_NSA_INS8_10device_ptrIjEEEESG_SI_NS1_21upper_bound_search_opENS9_16wrapped_functionINS8_6system6detail7generic6detail18binary_search_lessEbEEEE10hipError_tPvRmT1_T2_T3_mmT4_T5_P12ihipStream_tbEUlRKjE_EESV_SZ_S10_mS11_S14_bEUlT_E_NS1_11comp_targetILNS1_3genE0ELNS1_11target_archE4294967295ELNS1_3gpuE0ELNS1_3repE0EEENS1_30default_config_static_selectorELNS0_4arch9wavefront6targetE1EEEvSY_.num_vgpr, 0
	.set _ZN7rocprim17ROCPRIM_400000_NS6detail17trampoline_kernelINS0_14default_configENS1_27upper_bound_config_selectorIjlEEZNS1_14transform_implILb0ES3_S5_N6thrust23THRUST_200600_302600_NS6detail15normal_iteratorINS8_7pointerIjNS8_11hip_rocprim5par_tENS8_11use_defaultESE_EEEENSA_INSB_IlSD_SE_SE_EEEEZNS1_13binary_searchIS3_S5_NSA_INS8_10device_ptrIjEEEESG_SI_NS1_21upper_bound_search_opENS9_16wrapped_functionINS8_6system6detail7generic6detail18binary_search_lessEbEEEE10hipError_tPvRmT1_T2_T3_mmT4_T5_P12ihipStream_tbEUlRKjE_EESV_SZ_S10_mS11_S14_bEUlT_E_NS1_11comp_targetILNS1_3genE0ELNS1_11target_archE4294967295ELNS1_3gpuE0ELNS1_3repE0EEENS1_30default_config_static_selectorELNS0_4arch9wavefront6targetE1EEEvSY_.num_agpr, 0
	.set _ZN7rocprim17ROCPRIM_400000_NS6detail17trampoline_kernelINS0_14default_configENS1_27upper_bound_config_selectorIjlEEZNS1_14transform_implILb0ES3_S5_N6thrust23THRUST_200600_302600_NS6detail15normal_iteratorINS8_7pointerIjNS8_11hip_rocprim5par_tENS8_11use_defaultESE_EEEENSA_INSB_IlSD_SE_SE_EEEEZNS1_13binary_searchIS3_S5_NSA_INS8_10device_ptrIjEEEESG_SI_NS1_21upper_bound_search_opENS9_16wrapped_functionINS8_6system6detail7generic6detail18binary_search_lessEbEEEE10hipError_tPvRmT1_T2_T3_mmT4_T5_P12ihipStream_tbEUlRKjE_EESV_SZ_S10_mS11_S14_bEUlT_E_NS1_11comp_targetILNS1_3genE0ELNS1_11target_archE4294967295ELNS1_3gpuE0ELNS1_3repE0EEENS1_30default_config_static_selectorELNS0_4arch9wavefront6targetE1EEEvSY_.numbered_sgpr, 0
	.set _ZN7rocprim17ROCPRIM_400000_NS6detail17trampoline_kernelINS0_14default_configENS1_27upper_bound_config_selectorIjlEEZNS1_14transform_implILb0ES3_S5_N6thrust23THRUST_200600_302600_NS6detail15normal_iteratorINS8_7pointerIjNS8_11hip_rocprim5par_tENS8_11use_defaultESE_EEEENSA_INSB_IlSD_SE_SE_EEEEZNS1_13binary_searchIS3_S5_NSA_INS8_10device_ptrIjEEEESG_SI_NS1_21upper_bound_search_opENS9_16wrapped_functionINS8_6system6detail7generic6detail18binary_search_lessEbEEEE10hipError_tPvRmT1_T2_T3_mmT4_T5_P12ihipStream_tbEUlRKjE_EESV_SZ_S10_mS11_S14_bEUlT_E_NS1_11comp_targetILNS1_3genE0ELNS1_11target_archE4294967295ELNS1_3gpuE0ELNS1_3repE0EEENS1_30default_config_static_selectorELNS0_4arch9wavefront6targetE1EEEvSY_.num_named_barrier, 0
	.set _ZN7rocprim17ROCPRIM_400000_NS6detail17trampoline_kernelINS0_14default_configENS1_27upper_bound_config_selectorIjlEEZNS1_14transform_implILb0ES3_S5_N6thrust23THRUST_200600_302600_NS6detail15normal_iteratorINS8_7pointerIjNS8_11hip_rocprim5par_tENS8_11use_defaultESE_EEEENSA_INSB_IlSD_SE_SE_EEEEZNS1_13binary_searchIS3_S5_NSA_INS8_10device_ptrIjEEEESG_SI_NS1_21upper_bound_search_opENS9_16wrapped_functionINS8_6system6detail7generic6detail18binary_search_lessEbEEEE10hipError_tPvRmT1_T2_T3_mmT4_T5_P12ihipStream_tbEUlRKjE_EESV_SZ_S10_mS11_S14_bEUlT_E_NS1_11comp_targetILNS1_3genE0ELNS1_11target_archE4294967295ELNS1_3gpuE0ELNS1_3repE0EEENS1_30default_config_static_selectorELNS0_4arch9wavefront6targetE1EEEvSY_.private_seg_size, 0
	.set _ZN7rocprim17ROCPRIM_400000_NS6detail17trampoline_kernelINS0_14default_configENS1_27upper_bound_config_selectorIjlEEZNS1_14transform_implILb0ES3_S5_N6thrust23THRUST_200600_302600_NS6detail15normal_iteratorINS8_7pointerIjNS8_11hip_rocprim5par_tENS8_11use_defaultESE_EEEENSA_INSB_IlSD_SE_SE_EEEEZNS1_13binary_searchIS3_S5_NSA_INS8_10device_ptrIjEEEESG_SI_NS1_21upper_bound_search_opENS9_16wrapped_functionINS8_6system6detail7generic6detail18binary_search_lessEbEEEE10hipError_tPvRmT1_T2_T3_mmT4_T5_P12ihipStream_tbEUlRKjE_EESV_SZ_S10_mS11_S14_bEUlT_E_NS1_11comp_targetILNS1_3genE0ELNS1_11target_archE4294967295ELNS1_3gpuE0ELNS1_3repE0EEENS1_30default_config_static_selectorELNS0_4arch9wavefront6targetE1EEEvSY_.uses_vcc, 0
	.set _ZN7rocprim17ROCPRIM_400000_NS6detail17trampoline_kernelINS0_14default_configENS1_27upper_bound_config_selectorIjlEEZNS1_14transform_implILb0ES3_S5_N6thrust23THRUST_200600_302600_NS6detail15normal_iteratorINS8_7pointerIjNS8_11hip_rocprim5par_tENS8_11use_defaultESE_EEEENSA_INSB_IlSD_SE_SE_EEEEZNS1_13binary_searchIS3_S5_NSA_INS8_10device_ptrIjEEEESG_SI_NS1_21upper_bound_search_opENS9_16wrapped_functionINS8_6system6detail7generic6detail18binary_search_lessEbEEEE10hipError_tPvRmT1_T2_T3_mmT4_T5_P12ihipStream_tbEUlRKjE_EESV_SZ_S10_mS11_S14_bEUlT_E_NS1_11comp_targetILNS1_3genE0ELNS1_11target_archE4294967295ELNS1_3gpuE0ELNS1_3repE0EEENS1_30default_config_static_selectorELNS0_4arch9wavefront6targetE1EEEvSY_.uses_flat_scratch, 0
	.set _ZN7rocprim17ROCPRIM_400000_NS6detail17trampoline_kernelINS0_14default_configENS1_27upper_bound_config_selectorIjlEEZNS1_14transform_implILb0ES3_S5_N6thrust23THRUST_200600_302600_NS6detail15normal_iteratorINS8_7pointerIjNS8_11hip_rocprim5par_tENS8_11use_defaultESE_EEEENSA_INSB_IlSD_SE_SE_EEEEZNS1_13binary_searchIS3_S5_NSA_INS8_10device_ptrIjEEEESG_SI_NS1_21upper_bound_search_opENS9_16wrapped_functionINS8_6system6detail7generic6detail18binary_search_lessEbEEEE10hipError_tPvRmT1_T2_T3_mmT4_T5_P12ihipStream_tbEUlRKjE_EESV_SZ_S10_mS11_S14_bEUlT_E_NS1_11comp_targetILNS1_3genE0ELNS1_11target_archE4294967295ELNS1_3gpuE0ELNS1_3repE0EEENS1_30default_config_static_selectorELNS0_4arch9wavefront6targetE1EEEvSY_.has_dyn_sized_stack, 0
	.set _ZN7rocprim17ROCPRIM_400000_NS6detail17trampoline_kernelINS0_14default_configENS1_27upper_bound_config_selectorIjlEEZNS1_14transform_implILb0ES3_S5_N6thrust23THRUST_200600_302600_NS6detail15normal_iteratorINS8_7pointerIjNS8_11hip_rocprim5par_tENS8_11use_defaultESE_EEEENSA_INSB_IlSD_SE_SE_EEEEZNS1_13binary_searchIS3_S5_NSA_INS8_10device_ptrIjEEEESG_SI_NS1_21upper_bound_search_opENS9_16wrapped_functionINS8_6system6detail7generic6detail18binary_search_lessEbEEEE10hipError_tPvRmT1_T2_T3_mmT4_T5_P12ihipStream_tbEUlRKjE_EESV_SZ_S10_mS11_S14_bEUlT_E_NS1_11comp_targetILNS1_3genE0ELNS1_11target_archE4294967295ELNS1_3gpuE0ELNS1_3repE0EEENS1_30default_config_static_selectorELNS0_4arch9wavefront6targetE1EEEvSY_.has_recursion, 0
	.set _ZN7rocprim17ROCPRIM_400000_NS6detail17trampoline_kernelINS0_14default_configENS1_27upper_bound_config_selectorIjlEEZNS1_14transform_implILb0ES3_S5_N6thrust23THRUST_200600_302600_NS6detail15normal_iteratorINS8_7pointerIjNS8_11hip_rocprim5par_tENS8_11use_defaultESE_EEEENSA_INSB_IlSD_SE_SE_EEEEZNS1_13binary_searchIS3_S5_NSA_INS8_10device_ptrIjEEEESG_SI_NS1_21upper_bound_search_opENS9_16wrapped_functionINS8_6system6detail7generic6detail18binary_search_lessEbEEEE10hipError_tPvRmT1_T2_T3_mmT4_T5_P12ihipStream_tbEUlRKjE_EESV_SZ_S10_mS11_S14_bEUlT_E_NS1_11comp_targetILNS1_3genE0ELNS1_11target_archE4294967295ELNS1_3gpuE0ELNS1_3repE0EEENS1_30default_config_static_selectorELNS0_4arch9wavefront6targetE1EEEvSY_.has_indirect_call, 0
	.section	.AMDGPU.csdata,"",@progbits
; Kernel info:
; codeLenInByte = 0
; TotalNumSgprs: 4
; NumVgprs: 0
; ScratchSize: 0
; MemoryBound: 0
; FloatMode: 240
; IeeeMode: 1
; LDSByteSize: 0 bytes/workgroup (compile time only)
; SGPRBlocks: 0
; VGPRBlocks: 0
; NumSGPRsForWavesPerEU: 4
; NumVGPRsForWavesPerEU: 1
; Occupancy: 10
; WaveLimiterHint : 0
; COMPUTE_PGM_RSRC2:SCRATCH_EN: 0
; COMPUTE_PGM_RSRC2:USER_SGPR: 6
; COMPUTE_PGM_RSRC2:TRAP_HANDLER: 0
; COMPUTE_PGM_RSRC2:TGID_X_EN: 1
; COMPUTE_PGM_RSRC2:TGID_Y_EN: 0
; COMPUTE_PGM_RSRC2:TGID_Z_EN: 0
; COMPUTE_PGM_RSRC2:TIDIG_COMP_CNT: 0
	.section	.text._ZN7rocprim17ROCPRIM_400000_NS6detail17trampoline_kernelINS0_14default_configENS1_27upper_bound_config_selectorIjlEEZNS1_14transform_implILb0ES3_S5_N6thrust23THRUST_200600_302600_NS6detail15normal_iteratorINS8_7pointerIjNS8_11hip_rocprim5par_tENS8_11use_defaultESE_EEEENSA_INSB_IlSD_SE_SE_EEEEZNS1_13binary_searchIS3_S5_NSA_INS8_10device_ptrIjEEEESG_SI_NS1_21upper_bound_search_opENS9_16wrapped_functionINS8_6system6detail7generic6detail18binary_search_lessEbEEEE10hipError_tPvRmT1_T2_T3_mmT4_T5_P12ihipStream_tbEUlRKjE_EESV_SZ_S10_mS11_S14_bEUlT_E_NS1_11comp_targetILNS1_3genE5ELNS1_11target_archE942ELNS1_3gpuE9ELNS1_3repE0EEENS1_30default_config_static_selectorELNS0_4arch9wavefront6targetE1EEEvSY_,"axG",@progbits,_ZN7rocprim17ROCPRIM_400000_NS6detail17trampoline_kernelINS0_14default_configENS1_27upper_bound_config_selectorIjlEEZNS1_14transform_implILb0ES3_S5_N6thrust23THRUST_200600_302600_NS6detail15normal_iteratorINS8_7pointerIjNS8_11hip_rocprim5par_tENS8_11use_defaultESE_EEEENSA_INSB_IlSD_SE_SE_EEEEZNS1_13binary_searchIS3_S5_NSA_INS8_10device_ptrIjEEEESG_SI_NS1_21upper_bound_search_opENS9_16wrapped_functionINS8_6system6detail7generic6detail18binary_search_lessEbEEEE10hipError_tPvRmT1_T2_T3_mmT4_T5_P12ihipStream_tbEUlRKjE_EESV_SZ_S10_mS11_S14_bEUlT_E_NS1_11comp_targetILNS1_3genE5ELNS1_11target_archE942ELNS1_3gpuE9ELNS1_3repE0EEENS1_30default_config_static_selectorELNS0_4arch9wavefront6targetE1EEEvSY_,comdat
	.protected	_ZN7rocprim17ROCPRIM_400000_NS6detail17trampoline_kernelINS0_14default_configENS1_27upper_bound_config_selectorIjlEEZNS1_14transform_implILb0ES3_S5_N6thrust23THRUST_200600_302600_NS6detail15normal_iteratorINS8_7pointerIjNS8_11hip_rocprim5par_tENS8_11use_defaultESE_EEEENSA_INSB_IlSD_SE_SE_EEEEZNS1_13binary_searchIS3_S5_NSA_INS8_10device_ptrIjEEEESG_SI_NS1_21upper_bound_search_opENS9_16wrapped_functionINS8_6system6detail7generic6detail18binary_search_lessEbEEEE10hipError_tPvRmT1_T2_T3_mmT4_T5_P12ihipStream_tbEUlRKjE_EESV_SZ_S10_mS11_S14_bEUlT_E_NS1_11comp_targetILNS1_3genE5ELNS1_11target_archE942ELNS1_3gpuE9ELNS1_3repE0EEENS1_30default_config_static_selectorELNS0_4arch9wavefront6targetE1EEEvSY_ ; -- Begin function _ZN7rocprim17ROCPRIM_400000_NS6detail17trampoline_kernelINS0_14default_configENS1_27upper_bound_config_selectorIjlEEZNS1_14transform_implILb0ES3_S5_N6thrust23THRUST_200600_302600_NS6detail15normal_iteratorINS8_7pointerIjNS8_11hip_rocprim5par_tENS8_11use_defaultESE_EEEENSA_INSB_IlSD_SE_SE_EEEEZNS1_13binary_searchIS3_S5_NSA_INS8_10device_ptrIjEEEESG_SI_NS1_21upper_bound_search_opENS9_16wrapped_functionINS8_6system6detail7generic6detail18binary_search_lessEbEEEE10hipError_tPvRmT1_T2_T3_mmT4_T5_P12ihipStream_tbEUlRKjE_EESV_SZ_S10_mS11_S14_bEUlT_E_NS1_11comp_targetILNS1_3genE5ELNS1_11target_archE942ELNS1_3gpuE9ELNS1_3repE0EEENS1_30default_config_static_selectorELNS0_4arch9wavefront6targetE1EEEvSY_
	.globl	_ZN7rocprim17ROCPRIM_400000_NS6detail17trampoline_kernelINS0_14default_configENS1_27upper_bound_config_selectorIjlEEZNS1_14transform_implILb0ES3_S5_N6thrust23THRUST_200600_302600_NS6detail15normal_iteratorINS8_7pointerIjNS8_11hip_rocprim5par_tENS8_11use_defaultESE_EEEENSA_INSB_IlSD_SE_SE_EEEEZNS1_13binary_searchIS3_S5_NSA_INS8_10device_ptrIjEEEESG_SI_NS1_21upper_bound_search_opENS9_16wrapped_functionINS8_6system6detail7generic6detail18binary_search_lessEbEEEE10hipError_tPvRmT1_T2_T3_mmT4_T5_P12ihipStream_tbEUlRKjE_EESV_SZ_S10_mS11_S14_bEUlT_E_NS1_11comp_targetILNS1_3genE5ELNS1_11target_archE942ELNS1_3gpuE9ELNS1_3repE0EEENS1_30default_config_static_selectorELNS0_4arch9wavefront6targetE1EEEvSY_
	.p2align	8
	.type	_ZN7rocprim17ROCPRIM_400000_NS6detail17trampoline_kernelINS0_14default_configENS1_27upper_bound_config_selectorIjlEEZNS1_14transform_implILb0ES3_S5_N6thrust23THRUST_200600_302600_NS6detail15normal_iteratorINS8_7pointerIjNS8_11hip_rocprim5par_tENS8_11use_defaultESE_EEEENSA_INSB_IlSD_SE_SE_EEEEZNS1_13binary_searchIS3_S5_NSA_INS8_10device_ptrIjEEEESG_SI_NS1_21upper_bound_search_opENS9_16wrapped_functionINS8_6system6detail7generic6detail18binary_search_lessEbEEEE10hipError_tPvRmT1_T2_T3_mmT4_T5_P12ihipStream_tbEUlRKjE_EESV_SZ_S10_mS11_S14_bEUlT_E_NS1_11comp_targetILNS1_3genE5ELNS1_11target_archE942ELNS1_3gpuE9ELNS1_3repE0EEENS1_30default_config_static_selectorELNS0_4arch9wavefront6targetE1EEEvSY_,@function
_ZN7rocprim17ROCPRIM_400000_NS6detail17trampoline_kernelINS0_14default_configENS1_27upper_bound_config_selectorIjlEEZNS1_14transform_implILb0ES3_S5_N6thrust23THRUST_200600_302600_NS6detail15normal_iteratorINS8_7pointerIjNS8_11hip_rocprim5par_tENS8_11use_defaultESE_EEEENSA_INSB_IlSD_SE_SE_EEEEZNS1_13binary_searchIS3_S5_NSA_INS8_10device_ptrIjEEEESG_SI_NS1_21upper_bound_search_opENS9_16wrapped_functionINS8_6system6detail7generic6detail18binary_search_lessEbEEEE10hipError_tPvRmT1_T2_T3_mmT4_T5_P12ihipStream_tbEUlRKjE_EESV_SZ_S10_mS11_S14_bEUlT_E_NS1_11comp_targetILNS1_3genE5ELNS1_11target_archE942ELNS1_3gpuE9ELNS1_3repE0EEENS1_30default_config_static_selectorELNS0_4arch9wavefront6targetE1EEEvSY_: ; @_ZN7rocprim17ROCPRIM_400000_NS6detail17trampoline_kernelINS0_14default_configENS1_27upper_bound_config_selectorIjlEEZNS1_14transform_implILb0ES3_S5_N6thrust23THRUST_200600_302600_NS6detail15normal_iteratorINS8_7pointerIjNS8_11hip_rocprim5par_tENS8_11use_defaultESE_EEEENSA_INSB_IlSD_SE_SE_EEEEZNS1_13binary_searchIS3_S5_NSA_INS8_10device_ptrIjEEEESG_SI_NS1_21upper_bound_search_opENS9_16wrapped_functionINS8_6system6detail7generic6detail18binary_search_lessEbEEEE10hipError_tPvRmT1_T2_T3_mmT4_T5_P12ihipStream_tbEUlRKjE_EESV_SZ_S10_mS11_S14_bEUlT_E_NS1_11comp_targetILNS1_3genE5ELNS1_11target_archE942ELNS1_3gpuE9ELNS1_3repE0EEENS1_30default_config_static_selectorELNS0_4arch9wavefront6targetE1EEEvSY_
; %bb.0:
	.section	.rodata,"a",@progbits
	.p2align	6, 0x0
	.amdhsa_kernel _ZN7rocprim17ROCPRIM_400000_NS6detail17trampoline_kernelINS0_14default_configENS1_27upper_bound_config_selectorIjlEEZNS1_14transform_implILb0ES3_S5_N6thrust23THRUST_200600_302600_NS6detail15normal_iteratorINS8_7pointerIjNS8_11hip_rocprim5par_tENS8_11use_defaultESE_EEEENSA_INSB_IlSD_SE_SE_EEEEZNS1_13binary_searchIS3_S5_NSA_INS8_10device_ptrIjEEEESG_SI_NS1_21upper_bound_search_opENS9_16wrapped_functionINS8_6system6detail7generic6detail18binary_search_lessEbEEEE10hipError_tPvRmT1_T2_T3_mmT4_T5_P12ihipStream_tbEUlRKjE_EESV_SZ_S10_mS11_S14_bEUlT_E_NS1_11comp_targetILNS1_3genE5ELNS1_11target_archE942ELNS1_3gpuE9ELNS1_3repE0EEENS1_30default_config_static_selectorELNS0_4arch9wavefront6targetE1EEEvSY_
		.amdhsa_group_segment_fixed_size 0
		.amdhsa_private_segment_fixed_size 0
		.amdhsa_kernarg_size 56
		.amdhsa_user_sgpr_count 6
		.amdhsa_user_sgpr_private_segment_buffer 1
		.amdhsa_user_sgpr_dispatch_ptr 0
		.amdhsa_user_sgpr_queue_ptr 0
		.amdhsa_user_sgpr_kernarg_segment_ptr 1
		.amdhsa_user_sgpr_dispatch_id 0
		.amdhsa_user_sgpr_flat_scratch_init 0
		.amdhsa_user_sgpr_private_segment_size 0
		.amdhsa_uses_dynamic_stack 0
		.amdhsa_system_sgpr_private_segment_wavefront_offset 0
		.amdhsa_system_sgpr_workgroup_id_x 1
		.amdhsa_system_sgpr_workgroup_id_y 0
		.amdhsa_system_sgpr_workgroup_id_z 0
		.amdhsa_system_sgpr_workgroup_info 0
		.amdhsa_system_vgpr_workitem_id 0
		.amdhsa_next_free_vgpr 1
		.amdhsa_next_free_sgpr 0
		.amdhsa_reserve_vcc 0
		.amdhsa_reserve_flat_scratch 0
		.amdhsa_float_round_mode_32 0
		.amdhsa_float_round_mode_16_64 0
		.amdhsa_float_denorm_mode_32 3
		.amdhsa_float_denorm_mode_16_64 3
		.amdhsa_dx10_clamp 1
		.amdhsa_ieee_mode 1
		.amdhsa_fp16_overflow 0
		.amdhsa_exception_fp_ieee_invalid_op 0
		.amdhsa_exception_fp_denorm_src 0
		.amdhsa_exception_fp_ieee_div_zero 0
		.amdhsa_exception_fp_ieee_overflow 0
		.amdhsa_exception_fp_ieee_underflow 0
		.amdhsa_exception_fp_ieee_inexact 0
		.amdhsa_exception_int_div_zero 0
	.end_amdhsa_kernel
	.section	.text._ZN7rocprim17ROCPRIM_400000_NS6detail17trampoline_kernelINS0_14default_configENS1_27upper_bound_config_selectorIjlEEZNS1_14transform_implILb0ES3_S5_N6thrust23THRUST_200600_302600_NS6detail15normal_iteratorINS8_7pointerIjNS8_11hip_rocprim5par_tENS8_11use_defaultESE_EEEENSA_INSB_IlSD_SE_SE_EEEEZNS1_13binary_searchIS3_S5_NSA_INS8_10device_ptrIjEEEESG_SI_NS1_21upper_bound_search_opENS9_16wrapped_functionINS8_6system6detail7generic6detail18binary_search_lessEbEEEE10hipError_tPvRmT1_T2_T3_mmT4_T5_P12ihipStream_tbEUlRKjE_EESV_SZ_S10_mS11_S14_bEUlT_E_NS1_11comp_targetILNS1_3genE5ELNS1_11target_archE942ELNS1_3gpuE9ELNS1_3repE0EEENS1_30default_config_static_selectorELNS0_4arch9wavefront6targetE1EEEvSY_,"axG",@progbits,_ZN7rocprim17ROCPRIM_400000_NS6detail17trampoline_kernelINS0_14default_configENS1_27upper_bound_config_selectorIjlEEZNS1_14transform_implILb0ES3_S5_N6thrust23THRUST_200600_302600_NS6detail15normal_iteratorINS8_7pointerIjNS8_11hip_rocprim5par_tENS8_11use_defaultESE_EEEENSA_INSB_IlSD_SE_SE_EEEEZNS1_13binary_searchIS3_S5_NSA_INS8_10device_ptrIjEEEESG_SI_NS1_21upper_bound_search_opENS9_16wrapped_functionINS8_6system6detail7generic6detail18binary_search_lessEbEEEE10hipError_tPvRmT1_T2_T3_mmT4_T5_P12ihipStream_tbEUlRKjE_EESV_SZ_S10_mS11_S14_bEUlT_E_NS1_11comp_targetILNS1_3genE5ELNS1_11target_archE942ELNS1_3gpuE9ELNS1_3repE0EEENS1_30default_config_static_selectorELNS0_4arch9wavefront6targetE1EEEvSY_,comdat
.Lfunc_end546:
	.size	_ZN7rocprim17ROCPRIM_400000_NS6detail17trampoline_kernelINS0_14default_configENS1_27upper_bound_config_selectorIjlEEZNS1_14transform_implILb0ES3_S5_N6thrust23THRUST_200600_302600_NS6detail15normal_iteratorINS8_7pointerIjNS8_11hip_rocprim5par_tENS8_11use_defaultESE_EEEENSA_INSB_IlSD_SE_SE_EEEEZNS1_13binary_searchIS3_S5_NSA_INS8_10device_ptrIjEEEESG_SI_NS1_21upper_bound_search_opENS9_16wrapped_functionINS8_6system6detail7generic6detail18binary_search_lessEbEEEE10hipError_tPvRmT1_T2_T3_mmT4_T5_P12ihipStream_tbEUlRKjE_EESV_SZ_S10_mS11_S14_bEUlT_E_NS1_11comp_targetILNS1_3genE5ELNS1_11target_archE942ELNS1_3gpuE9ELNS1_3repE0EEENS1_30default_config_static_selectorELNS0_4arch9wavefront6targetE1EEEvSY_, .Lfunc_end546-_ZN7rocprim17ROCPRIM_400000_NS6detail17trampoline_kernelINS0_14default_configENS1_27upper_bound_config_selectorIjlEEZNS1_14transform_implILb0ES3_S5_N6thrust23THRUST_200600_302600_NS6detail15normal_iteratorINS8_7pointerIjNS8_11hip_rocprim5par_tENS8_11use_defaultESE_EEEENSA_INSB_IlSD_SE_SE_EEEEZNS1_13binary_searchIS3_S5_NSA_INS8_10device_ptrIjEEEESG_SI_NS1_21upper_bound_search_opENS9_16wrapped_functionINS8_6system6detail7generic6detail18binary_search_lessEbEEEE10hipError_tPvRmT1_T2_T3_mmT4_T5_P12ihipStream_tbEUlRKjE_EESV_SZ_S10_mS11_S14_bEUlT_E_NS1_11comp_targetILNS1_3genE5ELNS1_11target_archE942ELNS1_3gpuE9ELNS1_3repE0EEENS1_30default_config_static_selectorELNS0_4arch9wavefront6targetE1EEEvSY_
                                        ; -- End function
	.set _ZN7rocprim17ROCPRIM_400000_NS6detail17trampoline_kernelINS0_14default_configENS1_27upper_bound_config_selectorIjlEEZNS1_14transform_implILb0ES3_S5_N6thrust23THRUST_200600_302600_NS6detail15normal_iteratorINS8_7pointerIjNS8_11hip_rocprim5par_tENS8_11use_defaultESE_EEEENSA_INSB_IlSD_SE_SE_EEEEZNS1_13binary_searchIS3_S5_NSA_INS8_10device_ptrIjEEEESG_SI_NS1_21upper_bound_search_opENS9_16wrapped_functionINS8_6system6detail7generic6detail18binary_search_lessEbEEEE10hipError_tPvRmT1_T2_T3_mmT4_T5_P12ihipStream_tbEUlRKjE_EESV_SZ_S10_mS11_S14_bEUlT_E_NS1_11comp_targetILNS1_3genE5ELNS1_11target_archE942ELNS1_3gpuE9ELNS1_3repE0EEENS1_30default_config_static_selectorELNS0_4arch9wavefront6targetE1EEEvSY_.num_vgpr, 0
	.set _ZN7rocprim17ROCPRIM_400000_NS6detail17trampoline_kernelINS0_14default_configENS1_27upper_bound_config_selectorIjlEEZNS1_14transform_implILb0ES3_S5_N6thrust23THRUST_200600_302600_NS6detail15normal_iteratorINS8_7pointerIjNS8_11hip_rocprim5par_tENS8_11use_defaultESE_EEEENSA_INSB_IlSD_SE_SE_EEEEZNS1_13binary_searchIS3_S5_NSA_INS8_10device_ptrIjEEEESG_SI_NS1_21upper_bound_search_opENS9_16wrapped_functionINS8_6system6detail7generic6detail18binary_search_lessEbEEEE10hipError_tPvRmT1_T2_T3_mmT4_T5_P12ihipStream_tbEUlRKjE_EESV_SZ_S10_mS11_S14_bEUlT_E_NS1_11comp_targetILNS1_3genE5ELNS1_11target_archE942ELNS1_3gpuE9ELNS1_3repE0EEENS1_30default_config_static_selectorELNS0_4arch9wavefront6targetE1EEEvSY_.num_agpr, 0
	.set _ZN7rocprim17ROCPRIM_400000_NS6detail17trampoline_kernelINS0_14default_configENS1_27upper_bound_config_selectorIjlEEZNS1_14transform_implILb0ES3_S5_N6thrust23THRUST_200600_302600_NS6detail15normal_iteratorINS8_7pointerIjNS8_11hip_rocprim5par_tENS8_11use_defaultESE_EEEENSA_INSB_IlSD_SE_SE_EEEEZNS1_13binary_searchIS3_S5_NSA_INS8_10device_ptrIjEEEESG_SI_NS1_21upper_bound_search_opENS9_16wrapped_functionINS8_6system6detail7generic6detail18binary_search_lessEbEEEE10hipError_tPvRmT1_T2_T3_mmT4_T5_P12ihipStream_tbEUlRKjE_EESV_SZ_S10_mS11_S14_bEUlT_E_NS1_11comp_targetILNS1_3genE5ELNS1_11target_archE942ELNS1_3gpuE9ELNS1_3repE0EEENS1_30default_config_static_selectorELNS0_4arch9wavefront6targetE1EEEvSY_.numbered_sgpr, 0
	.set _ZN7rocprim17ROCPRIM_400000_NS6detail17trampoline_kernelINS0_14default_configENS1_27upper_bound_config_selectorIjlEEZNS1_14transform_implILb0ES3_S5_N6thrust23THRUST_200600_302600_NS6detail15normal_iteratorINS8_7pointerIjNS8_11hip_rocprim5par_tENS8_11use_defaultESE_EEEENSA_INSB_IlSD_SE_SE_EEEEZNS1_13binary_searchIS3_S5_NSA_INS8_10device_ptrIjEEEESG_SI_NS1_21upper_bound_search_opENS9_16wrapped_functionINS8_6system6detail7generic6detail18binary_search_lessEbEEEE10hipError_tPvRmT1_T2_T3_mmT4_T5_P12ihipStream_tbEUlRKjE_EESV_SZ_S10_mS11_S14_bEUlT_E_NS1_11comp_targetILNS1_3genE5ELNS1_11target_archE942ELNS1_3gpuE9ELNS1_3repE0EEENS1_30default_config_static_selectorELNS0_4arch9wavefront6targetE1EEEvSY_.num_named_barrier, 0
	.set _ZN7rocprim17ROCPRIM_400000_NS6detail17trampoline_kernelINS0_14default_configENS1_27upper_bound_config_selectorIjlEEZNS1_14transform_implILb0ES3_S5_N6thrust23THRUST_200600_302600_NS6detail15normal_iteratorINS8_7pointerIjNS8_11hip_rocprim5par_tENS8_11use_defaultESE_EEEENSA_INSB_IlSD_SE_SE_EEEEZNS1_13binary_searchIS3_S5_NSA_INS8_10device_ptrIjEEEESG_SI_NS1_21upper_bound_search_opENS9_16wrapped_functionINS8_6system6detail7generic6detail18binary_search_lessEbEEEE10hipError_tPvRmT1_T2_T3_mmT4_T5_P12ihipStream_tbEUlRKjE_EESV_SZ_S10_mS11_S14_bEUlT_E_NS1_11comp_targetILNS1_3genE5ELNS1_11target_archE942ELNS1_3gpuE9ELNS1_3repE0EEENS1_30default_config_static_selectorELNS0_4arch9wavefront6targetE1EEEvSY_.private_seg_size, 0
	.set _ZN7rocprim17ROCPRIM_400000_NS6detail17trampoline_kernelINS0_14default_configENS1_27upper_bound_config_selectorIjlEEZNS1_14transform_implILb0ES3_S5_N6thrust23THRUST_200600_302600_NS6detail15normal_iteratorINS8_7pointerIjNS8_11hip_rocprim5par_tENS8_11use_defaultESE_EEEENSA_INSB_IlSD_SE_SE_EEEEZNS1_13binary_searchIS3_S5_NSA_INS8_10device_ptrIjEEEESG_SI_NS1_21upper_bound_search_opENS9_16wrapped_functionINS8_6system6detail7generic6detail18binary_search_lessEbEEEE10hipError_tPvRmT1_T2_T3_mmT4_T5_P12ihipStream_tbEUlRKjE_EESV_SZ_S10_mS11_S14_bEUlT_E_NS1_11comp_targetILNS1_3genE5ELNS1_11target_archE942ELNS1_3gpuE9ELNS1_3repE0EEENS1_30default_config_static_selectorELNS0_4arch9wavefront6targetE1EEEvSY_.uses_vcc, 0
	.set _ZN7rocprim17ROCPRIM_400000_NS6detail17trampoline_kernelINS0_14default_configENS1_27upper_bound_config_selectorIjlEEZNS1_14transform_implILb0ES3_S5_N6thrust23THRUST_200600_302600_NS6detail15normal_iteratorINS8_7pointerIjNS8_11hip_rocprim5par_tENS8_11use_defaultESE_EEEENSA_INSB_IlSD_SE_SE_EEEEZNS1_13binary_searchIS3_S5_NSA_INS8_10device_ptrIjEEEESG_SI_NS1_21upper_bound_search_opENS9_16wrapped_functionINS8_6system6detail7generic6detail18binary_search_lessEbEEEE10hipError_tPvRmT1_T2_T3_mmT4_T5_P12ihipStream_tbEUlRKjE_EESV_SZ_S10_mS11_S14_bEUlT_E_NS1_11comp_targetILNS1_3genE5ELNS1_11target_archE942ELNS1_3gpuE9ELNS1_3repE0EEENS1_30default_config_static_selectorELNS0_4arch9wavefront6targetE1EEEvSY_.uses_flat_scratch, 0
	.set _ZN7rocprim17ROCPRIM_400000_NS6detail17trampoline_kernelINS0_14default_configENS1_27upper_bound_config_selectorIjlEEZNS1_14transform_implILb0ES3_S5_N6thrust23THRUST_200600_302600_NS6detail15normal_iteratorINS8_7pointerIjNS8_11hip_rocprim5par_tENS8_11use_defaultESE_EEEENSA_INSB_IlSD_SE_SE_EEEEZNS1_13binary_searchIS3_S5_NSA_INS8_10device_ptrIjEEEESG_SI_NS1_21upper_bound_search_opENS9_16wrapped_functionINS8_6system6detail7generic6detail18binary_search_lessEbEEEE10hipError_tPvRmT1_T2_T3_mmT4_T5_P12ihipStream_tbEUlRKjE_EESV_SZ_S10_mS11_S14_bEUlT_E_NS1_11comp_targetILNS1_3genE5ELNS1_11target_archE942ELNS1_3gpuE9ELNS1_3repE0EEENS1_30default_config_static_selectorELNS0_4arch9wavefront6targetE1EEEvSY_.has_dyn_sized_stack, 0
	.set _ZN7rocprim17ROCPRIM_400000_NS6detail17trampoline_kernelINS0_14default_configENS1_27upper_bound_config_selectorIjlEEZNS1_14transform_implILb0ES3_S5_N6thrust23THRUST_200600_302600_NS6detail15normal_iteratorINS8_7pointerIjNS8_11hip_rocprim5par_tENS8_11use_defaultESE_EEEENSA_INSB_IlSD_SE_SE_EEEEZNS1_13binary_searchIS3_S5_NSA_INS8_10device_ptrIjEEEESG_SI_NS1_21upper_bound_search_opENS9_16wrapped_functionINS8_6system6detail7generic6detail18binary_search_lessEbEEEE10hipError_tPvRmT1_T2_T3_mmT4_T5_P12ihipStream_tbEUlRKjE_EESV_SZ_S10_mS11_S14_bEUlT_E_NS1_11comp_targetILNS1_3genE5ELNS1_11target_archE942ELNS1_3gpuE9ELNS1_3repE0EEENS1_30default_config_static_selectorELNS0_4arch9wavefront6targetE1EEEvSY_.has_recursion, 0
	.set _ZN7rocprim17ROCPRIM_400000_NS6detail17trampoline_kernelINS0_14default_configENS1_27upper_bound_config_selectorIjlEEZNS1_14transform_implILb0ES3_S5_N6thrust23THRUST_200600_302600_NS6detail15normal_iteratorINS8_7pointerIjNS8_11hip_rocprim5par_tENS8_11use_defaultESE_EEEENSA_INSB_IlSD_SE_SE_EEEEZNS1_13binary_searchIS3_S5_NSA_INS8_10device_ptrIjEEEESG_SI_NS1_21upper_bound_search_opENS9_16wrapped_functionINS8_6system6detail7generic6detail18binary_search_lessEbEEEE10hipError_tPvRmT1_T2_T3_mmT4_T5_P12ihipStream_tbEUlRKjE_EESV_SZ_S10_mS11_S14_bEUlT_E_NS1_11comp_targetILNS1_3genE5ELNS1_11target_archE942ELNS1_3gpuE9ELNS1_3repE0EEENS1_30default_config_static_selectorELNS0_4arch9wavefront6targetE1EEEvSY_.has_indirect_call, 0
	.section	.AMDGPU.csdata,"",@progbits
; Kernel info:
; codeLenInByte = 0
; TotalNumSgprs: 4
; NumVgprs: 0
; ScratchSize: 0
; MemoryBound: 0
; FloatMode: 240
; IeeeMode: 1
; LDSByteSize: 0 bytes/workgroup (compile time only)
; SGPRBlocks: 0
; VGPRBlocks: 0
; NumSGPRsForWavesPerEU: 4
; NumVGPRsForWavesPerEU: 1
; Occupancy: 10
; WaveLimiterHint : 0
; COMPUTE_PGM_RSRC2:SCRATCH_EN: 0
; COMPUTE_PGM_RSRC2:USER_SGPR: 6
; COMPUTE_PGM_RSRC2:TRAP_HANDLER: 0
; COMPUTE_PGM_RSRC2:TGID_X_EN: 1
; COMPUTE_PGM_RSRC2:TGID_Y_EN: 0
; COMPUTE_PGM_RSRC2:TGID_Z_EN: 0
; COMPUTE_PGM_RSRC2:TIDIG_COMP_CNT: 0
	.section	.text._ZN7rocprim17ROCPRIM_400000_NS6detail17trampoline_kernelINS0_14default_configENS1_27upper_bound_config_selectorIjlEEZNS1_14transform_implILb0ES3_S5_N6thrust23THRUST_200600_302600_NS6detail15normal_iteratorINS8_7pointerIjNS8_11hip_rocprim5par_tENS8_11use_defaultESE_EEEENSA_INSB_IlSD_SE_SE_EEEEZNS1_13binary_searchIS3_S5_NSA_INS8_10device_ptrIjEEEESG_SI_NS1_21upper_bound_search_opENS9_16wrapped_functionINS8_6system6detail7generic6detail18binary_search_lessEbEEEE10hipError_tPvRmT1_T2_T3_mmT4_T5_P12ihipStream_tbEUlRKjE_EESV_SZ_S10_mS11_S14_bEUlT_E_NS1_11comp_targetILNS1_3genE4ELNS1_11target_archE910ELNS1_3gpuE8ELNS1_3repE0EEENS1_30default_config_static_selectorELNS0_4arch9wavefront6targetE1EEEvSY_,"axG",@progbits,_ZN7rocprim17ROCPRIM_400000_NS6detail17trampoline_kernelINS0_14default_configENS1_27upper_bound_config_selectorIjlEEZNS1_14transform_implILb0ES3_S5_N6thrust23THRUST_200600_302600_NS6detail15normal_iteratorINS8_7pointerIjNS8_11hip_rocprim5par_tENS8_11use_defaultESE_EEEENSA_INSB_IlSD_SE_SE_EEEEZNS1_13binary_searchIS3_S5_NSA_INS8_10device_ptrIjEEEESG_SI_NS1_21upper_bound_search_opENS9_16wrapped_functionINS8_6system6detail7generic6detail18binary_search_lessEbEEEE10hipError_tPvRmT1_T2_T3_mmT4_T5_P12ihipStream_tbEUlRKjE_EESV_SZ_S10_mS11_S14_bEUlT_E_NS1_11comp_targetILNS1_3genE4ELNS1_11target_archE910ELNS1_3gpuE8ELNS1_3repE0EEENS1_30default_config_static_selectorELNS0_4arch9wavefront6targetE1EEEvSY_,comdat
	.protected	_ZN7rocprim17ROCPRIM_400000_NS6detail17trampoline_kernelINS0_14default_configENS1_27upper_bound_config_selectorIjlEEZNS1_14transform_implILb0ES3_S5_N6thrust23THRUST_200600_302600_NS6detail15normal_iteratorINS8_7pointerIjNS8_11hip_rocprim5par_tENS8_11use_defaultESE_EEEENSA_INSB_IlSD_SE_SE_EEEEZNS1_13binary_searchIS3_S5_NSA_INS8_10device_ptrIjEEEESG_SI_NS1_21upper_bound_search_opENS9_16wrapped_functionINS8_6system6detail7generic6detail18binary_search_lessEbEEEE10hipError_tPvRmT1_T2_T3_mmT4_T5_P12ihipStream_tbEUlRKjE_EESV_SZ_S10_mS11_S14_bEUlT_E_NS1_11comp_targetILNS1_3genE4ELNS1_11target_archE910ELNS1_3gpuE8ELNS1_3repE0EEENS1_30default_config_static_selectorELNS0_4arch9wavefront6targetE1EEEvSY_ ; -- Begin function _ZN7rocprim17ROCPRIM_400000_NS6detail17trampoline_kernelINS0_14default_configENS1_27upper_bound_config_selectorIjlEEZNS1_14transform_implILb0ES3_S5_N6thrust23THRUST_200600_302600_NS6detail15normal_iteratorINS8_7pointerIjNS8_11hip_rocprim5par_tENS8_11use_defaultESE_EEEENSA_INSB_IlSD_SE_SE_EEEEZNS1_13binary_searchIS3_S5_NSA_INS8_10device_ptrIjEEEESG_SI_NS1_21upper_bound_search_opENS9_16wrapped_functionINS8_6system6detail7generic6detail18binary_search_lessEbEEEE10hipError_tPvRmT1_T2_T3_mmT4_T5_P12ihipStream_tbEUlRKjE_EESV_SZ_S10_mS11_S14_bEUlT_E_NS1_11comp_targetILNS1_3genE4ELNS1_11target_archE910ELNS1_3gpuE8ELNS1_3repE0EEENS1_30default_config_static_selectorELNS0_4arch9wavefront6targetE1EEEvSY_
	.globl	_ZN7rocprim17ROCPRIM_400000_NS6detail17trampoline_kernelINS0_14default_configENS1_27upper_bound_config_selectorIjlEEZNS1_14transform_implILb0ES3_S5_N6thrust23THRUST_200600_302600_NS6detail15normal_iteratorINS8_7pointerIjNS8_11hip_rocprim5par_tENS8_11use_defaultESE_EEEENSA_INSB_IlSD_SE_SE_EEEEZNS1_13binary_searchIS3_S5_NSA_INS8_10device_ptrIjEEEESG_SI_NS1_21upper_bound_search_opENS9_16wrapped_functionINS8_6system6detail7generic6detail18binary_search_lessEbEEEE10hipError_tPvRmT1_T2_T3_mmT4_T5_P12ihipStream_tbEUlRKjE_EESV_SZ_S10_mS11_S14_bEUlT_E_NS1_11comp_targetILNS1_3genE4ELNS1_11target_archE910ELNS1_3gpuE8ELNS1_3repE0EEENS1_30default_config_static_selectorELNS0_4arch9wavefront6targetE1EEEvSY_
	.p2align	8
	.type	_ZN7rocprim17ROCPRIM_400000_NS6detail17trampoline_kernelINS0_14default_configENS1_27upper_bound_config_selectorIjlEEZNS1_14transform_implILb0ES3_S5_N6thrust23THRUST_200600_302600_NS6detail15normal_iteratorINS8_7pointerIjNS8_11hip_rocprim5par_tENS8_11use_defaultESE_EEEENSA_INSB_IlSD_SE_SE_EEEEZNS1_13binary_searchIS3_S5_NSA_INS8_10device_ptrIjEEEESG_SI_NS1_21upper_bound_search_opENS9_16wrapped_functionINS8_6system6detail7generic6detail18binary_search_lessEbEEEE10hipError_tPvRmT1_T2_T3_mmT4_T5_P12ihipStream_tbEUlRKjE_EESV_SZ_S10_mS11_S14_bEUlT_E_NS1_11comp_targetILNS1_3genE4ELNS1_11target_archE910ELNS1_3gpuE8ELNS1_3repE0EEENS1_30default_config_static_selectorELNS0_4arch9wavefront6targetE1EEEvSY_,@function
_ZN7rocprim17ROCPRIM_400000_NS6detail17trampoline_kernelINS0_14default_configENS1_27upper_bound_config_selectorIjlEEZNS1_14transform_implILb0ES3_S5_N6thrust23THRUST_200600_302600_NS6detail15normal_iteratorINS8_7pointerIjNS8_11hip_rocprim5par_tENS8_11use_defaultESE_EEEENSA_INSB_IlSD_SE_SE_EEEEZNS1_13binary_searchIS3_S5_NSA_INS8_10device_ptrIjEEEESG_SI_NS1_21upper_bound_search_opENS9_16wrapped_functionINS8_6system6detail7generic6detail18binary_search_lessEbEEEE10hipError_tPvRmT1_T2_T3_mmT4_T5_P12ihipStream_tbEUlRKjE_EESV_SZ_S10_mS11_S14_bEUlT_E_NS1_11comp_targetILNS1_3genE4ELNS1_11target_archE910ELNS1_3gpuE8ELNS1_3repE0EEENS1_30default_config_static_selectorELNS0_4arch9wavefront6targetE1EEEvSY_: ; @_ZN7rocprim17ROCPRIM_400000_NS6detail17trampoline_kernelINS0_14default_configENS1_27upper_bound_config_selectorIjlEEZNS1_14transform_implILb0ES3_S5_N6thrust23THRUST_200600_302600_NS6detail15normal_iteratorINS8_7pointerIjNS8_11hip_rocprim5par_tENS8_11use_defaultESE_EEEENSA_INSB_IlSD_SE_SE_EEEEZNS1_13binary_searchIS3_S5_NSA_INS8_10device_ptrIjEEEESG_SI_NS1_21upper_bound_search_opENS9_16wrapped_functionINS8_6system6detail7generic6detail18binary_search_lessEbEEEE10hipError_tPvRmT1_T2_T3_mmT4_T5_P12ihipStream_tbEUlRKjE_EESV_SZ_S10_mS11_S14_bEUlT_E_NS1_11comp_targetILNS1_3genE4ELNS1_11target_archE910ELNS1_3gpuE8ELNS1_3repE0EEENS1_30default_config_static_selectorELNS0_4arch9wavefront6targetE1EEEvSY_
; %bb.0:
	.section	.rodata,"a",@progbits
	.p2align	6, 0x0
	.amdhsa_kernel _ZN7rocprim17ROCPRIM_400000_NS6detail17trampoline_kernelINS0_14default_configENS1_27upper_bound_config_selectorIjlEEZNS1_14transform_implILb0ES3_S5_N6thrust23THRUST_200600_302600_NS6detail15normal_iteratorINS8_7pointerIjNS8_11hip_rocprim5par_tENS8_11use_defaultESE_EEEENSA_INSB_IlSD_SE_SE_EEEEZNS1_13binary_searchIS3_S5_NSA_INS8_10device_ptrIjEEEESG_SI_NS1_21upper_bound_search_opENS9_16wrapped_functionINS8_6system6detail7generic6detail18binary_search_lessEbEEEE10hipError_tPvRmT1_T2_T3_mmT4_T5_P12ihipStream_tbEUlRKjE_EESV_SZ_S10_mS11_S14_bEUlT_E_NS1_11comp_targetILNS1_3genE4ELNS1_11target_archE910ELNS1_3gpuE8ELNS1_3repE0EEENS1_30default_config_static_selectorELNS0_4arch9wavefront6targetE1EEEvSY_
		.amdhsa_group_segment_fixed_size 0
		.amdhsa_private_segment_fixed_size 0
		.amdhsa_kernarg_size 56
		.amdhsa_user_sgpr_count 6
		.amdhsa_user_sgpr_private_segment_buffer 1
		.amdhsa_user_sgpr_dispatch_ptr 0
		.amdhsa_user_sgpr_queue_ptr 0
		.amdhsa_user_sgpr_kernarg_segment_ptr 1
		.amdhsa_user_sgpr_dispatch_id 0
		.amdhsa_user_sgpr_flat_scratch_init 0
		.amdhsa_user_sgpr_private_segment_size 0
		.amdhsa_uses_dynamic_stack 0
		.amdhsa_system_sgpr_private_segment_wavefront_offset 0
		.amdhsa_system_sgpr_workgroup_id_x 1
		.amdhsa_system_sgpr_workgroup_id_y 0
		.amdhsa_system_sgpr_workgroup_id_z 0
		.amdhsa_system_sgpr_workgroup_info 0
		.amdhsa_system_vgpr_workitem_id 0
		.amdhsa_next_free_vgpr 1
		.amdhsa_next_free_sgpr 0
		.amdhsa_reserve_vcc 0
		.amdhsa_reserve_flat_scratch 0
		.amdhsa_float_round_mode_32 0
		.amdhsa_float_round_mode_16_64 0
		.amdhsa_float_denorm_mode_32 3
		.amdhsa_float_denorm_mode_16_64 3
		.amdhsa_dx10_clamp 1
		.amdhsa_ieee_mode 1
		.amdhsa_fp16_overflow 0
		.amdhsa_exception_fp_ieee_invalid_op 0
		.amdhsa_exception_fp_denorm_src 0
		.amdhsa_exception_fp_ieee_div_zero 0
		.amdhsa_exception_fp_ieee_overflow 0
		.amdhsa_exception_fp_ieee_underflow 0
		.amdhsa_exception_fp_ieee_inexact 0
		.amdhsa_exception_int_div_zero 0
	.end_amdhsa_kernel
	.section	.text._ZN7rocprim17ROCPRIM_400000_NS6detail17trampoline_kernelINS0_14default_configENS1_27upper_bound_config_selectorIjlEEZNS1_14transform_implILb0ES3_S5_N6thrust23THRUST_200600_302600_NS6detail15normal_iteratorINS8_7pointerIjNS8_11hip_rocprim5par_tENS8_11use_defaultESE_EEEENSA_INSB_IlSD_SE_SE_EEEEZNS1_13binary_searchIS3_S5_NSA_INS8_10device_ptrIjEEEESG_SI_NS1_21upper_bound_search_opENS9_16wrapped_functionINS8_6system6detail7generic6detail18binary_search_lessEbEEEE10hipError_tPvRmT1_T2_T3_mmT4_T5_P12ihipStream_tbEUlRKjE_EESV_SZ_S10_mS11_S14_bEUlT_E_NS1_11comp_targetILNS1_3genE4ELNS1_11target_archE910ELNS1_3gpuE8ELNS1_3repE0EEENS1_30default_config_static_selectorELNS0_4arch9wavefront6targetE1EEEvSY_,"axG",@progbits,_ZN7rocprim17ROCPRIM_400000_NS6detail17trampoline_kernelINS0_14default_configENS1_27upper_bound_config_selectorIjlEEZNS1_14transform_implILb0ES3_S5_N6thrust23THRUST_200600_302600_NS6detail15normal_iteratorINS8_7pointerIjNS8_11hip_rocprim5par_tENS8_11use_defaultESE_EEEENSA_INSB_IlSD_SE_SE_EEEEZNS1_13binary_searchIS3_S5_NSA_INS8_10device_ptrIjEEEESG_SI_NS1_21upper_bound_search_opENS9_16wrapped_functionINS8_6system6detail7generic6detail18binary_search_lessEbEEEE10hipError_tPvRmT1_T2_T3_mmT4_T5_P12ihipStream_tbEUlRKjE_EESV_SZ_S10_mS11_S14_bEUlT_E_NS1_11comp_targetILNS1_3genE4ELNS1_11target_archE910ELNS1_3gpuE8ELNS1_3repE0EEENS1_30default_config_static_selectorELNS0_4arch9wavefront6targetE1EEEvSY_,comdat
.Lfunc_end547:
	.size	_ZN7rocprim17ROCPRIM_400000_NS6detail17trampoline_kernelINS0_14default_configENS1_27upper_bound_config_selectorIjlEEZNS1_14transform_implILb0ES3_S5_N6thrust23THRUST_200600_302600_NS6detail15normal_iteratorINS8_7pointerIjNS8_11hip_rocprim5par_tENS8_11use_defaultESE_EEEENSA_INSB_IlSD_SE_SE_EEEEZNS1_13binary_searchIS3_S5_NSA_INS8_10device_ptrIjEEEESG_SI_NS1_21upper_bound_search_opENS9_16wrapped_functionINS8_6system6detail7generic6detail18binary_search_lessEbEEEE10hipError_tPvRmT1_T2_T3_mmT4_T5_P12ihipStream_tbEUlRKjE_EESV_SZ_S10_mS11_S14_bEUlT_E_NS1_11comp_targetILNS1_3genE4ELNS1_11target_archE910ELNS1_3gpuE8ELNS1_3repE0EEENS1_30default_config_static_selectorELNS0_4arch9wavefront6targetE1EEEvSY_, .Lfunc_end547-_ZN7rocprim17ROCPRIM_400000_NS6detail17trampoline_kernelINS0_14default_configENS1_27upper_bound_config_selectorIjlEEZNS1_14transform_implILb0ES3_S5_N6thrust23THRUST_200600_302600_NS6detail15normal_iteratorINS8_7pointerIjNS8_11hip_rocprim5par_tENS8_11use_defaultESE_EEEENSA_INSB_IlSD_SE_SE_EEEEZNS1_13binary_searchIS3_S5_NSA_INS8_10device_ptrIjEEEESG_SI_NS1_21upper_bound_search_opENS9_16wrapped_functionINS8_6system6detail7generic6detail18binary_search_lessEbEEEE10hipError_tPvRmT1_T2_T3_mmT4_T5_P12ihipStream_tbEUlRKjE_EESV_SZ_S10_mS11_S14_bEUlT_E_NS1_11comp_targetILNS1_3genE4ELNS1_11target_archE910ELNS1_3gpuE8ELNS1_3repE0EEENS1_30default_config_static_selectorELNS0_4arch9wavefront6targetE1EEEvSY_
                                        ; -- End function
	.set _ZN7rocprim17ROCPRIM_400000_NS6detail17trampoline_kernelINS0_14default_configENS1_27upper_bound_config_selectorIjlEEZNS1_14transform_implILb0ES3_S5_N6thrust23THRUST_200600_302600_NS6detail15normal_iteratorINS8_7pointerIjNS8_11hip_rocprim5par_tENS8_11use_defaultESE_EEEENSA_INSB_IlSD_SE_SE_EEEEZNS1_13binary_searchIS3_S5_NSA_INS8_10device_ptrIjEEEESG_SI_NS1_21upper_bound_search_opENS9_16wrapped_functionINS8_6system6detail7generic6detail18binary_search_lessEbEEEE10hipError_tPvRmT1_T2_T3_mmT4_T5_P12ihipStream_tbEUlRKjE_EESV_SZ_S10_mS11_S14_bEUlT_E_NS1_11comp_targetILNS1_3genE4ELNS1_11target_archE910ELNS1_3gpuE8ELNS1_3repE0EEENS1_30default_config_static_selectorELNS0_4arch9wavefront6targetE1EEEvSY_.num_vgpr, 0
	.set _ZN7rocprim17ROCPRIM_400000_NS6detail17trampoline_kernelINS0_14default_configENS1_27upper_bound_config_selectorIjlEEZNS1_14transform_implILb0ES3_S5_N6thrust23THRUST_200600_302600_NS6detail15normal_iteratorINS8_7pointerIjNS8_11hip_rocprim5par_tENS8_11use_defaultESE_EEEENSA_INSB_IlSD_SE_SE_EEEEZNS1_13binary_searchIS3_S5_NSA_INS8_10device_ptrIjEEEESG_SI_NS1_21upper_bound_search_opENS9_16wrapped_functionINS8_6system6detail7generic6detail18binary_search_lessEbEEEE10hipError_tPvRmT1_T2_T3_mmT4_T5_P12ihipStream_tbEUlRKjE_EESV_SZ_S10_mS11_S14_bEUlT_E_NS1_11comp_targetILNS1_3genE4ELNS1_11target_archE910ELNS1_3gpuE8ELNS1_3repE0EEENS1_30default_config_static_selectorELNS0_4arch9wavefront6targetE1EEEvSY_.num_agpr, 0
	.set _ZN7rocprim17ROCPRIM_400000_NS6detail17trampoline_kernelINS0_14default_configENS1_27upper_bound_config_selectorIjlEEZNS1_14transform_implILb0ES3_S5_N6thrust23THRUST_200600_302600_NS6detail15normal_iteratorINS8_7pointerIjNS8_11hip_rocprim5par_tENS8_11use_defaultESE_EEEENSA_INSB_IlSD_SE_SE_EEEEZNS1_13binary_searchIS3_S5_NSA_INS8_10device_ptrIjEEEESG_SI_NS1_21upper_bound_search_opENS9_16wrapped_functionINS8_6system6detail7generic6detail18binary_search_lessEbEEEE10hipError_tPvRmT1_T2_T3_mmT4_T5_P12ihipStream_tbEUlRKjE_EESV_SZ_S10_mS11_S14_bEUlT_E_NS1_11comp_targetILNS1_3genE4ELNS1_11target_archE910ELNS1_3gpuE8ELNS1_3repE0EEENS1_30default_config_static_selectorELNS0_4arch9wavefront6targetE1EEEvSY_.numbered_sgpr, 0
	.set _ZN7rocprim17ROCPRIM_400000_NS6detail17trampoline_kernelINS0_14default_configENS1_27upper_bound_config_selectorIjlEEZNS1_14transform_implILb0ES3_S5_N6thrust23THRUST_200600_302600_NS6detail15normal_iteratorINS8_7pointerIjNS8_11hip_rocprim5par_tENS8_11use_defaultESE_EEEENSA_INSB_IlSD_SE_SE_EEEEZNS1_13binary_searchIS3_S5_NSA_INS8_10device_ptrIjEEEESG_SI_NS1_21upper_bound_search_opENS9_16wrapped_functionINS8_6system6detail7generic6detail18binary_search_lessEbEEEE10hipError_tPvRmT1_T2_T3_mmT4_T5_P12ihipStream_tbEUlRKjE_EESV_SZ_S10_mS11_S14_bEUlT_E_NS1_11comp_targetILNS1_3genE4ELNS1_11target_archE910ELNS1_3gpuE8ELNS1_3repE0EEENS1_30default_config_static_selectorELNS0_4arch9wavefront6targetE1EEEvSY_.num_named_barrier, 0
	.set _ZN7rocprim17ROCPRIM_400000_NS6detail17trampoline_kernelINS0_14default_configENS1_27upper_bound_config_selectorIjlEEZNS1_14transform_implILb0ES3_S5_N6thrust23THRUST_200600_302600_NS6detail15normal_iteratorINS8_7pointerIjNS8_11hip_rocprim5par_tENS8_11use_defaultESE_EEEENSA_INSB_IlSD_SE_SE_EEEEZNS1_13binary_searchIS3_S5_NSA_INS8_10device_ptrIjEEEESG_SI_NS1_21upper_bound_search_opENS9_16wrapped_functionINS8_6system6detail7generic6detail18binary_search_lessEbEEEE10hipError_tPvRmT1_T2_T3_mmT4_T5_P12ihipStream_tbEUlRKjE_EESV_SZ_S10_mS11_S14_bEUlT_E_NS1_11comp_targetILNS1_3genE4ELNS1_11target_archE910ELNS1_3gpuE8ELNS1_3repE0EEENS1_30default_config_static_selectorELNS0_4arch9wavefront6targetE1EEEvSY_.private_seg_size, 0
	.set _ZN7rocprim17ROCPRIM_400000_NS6detail17trampoline_kernelINS0_14default_configENS1_27upper_bound_config_selectorIjlEEZNS1_14transform_implILb0ES3_S5_N6thrust23THRUST_200600_302600_NS6detail15normal_iteratorINS8_7pointerIjNS8_11hip_rocprim5par_tENS8_11use_defaultESE_EEEENSA_INSB_IlSD_SE_SE_EEEEZNS1_13binary_searchIS3_S5_NSA_INS8_10device_ptrIjEEEESG_SI_NS1_21upper_bound_search_opENS9_16wrapped_functionINS8_6system6detail7generic6detail18binary_search_lessEbEEEE10hipError_tPvRmT1_T2_T3_mmT4_T5_P12ihipStream_tbEUlRKjE_EESV_SZ_S10_mS11_S14_bEUlT_E_NS1_11comp_targetILNS1_3genE4ELNS1_11target_archE910ELNS1_3gpuE8ELNS1_3repE0EEENS1_30default_config_static_selectorELNS0_4arch9wavefront6targetE1EEEvSY_.uses_vcc, 0
	.set _ZN7rocprim17ROCPRIM_400000_NS6detail17trampoline_kernelINS0_14default_configENS1_27upper_bound_config_selectorIjlEEZNS1_14transform_implILb0ES3_S5_N6thrust23THRUST_200600_302600_NS6detail15normal_iteratorINS8_7pointerIjNS8_11hip_rocprim5par_tENS8_11use_defaultESE_EEEENSA_INSB_IlSD_SE_SE_EEEEZNS1_13binary_searchIS3_S5_NSA_INS8_10device_ptrIjEEEESG_SI_NS1_21upper_bound_search_opENS9_16wrapped_functionINS8_6system6detail7generic6detail18binary_search_lessEbEEEE10hipError_tPvRmT1_T2_T3_mmT4_T5_P12ihipStream_tbEUlRKjE_EESV_SZ_S10_mS11_S14_bEUlT_E_NS1_11comp_targetILNS1_3genE4ELNS1_11target_archE910ELNS1_3gpuE8ELNS1_3repE0EEENS1_30default_config_static_selectorELNS0_4arch9wavefront6targetE1EEEvSY_.uses_flat_scratch, 0
	.set _ZN7rocprim17ROCPRIM_400000_NS6detail17trampoline_kernelINS0_14default_configENS1_27upper_bound_config_selectorIjlEEZNS1_14transform_implILb0ES3_S5_N6thrust23THRUST_200600_302600_NS6detail15normal_iteratorINS8_7pointerIjNS8_11hip_rocprim5par_tENS8_11use_defaultESE_EEEENSA_INSB_IlSD_SE_SE_EEEEZNS1_13binary_searchIS3_S5_NSA_INS8_10device_ptrIjEEEESG_SI_NS1_21upper_bound_search_opENS9_16wrapped_functionINS8_6system6detail7generic6detail18binary_search_lessEbEEEE10hipError_tPvRmT1_T2_T3_mmT4_T5_P12ihipStream_tbEUlRKjE_EESV_SZ_S10_mS11_S14_bEUlT_E_NS1_11comp_targetILNS1_3genE4ELNS1_11target_archE910ELNS1_3gpuE8ELNS1_3repE0EEENS1_30default_config_static_selectorELNS0_4arch9wavefront6targetE1EEEvSY_.has_dyn_sized_stack, 0
	.set _ZN7rocprim17ROCPRIM_400000_NS6detail17trampoline_kernelINS0_14default_configENS1_27upper_bound_config_selectorIjlEEZNS1_14transform_implILb0ES3_S5_N6thrust23THRUST_200600_302600_NS6detail15normal_iteratorINS8_7pointerIjNS8_11hip_rocprim5par_tENS8_11use_defaultESE_EEEENSA_INSB_IlSD_SE_SE_EEEEZNS1_13binary_searchIS3_S5_NSA_INS8_10device_ptrIjEEEESG_SI_NS1_21upper_bound_search_opENS9_16wrapped_functionINS8_6system6detail7generic6detail18binary_search_lessEbEEEE10hipError_tPvRmT1_T2_T3_mmT4_T5_P12ihipStream_tbEUlRKjE_EESV_SZ_S10_mS11_S14_bEUlT_E_NS1_11comp_targetILNS1_3genE4ELNS1_11target_archE910ELNS1_3gpuE8ELNS1_3repE0EEENS1_30default_config_static_selectorELNS0_4arch9wavefront6targetE1EEEvSY_.has_recursion, 0
	.set _ZN7rocprim17ROCPRIM_400000_NS6detail17trampoline_kernelINS0_14default_configENS1_27upper_bound_config_selectorIjlEEZNS1_14transform_implILb0ES3_S5_N6thrust23THRUST_200600_302600_NS6detail15normal_iteratorINS8_7pointerIjNS8_11hip_rocprim5par_tENS8_11use_defaultESE_EEEENSA_INSB_IlSD_SE_SE_EEEEZNS1_13binary_searchIS3_S5_NSA_INS8_10device_ptrIjEEEESG_SI_NS1_21upper_bound_search_opENS9_16wrapped_functionINS8_6system6detail7generic6detail18binary_search_lessEbEEEE10hipError_tPvRmT1_T2_T3_mmT4_T5_P12ihipStream_tbEUlRKjE_EESV_SZ_S10_mS11_S14_bEUlT_E_NS1_11comp_targetILNS1_3genE4ELNS1_11target_archE910ELNS1_3gpuE8ELNS1_3repE0EEENS1_30default_config_static_selectorELNS0_4arch9wavefront6targetE1EEEvSY_.has_indirect_call, 0
	.section	.AMDGPU.csdata,"",@progbits
; Kernel info:
; codeLenInByte = 0
; TotalNumSgprs: 4
; NumVgprs: 0
; ScratchSize: 0
; MemoryBound: 0
; FloatMode: 240
; IeeeMode: 1
; LDSByteSize: 0 bytes/workgroup (compile time only)
; SGPRBlocks: 0
; VGPRBlocks: 0
; NumSGPRsForWavesPerEU: 4
; NumVGPRsForWavesPerEU: 1
; Occupancy: 10
; WaveLimiterHint : 0
; COMPUTE_PGM_RSRC2:SCRATCH_EN: 0
; COMPUTE_PGM_RSRC2:USER_SGPR: 6
; COMPUTE_PGM_RSRC2:TRAP_HANDLER: 0
; COMPUTE_PGM_RSRC2:TGID_X_EN: 1
; COMPUTE_PGM_RSRC2:TGID_Y_EN: 0
; COMPUTE_PGM_RSRC2:TGID_Z_EN: 0
; COMPUTE_PGM_RSRC2:TIDIG_COMP_CNT: 0
	.section	.text._ZN7rocprim17ROCPRIM_400000_NS6detail17trampoline_kernelINS0_14default_configENS1_27upper_bound_config_selectorIjlEEZNS1_14transform_implILb0ES3_S5_N6thrust23THRUST_200600_302600_NS6detail15normal_iteratorINS8_7pointerIjNS8_11hip_rocprim5par_tENS8_11use_defaultESE_EEEENSA_INSB_IlSD_SE_SE_EEEEZNS1_13binary_searchIS3_S5_NSA_INS8_10device_ptrIjEEEESG_SI_NS1_21upper_bound_search_opENS9_16wrapped_functionINS8_6system6detail7generic6detail18binary_search_lessEbEEEE10hipError_tPvRmT1_T2_T3_mmT4_T5_P12ihipStream_tbEUlRKjE_EESV_SZ_S10_mS11_S14_bEUlT_E_NS1_11comp_targetILNS1_3genE3ELNS1_11target_archE908ELNS1_3gpuE7ELNS1_3repE0EEENS1_30default_config_static_selectorELNS0_4arch9wavefront6targetE1EEEvSY_,"axG",@progbits,_ZN7rocprim17ROCPRIM_400000_NS6detail17trampoline_kernelINS0_14default_configENS1_27upper_bound_config_selectorIjlEEZNS1_14transform_implILb0ES3_S5_N6thrust23THRUST_200600_302600_NS6detail15normal_iteratorINS8_7pointerIjNS8_11hip_rocprim5par_tENS8_11use_defaultESE_EEEENSA_INSB_IlSD_SE_SE_EEEEZNS1_13binary_searchIS3_S5_NSA_INS8_10device_ptrIjEEEESG_SI_NS1_21upper_bound_search_opENS9_16wrapped_functionINS8_6system6detail7generic6detail18binary_search_lessEbEEEE10hipError_tPvRmT1_T2_T3_mmT4_T5_P12ihipStream_tbEUlRKjE_EESV_SZ_S10_mS11_S14_bEUlT_E_NS1_11comp_targetILNS1_3genE3ELNS1_11target_archE908ELNS1_3gpuE7ELNS1_3repE0EEENS1_30default_config_static_selectorELNS0_4arch9wavefront6targetE1EEEvSY_,comdat
	.protected	_ZN7rocprim17ROCPRIM_400000_NS6detail17trampoline_kernelINS0_14default_configENS1_27upper_bound_config_selectorIjlEEZNS1_14transform_implILb0ES3_S5_N6thrust23THRUST_200600_302600_NS6detail15normal_iteratorINS8_7pointerIjNS8_11hip_rocprim5par_tENS8_11use_defaultESE_EEEENSA_INSB_IlSD_SE_SE_EEEEZNS1_13binary_searchIS3_S5_NSA_INS8_10device_ptrIjEEEESG_SI_NS1_21upper_bound_search_opENS9_16wrapped_functionINS8_6system6detail7generic6detail18binary_search_lessEbEEEE10hipError_tPvRmT1_T2_T3_mmT4_T5_P12ihipStream_tbEUlRKjE_EESV_SZ_S10_mS11_S14_bEUlT_E_NS1_11comp_targetILNS1_3genE3ELNS1_11target_archE908ELNS1_3gpuE7ELNS1_3repE0EEENS1_30default_config_static_selectorELNS0_4arch9wavefront6targetE1EEEvSY_ ; -- Begin function _ZN7rocprim17ROCPRIM_400000_NS6detail17trampoline_kernelINS0_14default_configENS1_27upper_bound_config_selectorIjlEEZNS1_14transform_implILb0ES3_S5_N6thrust23THRUST_200600_302600_NS6detail15normal_iteratorINS8_7pointerIjNS8_11hip_rocprim5par_tENS8_11use_defaultESE_EEEENSA_INSB_IlSD_SE_SE_EEEEZNS1_13binary_searchIS3_S5_NSA_INS8_10device_ptrIjEEEESG_SI_NS1_21upper_bound_search_opENS9_16wrapped_functionINS8_6system6detail7generic6detail18binary_search_lessEbEEEE10hipError_tPvRmT1_T2_T3_mmT4_T5_P12ihipStream_tbEUlRKjE_EESV_SZ_S10_mS11_S14_bEUlT_E_NS1_11comp_targetILNS1_3genE3ELNS1_11target_archE908ELNS1_3gpuE7ELNS1_3repE0EEENS1_30default_config_static_selectorELNS0_4arch9wavefront6targetE1EEEvSY_
	.globl	_ZN7rocprim17ROCPRIM_400000_NS6detail17trampoline_kernelINS0_14default_configENS1_27upper_bound_config_selectorIjlEEZNS1_14transform_implILb0ES3_S5_N6thrust23THRUST_200600_302600_NS6detail15normal_iteratorINS8_7pointerIjNS8_11hip_rocprim5par_tENS8_11use_defaultESE_EEEENSA_INSB_IlSD_SE_SE_EEEEZNS1_13binary_searchIS3_S5_NSA_INS8_10device_ptrIjEEEESG_SI_NS1_21upper_bound_search_opENS9_16wrapped_functionINS8_6system6detail7generic6detail18binary_search_lessEbEEEE10hipError_tPvRmT1_T2_T3_mmT4_T5_P12ihipStream_tbEUlRKjE_EESV_SZ_S10_mS11_S14_bEUlT_E_NS1_11comp_targetILNS1_3genE3ELNS1_11target_archE908ELNS1_3gpuE7ELNS1_3repE0EEENS1_30default_config_static_selectorELNS0_4arch9wavefront6targetE1EEEvSY_
	.p2align	8
	.type	_ZN7rocprim17ROCPRIM_400000_NS6detail17trampoline_kernelINS0_14default_configENS1_27upper_bound_config_selectorIjlEEZNS1_14transform_implILb0ES3_S5_N6thrust23THRUST_200600_302600_NS6detail15normal_iteratorINS8_7pointerIjNS8_11hip_rocprim5par_tENS8_11use_defaultESE_EEEENSA_INSB_IlSD_SE_SE_EEEEZNS1_13binary_searchIS3_S5_NSA_INS8_10device_ptrIjEEEESG_SI_NS1_21upper_bound_search_opENS9_16wrapped_functionINS8_6system6detail7generic6detail18binary_search_lessEbEEEE10hipError_tPvRmT1_T2_T3_mmT4_T5_P12ihipStream_tbEUlRKjE_EESV_SZ_S10_mS11_S14_bEUlT_E_NS1_11comp_targetILNS1_3genE3ELNS1_11target_archE908ELNS1_3gpuE7ELNS1_3repE0EEENS1_30default_config_static_selectorELNS0_4arch9wavefront6targetE1EEEvSY_,@function
_ZN7rocprim17ROCPRIM_400000_NS6detail17trampoline_kernelINS0_14default_configENS1_27upper_bound_config_selectorIjlEEZNS1_14transform_implILb0ES3_S5_N6thrust23THRUST_200600_302600_NS6detail15normal_iteratorINS8_7pointerIjNS8_11hip_rocprim5par_tENS8_11use_defaultESE_EEEENSA_INSB_IlSD_SE_SE_EEEEZNS1_13binary_searchIS3_S5_NSA_INS8_10device_ptrIjEEEESG_SI_NS1_21upper_bound_search_opENS9_16wrapped_functionINS8_6system6detail7generic6detail18binary_search_lessEbEEEE10hipError_tPvRmT1_T2_T3_mmT4_T5_P12ihipStream_tbEUlRKjE_EESV_SZ_S10_mS11_S14_bEUlT_E_NS1_11comp_targetILNS1_3genE3ELNS1_11target_archE908ELNS1_3gpuE7ELNS1_3repE0EEENS1_30default_config_static_selectorELNS0_4arch9wavefront6targetE1EEEvSY_: ; @_ZN7rocprim17ROCPRIM_400000_NS6detail17trampoline_kernelINS0_14default_configENS1_27upper_bound_config_selectorIjlEEZNS1_14transform_implILb0ES3_S5_N6thrust23THRUST_200600_302600_NS6detail15normal_iteratorINS8_7pointerIjNS8_11hip_rocprim5par_tENS8_11use_defaultESE_EEEENSA_INSB_IlSD_SE_SE_EEEEZNS1_13binary_searchIS3_S5_NSA_INS8_10device_ptrIjEEEESG_SI_NS1_21upper_bound_search_opENS9_16wrapped_functionINS8_6system6detail7generic6detail18binary_search_lessEbEEEE10hipError_tPvRmT1_T2_T3_mmT4_T5_P12ihipStream_tbEUlRKjE_EESV_SZ_S10_mS11_S14_bEUlT_E_NS1_11comp_targetILNS1_3genE3ELNS1_11target_archE908ELNS1_3gpuE7ELNS1_3repE0EEENS1_30default_config_static_selectorELNS0_4arch9wavefront6targetE1EEEvSY_
; %bb.0:
	.section	.rodata,"a",@progbits
	.p2align	6, 0x0
	.amdhsa_kernel _ZN7rocprim17ROCPRIM_400000_NS6detail17trampoline_kernelINS0_14default_configENS1_27upper_bound_config_selectorIjlEEZNS1_14transform_implILb0ES3_S5_N6thrust23THRUST_200600_302600_NS6detail15normal_iteratorINS8_7pointerIjNS8_11hip_rocprim5par_tENS8_11use_defaultESE_EEEENSA_INSB_IlSD_SE_SE_EEEEZNS1_13binary_searchIS3_S5_NSA_INS8_10device_ptrIjEEEESG_SI_NS1_21upper_bound_search_opENS9_16wrapped_functionINS8_6system6detail7generic6detail18binary_search_lessEbEEEE10hipError_tPvRmT1_T2_T3_mmT4_T5_P12ihipStream_tbEUlRKjE_EESV_SZ_S10_mS11_S14_bEUlT_E_NS1_11comp_targetILNS1_3genE3ELNS1_11target_archE908ELNS1_3gpuE7ELNS1_3repE0EEENS1_30default_config_static_selectorELNS0_4arch9wavefront6targetE1EEEvSY_
		.amdhsa_group_segment_fixed_size 0
		.amdhsa_private_segment_fixed_size 0
		.amdhsa_kernarg_size 56
		.amdhsa_user_sgpr_count 6
		.amdhsa_user_sgpr_private_segment_buffer 1
		.amdhsa_user_sgpr_dispatch_ptr 0
		.amdhsa_user_sgpr_queue_ptr 0
		.amdhsa_user_sgpr_kernarg_segment_ptr 1
		.amdhsa_user_sgpr_dispatch_id 0
		.amdhsa_user_sgpr_flat_scratch_init 0
		.amdhsa_user_sgpr_private_segment_size 0
		.amdhsa_uses_dynamic_stack 0
		.amdhsa_system_sgpr_private_segment_wavefront_offset 0
		.amdhsa_system_sgpr_workgroup_id_x 1
		.amdhsa_system_sgpr_workgroup_id_y 0
		.amdhsa_system_sgpr_workgroup_id_z 0
		.amdhsa_system_sgpr_workgroup_info 0
		.amdhsa_system_vgpr_workitem_id 0
		.amdhsa_next_free_vgpr 1
		.amdhsa_next_free_sgpr 0
		.amdhsa_reserve_vcc 0
		.amdhsa_reserve_flat_scratch 0
		.amdhsa_float_round_mode_32 0
		.amdhsa_float_round_mode_16_64 0
		.amdhsa_float_denorm_mode_32 3
		.amdhsa_float_denorm_mode_16_64 3
		.amdhsa_dx10_clamp 1
		.amdhsa_ieee_mode 1
		.amdhsa_fp16_overflow 0
		.amdhsa_exception_fp_ieee_invalid_op 0
		.amdhsa_exception_fp_denorm_src 0
		.amdhsa_exception_fp_ieee_div_zero 0
		.amdhsa_exception_fp_ieee_overflow 0
		.amdhsa_exception_fp_ieee_underflow 0
		.amdhsa_exception_fp_ieee_inexact 0
		.amdhsa_exception_int_div_zero 0
	.end_amdhsa_kernel
	.section	.text._ZN7rocprim17ROCPRIM_400000_NS6detail17trampoline_kernelINS0_14default_configENS1_27upper_bound_config_selectorIjlEEZNS1_14transform_implILb0ES3_S5_N6thrust23THRUST_200600_302600_NS6detail15normal_iteratorINS8_7pointerIjNS8_11hip_rocprim5par_tENS8_11use_defaultESE_EEEENSA_INSB_IlSD_SE_SE_EEEEZNS1_13binary_searchIS3_S5_NSA_INS8_10device_ptrIjEEEESG_SI_NS1_21upper_bound_search_opENS9_16wrapped_functionINS8_6system6detail7generic6detail18binary_search_lessEbEEEE10hipError_tPvRmT1_T2_T3_mmT4_T5_P12ihipStream_tbEUlRKjE_EESV_SZ_S10_mS11_S14_bEUlT_E_NS1_11comp_targetILNS1_3genE3ELNS1_11target_archE908ELNS1_3gpuE7ELNS1_3repE0EEENS1_30default_config_static_selectorELNS0_4arch9wavefront6targetE1EEEvSY_,"axG",@progbits,_ZN7rocprim17ROCPRIM_400000_NS6detail17trampoline_kernelINS0_14default_configENS1_27upper_bound_config_selectorIjlEEZNS1_14transform_implILb0ES3_S5_N6thrust23THRUST_200600_302600_NS6detail15normal_iteratorINS8_7pointerIjNS8_11hip_rocprim5par_tENS8_11use_defaultESE_EEEENSA_INSB_IlSD_SE_SE_EEEEZNS1_13binary_searchIS3_S5_NSA_INS8_10device_ptrIjEEEESG_SI_NS1_21upper_bound_search_opENS9_16wrapped_functionINS8_6system6detail7generic6detail18binary_search_lessEbEEEE10hipError_tPvRmT1_T2_T3_mmT4_T5_P12ihipStream_tbEUlRKjE_EESV_SZ_S10_mS11_S14_bEUlT_E_NS1_11comp_targetILNS1_3genE3ELNS1_11target_archE908ELNS1_3gpuE7ELNS1_3repE0EEENS1_30default_config_static_selectorELNS0_4arch9wavefront6targetE1EEEvSY_,comdat
.Lfunc_end548:
	.size	_ZN7rocprim17ROCPRIM_400000_NS6detail17trampoline_kernelINS0_14default_configENS1_27upper_bound_config_selectorIjlEEZNS1_14transform_implILb0ES3_S5_N6thrust23THRUST_200600_302600_NS6detail15normal_iteratorINS8_7pointerIjNS8_11hip_rocprim5par_tENS8_11use_defaultESE_EEEENSA_INSB_IlSD_SE_SE_EEEEZNS1_13binary_searchIS3_S5_NSA_INS8_10device_ptrIjEEEESG_SI_NS1_21upper_bound_search_opENS9_16wrapped_functionINS8_6system6detail7generic6detail18binary_search_lessEbEEEE10hipError_tPvRmT1_T2_T3_mmT4_T5_P12ihipStream_tbEUlRKjE_EESV_SZ_S10_mS11_S14_bEUlT_E_NS1_11comp_targetILNS1_3genE3ELNS1_11target_archE908ELNS1_3gpuE7ELNS1_3repE0EEENS1_30default_config_static_selectorELNS0_4arch9wavefront6targetE1EEEvSY_, .Lfunc_end548-_ZN7rocprim17ROCPRIM_400000_NS6detail17trampoline_kernelINS0_14default_configENS1_27upper_bound_config_selectorIjlEEZNS1_14transform_implILb0ES3_S5_N6thrust23THRUST_200600_302600_NS6detail15normal_iteratorINS8_7pointerIjNS8_11hip_rocprim5par_tENS8_11use_defaultESE_EEEENSA_INSB_IlSD_SE_SE_EEEEZNS1_13binary_searchIS3_S5_NSA_INS8_10device_ptrIjEEEESG_SI_NS1_21upper_bound_search_opENS9_16wrapped_functionINS8_6system6detail7generic6detail18binary_search_lessEbEEEE10hipError_tPvRmT1_T2_T3_mmT4_T5_P12ihipStream_tbEUlRKjE_EESV_SZ_S10_mS11_S14_bEUlT_E_NS1_11comp_targetILNS1_3genE3ELNS1_11target_archE908ELNS1_3gpuE7ELNS1_3repE0EEENS1_30default_config_static_selectorELNS0_4arch9wavefront6targetE1EEEvSY_
                                        ; -- End function
	.set _ZN7rocprim17ROCPRIM_400000_NS6detail17trampoline_kernelINS0_14default_configENS1_27upper_bound_config_selectorIjlEEZNS1_14transform_implILb0ES3_S5_N6thrust23THRUST_200600_302600_NS6detail15normal_iteratorINS8_7pointerIjNS8_11hip_rocprim5par_tENS8_11use_defaultESE_EEEENSA_INSB_IlSD_SE_SE_EEEEZNS1_13binary_searchIS3_S5_NSA_INS8_10device_ptrIjEEEESG_SI_NS1_21upper_bound_search_opENS9_16wrapped_functionINS8_6system6detail7generic6detail18binary_search_lessEbEEEE10hipError_tPvRmT1_T2_T3_mmT4_T5_P12ihipStream_tbEUlRKjE_EESV_SZ_S10_mS11_S14_bEUlT_E_NS1_11comp_targetILNS1_3genE3ELNS1_11target_archE908ELNS1_3gpuE7ELNS1_3repE0EEENS1_30default_config_static_selectorELNS0_4arch9wavefront6targetE1EEEvSY_.num_vgpr, 0
	.set _ZN7rocprim17ROCPRIM_400000_NS6detail17trampoline_kernelINS0_14default_configENS1_27upper_bound_config_selectorIjlEEZNS1_14transform_implILb0ES3_S5_N6thrust23THRUST_200600_302600_NS6detail15normal_iteratorINS8_7pointerIjNS8_11hip_rocprim5par_tENS8_11use_defaultESE_EEEENSA_INSB_IlSD_SE_SE_EEEEZNS1_13binary_searchIS3_S5_NSA_INS8_10device_ptrIjEEEESG_SI_NS1_21upper_bound_search_opENS9_16wrapped_functionINS8_6system6detail7generic6detail18binary_search_lessEbEEEE10hipError_tPvRmT1_T2_T3_mmT4_T5_P12ihipStream_tbEUlRKjE_EESV_SZ_S10_mS11_S14_bEUlT_E_NS1_11comp_targetILNS1_3genE3ELNS1_11target_archE908ELNS1_3gpuE7ELNS1_3repE0EEENS1_30default_config_static_selectorELNS0_4arch9wavefront6targetE1EEEvSY_.num_agpr, 0
	.set _ZN7rocprim17ROCPRIM_400000_NS6detail17trampoline_kernelINS0_14default_configENS1_27upper_bound_config_selectorIjlEEZNS1_14transform_implILb0ES3_S5_N6thrust23THRUST_200600_302600_NS6detail15normal_iteratorINS8_7pointerIjNS8_11hip_rocprim5par_tENS8_11use_defaultESE_EEEENSA_INSB_IlSD_SE_SE_EEEEZNS1_13binary_searchIS3_S5_NSA_INS8_10device_ptrIjEEEESG_SI_NS1_21upper_bound_search_opENS9_16wrapped_functionINS8_6system6detail7generic6detail18binary_search_lessEbEEEE10hipError_tPvRmT1_T2_T3_mmT4_T5_P12ihipStream_tbEUlRKjE_EESV_SZ_S10_mS11_S14_bEUlT_E_NS1_11comp_targetILNS1_3genE3ELNS1_11target_archE908ELNS1_3gpuE7ELNS1_3repE0EEENS1_30default_config_static_selectorELNS0_4arch9wavefront6targetE1EEEvSY_.numbered_sgpr, 0
	.set _ZN7rocprim17ROCPRIM_400000_NS6detail17trampoline_kernelINS0_14default_configENS1_27upper_bound_config_selectorIjlEEZNS1_14transform_implILb0ES3_S5_N6thrust23THRUST_200600_302600_NS6detail15normal_iteratorINS8_7pointerIjNS8_11hip_rocprim5par_tENS8_11use_defaultESE_EEEENSA_INSB_IlSD_SE_SE_EEEEZNS1_13binary_searchIS3_S5_NSA_INS8_10device_ptrIjEEEESG_SI_NS1_21upper_bound_search_opENS9_16wrapped_functionINS8_6system6detail7generic6detail18binary_search_lessEbEEEE10hipError_tPvRmT1_T2_T3_mmT4_T5_P12ihipStream_tbEUlRKjE_EESV_SZ_S10_mS11_S14_bEUlT_E_NS1_11comp_targetILNS1_3genE3ELNS1_11target_archE908ELNS1_3gpuE7ELNS1_3repE0EEENS1_30default_config_static_selectorELNS0_4arch9wavefront6targetE1EEEvSY_.num_named_barrier, 0
	.set _ZN7rocprim17ROCPRIM_400000_NS6detail17trampoline_kernelINS0_14default_configENS1_27upper_bound_config_selectorIjlEEZNS1_14transform_implILb0ES3_S5_N6thrust23THRUST_200600_302600_NS6detail15normal_iteratorINS8_7pointerIjNS8_11hip_rocprim5par_tENS8_11use_defaultESE_EEEENSA_INSB_IlSD_SE_SE_EEEEZNS1_13binary_searchIS3_S5_NSA_INS8_10device_ptrIjEEEESG_SI_NS1_21upper_bound_search_opENS9_16wrapped_functionINS8_6system6detail7generic6detail18binary_search_lessEbEEEE10hipError_tPvRmT1_T2_T3_mmT4_T5_P12ihipStream_tbEUlRKjE_EESV_SZ_S10_mS11_S14_bEUlT_E_NS1_11comp_targetILNS1_3genE3ELNS1_11target_archE908ELNS1_3gpuE7ELNS1_3repE0EEENS1_30default_config_static_selectorELNS0_4arch9wavefront6targetE1EEEvSY_.private_seg_size, 0
	.set _ZN7rocprim17ROCPRIM_400000_NS6detail17trampoline_kernelINS0_14default_configENS1_27upper_bound_config_selectorIjlEEZNS1_14transform_implILb0ES3_S5_N6thrust23THRUST_200600_302600_NS6detail15normal_iteratorINS8_7pointerIjNS8_11hip_rocprim5par_tENS8_11use_defaultESE_EEEENSA_INSB_IlSD_SE_SE_EEEEZNS1_13binary_searchIS3_S5_NSA_INS8_10device_ptrIjEEEESG_SI_NS1_21upper_bound_search_opENS9_16wrapped_functionINS8_6system6detail7generic6detail18binary_search_lessEbEEEE10hipError_tPvRmT1_T2_T3_mmT4_T5_P12ihipStream_tbEUlRKjE_EESV_SZ_S10_mS11_S14_bEUlT_E_NS1_11comp_targetILNS1_3genE3ELNS1_11target_archE908ELNS1_3gpuE7ELNS1_3repE0EEENS1_30default_config_static_selectorELNS0_4arch9wavefront6targetE1EEEvSY_.uses_vcc, 0
	.set _ZN7rocprim17ROCPRIM_400000_NS6detail17trampoline_kernelINS0_14default_configENS1_27upper_bound_config_selectorIjlEEZNS1_14transform_implILb0ES3_S5_N6thrust23THRUST_200600_302600_NS6detail15normal_iteratorINS8_7pointerIjNS8_11hip_rocprim5par_tENS8_11use_defaultESE_EEEENSA_INSB_IlSD_SE_SE_EEEEZNS1_13binary_searchIS3_S5_NSA_INS8_10device_ptrIjEEEESG_SI_NS1_21upper_bound_search_opENS9_16wrapped_functionINS8_6system6detail7generic6detail18binary_search_lessEbEEEE10hipError_tPvRmT1_T2_T3_mmT4_T5_P12ihipStream_tbEUlRKjE_EESV_SZ_S10_mS11_S14_bEUlT_E_NS1_11comp_targetILNS1_3genE3ELNS1_11target_archE908ELNS1_3gpuE7ELNS1_3repE0EEENS1_30default_config_static_selectorELNS0_4arch9wavefront6targetE1EEEvSY_.uses_flat_scratch, 0
	.set _ZN7rocprim17ROCPRIM_400000_NS6detail17trampoline_kernelINS0_14default_configENS1_27upper_bound_config_selectorIjlEEZNS1_14transform_implILb0ES3_S5_N6thrust23THRUST_200600_302600_NS6detail15normal_iteratorINS8_7pointerIjNS8_11hip_rocprim5par_tENS8_11use_defaultESE_EEEENSA_INSB_IlSD_SE_SE_EEEEZNS1_13binary_searchIS3_S5_NSA_INS8_10device_ptrIjEEEESG_SI_NS1_21upper_bound_search_opENS9_16wrapped_functionINS8_6system6detail7generic6detail18binary_search_lessEbEEEE10hipError_tPvRmT1_T2_T3_mmT4_T5_P12ihipStream_tbEUlRKjE_EESV_SZ_S10_mS11_S14_bEUlT_E_NS1_11comp_targetILNS1_3genE3ELNS1_11target_archE908ELNS1_3gpuE7ELNS1_3repE0EEENS1_30default_config_static_selectorELNS0_4arch9wavefront6targetE1EEEvSY_.has_dyn_sized_stack, 0
	.set _ZN7rocprim17ROCPRIM_400000_NS6detail17trampoline_kernelINS0_14default_configENS1_27upper_bound_config_selectorIjlEEZNS1_14transform_implILb0ES3_S5_N6thrust23THRUST_200600_302600_NS6detail15normal_iteratorINS8_7pointerIjNS8_11hip_rocprim5par_tENS8_11use_defaultESE_EEEENSA_INSB_IlSD_SE_SE_EEEEZNS1_13binary_searchIS3_S5_NSA_INS8_10device_ptrIjEEEESG_SI_NS1_21upper_bound_search_opENS9_16wrapped_functionINS8_6system6detail7generic6detail18binary_search_lessEbEEEE10hipError_tPvRmT1_T2_T3_mmT4_T5_P12ihipStream_tbEUlRKjE_EESV_SZ_S10_mS11_S14_bEUlT_E_NS1_11comp_targetILNS1_3genE3ELNS1_11target_archE908ELNS1_3gpuE7ELNS1_3repE0EEENS1_30default_config_static_selectorELNS0_4arch9wavefront6targetE1EEEvSY_.has_recursion, 0
	.set _ZN7rocprim17ROCPRIM_400000_NS6detail17trampoline_kernelINS0_14default_configENS1_27upper_bound_config_selectorIjlEEZNS1_14transform_implILb0ES3_S5_N6thrust23THRUST_200600_302600_NS6detail15normal_iteratorINS8_7pointerIjNS8_11hip_rocprim5par_tENS8_11use_defaultESE_EEEENSA_INSB_IlSD_SE_SE_EEEEZNS1_13binary_searchIS3_S5_NSA_INS8_10device_ptrIjEEEESG_SI_NS1_21upper_bound_search_opENS9_16wrapped_functionINS8_6system6detail7generic6detail18binary_search_lessEbEEEE10hipError_tPvRmT1_T2_T3_mmT4_T5_P12ihipStream_tbEUlRKjE_EESV_SZ_S10_mS11_S14_bEUlT_E_NS1_11comp_targetILNS1_3genE3ELNS1_11target_archE908ELNS1_3gpuE7ELNS1_3repE0EEENS1_30default_config_static_selectorELNS0_4arch9wavefront6targetE1EEEvSY_.has_indirect_call, 0
	.section	.AMDGPU.csdata,"",@progbits
; Kernel info:
; codeLenInByte = 0
; TotalNumSgprs: 4
; NumVgprs: 0
; ScratchSize: 0
; MemoryBound: 0
; FloatMode: 240
; IeeeMode: 1
; LDSByteSize: 0 bytes/workgroup (compile time only)
; SGPRBlocks: 0
; VGPRBlocks: 0
; NumSGPRsForWavesPerEU: 4
; NumVGPRsForWavesPerEU: 1
; Occupancy: 10
; WaveLimiterHint : 0
; COMPUTE_PGM_RSRC2:SCRATCH_EN: 0
; COMPUTE_PGM_RSRC2:USER_SGPR: 6
; COMPUTE_PGM_RSRC2:TRAP_HANDLER: 0
; COMPUTE_PGM_RSRC2:TGID_X_EN: 1
; COMPUTE_PGM_RSRC2:TGID_Y_EN: 0
; COMPUTE_PGM_RSRC2:TGID_Z_EN: 0
; COMPUTE_PGM_RSRC2:TIDIG_COMP_CNT: 0
	.section	.text._ZN7rocprim17ROCPRIM_400000_NS6detail17trampoline_kernelINS0_14default_configENS1_27upper_bound_config_selectorIjlEEZNS1_14transform_implILb0ES3_S5_N6thrust23THRUST_200600_302600_NS6detail15normal_iteratorINS8_7pointerIjNS8_11hip_rocprim5par_tENS8_11use_defaultESE_EEEENSA_INSB_IlSD_SE_SE_EEEEZNS1_13binary_searchIS3_S5_NSA_INS8_10device_ptrIjEEEESG_SI_NS1_21upper_bound_search_opENS9_16wrapped_functionINS8_6system6detail7generic6detail18binary_search_lessEbEEEE10hipError_tPvRmT1_T2_T3_mmT4_T5_P12ihipStream_tbEUlRKjE_EESV_SZ_S10_mS11_S14_bEUlT_E_NS1_11comp_targetILNS1_3genE2ELNS1_11target_archE906ELNS1_3gpuE6ELNS1_3repE0EEENS1_30default_config_static_selectorELNS0_4arch9wavefront6targetE1EEEvSY_,"axG",@progbits,_ZN7rocprim17ROCPRIM_400000_NS6detail17trampoline_kernelINS0_14default_configENS1_27upper_bound_config_selectorIjlEEZNS1_14transform_implILb0ES3_S5_N6thrust23THRUST_200600_302600_NS6detail15normal_iteratorINS8_7pointerIjNS8_11hip_rocprim5par_tENS8_11use_defaultESE_EEEENSA_INSB_IlSD_SE_SE_EEEEZNS1_13binary_searchIS3_S5_NSA_INS8_10device_ptrIjEEEESG_SI_NS1_21upper_bound_search_opENS9_16wrapped_functionINS8_6system6detail7generic6detail18binary_search_lessEbEEEE10hipError_tPvRmT1_T2_T3_mmT4_T5_P12ihipStream_tbEUlRKjE_EESV_SZ_S10_mS11_S14_bEUlT_E_NS1_11comp_targetILNS1_3genE2ELNS1_11target_archE906ELNS1_3gpuE6ELNS1_3repE0EEENS1_30default_config_static_selectorELNS0_4arch9wavefront6targetE1EEEvSY_,comdat
	.protected	_ZN7rocprim17ROCPRIM_400000_NS6detail17trampoline_kernelINS0_14default_configENS1_27upper_bound_config_selectorIjlEEZNS1_14transform_implILb0ES3_S5_N6thrust23THRUST_200600_302600_NS6detail15normal_iteratorINS8_7pointerIjNS8_11hip_rocprim5par_tENS8_11use_defaultESE_EEEENSA_INSB_IlSD_SE_SE_EEEEZNS1_13binary_searchIS3_S5_NSA_INS8_10device_ptrIjEEEESG_SI_NS1_21upper_bound_search_opENS9_16wrapped_functionINS8_6system6detail7generic6detail18binary_search_lessEbEEEE10hipError_tPvRmT1_T2_T3_mmT4_T5_P12ihipStream_tbEUlRKjE_EESV_SZ_S10_mS11_S14_bEUlT_E_NS1_11comp_targetILNS1_3genE2ELNS1_11target_archE906ELNS1_3gpuE6ELNS1_3repE0EEENS1_30default_config_static_selectorELNS0_4arch9wavefront6targetE1EEEvSY_ ; -- Begin function _ZN7rocprim17ROCPRIM_400000_NS6detail17trampoline_kernelINS0_14default_configENS1_27upper_bound_config_selectorIjlEEZNS1_14transform_implILb0ES3_S5_N6thrust23THRUST_200600_302600_NS6detail15normal_iteratorINS8_7pointerIjNS8_11hip_rocprim5par_tENS8_11use_defaultESE_EEEENSA_INSB_IlSD_SE_SE_EEEEZNS1_13binary_searchIS3_S5_NSA_INS8_10device_ptrIjEEEESG_SI_NS1_21upper_bound_search_opENS9_16wrapped_functionINS8_6system6detail7generic6detail18binary_search_lessEbEEEE10hipError_tPvRmT1_T2_T3_mmT4_T5_P12ihipStream_tbEUlRKjE_EESV_SZ_S10_mS11_S14_bEUlT_E_NS1_11comp_targetILNS1_3genE2ELNS1_11target_archE906ELNS1_3gpuE6ELNS1_3repE0EEENS1_30default_config_static_selectorELNS0_4arch9wavefront6targetE1EEEvSY_
	.globl	_ZN7rocprim17ROCPRIM_400000_NS6detail17trampoline_kernelINS0_14default_configENS1_27upper_bound_config_selectorIjlEEZNS1_14transform_implILb0ES3_S5_N6thrust23THRUST_200600_302600_NS6detail15normal_iteratorINS8_7pointerIjNS8_11hip_rocprim5par_tENS8_11use_defaultESE_EEEENSA_INSB_IlSD_SE_SE_EEEEZNS1_13binary_searchIS3_S5_NSA_INS8_10device_ptrIjEEEESG_SI_NS1_21upper_bound_search_opENS9_16wrapped_functionINS8_6system6detail7generic6detail18binary_search_lessEbEEEE10hipError_tPvRmT1_T2_T3_mmT4_T5_P12ihipStream_tbEUlRKjE_EESV_SZ_S10_mS11_S14_bEUlT_E_NS1_11comp_targetILNS1_3genE2ELNS1_11target_archE906ELNS1_3gpuE6ELNS1_3repE0EEENS1_30default_config_static_selectorELNS0_4arch9wavefront6targetE1EEEvSY_
	.p2align	8
	.type	_ZN7rocprim17ROCPRIM_400000_NS6detail17trampoline_kernelINS0_14default_configENS1_27upper_bound_config_selectorIjlEEZNS1_14transform_implILb0ES3_S5_N6thrust23THRUST_200600_302600_NS6detail15normal_iteratorINS8_7pointerIjNS8_11hip_rocprim5par_tENS8_11use_defaultESE_EEEENSA_INSB_IlSD_SE_SE_EEEEZNS1_13binary_searchIS3_S5_NSA_INS8_10device_ptrIjEEEESG_SI_NS1_21upper_bound_search_opENS9_16wrapped_functionINS8_6system6detail7generic6detail18binary_search_lessEbEEEE10hipError_tPvRmT1_T2_T3_mmT4_T5_P12ihipStream_tbEUlRKjE_EESV_SZ_S10_mS11_S14_bEUlT_E_NS1_11comp_targetILNS1_3genE2ELNS1_11target_archE906ELNS1_3gpuE6ELNS1_3repE0EEENS1_30default_config_static_selectorELNS0_4arch9wavefront6targetE1EEEvSY_,@function
_ZN7rocprim17ROCPRIM_400000_NS6detail17trampoline_kernelINS0_14default_configENS1_27upper_bound_config_selectorIjlEEZNS1_14transform_implILb0ES3_S5_N6thrust23THRUST_200600_302600_NS6detail15normal_iteratorINS8_7pointerIjNS8_11hip_rocprim5par_tENS8_11use_defaultESE_EEEENSA_INSB_IlSD_SE_SE_EEEEZNS1_13binary_searchIS3_S5_NSA_INS8_10device_ptrIjEEEESG_SI_NS1_21upper_bound_search_opENS9_16wrapped_functionINS8_6system6detail7generic6detail18binary_search_lessEbEEEE10hipError_tPvRmT1_T2_T3_mmT4_T5_P12ihipStream_tbEUlRKjE_EESV_SZ_S10_mS11_S14_bEUlT_E_NS1_11comp_targetILNS1_3genE2ELNS1_11target_archE906ELNS1_3gpuE6ELNS1_3repE0EEENS1_30default_config_static_selectorELNS0_4arch9wavefront6targetE1EEEvSY_: ; @_ZN7rocprim17ROCPRIM_400000_NS6detail17trampoline_kernelINS0_14default_configENS1_27upper_bound_config_selectorIjlEEZNS1_14transform_implILb0ES3_S5_N6thrust23THRUST_200600_302600_NS6detail15normal_iteratorINS8_7pointerIjNS8_11hip_rocprim5par_tENS8_11use_defaultESE_EEEENSA_INSB_IlSD_SE_SE_EEEEZNS1_13binary_searchIS3_S5_NSA_INS8_10device_ptrIjEEEESG_SI_NS1_21upper_bound_search_opENS9_16wrapped_functionINS8_6system6detail7generic6detail18binary_search_lessEbEEEE10hipError_tPvRmT1_T2_T3_mmT4_T5_P12ihipStream_tbEUlRKjE_EESV_SZ_S10_mS11_S14_bEUlT_E_NS1_11comp_targetILNS1_3genE2ELNS1_11target_archE906ELNS1_3gpuE6ELNS1_3repE0EEENS1_30default_config_static_selectorELNS0_4arch9wavefront6targetE1EEEvSY_
; %bb.0:
	s_load_dwordx4 s[16:19], s[4:5], 0x0
	s_load_dwordx4 s[8:11], s[4:5], 0x18
	s_load_dwordx2 s[12:13], s[4:5], 0x28
	s_load_dword s15, s[4:5], 0x38
	s_waitcnt lgkmcnt(0)
	s_lshl_b64 s[0:1], s[18:19], 2
	s_add_u32 s2, s16, s0
	s_addc_u32 s3, s17, s1
	s_lshl_b64 s[0:1], s[18:19], 3
	s_add_u32 s7, s8, s0
	s_addc_u32 s14, s9, s1
	s_lshl_b32 s8, s6, 8
	s_add_i32 s15, s15, -1
	s_mov_b32 s9, 0
	s_cmp_lg_u32 s6, s15
	s_mov_b64 s[0:1], -1
	s_cbranch_scc0 .LBB549_7
; %bb.1:
	s_cmp_eq_u64 s[12:13], 0
	s_mov_b64 s[0:1], 0
	s_cbranch_scc1 .LBB549_5
; %bb.2:
	s_lshl_b64 s[16:17], s[8:9], 2
	s_add_u32 s6, s2, s16
	s_addc_u32 s15, s3, s17
	v_lshlrev_b32_e32 v1, 2, v0
	v_mov_b32_e32 v2, s15
	v_add_co_u32_e32 v1, vcc, s6, v1
	v_addc_co_u32_e32 v2, vcc, 0, v2, vcc
	flat_load_dword v5, v[1:2]
	v_mov_b32_e32 v1, 0
	v_mov_b32_e32 v3, s12
	v_mov_b32_e32 v2, 0
	v_mov_b32_e32 v4, s13
	v_mov_b32_e32 v6, s11
.LBB549_3:                              ; =>This Inner Loop Header: Depth=1
	v_sub_co_u32_e32 v7, vcc, v3, v1
	v_subb_co_u32_e32 v8, vcc, v4, v2, vcc
	v_lshrrev_b64 v[9:10], 1, v[7:8]
	v_lshrrev_b64 v[7:8], 6, v[7:8]
	v_add_co_u32_e32 v9, vcc, v9, v1
	v_addc_co_u32_e32 v10, vcc, v10, v2, vcc
	v_add_co_u32_e32 v7, vcc, v9, v7
	v_addc_co_u32_e32 v8, vcc, v10, v8, vcc
	v_lshlrev_b64 v[9:10], 2, v[7:8]
	v_add_co_u32_e32 v9, vcc, s10, v9
	v_addc_co_u32_e32 v10, vcc, v6, v10, vcc
	global_load_dword v9, v[9:10], off
	v_add_co_u32_e32 v10, vcc, 1, v7
	v_addc_co_u32_e32 v11, vcc, 0, v8, vcc
	s_waitcnt vmcnt(0) lgkmcnt(0)
	v_cmp_lt_u32_e32 vcc, v5, v9
	v_cndmask_b32_e32 v4, v4, v8, vcc
	v_cndmask_b32_e32 v3, v3, v7, vcc
	;; [unrolled: 1-line block ×4, first 2 shown]
	v_cmp_ge_u64_e32 vcc, v[1:2], v[3:4]
	s_or_b64 s[0:1], vcc, s[0:1]
	s_andn2_b64 exec, exec, s[0:1]
	s_cbranch_execnz .LBB549_3
; %bb.4:
	s_or_b64 exec, exec, s[0:1]
	s_branch .LBB549_6
.LBB549_5:
	v_mov_b32_e32 v1, 0
	v_mov_b32_e32 v2, 0
.LBB549_6:
	s_lshl_b64 s[0:1], s[8:9], 3
	s_add_u32 s0, s7, s0
	s_addc_u32 s1, s14, s1
	v_lshlrev_b32_e32 v3, 3, v0
	v_mov_b32_e32 v4, s1
	v_add_co_u32_e32 v3, vcc, s0, v3
	v_addc_co_u32_e32 v4, vcc, 0, v4, vcc
	s_mov_b64 s[0:1], 0
	flat_store_dwordx2 v[3:4], v[1:2]
.LBB549_7:
	s_and_b64 vcc, exec, s[0:1]
	s_cbranch_vccz .LBB549_16
; %bb.8:
	s_load_dword s0, s[4:5], 0x10
                                        ; implicit-def: $vgpr5
	s_waitcnt lgkmcnt(0)
	s_sub_i32 s4, s0, s8
	v_cmp_le_u32_e64 s[0:1], s4, v0
	v_cmp_gt_u32_e32 vcc, s4, v0
	s_and_saveexec_b64 s[4:5], vcc
	s_cbranch_execz .LBB549_10
; %bb.9:
	s_lshl_b64 s[16:17], s[8:9], 2
	s_add_u32 s2, s2, s16
	s_addc_u32 s3, s3, s17
	v_lshlrev_b32_e32 v1, 2, v0
	v_mov_b32_e32 v2, s3
	v_add_co_u32_e64 v1, s[2:3], s2, v1
	v_addc_co_u32_e64 v2, s[2:3], 0, v2, s[2:3]
	flat_load_dword v5, v[1:2]
.LBB549_10:
	s_or_b64 exec, exec, s[4:5]
	s_cmp_lg_u64 s[12:13], 0
	s_cselect_b64 s[4:5], -1, 0
	s_xor_b64 s[0:1], s[0:1], -1
	v_mov_b32_e32 v1, 0
	s_mov_b64 s[2:3], 0
	v_mov_b32_e32 v2, 0
	s_and_b64 s[0:1], s[0:1], s[4:5]
	s_and_saveexec_b64 s[4:5], s[0:1]
	s_cbranch_execz .LBB549_14
; %bb.11:
	v_mov_b32_e32 v1, 0
	v_mov_b32_e32 v3, s12
	;; [unrolled: 1-line block ×5, first 2 shown]
.LBB549_12:                             ; =>This Inner Loop Header: Depth=1
	v_sub_co_u32_e64 v7, s[0:1], v3, v1
	v_subb_co_u32_e64 v8, s[0:1], v4, v2, s[0:1]
	v_lshrrev_b64 v[9:10], 1, v[7:8]
	v_lshrrev_b64 v[7:8], 6, v[7:8]
	v_add_co_u32_e64 v9, s[0:1], v9, v1
	v_addc_co_u32_e64 v10, s[0:1], v10, v2, s[0:1]
	v_add_co_u32_e64 v7, s[0:1], v9, v7
	v_addc_co_u32_e64 v8, s[0:1], v10, v8, s[0:1]
	v_lshlrev_b64 v[9:10], 2, v[7:8]
	v_add_co_u32_e64 v9, s[0:1], s10, v9
	v_addc_co_u32_e64 v10, s[0:1], v6, v10, s[0:1]
	global_load_dword v9, v[9:10], off
	v_add_co_u32_e64 v10, s[0:1], 1, v7
	v_addc_co_u32_e64 v11, s[0:1], 0, v8, s[0:1]
	s_waitcnt vmcnt(0) lgkmcnt(0)
	v_cmp_lt_u32_e64 s[0:1], v5, v9
	v_cndmask_b32_e64 v4, v4, v8, s[0:1]
	v_cndmask_b32_e64 v3, v3, v7, s[0:1]
	v_cndmask_b32_e64 v2, v11, v2, s[0:1]
	v_cndmask_b32_e64 v1, v10, v1, s[0:1]
	v_cmp_ge_u64_e64 s[0:1], v[1:2], v[3:4]
	s_or_b64 s[2:3], s[0:1], s[2:3]
	s_andn2_b64 exec, exec, s[2:3]
	s_cbranch_execnz .LBB549_12
; %bb.13:
	s_or_b64 exec, exec, s[2:3]
.LBB549_14:
	s_or_b64 exec, exec, s[4:5]
	s_and_saveexec_b64 s[0:1], vcc
	s_cbranch_execz .LBB549_16
; %bb.15:
	s_lshl_b64 s[0:1], s[8:9], 3
	s_add_u32 s0, s7, s0
	s_addc_u32 s1, s14, s1
	v_lshlrev_b32_e32 v0, 3, v0
	v_mov_b32_e32 v4, s1
	v_add_co_u32_e32 v3, vcc, s0, v0
	v_addc_co_u32_e32 v4, vcc, 0, v4, vcc
	flat_store_dwordx2 v[3:4], v[1:2]
.LBB549_16:
	s_endpgm
	.section	.rodata,"a",@progbits
	.p2align	6, 0x0
	.amdhsa_kernel _ZN7rocprim17ROCPRIM_400000_NS6detail17trampoline_kernelINS0_14default_configENS1_27upper_bound_config_selectorIjlEEZNS1_14transform_implILb0ES3_S5_N6thrust23THRUST_200600_302600_NS6detail15normal_iteratorINS8_7pointerIjNS8_11hip_rocprim5par_tENS8_11use_defaultESE_EEEENSA_INSB_IlSD_SE_SE_EEEEZNS1_13binary_searchIS3_S5_NSA_INS8_10device_ptrIjEEEESG_SI_NS1_21upper_bound_search_opENS9_16wrapped_functionINS8_6system6detail7generic6detail18binary_search_lessEbEEEE10hipError_tPvRmT1_T2_T3_mmT4_T5_P12ihipStream_tbEUlRKjE_EESV_SZ_S10_mS11_S14_bEUlT_E_NS1_11comp_targetILNS1_3genE2ELNS1_11target_archE906ELNS1_3gpuE6ELNS1_3repE0EEENS1_30default_config_static_selectorELNS0_4arch9wavefront6targetE1EEEvSY_
		.amdhsa_group_segment_fixed_size 0
		.amdhsa_private_segment_fixed_size 0
		.amdhsa_kernarg_size 312
		.amdhsa_user_sgpr_count 6
		.amdhsa_user_sgpr_private_segment_buffer 1
		.amdhsa_user_sgpr_dispatch_ptr 0
		.amdhsa_user_sgpr_queue_ptr 0
		.amdhsa_user_sgpr_kernarg_segment_ptr 1
		.amdhsa_user_sgpr_dispatch_id 0
		.amdhsa_user_sgpr_flat_scratch_init 0
		.amdhsa_user_sgpr_private_segment_size 0
		.amdhsa_uses_dynamic_stack 0
		.amdhsa_system_sgpr_private_segment_wavefront_offset 0
		.amdhsa_system_sgpr_workgroup_id_x 1
		.amdhsa_system_sgpr_workgroup_id_y 0
		.amdhsa_system_sgpr_workgroup_id_z 0
		.amdhsa_system_sgpr_workgroup_info 0
		.amdhsa_system_vgpr_workitem_id 0
		.amdhsa_next_free_vgpr 12
		.amdhsa_next_free_sgpr 20
		.amdhsa_reserve_vcc 1
		.amdhsa_reserve_flat_scratch 0
		.amdhsa_float_round_mode_32 0
		.amdhsa_float_round_mode_16_64 0
		.amdhsa_float_denorm_mode_32 3
		.amdhsa_float_denorm_mode_16_64 3
		.amdhsa_dx10_clamp 1
		.amdhsa_ieee_mode 1
		.amdhsa_fp16_overflow 0
		.amdhsa_exception_fp_ieee_invalid_op 0
		.amdhsa_exception_fp_denorm_src 0
		.amdhsa_exception_fp_ieee_div_zero 0
		.amdhsa_exception_fp_ieee_overflow 0
		.amdhsa_exception_fp_ieee_underflow 0
		.amdhsa_exception_fp_ieee_inexact 0
		.amdhsa_exception_int_div_zero 0
	.end_amdhsa_kernel
	.section	.text._ZN7rocprim17ROCPRIM_400000_NS6detail17trampoline_kernelINS0_14default_configENS1_27upper_bound_config_selectorIjlEEZNS1_14transform_implILb0ES3_S5_N6thrust23THRUST_200600_302600_NS6detail15normal_iteratorINS8_7pointerIjNS8_11hip_rocprim5par_tENS8_11use_defaultESE_EEEENSA_INSB_IlSD_SE_SE_EEEEZNS1_13binary_searchIS3_S5_NSA_INS8_10device_ptrIjEEEESG_SI_NS1_21upper_bound_search_opENS9_16wrapped_functionINS8_6system6detail7generic6detail18binary_search_lessEbEEEE10hipError_tPvRmT1_T2_T3_mmT4_T5_P12ihipStream_tbEUlRKjE_EESV_SZ_S10_mS11_S14_bEUlT_E_NS1_11comp_targetILNS1_3genE2ELNS1_11target_archE906ELNS1_3gpuE6ELNS1_3repE0EEENS1_30default_config_static_selectorELNS0_4arch9wavefront6targetE1EEEvSY_,"axG",@progbits,_ZN7rocprim17ROCPRIM_400000_NS6detail17trampoline_kernelINS0_14default_configENS1_27upper_bound_config_selectorIjlEEZNS1_14transform_implILb0ES3_S5_N6thrust23THRUST_200600_302600_NS6detail15normal_iteratorINS8_7pointerIjNS8_11hip_rocprim5par_tENS8_11use_defaultESE_EEEENSA_INSB_IlSD_SE_SE_EEEEZNS1_13binary_searchIS3_S5_NSA_INS8_10device_ptrIjEEEESG_SI_NS1_21upper_bound_search_opENS9_16wrapped_functionINS8_6system6detail7generic6detail18binary_search_lessEbEEEE10hipError_tPvRmT1_T2_T3_mmT4_T5_P12ihipStream_tbEUlRKjE_EESV_SZ_S10_mS11_S14_bEUlT_E_NS1_11comp_targetILNS1_3genE2ELNS1_11target_archE906ELNS1_3gpuE6ELNS1_3repE0EEENS1_30default_config_static_selectorELNS0_4arch9wavefront6targetE1EEEvSY_,comdat
.Lfunc_end549:
	.size	_ZN7rocprim17ROCPRIM_400000_NS6detail17trampoline_kernelINS0_14default_configENS1_27upper_bound_config_selectorIjlEEZNS1_14transform_implILb0ES3_S5_N6thrust23THRUST_200600_302600_NS6detail15normal_iteratorINS8_7pointerIjNS8_11hip_rocprim5par_tENS8_11use_defaultESE_EEEENSA_INSB_IlSD_SE_SE_EEEEZNS1_13binary_searchIS3_S5_NSA_INS8_10device_ptrIjEEEESG_SI_NS1_21upper_bound_search_opENS9_16wrapped_functionINS8_6system6detail7generic6detail18binary_search_lessEbEEEE10hipError_tPvRmT1_T2_T3_mmT4_T5_P12ihipStream_tbEUlRKjE_EESV_SZ_S10_mS11_S14_bEUlT_E_NS1_11comp_targetILNS1_3genE2ELNS1_11target_archE906ELNS1_3gpuE6ELNS1_3repE0EEENS1_30default_config_static_selectorELNS0_4arch9wavefront6targetE1EEEvSY_, .Lfunc_end549-_ZN7rocprim17ROCPRIM_400000_NS6detail17trampoline_kernelINS0_14default_configENS1_27upper_bound_config_selectorIjlEEZNS1_14transform_implILb0ES3_S5_N6thrust23THRUST_200600_302600_NS6detail15normal_iteratorINS8_7pointerIjNS8_11hip_rocprim5par_tENS8_11use_defaultESE_EEEENSA_INSB_IlSD_SE_SE_EEEEZNS1_13binary_searchIS3_S5_NSA_INS8_10device_ptrIjEEEESG_SI_NS1_21upper_bound_search_opENS9_16wrapped_functionINS8_6system6detail7generic6detail18binary_search_lessEbEEEE10hipError_tPvRmT1_T2_T3_mmT4_T5_P12ihipStream_tbEUlRKjE_EESV_SZ_S10_mS11_S14_bEUlT_E_NS1_11comp_targetILNS1_3genE2ELNS1_11target_archE906ELNS1_3gpuE6ELNS1_3repE0EEENS1_30default_config_static_selectorELNS0_4arch9wavefront6targetE1EEEvSY_
                                        ; -- End function
	.set _ZN7rocprim17ROCPRIM_400000_NS6detail17trampoline_kernelINS0_14default_configENS1_27upper_bound_config_selectorIjlEEZNS1_14transform_implILb0ES3_S5_N6thrust23THRUST_200600_302600_NS6detail15normal_iteratorINS8_7pointerIjNS8_11hip_rocprim5par_tENS8_11use_defaultESE_EEEENSA_INSB_IlSD_SE_SE_EEEEZNS1_13binary_searchIS3_S5_NSA_INS8_10device_ptrIjEEEESG_SI_NS1_21upper_bound_search_opENS9_16wrapped_functionINS8_6system6detail7generic6detail18binary_search_lessEbEEEE10hipError_tPvRmT1_T2_T3_mmT4_T5_P12ihipStream_tbEUlRKjE_EESV_SZ_S10_mS11_S14_bEUlT_E_NS1_11comp_targetILNS1_3genE2ELNS1_11target_archE906ELNS1_3gpuE6ELNS1_3repE0EEENS1_30default_config_static_selectorELNS0_4arch9wavefront6targetE1EEEvSY_.num_vgpr, 12
	.set _ZN7rocprim17ROCPRIM_400000_NS6detail17trampoline_kernelINS0_14default_configENS1_27upper_bound_config_selectorIjlEEZNS1_14transform_implILb0ES3_S5_N6thrust23THRUST_200600_302600_NS6detail15normal_iteratorINS8_7pointerIjNS8_11hip_rocprim5par_tENS8_11use_defaultESE_EEEENSA_INSB_IlSD_SE_SE_EEEEZNS1_13binary_searchIS3_S5_NSA_INS8_10device_ptrIjEEEESG_SI_NS1_21upper_bound_search_opENS9_16wrapped_functionINS8_6system6detail7generic6detail18binary_search_lessEbEEEE10hipError_tPvRmT1_T2_T3_mmT4_T5_P12ihipStream_tbEUlRKjE_EESV_SZ_S10_mS11_S14_bEUlT_E_NS1_11comp_targetILNS1_3genE2ELNS1_11target_archE906ELNS1_3gpuE6ELNS1_3repE0EEENS1_30default_config_static_selectorELNS0_4arch9wavefront6targetE1EEEvSY_.num_agpr, 0
	.set _ZN7rocprim17ROCPRIM_400000_NS6detail17trampoline_kernelINS0_14default_configENS1_27upper_bound_config_selectorIjlEEZNS1_14transform_implILb0ES3_S5_N6thrust23THRUST_200600_302600_NS6detail15normal_iteratorINS8_7pointerIjNS8_11hip_rocprim5par_tENS8_11use_defaultESE_EEEENSA_INSB_IlSD_SE_SE_EEEEZNS1_13binary_searchIS3_S5_NSA_INS8_10device_ptrIjEEEESG_SI_NS1_21upper_bound_search_opENS9_16wrapped_functionINS8_6system6detail7generic6detail18binary_search_lessEbEEEE10hipError_tPvRmT1_T2_T3_mmT4_T5_P12ihipStream_tbEUlRKjE_EESV_SZ_S10_mS11_S14_bEUlT_E_NS1_11comp_targetILNS1_3genE2ELNS1_11target_archE906ELNS1_3gpuE6ELNS1_3repE0EEENS1_30default_config_static_selectorELNS0_4arch9wavefront6targetE1EEEvSY_.numbered_sgpr, 20
	.set _ZN7rocprim17ROCPRIM_400000_NS6detail17trampoline_kernelINS0_14default_configENS1_27upper_bound_config_selectorIjlEEZNS1_14transform_implILb0ES3_S5_N6thrust23THRUST_200600_302600_NS6detail15normal_iteratorINS8_7pointerIjNS8_11hip_rocprim5par_tENS8_11use_defaultESE_EEEENSA_INSB_IlSD_SE_SE_EEEEZNS1_13binary_searchIS3_S5_NSA_INS8_10device_ptrIjEEEESG_SI_NS1_21upper_bound_search_opENS9_16wrapped_functionINS8_6system6detail7generic6detail18binary_search_lessEbEEEE10hipError_tPvRmT1_T2_T3_mmT4_T5_P12ihipStream_tbEUlRKjE_EESV_SZ_S10_mS11_S14_bEUlT_E_NS1_11comp_targetILNS1_3genE2ELNS1_11target_archE906ELNS1_3gpuE6ELNS1_3repE0EEENS1_30default_config_static_selectorELNS0_4arch9wavefront6targetE1EEEvSY_.num_named_barrier, 0
	.set _ZN7rocprim17ROCPRIM_400000_NS6detail17trampoline_kernelINS0_14default_configENS1_27upper_bound_config_selectorIjlEEZNS1_14transform_implILb0ES3_S5_N6thrust23THRUST_200600_302600_NS6detail15normal_iteratorINS8_7pointerIjNS8_11hip_rocprim5par_tENS8_11use_defaultESE_EEEENSA_INSB_IlSD_SE_SE_EEEEZNS1_13binary_searchIS3_S5_NSA_INS8_10device_ptrIjEEEESG_SI_NS1_21upper_bound_search_opENS9_16wrapped_functionINS8_6system6detail7generic6detail18binary_search_lessEbEEEE10hipError_tPvRmT1_T2_T3_mmT4_T5_P12ihipStream_tbEUlRKjE_EESV_SZ_S10_mS11_S14_bEUlT_E_NS1_11comp_targetILNS1_3genE2ELNS1_11target_archE906ELNS1_3gpuE6ELNS1_3repE0EEENS1_30default_config_static_selectorELNS0_4arch9wavefront6targetE1EEEvSY_.private_seg_size, 0
	.set _ZN7rocprim17ROCPRIM_400000_NS6detail17trampoline_kernelINS0_14default_configENS1_27upper_bound_config_selectorIjlEEZNS1_14transform_implILb0ES3_S5_N6thrust23THRUST_200600_302600_NS6detail15normal_iteratorINS8_7pointerIjNS8_11hip_rocprim5par_tENS8_11use_defaultESE_EEEENSA_INSB_IlSD_SE_SE_EEEEZNS1_13binary_searchIS3_S5_NSA_INS8_10device_ptrIjEEEESG_SI_NS1_21upper_bound_search_opENS9_16wrapped_functionINS8_6system6detail7generic6detail18binary_search_lessEbEEEE10hipError_tPvRmT1_T2_T3_mmT4_T5_P12ihipStream_tbEUlRKjE_EESV_SZ_S10_mS11_S14_bEUlT_E_NS1_11comp_targetILNS1_3genE2ELNS1_11target_archE906ELNS1_3gpuE6ELNS1_3repE0EEENS1_30default_config_static_selectorELNS0_4arch9wavefront6targetE1EEEvSY_.uses_vcc, 1
	.set _ZN7rocprim17ROCPRIM_400000_NS6detail17trampoline_kernelINS0_14default_configENS1_27upper_bound_config_selectorIjlEEZNS1_14transform_implILb0ES3_S5_N6thrust23THRUST_200600_302600_NS6detail15normal_iteratorINS8_7pointerIjNS8_11hip_rocprim5par_tENS8_11use_defaultESE_EEEENSA_INSB_IlSD_SE_SE_EEEEZNS1_13binary_searchIS3_S5_NSA_INS8_10device_ptrIjEEEESG_SI_NS1_21upper_bound_search_opENS9_16wrapped_functionINS8_6system6detail7generic6detail18binary_search_lessEbEEEE10hipError_tPvRmT1_T2_T3_mmT4_T5_P12ihipStream_tbEUlRKjE_EESV_SZ_S10_mS11_S14_bEUlT_E_NS1_11comp_targetILNS1_3genE2ELNS1_11target_archE906ELNS1_3gpuE6ELNS1_3repE0EEENS1_30default_config_static_selectorELNS0_4arch9wavefront6targetE1EEEvSY_.uses_flat_scratch, 0
	.set _ZN7rocprim17ROCPRIM_400000_NS6detail17trampoline_kernelINS0_14default_configENS1_27upper_bound_config_selectorIjlEEZNS1_14transform_implILb0ES3_S5_N6thrust23THRUST_200600_302600_NS6detail15normal_iteratorINS8_7pointerIjNS8_11hip_rocprim5par_tENS8_11use_defaultESE_EEEENSA_INSB_IlSD_SE_SE_EEEEZNS1_13binary_searchIS3_S5_NSA_INS8_10device_ptrIjEEEESG_SI_NS1_21upper_bound_search_opENS9_16wrapped_functionINS8_6system6detail7generic6detail18binary_search_lessEbEEEE10hipError_tPvRmT1_T2_T3_mmT4_T5_P12ihipStream_tbEUlRKjE_EESV_SZ_S10_mS11_S14_bEUlT_E_NS1_11comp_targetILNS1_3genE2ELNS1_11target_archE906ELNS1_3gpuE6ELNS1_3repE0EEENS1_30default_config_static_selectorELNS0_4arch9wavefront6targetE1EEEvSY_.has_dyn_sized_stack, 0
	.set _ZN7rocprim17ROCPRIM_400000_NS6detail17trampoline_kernelINS0_14default_configENS1_27upper_bound_config_selectorIjlEEZNS1_14transform_implILb0ES3_S5_N6thrust23THRUST_200600_302600_NS6detail15normal_iteratorINS8_7pointerIjNS8_11hip_rocprim5par_tENS8_11use_defaultESE_EEEENSA_INSB_IlSD_SE_SE_EEEEZNS1_13binary_searchIS3_S5_NSA_INS8_10device_ptrIjEEEESG_SI_NS1_21upper_bound_search_opENS9_16wrapped_functionINS8_6system6detail7generic6detail18binary_search_lessEbEEEE10hipError_tPvRmT1_T2_T3_mmT4_T5_P12ihipStream_tbEUlRKjE_EESV_SZ_S10_mS11_S14_bEUlT_E_NS1_11comp_targetILNS1_3genE2ELNS1_11target_archE906ELNS1_3gpuE6ELNS1_3repE0EEENS1_30default_config_static_selectorELNS0_4arch9wavefront6targetE1EEEvSY_.has_recursion, 0
	.set _ZN7rocprim17ROCPRIM_400000_NS6detail17trampoline_kernelINS0_14default_configENS1_27upper_bound_config_selectorIjlEEZNS1_14transform_implILb0ES3_S5_N6thrust23THRUST_200600_302600_NS6detail15normal_iteratorINS8_7pointerIjNS8_11hip_rocprim5par_tENS8_11use_defaultESE_EEEENSA_INSB_IlSD_SE_SE_EEEEZNS1_13binary_searchIS3_S5_NSA_INS8_10device_ptrIjEEEESG_SI_NS1_21upper_bound_search_opENS9_16wrapped_functionINS8_6system6detail7generic6detail18binary_search_lessEbEEEE10hipError_tPvRmT1_T2_T3_mmT4_T5_P12ihipStream_tbEUlRKjE_EESV_SZ_S10_mS11_S14_bEUlT_E_NS1_11comp_targetILNS1_3genE2ELNS1_11target_archE906ELNS1_3gpuE6ELNS1_3repE0EEENS1_30default_config_static_selectorELNS0_4arch9wavefront6targetE1EEEvSY_.has_indirect_call, 0
	.section	.AMDGPU.csdata,"",@progbits
; Kernel info:
; codeLenInByte = 700
; TotalNumSgprs: 24
; NumVgprs: 12
; ScratchSize: 0
; MemoryBound: 0
; FloatMode: 240
; IeeeMode: 1
; LDSByteSize: 0 bytes/workgroup (compile time only)
; SGPRBlocks: 2
; VGPRBlocks: 2
; NumSGPRsForWavesPerEU: 24
; NumVGPRsForWavesPerEU: 12
; Occupancy: 10
; WaveLimiterHint : 0
; COMPUTE_PGM_RSRC2:SCRATCH_EN: 0
; COMPUTE_PGM_RSRC2:USER_SGPR: 6
; COMPUTE_PGM_RSRC2:TRAP_HANDLER: 0
; COMPUTE_PGM_RSRC2:TGID_X_EN: 1
; COMPUTE_PGM_RSRC2:TGID_Y_EN: 0
; COMPUTE_PGM_RSRC2:TGID_Z_EN: 0
; COMPUTE_PGM_RSRC2:TIDIG_COMP_CNT: 0
	.section	.text._ZN7rocprim17ROCPRIM_400000_NS6detail17trampoline_kernelINS0_14default_configENS1_27upper_bound_config_selectorIjlEEZNS1_14transform_implILb0ES3_S5_N6thrust23THRUST_200600_302600_NS6detail15normal_iteratorINS8_7pointerIjNS8_11hip_rocprim5par_tENS8_11use_defaultESE_EEEENSA_INSB_IlSD_SE_SE_EEEEZNS1_13binary_searchIS3_S5_NSA_INS8_10device_ptrIjEEEESG_SI_NS1_21upper_bound_search_opENS9_16wrapped_functionINS8_6system6detail7generic6detail18binary_search_lessEbEEEE10hipError_tPvRmT1_T2_T3_mmT4_T5_P12ihipStream_tbEUlRKjE_EESV_SZ_S10_mS11_S14_bEUlT_E_NS1_11comp_targetILNS1_3genE10ELNS1_11target_archE1201ELNS1_3gpuE5ELNS1_3repE0EEENS1_30default_config_static_selectorELNS0_4arch9wavefront6targetE1EEEvSY_,"axG",@progbits,_ZN7rocprim17ROCPRIM_400000_NS6detail17trampoline_kernelINS0_14default_configENS1_27upper_bound_config_selectorIjlEEZNS1_14transform_implILb0ES3_S5_N6thrust23THRUST_200600_302600_NS6detail15normal_iteratorINS8_7pointerIjNS8_11hip_rocprim5par_tENS8_11use_defaultESE_EEEENSA_INSB_IlSD_SE_SE_EEEEZNS1_13binary_searchIS3_S5_NSA_INS8_10device_ptrIjEEEESG_SI_NS1_21upper_bound_search_opENS9_16wrapped_functionINS8_6system6detail7generic6detail18binary_search_lessEbEEEE10hipError_tPvRmT1_T2_T3_mmT4_T5_P12ihipStream_tbEUlRKjE_EESV_SZ_S10_mS11_S14_bEUlT_E_NS1_11comp_targetILNS1_3genE10ELNS1_11target_archE1201ELNS1_3gpuE5ELNS1_3repE0EEENS1_30default_config_static_selectorELNS0_4arch9wavefront6targetE1EEEvSY_,comdat
	.protected	_ZN7rocprim17ROCPRIM_400000_NS6detail17trampoline_kernelINS0_14default_configENS1_27upper_bound_config_selectorIjlEEZNS1_14transform_implILb0ES3_S5_N6thrust23THRUST_200600_302600_NS6detail15normal_iteratorINS8_7pointerIjNS8_11hip_rocprim5par_tENS8_11use_defaultESE_EEEENSA_INSB_IlSD_SE_SE_EEEEZNS1_13binary_searchIS3_S5_NSA_INS8_10device_ptrIjEEEESG_SI_NS1_21upper_bound_search_opENS9_16wrapped_functionINS8_6system6detail7generic6detail18binary_search_lessEbEEEE10hipError_tPvRmT1_T2_T3_mmT4_T5_P12ihipStream_tbEUlRKjE_EESV_SZ_S10_mS11_S14_bEUlT_E_NS1_11comp_targetILNS1_3genE10ELNS1_11target_archE1201ELNS1_3gpuE5ELNS1_3repE0EEENS1_30default_config_static_selectorELNS0_4arch9wavefront6targetE1EEEvSY_ ; -- Begin function _ZN7rocprim17ROCPRIM_400000_NS6detail17trampoline_kernelINS0_14default_configENS1_27upper_bound_config_selectorIjlEEZNS1_14transform_implILb0ES3_S5_N6thrust23THRUST_200600_302600_NS6detail15normal_iteratorINS8_7pointerIjNS8_11hip_rocprim5par_tENS8_11use_defaultESE_EEEENSA_INSB_IlSD_SE_SE_EEEEZNS1_13binary_searchIS3_S5_NSA_INS8_10device_ptrIjEEEESG_SI_NS1_21upper_bound_search_opENS9_16wrapped_functionINS8_6system6detail7generic6detail18binary_search_lessEbEEEE10hipError_tPvRmT1_T2_T3_mmT4_T5_P12ihipStream_tbEUlRKjE_EESV_SZ_S10_mS11_S14_bEUlT_E_NS1_11comp_targetILNS1_3genE10ELNS1_11target_archE1201ELNS1_3gpuE5ELNS1_3repE0EEENS1_30default_config_static_selectorELNS0_4arch9wavefront6targetE1EEEvSY_
	.globl	_ZN7rocprim17ROCPRIM_400000_NS6detail17trampoline_kernelINS0_14default_configENS1_27upper_bound_config_selectorIjlEEZNS1_14transform_implILb0ES3_S5_N6thrust23THRUST_200600_302600_NS6detail15normal_iteratorINS8_7pointerIjNS8_11hip_rocprim5par_tENS8_11use_defaultESE_EEEENSA_INSB_IlSD_SE_SE_EEEEZNS1_13binary_searchIS3_S5_NSA_INS8_10device_ptrIjEEEESG_SI_NS1_21upper_bound_search_opENS9_16wrapped_functionINS8_6system6detail7generic6detail18binary_search_lessEbEEEE10hipError_tPvRmT1_T2_T3_mmT4_T5_P12ihipStream_tbEUlRKjE_EESV_SZ_S10_mS11_S14_bEUlT_E_NS1_11comp_targetILNS1_3genE10ELNS1_11target_archE1201ELNS1_3gpuE5ELNS1_3repE0EEENS1_30default_config_static_selectorELNS0_4arch9wavefront6targetE1EEEvSY_
	.p2align	8
	.type	_ZN7rocprim17ROCPRIM_400000_NS6detail17trampoline_kernelINS0_14default_configENS1_27upper_bound_config_selectorIjlEEZNS1_14transform_implILb0ES3_S5_N6thrust23THRUST_200600_302600_NS6detail15normal_iteratorINS8_7pointerIjNS8_11hip_rocprim5par_tENS8_11use_defaultESE_EEEENSA_INSB_IlSD_SE_SE_EEEEZNS1_13binary_searchIS3_S5_NSA_INS8_10device_ptrIjEEEESG_SI_NS1_21upper_bound_search_opENS9_16wrapped_functionINS8_6system6detail7generic6detail18binary_search_lessEbEEEE10hipError_tPvRmT1_T2_T3_mmT4_T5_P12ihipStream_tbEUlRKjE_EESV_SZ_S10_mS11_S14_bEUlT_E_NS1_11comp_targetILNS1_3genE10ELNS1_11target_archE1201ELNS1_3gpuE5ELNS1_3repE0EEENS1_30default_config_static_selectorELNS0_4arch9wavefront6targetE1EEEvSY_,@function
_ZN7rocprim17ROCPRIM_400000_NS6detail17trampoline_kernelINS0_14default_configENS1_27upper_bound_config_selectorIjlEEZNS1_14transform_implILb0ES3_S5_N6thrust23THRUST_200600_302600_NS6detail15normal_iteratorINS8_7pointerIjNS8_11hip_rocprim5par_tENS8_11use_defaultESE_EEEENSA_INSB_IlSD_SE_SE_EEEEZNS1_13binary_searchIS3_S5_NSA_INS8_10device_ptrIjEEEESG_SI_NS1_21upper_bound_search_opENS9_16wrapped_functionINS8_6system6detail7generic6detail18binary_search_lessEbEEEE10hipError_tPvRmT1_T2_T3_mmT4_T5_P12ihipStream_tbEUlRKjE_EESV_SZ_S10_mS11_S14_bEUlT_E_NS1_11comp_targetILNS1_3genE10ELNS1_11target_archE1201ELNS1_3gpuE5ELNS1_3repE0EEENS1_30default_config_static_selectorELNS0_4arch9wavefront6targetE1EEEvSY_: ; @_ZN7rocprim17ROCPRIM_400000_NS6detail17trampoline_kernelINS0_14default_configENS1_27upper_bound_config_selectorIjlEEZNS1_14transform_implILb0ES3_S5_N6thrust23THRUST_200600_302600_NS6detail15normal_iteratorINS8_7pointerIjNS8_11hip_rocprim5par_tENS8_11use_defaultESE_EEEENSA_INSB_IlSD_SE_SE_EEEEZNS1_13binary_searchIS3_S5_NSA_INS8_10device_ptrIjEEEESG_SI_NS1_21upper_bound_search_opENS9_16wrapped_functionINS8_6system6detail7generic6detail18binary_search_lessEbEEEE10hipError_tPvRmT1_T2_T3_mmT4_T5_P12ihipStream_tbEUlRKjE_EESV_SZ_S10_mS11_S14_bEUlT_E_NS1_11comp_targetILNS1_3genE10ELNS1_11target_archE1201ELNS1_3gpuE5ELNS1_3repE0EEENS1_30default_config_static_selectorELNS0_4arch9wavefront6targetE1EEEvSY_
; %bb.0:
	.section	.rodata,"a",@progbits
	.p2align	6, 0x0
	.amdhsa_kernel _ZN7rocprim17ROCPRIM_400000_NS6detail17trampoline_kernelINS0_14default_configENS1_27upper_bound_config_selectorIjlEEZNS1_14transform_implILb0ES3_S5_N6thrust23THRUST_200600_302600_NS6detail15normal_iteratorINS8_7pointerIjNS8_11hip_rocprim5par_tENS8_11use_defaultESE_EEEENSA_INSB_IlSD_SE_SE_EEEEZNS1_13binary_searchIS3_S5_NSA_INS8_10device_ptrIjEEEESG_SI_NS1_21upper_bound_search_opENS9_16wrapped_functionINS8_6system6detail7generic6detail18binary_search_lessEbEEEE10hipError_tPvRmT1_T2_T3_mmT4_T5_P12ihipStream_tbEUlRKjE_EESV_SZ_S10_mS11_S14_bEUlT_E_NS1_11comp_targetILNS1_3genE10ELNS1_11target_archE1201ELNS1_3gpuE5ELNS1_3repE0EEENS1_30default_config_static_selectorELNS0_4arch9wavefront6targetE1EEEvSY_
		.amdhsa_group_segment_fixed_size 0
		.amdhsa_private_segment_fixed_size 0
		.amdhsa_kernarg_size 56
		.amdhsa_user_sgpr_count 6
		.amdhsa_user_sgpr_private_segment_buffer 1
		.amdhsa_user_sgpr_dispatch_ptr 0
		.amdhsa_user_sgpr_queue_ptr 0
		.amdhsa_user_sgpr_kernarg_segment_ptr 1
		.amdhsa_user_sgpr_dispatch_id 0
		.amdhsa_user_sgpr_flat_scratch_init 0
		.amdhsa_user_sgpr_private_segment_size 0
		.amdhsa_uses_dynamic_stack 0
		.amdhsa_system_sgpr_private_segment_wavefront_offset 0
		.amdhsa_system_sgpr_workgroup_id_x 1
		.amdhsa_system_sgpr_workgroup_id_y 0
		.amdhsa_system_sgpr_workgroup_id_z 0
		.amdhsa_system_sgpr_workgroup_info 0
		.amdhsa_system_vgpr_workitem_id 0
		.amdhsa_next_free_vgpr 1
		.amdhsa_next_free_sgpr 0
		.amdhsa_reserve_vcc 0
		.amdhsa_reserve_flat_scratch 0
		.amdhsa_float_round_mode_32 0
		.amdhsa_float_round_mode_16_64 0
		.amdhsa_float_denorm_mode_32 3
		.amdhsa_float_denorm_mode_16_64 3
		.amdhsa_dx10_clamp 1
		.amdhsa_ieee_mode 1
		.amdhsa_fp16_overflow 0
		.amdhsa_exception_fp_ieee_invalid_op 0
		.amdhsa_exception_fp_denorm_src 0
		.amdhsa_exception_fp_ieee_div_zero 0
		.amdhsa_exception_fp_ieee_overflow 0
		.amdhsa_exception_fp_ieee_underflow 0
		.amdhsa_exception_fp_ieee_inexact 0
		.amdhsa_exception_int_div_zero 0
	.end_amdhsa_kernel
	.section	.text._ZN7rocprim17ROCPRIM_400000_NS6detail17trampoline_kernelINS0_14default_configENS1_27upper_bound_config_selectorIjlEEZNS1_14transform_implILb0ES3_S5_N6thrust23THRUST_200600_302600_NS6detail15normal_iteratorINS8_7pointerIjNS8_11hip_rocprim5par_tENS8_11use_defaultESE_EEEENSA_INSB_IlSD_SE_SE_EEEEZNS1_13binary_searchIS3_S5_NSA_INS8_10device_ptrIjEEEESG_SI_NS1_21upper_bound_search_opENS9_16wrapped_functionINS8_6system6detail7generic6detail18binary_search_lessEbEEEE10hipError_tPvRmT1_T2_T3_mmT4_T5_P12ihipStream_tbEUlRKjE_EESV_SZ_S10_mS11_S14_bEUlT_E_NS1_11comp_targetILNS1_3genE10ELNS1_11target_archE1201ELNS1_3gpuE5ELNS1_3repE0EEENS1_30default_config_static_selectorELNS0_4arch9wavefront6targetE1EEEvSY_,"axG",@progbits,_ZN7rocprim17ROCPRIM_400000_NS6detail17trampoline_kernelINS0_14default_configENS1_27upper_bound_config_selectorIjlEEZNS1_14transform_implILb0ES3_S5_N6thrust23THRUST_200600_302600_NS6detail15normal_iteratorINS8_7pointerIjNS8_11hip_rocprim5par_tENS8_11use_defaultESE_EEEENSA_INSB_IlSD_SE_SE_EEEEZNS1_13binary_searchIS3_S5_NSA_INS8_10device_ptrIjEEEESG_SI_NS1_21upper_bound_search_opENS9_16wrapped_functionINS8_6system6detail7generic6detail18binary_search_lessEbEEEE10hipError_tPvRmT1_T2_T3_mmT4_T5_P12ihipStream_tbEUlRKjE_EESV_SZ_S10_mS11_S14_bEUlT_E_NS1_11comp_targetILNS1_3genE10ELNS1_11target_archE1201ELNS1_3gpuE5ELNS1_3repE0EEENS1_30default_config_static_selectorELNS0_4arch9wavefront6targetE1EEEvSY_,comdat
.Lfunc_end550:
	.size	_ZN7rocprim17ROCPRIM_400000_NS6detail17trampoline_kernelINS0_14default_configENS1_27upper_bound_config_selectorIjlEEZNS1_14transform_implILb0ES3_S5_N6thrust23THRUST_200600_302600_NS6detail15normal_iteratorINS8_7pointerIjNS8_11hip_rocprim5par_tENS8_11use_defaultESE_EEEENSA_INSB_IlSD_SE_SE_EEEEZNS1_13binary_searchIS3_S5_NSA_INS8_10device_ptrIjEEEESG_SI_NS1_21upper_bound_search_opENS9_16wrapped_functionINS8_6system6detail7generic6detail18binary_search_lessEbEEEE10hipError_tPvRmT1_T2_T3_mmT4_T5_P12ihipStream_tbEUlRKjE_EESV_SZ_S10_mS11_S14_bEUlT_E_NS1_11comp_targetILNS1_3genE10ELNS1_11target_archE1201ELNS1_3gpuE5ELNS1_3repE0EEENS1_30default_config_static_selectorELNS0_4arch9wavefront6targetE1EEEvSY_, .Lfunc_end550-_ZN7rocprim17ROCPRIM_400000_NS6detail17trampoline_kernelINS0_14default_configENS1_27upper_bound_config_selectorIjlEEZNS1_14transform_implILb0ES3_S5_N6thrust23THRUST_200600_302600_NS6detail15normal_iteratorINS8_7pointerIjNS8_11hip_rocprim5par_tENS8_11use_defaultESE_EEEENSA_INSB_IlSD_SE_SE_EEEEZNS1_13binary_searchIS3_S5_NSA_INS8_10device_ptrIjEEEESG_SI_NS1_21upper_bound_search_opENS9_16wrapped_functionINS8_6system6detail7generic6detail18binary_search_lessEbEEEE10hipError_tPvRmT1_T2_T3_mmT4_T5_P12ihipStream_tbEUlRKjE_EESV_SZ_S10_mS11_S14_bEUlT_E_NS1_11comp_targetILNS1_3genE10ELNS1_11target_archE1201ELNS1_3gpuE5ELNS1_3repE0EEENS1_30default_config_static_selectorELNS0_4arch9wavefront6targetE1EEEvSY_
                                        ; -- End function
	.set _ZN7rocprim17ROCPRIM_400000_NS6detail17trampoline_kernelINS0_14default_configENS1_27upper_bound_config_selectorIjlEEZNS1_14transform_implILb0ES3_S5_N6thrust23THRUST_200600_302600_NS6detail15normal_iteratorINS8_7pointerIjNS8_11hip_rocprim5par_tENS8_11use_defaultESE_EEEENSA_INSB_IlSD_SE_SE_EEEEZNS1_13binary_searchIS3_S5_NSA_INS8_10device_ptrIjEEEESG_SI_NS1_21upper_bound_search_opENS9_16wrapped_functionINS8_6system6detail7generic6detail18binary_search_lessEbEEEE10hipError_tPvRmT1_T2_T3_mmT4_T5_P12ihipStream_tbEUlRKjE_EESV_SZ_S10_mS11_S14_bEUlT_E_NS1_11comp_targetILNS1_3genE10ELNS1_11target_archE1201ELNS1_3gpuE5ELNS1_3repE0EEENS1_30default_config_static_selectorELNS0_4arch9wavefront6targetE1EEEvSY_.num_vgpr, 0
	.set _ZN7rocprim17ROCPRIM_400000_NS6detail17trampoline_kernelINS0_14default_configENS1_27upper_bound_config_selectorIjlEEZNS1_14transform_implILb0ES3_S5_N6thrust23THRUST_200600_302600_NS6detail15normal_iteratorINS8_7pointerIjNS8_11hip_rocprim5par_tENS8_11use_defaultESE_EEEENSA_INSB_IlSD_SE_SE_EEEEZNS1_13binary_searchIS3_S5_NSA_INS8_10device_ptrIjEEEESG_SI_NS1_21upper_bound_search_opENS9_16wrapped_functionINS8_6system6detail7generic6detail18binary_search_lessEbEEEE10hipError_tPvRmT1_T2_T3_mmT4_T5_P12ihipStream_tbEUlRKjE_EESV_SZ_S10_mS11_S14_bEUlT_E_NS1_11comp_targetILNS1_3genE10ELNS1_11target_archE1201ELNS1_3gpuE5ELNS1_3repE0EEENS1_30default_config_static_selectorELNS0_4arch9wavefront6targetE1EEEvSY_.num_agpr, 0
	.set _ZN7rocprim17ROCPRIM_400000_NS6detail17trampoline_kernelINS0_14default_configENS1_27upper_bound_config_selectorIjlEEZNS1_14transform_implILb0ES3_S5_N6thrust23THRUST_200600_302600_NS6detail15normal_iteratorINS8_7pointerIjNS8_11hip_rocprim5par_tENS8_11use_defaultESE_EEEENSA_INSB_IlSD_SE_SE_EEEEZNS1_13binary_searchIS3_S5_NSA_INS8_10device_ptrIjEEEESG_SI_NS1_21upper_bound_search_opENS9_16wrapped_functionINS8_6system6detail7generic6detail18binary_search_lessEbEEEE10hipError_tPvRmT1_T2_T3_mmT4_T5_P12ihipStream_tbEUlRKjE_EESV_SZ_S10_mS11_S14_bEUlT_E_NS1_11comp_targetILNS1_3genE10ELNS1_11target_archE1201ELNS1_3gpuE5ELNS1_3repE0EEENS1_30default_config_static_selectorELNS0_4arch9wavefront6targetE1EEEvSY_.numbered_sgpr, 0
	.set _ZN7rocprim17ROCPRIM_400000_NS6detail17trampoline_kernelINS0_14default_configENS1_27upper_bound_config_selectorIjlEEZNS1_14transform_implILb0ES3_S5_N6thrust23THRUST_200600_302600_NS6detail15normal_iteratorINS8_7pointerIjNS8_11hip_rocprim5par_tENS8_11use_defaultESE_EEEENSA_INSB_IlSD_SE_SE_EEEEZNS1_13binary_searchIS3_S5_NSA_INS8_10device_ptrIjEEEESG_SI_NS1_21upper_bound_search_opENS9_16wrapped_functionINS8_6system6detail7generic6detail18binary_search_lessEbEEEE10hipError_tPvRmT1_T2_T3_mmT4_T5_P12ihipStream_tbEUlRKjE_EESV_SZ_S10_mS11_S14_bEUlT_E_NS1_11comp_targetILNS1_3genE10ELNS1_11target_archE1201ELNS1_3gpuE5ELNS1_3repE0EEENS1_30default_config_static_selectorELNS0_4arch9wavefront6targetE1EEEvSY_.num_named_barrier, 0
	.set _ZN7rocprim17ROCPRIM_400000_NS6detail17trampoline_kernelINS0_14default_configENS1_27upper_bound_config_selectorIjlEEZNS1_14transform_implILb0ES3_S5_N6thrust23THRUST_200600_302600_NS6detail15normal_iteratorINS8_7pointerIjNS8_11hip_rocprim5par_tENS8_11use_defaultESE_EEEENSA_INSB_IlSD_SE_SE_EEEEZNS1_13binary_searchIS3_S5_NSA_INS8_10device_ptrIjEEEESG_SI_NS1_21upper_bound_search_opENS9_16wrapped_functionINS8_6system6detail7generic6detail18binary_search_lessEbEEEE10hipError_tPvRmT1_T2_T3_mmT4_T5_P12ihipStream_tbEUlRKjE_EESV_SZ_S10_mS11_S14_bEUlT_E_NS1_11comp_targetILNS1_3genE10ELNS1_11target_archE1201ELNS1_3gpuE5ELNS1_3repE0EEENS1_30default_config_static_selectorELNS0_4arch9wavefront6targetE1EEEvSY_.private_seg_size, 0
	.set _ZN7rocprim17ROCPRIM_400000_NS6detail17trampoline_kernelINS0_14default_configENS1_27upper_bound_config_selectorIjlEEZNS1_14transform_implILb0ES3_S5_N6thrust23THRUST_200600_302600_NS6detail15normal_iteratorINS8_7pointerIjNS8_11hip_rocprim5par_tENS8_11use_defaultESE_EEEENSA_INSB_IlSD_SE_SE_EEEEZNS1_13binary_searchIS3_S5_NSA_INS8_10device_ptrIjEEEESG_SI_NS1_21upper_bound_search_opENS9_16wrapped_functionINS8_6system6detail7generic6detail18binary_search_lessEbEEEE10hipError_tPvRmT1_T2_T3_mmT4_T5_P12ihipStream_tbEUlRKjE_EESV_SZ_S10_mS11_S14_bEUlT_E_NS1_11comp_targetILNS1_3genE10ELNS1_11target_archE1201ELNS1_3gpuE5ELNS1_3repE0EEENS1_30default_config_static_selectorELNS0_4arch9wavefront6targetE1EEEvSY_.uses_vcc, 0
	.set _ZN7rocprim17ROCPRIM_400000_NS6detail17trampoline_kernelINS0_14default_configENS1_27upper_bound_config_selectorIjlEEZNS1_14transform_implILb0ES3_S5_N6thrust23THRUST_200600_302600_NS6detail15normal_iteratorINS8_7pointerIjNS8_11hip_rocprim5par_tENS8_11use_defaultESE_EEEENSA_INSB_IlSD_SE_SE_EEEEZNS1_13binary_searchIS3_S5_NSA_INS8_10device_ptrIjEEEESG_SI_NS1_21upper_bound_search_opENS9_16wrapped_functionINS8_6system6detail7generic6detail18binary_search_lessEbEEEE10hipError_tPvRmT1_T2_T3_mmT4_T5_P12ihipStream_tbEUlRKjE_EESV_SZ_S10_mS11_S14_bEUlT_E_NS1_11comp_targetILNS1_3genE10ELNS1_11target_archE1201ELNS1_3gpuE5ELNS1_3repE0EEENS1_30default_config_static_selectorELNS0_4arch9wavefront6targetE1EEEvSY_.uses_flat_scratch, 0
	.set _ZN7rocprim17ROCPRIM_400000_NS6detail17trampoline_kernelINS0_14default_configENS1_27upper_bound_config_selectorIjlEEZNS1_14transform_implILb0ES3_S5_N6thrust23THRUST_200600_302600_NS6detail15normal_iteratorINS8_7pointerIjNS8_11hip_rocprim5par_tENS8_11use_defaultESE_EEEENSA_INSB_IlSD_SE_SE_EEEEZNS1_13binary_searchIS3_S5_NSA_INS8_10device_ptrIjEEEESG_SI_NS1_21upper_bound_search_opENS9_16wrapped_functionINS8_6system6detail7generic6detail18binary_search_lessEbEEEE10hipError_tPvRmT1_T2_T3_mmT4_T5_P12ihipStream_tbEUlRKjE_EESV_SZ_S10_mS11_S14_bEUlT_E_NS1_11comp_targetILNS1_3genE10ELNS1_11target_archE1201ELNS1_3gpuE5ELNS1_3repE0EEENS1_30default_config_static_selectorELNS0_4arch9wavefront6targetE1EEEvSY_.has_dyn_sized_stack, 0
	.set _ZN7rocprim17ROCPRIM_400000_NS6detail17trampoline_kernelINS0_14default_configENS1_27upper_bound_config_selectorIjlEEZNS1_14transform_implILb0ES3_S5_N6thrust23THRUST_200600_302600_NS6detail15normal_iteratorINS8_7pointerIjNS8_11hip_rocprim5par_tENS8_11use_defaultESE_EEEENSA_INSB_IlSD_SE_SE_EEEEZNS1_13binary_searchIS3_S5_NSA_INS8_10device_ptrIjEEEESG_SI_NS1_21upper_bound_search_opENS9_16wrapped_functionINS8_6system6detail7generic6detail18binary_search_lessEbEEEE10hipError_tPvRmT1_T2_T3_mmT4_T5_P12ihipStream_tbEUlRKjE_EESV_SZ_S10_mS11_S14_bEUlT_E_NS1_11comp_targetILNS1_3genE10ELNS1_11target_archE1201ELNS1_3gpuE5ELNS1_3repE0EEENS1_30default_config_static_selectorELNS0_4arch9wavefront6targetE1EEEvSY_.has_recursion, 0
	.set _ZN7rocprim17ROCPRIM_400000_NS6detail17trampoline_kernelINS0_14default_configENS1_27upper_bound_config_selectorIjlEEZNS1_14transform_implILb0ES3_S5_N6thrust23THRUST_200600_302600_NS6detail15normal_iteratorINS8_7pointerIjNS8_11hip_rocprim5par_tENS8_11use_defaultESE_EEEENSA_INSB_IlSD_SE_SE_EEEEZNS1_13binary_searchIS3_S5_NSA_INS8_10device_ptrIjEEEESG_SI_NS1_21upper_bound_search_opENS9_16wrapped_functionINS8_6system6detail7generic6detail18binary_search_lessEbEEEE10hipError_tPvRmT1_T2_T3_mmT4_T5_P12ihipStream_tbEUlRKjE_EESV_SZ_S10_mS11_S14_bEUlT_E_NS1_11comp_targetILNS1_3genE10ELNS1_11target_archE1201ELNS1_3gpuE5ELNS1_3repE0EEENS1_30default_config_static_selectorELNS0_4arch9wavefront6targetE1EEEvSY_.has_indirect_call, 0
	.section	.AMDGPU.csdata,"",@progbits
; Kernel info:
; codeLenInByte = 0
; TotalNumSgprs: 4
; NumVgprs: 0
; ScratchSize: 0
; MemoryBound: 0
; FloatMode: 240
; IeeeMode: 1
; LDSByteSize: 0 bytes/workgroup (compile time only)
; SGPRBlocks: 0
; VGPRBlocks: 0
; NumSGPRsForWavesPerEU: 4
; NumVGPRsForWavesPerEU: 1
; Occupancy: 10
; WaveLimiterHint : 0
; COMPUTE_PGM_RSRC2:SCRATCH_EN: 0
; COMPUTE_PGM_RSRC2:USER_SGPR: 6
; COMPUTE_PGM_RSRC2:TRAP_HANDLER: 0
; COMPUTE_PGM_RSRC2:TGID_X_EN: 1
; COMPUTE_PGM_RSRC2:TGID_Y_EN: 0
; COMPUTE_PGM_RSRC2:TGID_Z_EN: 0
; COMPUTE_PGM_RSRC2:TIDIG_COMP_CNT: 0
	.section	.text._ZN7rocprim17ROCPRIM_400000_NS6detail17trampoline_kernelINS0_14default_configENS1_27upper_bound_config_selectorIjlEEZNS1_14transform_implILb0ES3_S5_N6thrust23THRUST_200600_302600_NS6detail15normal_iteratorINS8_7pointerIjNS8_11hip_rocprim5par_tENS8_11use_defaultESE_EEEENSA_INSB_IlSD_SE_SE_EEEEZNS1_13binary_searchIS3_S5_NSA_INS8_10device_ptrIjEEEESG_SI_NS1_21upper_bound_search_opENS9_16wrapped_functionINS8_6system6detail7generic6detail18binary_search_lessEbEEEE10hipError_tPvRmT1_T2_T3_mmT4_T5_P12ihipStream_tbEUlRKjE_EESV_SZ_S10_mS11_S14_bEUlT_E_NS1_11comp_targetILNS1_3genE10ELNS1_11target_archE1200ELNS1_3gpuE4ELNS1_3repE0EEENS1_30default_config_static_selectorELNS0_4arch9wavefront6targetE1EEEvSY_,"axG",@progbits,_ZN7rocprim17ROCPRIM_400000_NS6detail17trampoline_kernelINS0_14default_configENS1_27upper_bound_config_selectorIjlEEZNS1_14transform_implILb0ES3_S5_N6thrust23THRUST_200600_302600_NS6detail15normal_iteratorINS8_7pointerIjNS8_11hip_rocprim5par_tENS8_11use_defaultESE_EEEENSA_INSB_IlSD_SE_SE_EEEEZNS1_13binary_searchIS3_S5_NSA_INS8_10device_ptrIjEEEESG_SI_NS1_21upper_bound_search_opENS9_16wrapped_functionINS8_6system6detail7generic6detail18binary_search_lessEbEEEE10hipError_tPvRmT1_T2_T3_mmT4_T5_P12ihipStream_tbEUlRKjE_EESV_SZ_S10_mS11_S14_bEUlT_E_NS1_11comp_targetILNS1_3genE10ELNS1_11target_archE1200ELNS1_3gpuE4ELNS1_3repE0EEENS1_30default_config_static_selectorELNS0_4arch9wavefront6targetE1EEEvSY_,comdat
	.protected	_ZN7rocprim17ROCPRIM_400000_NS6detail17trampoline_kernelINS0_14default_configENS1_27upper_bound_config_selectorIjlEEZNS1_14transform_implILb0ES3_S5_N6thrust23THRUST_200600_302600_NS6detail15normal_iteratorINS8_7pointerIjNS8_11hip_rocprim5par_tENS8_11use_defaultESE_EEEENSA_INSB_IlSD_SE_SE_EEEEZNS1_13binary_searchIS3_S5_NSA_INS8_10device_ptrIjEEEESG_SI_NS1_21upper_bound_search_opENS9_16wrapped_functionINS8_6system6detail7generic6detail18binary_search_lessEbEEEE10hipError_tPvRmT1_T2_T3_mmT4_T5_P12ihipStream_tbEUlRKjE_EESV_SZ_S10_mS11_S14_bEUlT_E_NS1_11comp_targetILNS1_3genE10ELNS1_11target_archE1200ELNS1_3gpuE4ELNS1_3repE0EEENS1_30default_config_static_selectorELNS0_4arch9wavefront6targetE1EEEvSY_ ; -- Begin function _ZN7rocprim17ROCPRIM_400000_NS6detail17trampoline_kernelINS0_14default_configENS1_27upper_bound_config_selectorIjlEEZNS1_14transform_implILb0ES3_S5_N6thrust23THRUST_200600_302600_NS6detail15normal_iteratorINS8_7pointerIjNS8_11hip_rocprim5par_tENS8_11use_defaultESE_EEEENSA_INSB_IlSD_SE_SE_EEEEZNS1_13binary_searchIS3_S5_NSA_INS8_10device_ptrIjEEEESG_SI_NS1_21upper_bound_search_opENS9_16wrapped_functionINS8_6system6detail7generic6detail18binary_search_lessEbEEEE10hipError_tPvRmT1_T2_T3_mmT4_T5_P12ihipStream_tbEUlRKjE_EESV_SZ_S10_mS11_S14_bEUlT_E_NS1_11comp_targetILNS1_3genE10ELNS1_11target_archE1200ELNS1_3gpuE4ELNS1_3repE0EEENS1_30default_config_static_selectorELNS0_4arch9wavefront6targetE1EEEvSY_
	.globl	_ZN7rocprim17ROCPRIM_400000_NS6detail17trampoline_kernelINS0_14default_configENS1_27upper_bound_config_selectorIjlEEZNS1_14transform_implILb0ES3_S5_N6thrust23THRUST_200600_302600_NS6detail15normal_iteratorINS8_7pointerIjNS8_11hip_rocprim5par_tENS8_11use_defaultESE_EEEENSA_INSB_IlSD_SE_SE_EEEEZNS1_13binary_searchIS3_S5_NSA_INS8_10device_ptrIjEEEESG_SI_NS1_21upper_bound_search_opENS9_16wrapped_functionINS8_6system6detail7generic6detail18binary_search_lessEbEEEE10hipError_tPvRmT1_T2_T3_mmT4_T5_P12ihipStream_tbEUlRKjE_EESV_SZ_S10_mS11_S14_bEUlT_E_NS1_11comp_targetILNS1_3genE10ELNS1_11target_archE1200ELNS1_3gpuE4ELNS1_3repE0EEENS1_30default_config_static_selectorELNS0_4arch9wavefront6targetE1EEEvSY_
	.p2align	8
	.type	_ZN7rocprim17ROCPRIM_400000_NS6detail17trampoline_kernelINS0_14default_configENS1_27upper_bound_config_selectorIjlEEZNS1_14transform_implILb0ES3_S5_N6thrust23THRUST_200600_302600_NS6detail15normal_iteratorINS8_7pointerIjNS8_11hip_rocprim5par_tENS8_11use_defaultESE_EEEENSA_INSB_IlSD_SE_SE_EEEEZNS1_13binary_searchIS3_S5_NSA_INS8_10device_ptrIjEEEESG_SI_NS1_21upper_bound_search_opENS9_16wrapped_functionINS8_6system6detail7generic6detail18binary_search_lessEbEEEE10hipError_tPvRmT1_T2_T3_mmT4_T5_P12ihipStream_tbEUlRKjE_EESV_SZ_S10_mS11_S14_bEUlT_E_NS1_11comp_targetILNS1_3genE10ELNS1_11target_archE1200ELNS1_3gpuE4ELNS1_3repE0EEENS1_30default_config_static_selectorELNS0_4arch9wavefront6targetE1EEEvSY_,@function
_ZN7rocprim17ROCPRIM_400000_NS6detail17trampoline_kernelINS0_14default_configENS1_27upper_bound_config_selectorIjlEEZNS1_14transform_implILb0ES3_S5_N6thrust23THRUST_200600_302600_NS6detail15normal_iteratorINS8_7pointerIjNS8_11hip_rocprim5par_tENS8_11use_defaultESE_EEEENSA_INSB_IlSD_SE_SE_EEEEZNS1_13binary_searchIS3_S5_NSA_INS8_10device_ptrIjEEEESG_SI_NS1_21upper_bound_search_opENS9_16wrapped_functionINS8_6system6detail7generic6detail18binary_search_lessEbEEEE10hipError_tPvRmT1_T2_T3_mmT4_T5_P12ihipStream_tbEUlRKjE_EESV_SZ_S10_mS11_S14_bEUlT_E_NS1_11comp_targetILNS1_3genE10ELNS1_11target_archE1200ELNS1_3gpuE4ELNS1_3repE0EEENS1_30default_config_static_selectorELNS0_4arch9wavefront6targetE1EEEvSY_: ; @_ZN7rocprim17ROCPRIM_400000_NS6detail17trampoline_kernelINS0_14default_configENS1_27upper_bound_config_selectorIjlEEZNS1_14transform_implILb0ES3_S5_N6thrust23THRUST_200600_302600_NS6detail15normal_iteratorINS8_7pointerIjNS8_11hip_rocprim5par_tENS8_11use_defaultESE_EEEENSA_INSB_IlSD_SE_SE_EEEEZNS1_13binary_searchIS3_S5_NSA_INS8_10device_ptrIjEEEESG_SI_NS1_21upper_bound_search_opENS9_16wrapped_functionINS8_6system6detail7generic6detail18binary_search_lessEbEEEE10hipError_tPvRmT1_T2_T3_mmT4_T5_P12ihipStream_tbEUlRKjE_EESV_SZ_S10_mS11_S14_bEUlT_E_NS1_11comp_targetILNS1_3genE10ELNS1_11target_archE1200ELNS1_3gpuE4ELNS1_3repE0EEENS1_30default_config_static_selectorELNS0_4arch9wavefront6targetE1EEEvSY_
; %bb.0:
	.section	.rodata,"a",@progbits
	.p2align	6, 0x0
	.amdhsa_kernel _ZN7rocprim17ROCPRIM_400000_NS6detail17trampoline_kernelINS0_14default_configENS1_27upper_bound_config_selectorIjlEEZNS1_14transform_implILb0ES3_S5_N6thrust23THRUST_200600_302600_NS6detail15normal_iteratorINS8_7pointerIjNS8_11hip_rocprim5par_tENS8_11use_defaultESE_EEEENSA_INSB_IlSD_SE_SE_EEEEZNS1_13binary_searchIS3_S5_NSA_INS8_10device_ptrIjEEEESG_SI_NS1_21upper_bound_search_opENS9_16wrapped_functionINS8_6system6detail7generic6detail18binary_search_lessEbEEEE10hipError_tPvRmT1_T2_T3_mmT4_T5_P12ihipStream_tbEUlRKjE_EESV_SZ_S10_mS11_S14_bEUlT_E_NS1_11comp_targetILNS1_3genE10ELNS1_11target_archE1200ELNS1_3gpuE4ELNS1_3repE0EEENS1_30default_config_static_selectorELNS0_4arch9wavefront6targetE1EEEvSY_
		.amdhsa_group_segment_fixed_size 0
		.amdhsa_private_segment_fixed_size 0
		.amdhsa_kernarg_size 56
		.amdhsa_user_sgpr_count 6
		.amdhsa_user_sgpr_private_segment_buffer 1
		.amdhsa_user_sgpr_dispatch_ptr 0
		.amdhsa_user_sgpr_queue_ptr 0
		.amdhsa_user_sgpr_kernarg_segment_ptr 1
		.amdhsa_user_sgpr_dispatch_id 0
		.amdhsa_user_sgpr_flat_scratch_init 0
		.amdhsa_user_sgpr_private_segment_size 0
		.amdhsa_uses_dynamic_stack 0
		.amdhsa_system_sgpr_private_segment_wavefront_offset 0
		.amdhsa_system_sgpr_workgroup_id_x 1
		.amdhsa_system_sgpr_workgroup_id_y 0
		.amdhsa_system_sgpr_workgroup_id_z 0
		.amdhsa_system_sgpr_workgroup_info 0
		.amdhsa_system_vgpr_workitem_id 0
		.amdhsa_next_free_vgpr 1
		.amdhsa_next_free_sgpr 0
		.amdhsa_reserve_vcc 0
		.amdhsa_reserve_flat_scratch 0
		.amdhsa_float_round_mode_32 0
		.amdhsa_float_round_mode_16_64 0
		.amdhsa_float_denorm_mode_32 3
		.amdhsa_float_denorm_mode_16_64 3
		.amdhsa_dx10_clamp 1
		.amdhsa_ieee_mode 1
		.amdhsa_fp16_overflow 0
		.amdhsa_exception_fp_ieee_invalid_op 0
		.amdhsa_exception_fp_denorm_src 0
		.amdhsa_exception_fp_ieee_div_zero 0
		.amdhsa_exception_fp_ieee_overflow 0
		.amdhsa_exception_fp_ieee_underflow 0
		.amdhsa_exception_fp_ieee_inexact 0
		.amdhsa_exception_int_div_zero 0
	.end_amdhsa_kernel
	.section	.text._ZN7rocprim17ROCPRIM_400000_NS6detail17trampoline_kernelINS0_14default_configENS1_27upper_bound_config_selectorIjlEEZNS1_14transform_implILb0ES3_S5_N6thrust23THRUST_200600_302600_NS6detail15normal_iteratorINS8_7pointerIjNS8_11hip_rocprim5par_tENS8_11use_defaultESE_EEEENSA_INSB_IlSD_SE_SE_EEEEZNS1_13binary_searchIS3_S5_NSA_INS8_10device_ptrIjEEEESG_SI_NS1_21upper_bound_search_opENS9_16wrapped_functionINS8_6system6detail7generic6detail18binary_search_lessEbEEEE10hipError_tPvRmT1_T2_T3_mmT4_T5_P12ihipStream_tbEUlRKjE_EESV_SZ_S10_mS11_S14_bEUlT_E_NS1_11comp_targetILNS1_3genE10ELNS1_11target_archE1200ELNS1_3gpuE4ELNS1_3repE0EEENS1_30default_config_static_selectorELNS0_4arch9wavefront6targetE1EEEvSY_,"axG",@progbits,_ZN7rocprim17ROCPRIM_400000_NS6detail17trampoline_kernelINS0_14default_configENS1_27upper_bound_config_selectorIjlEEZNS1_14transform_implILb0ES3_S5_N6thrust23THRUST_200600_302600_NS6detail15normal_iteratorINS8_7pointerIjNS8_11hip_rocprim5par_tENS8_11use_defaultESE_EEEENSA_INSB_IlSD_SE_SE_EEEEZNS1_13binary_searchIS3_S5_NSA_INS8_10device_ptrIjEEEESG_SI_NS1_21upper_bound_search_opENS9_16wrapped_functionINS8_6system6detail7generic6detail18binary_search_lessEbEEEE10hipError_tPvRmT1_T2_T3_mmT4_T5_P12ihipStream_tbEUlRKjE_EESV_SZ_S10_mS11_S14_bEUlT_E_NS1_11comp_targetILNS1_3genE10ELNS1_11target_archE1200ELNS1_3gpuE4ELNS1_3repE0EEENS1_30default_config_static_selectorELNS0_4arch9wavefront6targetE1EEEvSY_,comdat
.Lfunc_end551:
	.size	_ZN7rocprim17ROCPRIM_400000_NS6detail17trampoline_kernelINS0_14default_configENS1_27upper_bound_config_selectorIjlEEZNS1_14transform_implILb0ES3_S5_N6thrust23THRUST_200600_302600_NS6detail15normal_iteratorINS8_7pointerIjNS8_11hip_rocprim5par_tENS8_11use_defaultESE_EEEENSA_INSB_IlSD_SE_SE_EEEEZNS1_13binary_searchIS3_S5_NSA_INS8_10device_ptrIjEEEESG_SI_NS1_21upper_bound_search_opENS9_16wrapped_functionINS8_6system6detail7generic6detail18binary_search_lessEbEEEE10hipError_tPvRmT1_T2_T3_mmT4_T5_P12ihipStream_tbEUlRKjE_EESV_SZ_S10_mS11_S14_bEUlT_E_NS1_11comp_targetILNS1_3genE10ELNS1_11target_archE1200ELNS1_3gpuE4ELNS1_3repE0EEENS1_30default_config_static_selectorELNS0_4arch9wavefront6targetE1EEEvSY_, .Lfunc_end551-_ZN7rocprim17ROCPRIM_400000_NS6detail17trampoline_kernelINS0_14default_configENS1_27upper_bound_config_selectorIjlEEZNS1_14transform_implILb0ES3_S5_N6thrust23THRUST_200600_302600_NS6detail15normal_iteratorINS8_7pointerIjNS8_11hip_rocprim5par_tENS8_11use_defaultESE_EEEENSA_INSB_IlSD_SE_SE_EEEEZNS1_13binary_searchIS3_S5_NSA_INS8_10device_ptrIjEEEESG_SI_NS1_21upper_bound_search_opENS9_16wrapped_functionINS8_6system6detail7generic6detail18binary_search_lessEbEEEE10hipError_tPvRmT1_T2_T3_mmT4_T5_P12ihipStream_tbEUlRKjE_EESV_SZ_S10_mS11_S14_bEUlT_E_NS1_11comp_targetILNS1_3genE10ELNS1_11target_archE1200ELNS1_3gpuE4ELNS1_3repE0EEENS1_30default_config_static_selectorELNS0_4arch9wavefront6targetE1EEEvSY_
                                        ; -- End function
	.set _ZN7rocprim17ROCPRIM_400000_NS6detail17trampoline_kernelINS0_14default_configENS1_27upper_bound_config_selectorIjlEEZNS1_14transform_implILb0ES3_S5_N6thrust23THRUST_200600_302600_NS6detail15normal_iteratorINS8_7pointerIjNS8_11hip_rocprim5par_tENS8_11use_defaultESE_EEEENSA_INSB_IlSD_SE_SE_EEEEZNS1_13binary_searchIS3_S5_NSA_INS8_10device_ptrIjEEEESG_SI_NS1_21upper_bound_search_opENS9_16wrapped_functionINS8_6system6detail7generic6detail18binary_search_lessEbEEEE10hipError_tPvRmT1_T2_T3_mmT4_T5_P12ihipStream_tbEUlRKjE_EESV_SZ_S10_mS11_S14_bEUlT_E_NS1_11comp_targetILNS1_3genE10ELNS1_11target_archE1200ELNS1_3gpuE4ELNS1_3repE0EEENS1_30default_config_static_selectorELNS0_4arch9wavefront6targetE1EEEvSY_.num_vgpr, 0
	.set _ZN7rocprim17ROCPRIM_400000_NS6detail17trampoline_kernelINS0_14default_configENS1_27upper_bound_config_selectorIjlEEZNS1_14transform_implILb0ES3_S5_N6thrust23THRUST_200600_302600_NS6detail15normal_iteratorINS8_7pointerIjNS8_11hip_rocprim5par_tENS8_11use_defaultESE_EEEENSA_INSB_IlSD_SE_SE_EEEEZNS1_13binary_searchIS3_S5_NSA_INS8_10device_ptrIjEEEESG_SI_NS1_21upper_bound_search_opENS9_16wrapped_functionINS8_6system6detail7generic6detail18binary_search_lessEbEEEE10hipError_tPvRmT1_T2_T3_mmT4_T5_P12ihipStream_tbEUlRKjE_EESV_SZ_S10_mS11_S14_bEUlT_E_NS1_11comp_targetILNS1_3genE10ELNS1_11target_archE1200ELNS1_3gpuE4ELNS1_3repE0EEENS1_30default_config_static_selectorELNS0_4arch9wavefront6targetE1EEEvSY_.num_agpr, 0
	.set _ZN7rocprim17ROCPRIM_400000_NS6detail17trampoline_kernelINS0_14default_configENS1_27upper_bound_config_selectorIjlEEZNS1_14transform_implILb0ES3_S5_N6thrust23THRUST_200600_302600_NS6detail15normal_iteratorINS8_7pointerIjNS8_11hip_rocprim5par_tENS8_11use_defaultESE_EEEENSA_INSB_IlSD_SE_SE_EEEEZNS1_13binary_searchIS3_S5_NSA_INS8_10device_ptrIjEEEESG_SI_NS1_21upper_bound_search_opENS9_16wrapped_functionINS8_6system6detail7generic6detail18binary_search_lessEbEEEE10hipError_tPvRmT1_T2_T3_mmT4_T5_P12ihipStream_tbEUlRKjE_EESV_SZ_S10_mS11_S14_bEUlT_E_NS1_11comp_targetILNS1_3genE10ELNS1_11target_archE1200ELNS1_3gpuE4ELNS1_3repE0EEENS1_30default_config_static_selectorELNS0_4arch9wavefront6targetE1EEEvSY_.numbered_sgpr, 0
	.set _ZN7rocprim17ROCPRIM_400000_NS6detail17trampoline_kernelINS0_14default_configENS1_27upper_bound_config_selectorIjlEEZNS1_14transform_implILb0ES3_S5_N6thrust23THRUST_200600_302600_NS6detail15normal_iteratorINS8_7pointerIjNS8_11hip_rocprim5par_tENS8_11use_defaultESE_EEEENSA_INSB_IlSD_SE_SE_EEEEZNS1_13binary_searchIS3_S5_NSA_INS8_10device_ptrIjEEEESG_SI_NS1_21upper_bound_search_opENS9_16wrapped_functionINS8_6system6detail7generic6detail18binary_search_lessEbEEEE10hipError_tPvRmT1_T2_T3_mmT4_T5_P12ihipStream_tbEUlRKjE_EESV_SZ_S10_mS11_S14_bEUlT_E_NS1_11comp_targetILNS1_3genE10ELNS1_11target_archE1200ELNS1_3gpuE4ELNS1_3repE0EEENS1_30default_config_static_selectorELNS0_4arch9wavefront6targetE1EEEvSY_.num_named_barrier, 0
	.set _ZN7rocprim17ROCPRIM_400000_NS6detail17trampoline_kernelINS0_14default_configENS1_27upper_bound_config_selectorIjlEEZNS1_14transform_implILb0ES3_S5_N6thrust23THRUST_200600_302600_NS6detail15normal_iteratorINS8_7pointerIjNS8_11hip_rocprim5par_tENS8_11use_defaultESE_EEEENSA_INSB_IlSD_SE_SE_EEEEZNS1_13binary_searchIS3_S5_NSA_INS8_10device_ptrIjEEEESG_SI_NS1_21upper_bound_search_opENS9_16wrapped_functionINS8_6system6detail7generic6detail18binary_search_lessEbEEEE10hipError_tPvRmT1_T2_T3_mmT4_T5_P12ihipStream_tbEUlRKjE_EESV_SZ_S10_mS11_S14_bEUlT_E_NS1_11comp_targetILNS1_3genE10ELNS1_11target_archE1200ELNS1_3gpuE4ELNS1_3repE0EEENS1_30default_config_static_selectorELNS0_4arch9wavefront6targetE1EEEvSY_.private_seg_size, 0
	.set _ZN7rocprim17ROCPRIM_400000_NS6detail17trampoline_kernelINS0_14default_configENS1_27upper_bound_config_selectorIjlEEZNS1_14transform_implILb0ES3_S5_N6thrust23THRUST_200600_302600_NS6detail15normal_iteratorINS8_7pointerIjNS8_11hip_rocprim5par_tENS8_11use_defaultESE_EEEENSA_INSB_IlSD_SE_SE_EEEEZNS1_13binary_searchIS3_S5_NSA_INS8_10device_ptrIjEEEESG_SI_NS1_21upper_bound_search_opENS9_16wrapped_functionINS8_6system6detail7generic6detail18binary_search_lessEbEEEE10hipError_tPvRmT1_T2_T3_mmT4_T5_P12ihipStream_tbEUlRKjE_EESV_SZ_S10_mS11_S14_bEUlT_E_NS1_11comp_targetILNS1_3genE10ELNS1_11target_archE1200ELNS1_3gpuE4ELNS1_3repE0EEENS1_30default_config_static_selectorELNS0_4arch9wavefront6targetE1EEEvSY_.uses_vcc, 0
	.set _ZN7rocprim17ROCPRIM_400000_NS6detail17trampoline_kernelINS0_14default_configENS1_27upper_bound_config_selectorIjlEEZNS1_14transform_implILb0ES3_S5_N6thrust23THRUST_200600_302600_NS6detail15normal_iteratorINS8_7pointerIjNS8_11hip_rocprim5par_tENS8_11use_defaultESE_EEEENSA_INSB_IlSD_SE_SE_EEEEZNS1_13binary_searchIS3_S5_NSA_INS8_10device_ptrIjEEEESG_SI_NS1_21upper_bound_search_opENS9_16wrapped_functionINS8_6system6detail7generic6detail18binary_search_lessEbEEEE10hipError_tPvRmT1_T2_T3_mmT4_T5_P12ihipStream_tbEUlRKjE_EESV_SZ_S10_mS11_S14_bEUlT_E_NS1_11comp_targetILNS1_3genE10ELNS1_11target_archE1200ELNS1_3gpuE4ELNS1_3repE0EEENS1_30default_config_static_selectorELNS0_4arch9wavefront6targetE1EEEvSY_.uses_flat_scratch, 0
	.set _ZN7rocprim17ROCPRIM_400000_NS6detail17trampoline_kernelINS0_14default_configENS1_27upper_bound_config_selectorIjlEEZNS1_14transform_implILb0ES3_S5_N6thrust23THRUST_200600_302600_NS6detail15normal_iteratorINS8_7pointerIjNS8_11hip_rocprim5par_tENS8_11use_defaultESE_EEEENSA_INSB_IlSD_SE_SE_EEEEZNS1_13binary_searchIS3_S5_NSA_INS8_10device_ptrIjEEEESG_SI_NS1_21upper_bound_search_opENS9_16wrapped_functionINS8_6system6detail7generic6detail18binary_search_lessEbEEEE10hipError_tPvRmT1_T2_T3_mmT4_T5_P12ihipStream_tbEUlRKjE_EESV_SZ_S10_mS11_S14_bEUlT_E_NS1_11comp_targetILNS1_3genE10ELNS1_11target_archE1200ELNS1_3gpuE4ELNS1_3repE0EEENS1_30default_config_static_selectorELNS0_4arch9wavefront6targetE1EEEvSY_.has_dyn_sized_stack, 0
	.set _ZN7rocprim17ROCPRIM_400000_NS6detail17trampoline_kernelINS0_14default_configENS1_27upper_bound_config_selectorIjlEEZNS1_14transform_implILb0ES3_S5_N6thrust23THRUST_200600_302600_NS6detail15normal_iteratorINS8_7pointerIjNS8_11hip_rocprim5par_tENS8_11use_defaultESE_EEEENSA_INSB_IlSD_SE_SE_EEEEZNS1_13binary_searchIS3_S5_NSA_INS8_10device_ptrIjEEEESG_SI_NS1_21upper_bound_search_opENS9_16wrapped_functionINS8_6system6detail7generic6detail18binary_search_lessEbEEEE10hipError_tPvRmT1_T2_T3_mmT4_T5_P12ihipStream_tbEUlRKjE_EESV_SZ_S10_mS11_S14_bEUlT_E_NS1_11comp_targetILNS1_3genE10ELNS1_11target_archE1200ELNS1_3gpuE4ELNS1_3repE0EEENS1_30default_config_static_selectorELNS0_4arch9wavefront6targetE1EEEvSY_.has_recursion, 0
	.set _ZN7rocprim17ROCPRIM_400000_NS6detail17trampoline_kernelINS0_14default_configENS1_27upper_bound_config_selectorIjlEEZNS1_14transform_implILb0ES3_S5_N6thrust23THRUST_200600_302600_NS6detail15normal_iteratorINS8_7pointerIjNS8_11hip_rocprim5par_tENS8_11use_defaultESE_EEEENSA_INSB_IlSD_SE_SE_EEEEZNS1_13binary_searchIS3_S5_NSA_INS8_10device_ptrIjEEEESG_SI_NS1_21upper_bound_search_opENS9_16wrapped_functionINS8_6system6detail7generic6detail18binary_search_lessEbEEEE10hipError_tPvRmT1_T2_T3_mmT4_T5_P12ihipStream_tbEUlRKjE_EESV_SZ_S10_mS11_S14_bEUlT_E_NS1_11comp_targetILNS1_3genE10ELNS1_11target_archE1200ELNS1_3gpuE4ELNS1_3repE0EEENS1_30default_config_static_selectorELNS0_4arch9wavefront6targetE1EEEvSY_.has_indirect_call, 0
	.section	.AMDGPU.csdata,"",@progbits
; Kernel info:
; codeLenInByte = 0
; TotalNumSgprs: 4
; NumVgprs: 0
; ScratchSize: 0
; MemoryBound: 0
; FloatMode: 240
; IeeeMode: 1
; LDSByteSize: 0 bytes/workgroup (compile time only)
; SGPRBlocks: 0
; VGPRBlocks: 0
; NumSGPRsForWavesPerEU: 4
; NumVGPRsForWavesPerEU: 1
; Occupancy: 10
; WaveLimiterHint : 0
; COMPUTE_PGM_RSRC2:SCRATCH_EN: 0
; COMPUTE_PGM_RSRC2:USER_SGPR: 6
; COMPUTE_PGM_RSRC2:TRAP_HANDLER: 0
; COMPUTE_PGM_RSRC2:TGID_X_EN: 1
; COMPUTE_PGM_RSRC2:TGID_Y_EN: 0
; COMPUTE_PGM_RSRC2:TGID_Z_EN: 0
; COMPUTE_PGM_RSRC2:TIDIG_COMP_CNT: 0
	.section	.text._ZN7rocprim17ROCPRIM_400000_NS6detail17trampoline_kernelINS0_14default_configENS1_27upper_bound_config_selectorIjlEEZNS1_14transform_implILb0ES3_S5_N6thrust23THRUST_200600_302600_NS6detail15normal_iteratorINS8_7pointerIjNS8_11hip_rocprim5par_tENS8_11use_defaultESE_EEEENSA_INSB_IlSD_SE_SE_EEEEZNS1_13binary_searchIS3_S5_NSA_INS8_10device_ptrIjEEEESG_SI_NS1_21upper_bound_search_opENS9_16wrapped_functionINS8_6system6detail7generic6detail18binary_search_lessEbEEEE10hipError_tPvRmT1_T2_T3_mmT4_T5_P12ihipStream_tbEUlRKjE_EESV_SZ_S10_mS11_S14_bEUlT_E_NS1_11comp_targetILNS1_3genE9ELNS1_11target_archE1100ELNS1_3gpuE3ELNS1_3repE0EEENS1_30default_config_static_selectorELNS0_4arch9wavefront6targetE1EEEvSY_,"axG",@progbits,_ZN7rocprim17ROCPRIM_400000_NS6detail17trampoline_kernelINS0_14default_configENS1_27upper_bound_config_selectorIjlEEZNS1_14transform_implILb0ES3_S5_N6thrust23THRUST_200600_302600_NS6detail15normal_iteratorINS8_7pointerIjNS8_11hip_rocprim5par_tENS8_11use_defaultESE_EEEENSA_INSB_IlSD_SE_SE_EEEEZNS1_13binary_searchIS3_S5_NSA_INS8_10device_ptrIjEEEESG_SI_NS1_21upper_bound_search_opENS9_16wrapped_functionINS8_6system6detail7generic6detail18binary_search_lessEbEEEE10hipError_tPvRmT1_T2_T3_mmT4_T5_P12ihipStream_tbEUlRKjE_EESV_SZ_S10_mS11_S14_bEUlT_E_NS1_11comp_targetILNS1_3genE9ELNS1_11target_archE1100ELNS1_3gpuE3ELNS1_3repE0EEENS1_30default_config_static_selectorELNS0_4arch9wavefront6targetE1EEEvSY_,comdat
	.protected	_ZN7rocprim17ROCPRIM_400000_NS6detail17trampoline_kernelINS0_14default_configENS1_27upper_bound_config_selectorIjlEEZNS1_14transform_implILb0ES3_S5_N6thrust23THRUST_200600_302600_NS6detail15normal_iteratorINS8_7pointerIjNS8_11hip_rocprim5par_tENS8_11use_defaultESE_EEEENSA_INSB_IlSD_SE_SE_EEEEZNS1_13binary_searchIS3_S5_NSA_INS8_10device_ptrIjEEEESG_SI_NS1_21upper_bound_search_opENS9_16wrapped_functionINS8_6system6detail7generic6detail18binary_search_lessEbEEEE10hipError_tPvRmT1_T2_T3_mmT4_T5_P12ihipStream_tbEUlRKjE_EESV_SZ_S10_mS11_S14_bEUlT_E_NS1_11comp_targetILNS1_3genE9ELNS1_11target_archE1100ELNS1_3gpuE3ELNS1_3repE0EEENS1_30default_config_static_selectorELNS0_4arch9wavefront6targetE1EEEvSY_ ; -- Begin function _ZN7rocprim17ROCPRIM_400000_NS6detail17trampoline_kernelINS0_14default_configENS1_27upper_bound_config_selectorIjlEEZNS1_14transform_implILb0ES3_S5_N6thrust23THRUST_200600_302600_NS6detail15normal_iteratorINS8_7pointerIjNS8_11hip_rocprim5par_tENS8_11use_defaultESE_EEEENSA_INSB_IlSD_SE_SE_EEEEZNS1_13binary_searchIS3_S5_NSA_INS8_10device_ptrIjEEEESG_SI_NS1_21upper_bound_search_opENS9_16wrapped_functionINS8_6system6detail7generic6detail18binary_search_lessEbEEEE10hipError_tPvRmT1_T2_T3_mmT4_T5_P12ihipStream_tbEUlRKjE_EESV_SZ_S10_mS11_S14_bEUlT_E_NS1_11comp_targetILNS1_3genE9ELNS1_11target_archE1100ELNS1_3gpuE3ELNS1_3repE0EEENS1_30default_config_static_selectorELNS0_4arch9wavefront6targetE1EEEvSY_
	.globl	_ZN7rocprim17ROCPRIM_400000_NS6detail17trampoline_kernelINS0_14default_configENS1_27upper_bound_config_selectorIjlEEZNS1_14transform_implILb0ES3_S5_N6thrust23THRUST_200600_302600_NS6detail15normal_iteratorINS8_7pointerIjNS8_11hip_rocprim5par_tENS8_11use_defaultESE_EEEENSA_INSB_IlSD_SE_SE_EEEEZNS1_13binary_searchIS3_S5_NSA_INS8_10device_ptrIjEEEESG_SI_NS1_21upper_bound_search_opENS9_16wrapped_functionINS8_6system6detail7generic6detail18binary_search_lessEbEEEE10hipError_tPvRmT1_T2_T3_mmT4_T5_P12ihipStream_tbEUlRKjE_EESV_SZ_S10_mS11_S14_bEUlT_E_NS1_11comp_targetILNS1_3genE9ELNS1_11target_archE1100ELNS1_3gpuE3ELNS1_3repE0EEENS1_30default_config_static_selectorELNS0_4arch9wavefront6targetE1EEEvSY_
	.p2align	8
	.type	_ZN7rocprim17ROCPRIM_400000_NS6detail17trampoline_kernelINS0_14default_configENS1_27upper_bound_config_selectorIjlEEZNS1_14transform_implILb0ES3_S5_N6thrust23THRUST_200600_302600_NS6detail15normal_iteratorINS8_7pointerIjNS8_11hip_rocprim5par_tENS8_11use_defaultESE_EEEENSA_INSB_IlSD_SE_SE_EEEEZNS1_13binary_searchIS3_S5_NSA_INS8_10device_ptrIjEEEESG_SI_NS1_21upper_bound_search_opENS9_16wrapped_functionINS8_6system6detail7generic6detail18binary_search_lessEbEEEE10hipError_tPvRmT1_T2_T3_mmT4_T5_P12ihipStream_tbEUlRKjE_EESV_SZ_S10_mS11_S14_bEUlT_E_NS1_11comp_targetILNS1_3genE9ELNS1_11target_archE1100ELNS1_3gpuE3ELNS1_3repE0EEENS1_30default_config_static_selectorELNS0_4arch9wavefront6targetE1EEEvSY_,@function
_ZN7rocprim17ROCPRIM_400000_NS6detail17trampoline_kernelINS0_14default_configENS1_27upper_bound_config_selectorIjlEEZNS1_14transform_implILb0ES3_S5_N6thrust23THRUST_200600_302600_NS6detail15normal_iteratorINS8_7pointerIjNS8_11hip_rocprim5par_tENS8_11use_defaultESE_EEEENSA_INSB_IlSD_SE_SE_EEEEZNS1_13binary_searchIS3_S5_NSA_INS8_10device_ptrIjEEEESG_SI_NS1_21upper_bound_search_opENS9_16wrapped_functionINS8_6system6detail7generic6detail18binary_search_lessEbEEEE10hipError_tPvRmT1_T2_T3_mmT4_T5_P12ihipStream_tbEUlRKjE_EESV_SZ_S10_mS11_S14_bEUlT_E_NS1_11comp_targetILNS1_3genE9ELNS1_11target_archE1100ELNS1_3gpuE3ELNS1_3repE0EEENS1_30default_config_static_selectorELNS0_4arch9wavefront6targetE1EEEvSY_: ; @_ZN7rocprim17ROCPRIM_400000_NS6detail17trampoline_kernelINS0_14default_configENS1_27upper_bound_config_selectorIjlEEZNS1_14transform_implILb0ES3_S5_N6thrust23THRUST_200600_302600_NS6detail15normal_iteratorINS8_7pointerIjNS8_11hip_rocprim5par_tENS8_11use_defaultESE_EEEENSA_INSB_IlSD_SE_SE_EEEEZNS1_13binary_searchIS3_S5_NSA_INS8_10device_ptrIjEEEESG_SI_NS1_21upper_bound_search_opENS9_16wrapped_functionINS8_6system6detail7generic6detail18binary_search_lessEbEEEE10hipError_tPvRmT1_T2_T3_mmT4_T5_P12ihipStream_tbEUlRKjE_EESV_SZ_S10_mS11_S14_bEUlT_E_NS1_11comp_targetILNS1_3genE9ELNS1_11target_archE1100ELNS1_3gpuE3ELNS1_3repE0EEENS1_30default_config_static_selectorELNS0_4arch9wavefront6targetE1EEEvSY_
; %bb.0:
	.section	.rodata,"a",@progbits
	.p2align	6, 0x0
	.amdhsa_kernel _ZN7rocprim17ROCPRIM_400000_NS6detail17trampoline_kernelINS0_14default_configENS1_27upper_bound_config_selectorIjlEEZNS1_14transform_implILb0ES3_S5_N6thrust23THRUST_200600_302600_NS6detail15normal_iteratorINS8_7pointerIjNS8_11hip_rocprim5par_tENS8_11use_defaultESE_EEEENSA_INSB_IlSD_SE_SE_EEEEZNS1_13binary_searchIS3_S5_NSA_INS8_10device_ptrIjEEEESG_SI_NS1_21upper_bound_search_opENS9_16wrapped_functionINS8_6system6detail7generic6detail18binary_search_lessEbEEEE10hipError_tPvRmT1_T2_T3_mmT4_T5_P12ihipStream_tbEUlRKjE_EESV_SZ_S10_mS11_S14_bEUlT_E_NS1_11comp_targetILNS1_3genE9ELNS1_11target_archE1100ELNS1_3gpuE3ELNS1_3repE0EEENS1_30default_config_static_selectorELNS0_4arch9wavefront6targetE1EEEvSY_
		.amdhsa_group_segment_fixed_size 0
		.amdhsa_private_segment_fixed_size 0
		.amdhsa_kernarg_size 56
		.amdhsa_user_sgpr_count 6
		.amdhsa_user_sgpr_private_segment_buffer 1
		.amdhsa_user_sgpr_dispatch_ptr 0
		.amdhsa_user_sgpr_queue_ptr 0
		.amdhsa_user_sgpr_kernarg_segment_ptr 1
		.amdhsa_user_sgpr_dispatch_id 0
		.amdhsa_user_sgpr_flat_scratch_init 0
		.amdhsa_user_sgpr_private_segment_size 0
		.amdhsa_uses_dynamic_stack 0
		.amdhsa_system_sgpr_private_segment_wavefront_offset 0
		.amdhsa_system_sgpr_workgroup_id_x 1
		.amdhsa_system_sgpr_workgroup_id_y 0
		.amdhsa_system_sgpr_workgroup_id_z 0
		.amdhsa_system_sgpr_workgroup_info 0
		.amdhsa_system_vgpr_workitem_id 0
		.amdhsa_next_free_vgpr 1
		.amdhsa_next_free_sgpr 0
		.amdhsa_reserve_vcc 0
		.amdhsa_reserve_flat_scratch 0
		.amdhsa_float_round_mode_32 0
		.amdhsa_float_round_mode_16_64 0
		.amdhsa_float_denorm_mode_32 3
		.amdhsa_float_denorm_mode_16_64 3
		.amdhsa_dx10_clamp 1
		.amdhsa_ieee_mode 1
		.amdhsa_fp16_overflow 0
		.amdhsa_exception_fp_ieee_invalid_op 0
		.amdhsa_exception_fp_denorm_src 0
		.amdhsa_exception_fp_ieee_div_zero 0
		.amdhsa_exception_fp_ieee_overflow 0
		.amdhsa_exception_fp_ieee_underflow 0
		.amdhsa_exception_fp_ieee_inexact 0
		.amdhsa_exception_int_div_zero 0
	.end_amdhsa_kernel
	.section	.text._ZN7rocprim17ROCPRIM_400000_NS6detail17trampoline_kernelINS0_14default_configENS1_27upper_bound_config_selectorIjlEEZNS1_14transform_implILb0ES3_S5_N6thrust23THRUST_200600_302600_NS6detail15normal_iteratorINS8_7pointerIjNS8_11hip_rocprim5par_tENS8_11use_defaultESE_EEEENSA_INSB_IlSD_SE_SE_EEEEZNS1_13binary_searchIS3_S5_NSA_INS8_10device_ptrIjEEEESG_SI_NS1_21upper_bound_search_opENS9_16wrapped_functionINS8_6system6detail7generic6detail18binary_search_lessEbEEEE10hipError_tPvRmT1_T2_T3_mmT4_T5_P12ihipStream_tbEUlRKjE_EESV_SZ_S10_mS11_S14_bEUlT_E_NS1_11comp_targetILNS1_3genE9ELNS1_11target_archE1100ELNS1_3gpuE3ELNS1_3repE0EEENS1_30default_config_static_selectorELNS0_4arch9wavefront6targetE1EEEvSY_,"axG",@progbits,_ZN7rocprim17ROCPRIM_400000_NS6detail17trampoline_kernelINS0_14default_configENS1_27upper_bound_config_selectorIjlEEZNS1_14transform_implILb0ES3_S5_N6thrust23THRUST_200600_302600_NS6detail15normal_iteratorINS8_7pointerIjNS8_11hip_rocprim5par_tENS8_11use_defaultESE_EEEENSA_INSB_IlSD_SE_SE_EEEEZNS1_13binary_searchIS3_S5_NSA_INS8_10device_ptrIjEEEESG_SI_NS1_21upper_bound_search_opENS9_16wrapped_functionINS8_6system6detail7generic6detail18binary_search_lessEbEEEE10hipError_tPvRmT1_T2_T3_mmT4_T5_P12ihipStream_tbEUlRKjE_EESV_SZ_S10_mS11_S14_bEUlT_E_NS1_11comp_targetILNS1_3genE9ELNS1_11target_archE1100ELNS1_3gpuE3ELNS1_3repE0EEENS1_30default_config_static_selectorELNS0_4arch9wavefront6targetE1EEEvSY_,comdat
.Lfunc_end552:
	.size	_ZN7rocprim17ROCPRIM_400000_NS6detail17trampoline_kernelINS0_14default_configENS1_27upper_bound_config_selectorIjlEEZNS1_14transform_implILb0ES3_S5_N6thrust23THRUST_200600_302600_NS6detail15normal_iteratorINS8_7pointerIjNS8_11hip_rocprim5par_tENS8_11use_defaultESE_EEEENSA_INSB_IlSD_SE_SE_EEEEZNS1_13binary_searchIS3_S5_NSA_INS8_10device_ptrIjEEEESG_SI_NS1_21upper_bound_search_opENS9_16wrapped_functionINS8_6system6detail7generic6detail18binary_search_lessEbEEEE10hipError_tPvRmT1_T2_T3_mmT4_T5_P12ihipStream_tbEUlRKjE_EESV_SZ_S10_mS11_S14_bEUlT_E_NS1_11comp_targetILNS1_3genE9ELNS1_11target_archE1100ELNS1_3gpuE3ELNS1_3repE0EEENS1_30default_config_static_selectorELNS0_4arch9wavefront6targetE1EEEvSY_, .Lfunc_end552-_ZN7rocprim17ROCPRIM_400000_NS6detail17trampoline_kernelINS0_14default_configENS1_27upper_bound_config_selectorIjlEEZNS1_14transform_implILb0ES3_S5_N6thrust23THRUST_200600_302600_NS6detail15normal_iteratorINS8_7pointerIjNS8_11hip_rocprim5par_tENS8_11use_defaultESE_EEEENSA_INSB_IlSD_SE_SE_EEEEZNS1_13binary_searchIS3_S5_NSA_INS8_10device_ptrIjEEEESG_SI_NS1_21upper_bound_search_opENS9_16wrapped_functionINS8_6system6detail7generic6detail18binary_search_lessEbEEEE10hipError_tPvRmT1_T2_T3_mmT4_T5_P12ihipStream_tbEUlRKjE_EESV_SZ_S10_mS11_S14_bEUlT_E_NS1_11comp_targetILNS1_3genE9ELNS1_11target_archE1100ELNS1_3gpuE3ELNS1_3repE0EEENS1_30default_config_static_selectorELNS0_4arch9wavefront6targetE1EEEvSY_
                                        ; -- End function
	.set _ZN7rocprim17ROCPRIM_400000_NS6detail17trampoline_kernelINS0_14default_configENS1_27upper_bound_config_selectorIjlEEZNS1_14transform_implILb0ES3_S5_N6thrust23THRUST_200600_302600_NS6detail15normal_iteratorINS8_7pointerIjNS8_11hip_rocprim5par_tENS8_11use_defaultESE_EEEENSA_INSB_IlSD_SE_SE_EEEEZNS1_13binary_searchIS3_S5_NSA_INS8_10device_ptrIjEEEESG_SI_NS1_21upper_bound_search_opENS9_16wrapped_functionINS8_6system6detail7generic6detail18binary_search_lessEbEEEE10hipError_tPvRmT1_T2_T3_mmT4_T5_P12ihipStream_tbEUlRKjE_EESV_SZ_S10_mS11_S14_bEUlT_E_NS1_11comp_targetILNS1_3genE9ELNS1_11target_archE1100ELNS1_3gpuE3ELNS1_3repE0EEENS1_30default_config_static_selectorELNS0_4arch9wavefront6targetE1EEEvSY_.num_vgpr, 0
	.set _ZN7rocprim17ROCPRIM_400000_NS6detail17trampoline_kernelINS0_14default_configENS1_27upper_bound_config_selectorIjlEEZNS1_14transform_implILb0ES3_S5_N6thrust23THRUST_200600_302600_NS6detail15normal_iteratorINS8_7pointerIjNS8_11hip_rocprim5par_tENS8_11use_defaultESE_EEEENSA_INSB_IlSD_SE_SE_EEEEZNS1_13binary_searchIS3_S5_NSA_INS8_10device_ptrIjEEEESG_SI_NS1_21upper_bound_search_opENS9_16wrapped_functionINS8_6system6detail7generic6detail18binary_search_lessEbEEEE10hipError_tPvRmT1_T2_T3_mmT4_T5_P12ihipStream_tbEUlRKjE_EESV_SZ_S10_mS11_S14_bEUlT_E_NS1_11comp_targetILNS1_3genE9ELNS1_11target_archE1100ELNS1_3gpuE3ELNS1_3repE0EEENS1_30default_config_static_selectorELNS0_4arch9wavefront6targetE1EEEvSY_.num_agpr, 0
	.set _ZN7rocprim17ROCPRIM_400000_NS6detail17trampoline_kernelINS0_14default_configENS1_27upper_bound_config_selectorIjlEEZNS1_14transform_implILb0ES3_S5_N6thrust23THRUST_200600_302600_NS6detail15normal_iteratorINS8_7pointerIjNS8_11hip_rocprim5par_tENS8_11use_defaultESE_EEEENSA_INSB_IlSD_SE_SE_EEEEZNS1_13binary_searchIS3_S5_NSA_INS8_10device_ptrIjEEEESG_SI_NS1_21upper_bound_search_opENS9_16wrapped_functionINS8_6system6detail7generic6detail18binary_search_lessEbEEEE10hipError_tPvRmT1_T2_T3_mmT4_T5_P12ihipStream_tbEUlRKjE_EESV_SZ_S10_mS11_S14_bEUlT_E_NS1_11comp_targetILNS1_3genE9ELNS1_11target_archE1100ELNS1_3gpuE3ELNS1_3repE0EEENS1_30default_config_static_selectorELNS0_4arch9wavefront6targetE1EEEvSY_.numbered_sgpr, 0
	.set _ZN7rocprim17ROCPRIM_400000_NS6detail17trampoline_kernelINS0_14default_configENS1_27upper_bound_config_selectorIjlEEZNS1_14transform_implILb0ES3_S5_N6thrust23THRUST_200600_302600_NS6detail15normal_iteratorINS8_7pointerIjNS8_11hip_rocprim5par_tENS8_11use_defaultESE_EEEENSA_INSB_IlSD_SE_SE_EEEEZNS1_13binary_searchIS3_S5_NSA_INS8_10device_ptrIjEEEESG_SI_NS1_21upper_bound_search_opENS9_16wrapped_functionINS8_6system6detail7generic6detail18binary_search_lessEbEEEE10hipError_tPvRmT1_T2_T3_mmT4_T5_P12ihipStream_tbEUlRKjE_EESV_SZ_S10_mS11_S14_bEUlT_E_NS1_11comp_targetILNS1_3genE9ELNS1_11target_archE1100ELNS1_3gpuE3ELNS1_3repE0EEENS1_30default_config_static_selectorELNS0_4arch9wavefront6targetE1EEEvSY_.num_named_barrier, 0
	.set _ZN7rocprim17ROCPRIM_400000_NS6detail17trampoline_kernelINS0_14default_configENS1_27upper_bound_config_selectorIjlEEZNS1_14transform_implILb0ES3_S5_N6thrust23THRUST_200600_302600_NS6detail15normal_iteratorINS8_7pointerIjNS8_11hip_rocprim5par_tENS8_11use_defaultESE_EEEENSA_INSB_IlSD_SE_SE_EEEEZNS1_13binary_searchIS3_S5_NSA_INS8_10device_ptrIjEEEESG_SI_NS1_21upper_bound_search_opENS9_16wrapped_functionINS8_6system6detail7generic6detail18binary_search_lessEbEEEE10hipError_tPvRmT1_T2_T3_mmT4_T5_P12ihipStream_tbEUlRKjE_EESV_SZ_S10_mS11_S14_bEUlT_E_NS1_11comp_targetILNS1_3genE9ELNS1_11target_archE1100ELNS1_3gpuE3ELNS1_3repE0EEENS1_30default_config_static_selectorELNS0_4arch9wavefront6targetE1EEEvSY_.private_seg_size, 0
	.set _ZN7rocprim17ROCPRIM_400000_NS6detail17trampoline_kernelINS0_14default_configENS1_27upper_bound_config_selectorIjlEEZNS1_14transform_implILb0ES3_S5_N6thrust23THRUST_200600_302600_NS6detail15normal_iteratorINS8_7pointerIjNS8_11hip_rocprim5par_tENS8_11use_defaultESE_EEEENSA_INSB_IlSD_SE_SE_EEEEZNS1_13binary_searchIS3_S5_NSA_INS8_10device_ptrIjEEEESG_SI_NS1_21upper_bound_search_opENS9_16wrapped_functionINS8_6system6detail7generic6detail18binary_search_lessEbEEEE10hipError_tPvRmT1_T2_T3_mmT4_T5_P12ihipStream_tbEUlRKjE_EESV_SZ_S10_mS11_S14_bEUlT_E_NS1_11comp_targetILNS1_3genE9ELNS1_11target_archE1100ELNS1_3gpuE3ELNS1_3repE0EEENS1_30default_config_static_selectorELNS0_4arch9wavefront6targetE1EEEvSY_.uses_vcc, 0
	.set _ZN7rocprim17ROCPRIM_400000_NS6detail17trampoline_kernelINS0_14default_configENS1_27upper_bound_config_selectorIjlEEZNS1_14transform_implILb0ES3_S5_N6thrust23THRUST_200600_302600_NS6detail15normal_iteratorINS8_7pointerIjNS8_11hip_rocprim5par_tENS8_11use_defaultESE_EEEENSA_INSB_IlSD_SE_SE_EEEEZNS1_13binary_searchIS3_S5_NSA_INS8_10device_ptrIjEEEESG_SI_NS1_21upper_bound_search_opENS9_16wrapped_functionINS8_6system6detail7generic6detail18binary_search_lessEbEEEE10hipError_tPvRmT1_T2_T3_mmT4_T5_P12ihipStream_tbEUlRKjE_EESV_SZ_S10_mS11_S14_bEUlT_E_NS1_11comp_targetILNS1_3genE9ELNS1_11target_archE1100ELNS1_3gpuE3ELNS1_3repE0EEENS1_30default_config_static_selectorELNS0_4arch9wavefront6targetE1EEEvSY_.uses_flat_scratch, 0
	.set _ZN7rocprim17ROCPRIM_400000_NS6detail17trampoline_kernelINS0_14default_configENS1_27upper_bound_config_selectorIjlEEZNS1_14transform_implILb0ES3_S5_N6thrust23THRUST_200600_302600_NS6detail15normal_iteratorINS8_7pointerIjNS8_11hip_rocprim5par_tENS8_11use_defaultESE_EEEENSA_INSB_IlSD_SE_SE_EEEEZNS1_13binary_searchIS3_S5_NSA_INS8_10device_ptrIjEEEESG_SI_NS1_21upper_bound_search_opENS9_16wrapped_functionINS8_6system6detail7generic6detail18binary_search_lessEbEEEE10hipError_tPvRmT1_T2_T3_mmT4_T5_P12ihipStream_tbEUlRKjE_EESV_SZ_S10_mS11_S14_bEUlT_E_NS1_11comp_targetILNS1_3genE9ELNS1_11target_archE1100ELNS1_3gpuE3ELNS1_3repE0EEENS1_30default_config_static_selectorELNS0_4arch9wavefront6targetE1EEEvSY_.has_dyn_sized_stack, 0
	.set _ZN7rocprim17ROCPRIM_400000_NS6detail17trampoline_kernelINS0_14default_configENS1_27upper_bound_config_selectorIjlEEZNS1_14transform_implILb0ES3_S5_N6thrust23THRUST_200600_302600_NS6detail15normal_iteratorINS8_7pointerIjNS8_11hip_rocprim5par_tENS8_11use_defaultESE_EEEENSA_INSB_IlSD_SE_SE_EEEEZNS1_13binary_searchIS3_S5_NSA_INS8_10device_ptrIjEEEESG_SI_NS1_21upper_bound_search_opENS9_16wrapped_functionINS8_6system6detail7generic6detail18binary_search_lessEbEEEE10hipError_tPvRmT1_T2_T3_mmT4_T5_P12ihipStream_tbEUlRKjE_EESV_SZ_S10_mS11_S14_bEUlT_E_NS1_11comp_targetILNS1_3genE9ELNS1_11target_archE1100ELNS1_3gpuE3ELNS1_3repE0EEENS1_30default_config_static_selectorELNS0_4arch9wavefront6targetE1EEEvSY_.has_recursion, 0
	.set _ZN7rocprim17ROCPRIM_400000_NS6detail17trampoline_kernelINS0_14default_configENS1_27upper_bound_config_selectorIjlEEZNS1_14transform_implILb0ES3_S5_N6thrust23THRUST_200600_302600_NS6detail15normal_iteratorINS8_7pointerIjNS8_11hip_rocprim5par_tENS8_11use_defaultESE_EEEENSA_INSB_IlSD_SE_SE_EEEEZNS1_13binary_searchIS3_S5_NSA_INS8_10device_ptrIjEEEESG_SI_NS1_21upper_bound_search_opENS9_16wrapped_functionINS8_6system6detail7generic6detail18binary_search_lessEbEEEE10hipError_tPvRmT1_T2_T3_mmT4_T5_P12ihipStream_tbEUlRKjE_EESV_SZ_S10_mS11_S14_bEUlT_E_NS1_11comp_targetILNS1_3genE9ELNS1_11target_archE1100ELNS1_3gpuE3ELNS1_3repE0EEENS1_30default_config_static_selectorELNS0_4arch9wavefront6targetE1EEEvSY_.has_indirect_call, 0
	.section	.AMDGPU.csdata,"",@progbits
; Kernel info:
; codeLenInByte = 0
; TotalNumSgprs: 4
; NumVgprs: 0
; ScratchSize: 0
; MemoryBound: 0
; FloatMode: 240
; IeeeMode: 1
; LDSByteSize: 0 bytes/workgroup (compile time only)
; SGPRBlocks: 0
; VGPRBlocks: 0
; NumSGPRsForWavesPerEU: 4
; NumVGPRsForWavesPerEU: 1
; Occupancy: 10
; WaveLimiterHint : 0
; COMPUTE_PGM_RSRC2:SCRATCH_EN: 0
; COMPUTE_PGM_RSRC2:USER_SGPR: 6
; COMPUTE_PGM_RSRC2:TRAP_HANDLER: 0
; COMPUTE_PGM_RSRC2:TGID_X_EN: 1
; COMPUTE_PGM_RSRC2:TGID_Y_EN: 0
; COMPUTE_PGM_RSRC2:TGID_Z_EN: 0
; COMPUTE_PGM_RSRC2:TIDIG_COMP_CNT: 0
	.section	.text._ZN7rocprim17ROCPRIM_400000_NS6detail17trampoline_kernelINS0_14default_configENS1_27upper_bound_config_selectorIjlEEZNS1_14transform_implILb0ES3_S5_N6thrust23THRUST_200600_302600_NS6detail15normal_iteratorINS8_7pointerIjNS8_11hip_rocprim5par_tENS8_11use_defaultESE_EEEENSA_INSB_IlSD_SE_SE_EEEEZNS1_13binary_searchIS3_S5_NSA_INS8_10device_ptrIjEEEESG_SI_NS1_21upper_bound_search_opENS9_16wrapped_functionINS8_6system6detail7generic6detail18binary_search_lessEbEEEE10hipError_tPvRmT1_T2_T3_mmT4_T5_P12ihipStream_tbEUlRKjE_EESV_SZ_S10_mS11_S14_bEUlT_E_NS1_11comp_targetILNS1_3genE8ELNS1_11target_archE1030ELNS1_3gpuE2ELNS1_3repE0EEENS1_30default_config_static_selectorELNS0_4arch9wavefront6targetE1EEEvSY_,"axG",@progbits,_ZN7rocprim17ROCPRIM_400000_NS6detail17trampoline_kernelINS0_14default_configENS1_27upper_bound_config_selectorIjlEEZNS1_14transform_implILb0ES3_S5_N6thrust23THRUST_200600_302600_NS6detail15normal_iteratorINS8_7pointerIjNS8_11hip_rocprim5par_tENS8_11use_defaultESE_EEEENSA_INSB_IlSD_SE_SE_EEEEZNS1_13binary_searchIS3_S5_NSA_INS8_10device_ptrIjEEEESG_SI_NS1_21upper_bound_search_opENS9_16wrapped_functionINS8_6system6detail7generic6detail18binary_search_lessEbEEEE10hipError_tPvRmT1_T2_T3_mmT4_T5_P12ihipStream_tbEUlRKjE_EESV_SZ_S10_mS11_S14_bEUlT_E_NS1_11comp_targetILNS1_3genE8ELNS1_11target_archE1030ELNS1_3gpuE2ELNS1_3repE0EEENS1_30default_config_static_selectorELNS0_4arch9wavefront6targetE1EEEvSY_,comdat
	.protected	_ZN7rocprim17ROCPRIM_400000_NS6detail17trampoline_kernelINS0_14default_configENS1_27upper_bound_config_selectorIjlEEZNS1_14transform_implILb0ES3_S5_N6thrust23THRUST_200600_302600_NS6detail15normal_iteratorINS8_7pointerIjNS8_11hip_rocprim5par_tENS8_11use_defaultESE_EEEENSA_INSB_IlSD_SE_SE_EEEEZNS1_13binary_searchIS3_S5_NSA_INS8_10device_ptrIjEEEESG_SI_NS1_21upper_bound_search_opENS9_16wrapped_functionINS8_6system6detail7generic6detail18binary_search_lessEbEEEE10hipError_tPvRmT1_T2_T3_mmT4_T5_P12ihipStream_tbEUlRKjE_EESV_SZ_S10_mS11_S14_bEUlT_E_NS1_11comp_targetILNS1_3genE8ELNS1_11target_archE1030ELNS1_3gpuE2ELNS1_3repE0EEENS1_30default_config_static_selectorELNS0_4arch9wavefront6targetE1EEEvSY_ ; -- Begin function _ZN7rocprim17ROCPRIM_400000_NS6detail17trampoline_kernelINS0_14default_configENS1_27upper_bound_config_selectorIjlEEZNS1_14transform_implILb0ES3_S5_N6thrust23THRUST_200600_302600_NS6detail15normal_iteratorINS8_7pointerIjNS8_11hip_rocprim5par_tENS8_11use_defaultESE_EEEENSA_INSB_IlSD_SE_SE_EEEEZNS1_13binary_searchIS3_S5_NSA_INS8_10device_ptrIjEEEESG_SI_NS1_21upper_bound_search_opENS9_16wrapped_functionINS8_6system6detail7generic6detail18binary_search_lessEbEEEE10hipError_tPvRmT1_T2_T3_mmT4_T5_P12ihipStream_tbEUlRKjE_EESV_SZ_S10_mS11_S14_bEUlT_E_NS1_11comp_targetILNS1_3genE8ELNS1_11target_archE1030ELNS1_3gpuE2ELNS1_3repE0EEENS1_30default_config_static_selectorELNS0_4arch9wavefront6targetE1EEEvSY_
	.globl	_ZN7rocprim17ROCPRIM_400000_NS6detail17trampoline_kernelINS0_14default_configENS1_27upper_bound_config_selectorIjlEEZNS1_14transform_implILb0ES3_S5_N6thrust23THRUST_200600_302600_NS6detail15normal_iteratorINS8_7pointerIjNS8_11hip_rocprim5par_tENS8_11use_defaultESE_EEEENSA_INSB_IlSD_SE_SE_EEEEZNS1_13binary_searchIS3_S5_NSA_INS8_10device_ptrIjEEEESG_SI_NS1_21upper_bound_search_opENS9_16wrapped_functionINS8_6system6detail7generic6detail18binary_search_lessEbEEEE10hipError_tPvRmT1_T2_T3_mmT4_T5_P12ihipStream_tbEUlRKjE_EESV_SZ_S10_mS11_S14_bEUlT_E_NS1_11comp_targetILNS1_3genE8ELNS1_11target_archE1030ELNS1_3gpuE2ELNS1_3repE0EEENS1_30default_config_static_selectorELNS0_4arch9wavefront6targetE1EEEvSY_
	.p2align	8
	.type	_ZN7rocprim17ROCPRIM_400000_NS6detail17trampoline_kernelINS0_14default_configENS1_27upper_bound_config_selectorIjlEEZNS1_14transform_implILb0ES3_S5_N6thrust23THRUST_200600_302600_NS6detail15normal_iteratorINS8_7pointerIjNS8_11hip_rocprim5par_tENS8_11use_defaultESE_EEEENSA_INSB_IlSD_SE_SE_EEEEZNS1_13binary_searchIS3_S5_NSA_INS8_10device_ptrIjEEEESG_SI_NS1_21upper_bound_search_opENS9_16wrapped_functionINS8_6system6detail7generic6detail18binary_search_lessEbEEEE10hipError_tPvRmT1_T2_T3_mmT4_T5_P12ihipStream_tbEUlRKjE_EESV_SZ_S10_mS11_S14_bEUlT_E_NS1_11comp_targetILNS1_3genE8ELNS1_11target_archE1030ELNS1_3gpuE2ELNS1_3repE0EEENS1_30default_config_static_selectorELNS0_4arch9wavefront6targetE1EEEvSY_,@function
_ZN7rocprim17ROCPRIM_400000_NS6detail17trampoline_kernelINS0_14default_configENS1_27upper_bound_config_selectorIjlEEZNS1_14transform_implILb0ES3_S5_N6thrust23THRUST_200600_302600_NS6detail15normal_iteratorINS8_7pointerIjNS8_11hip_rocprim5par_tENS8_11use_defaultESE_EEEENSA_INSB_IlSD_SE_SE_EEEEZNS1_13binary_searchIS3_S5_NSA_INS8_10device_ptrIjEEEESG_SI_NS1_21upper_bound_search_opENS9_16wrapped_functionINS8_6system6detail7generic6detail18binary_search_lessEbEEEE10hipError_tPvRmT1_T2_T3_mmT4_T5_P12ihipStream_tbEUlRKjE_EESV_SZ_S10_mS11_S14_bEUlT_E_NS1_11comp_targetILNS1_3genE8ELNS1_11target_archE1030ELNS1_3gpuE2ELNS1_3repE0EEENS1_30default_config_static_selectorELNS0_4arch9wavefront6targetE1EEEvSY_: ; @_ZN7rocprim17ROCPRIM_400000_NS6detail17trampoline_kernelINS0_14default_configENS1_27upper_bound_config_selectorIjlEEZNS1_14transform_implILb0ES3_S5_N6thrust23THRUST_200600_302600_NS6detail15normal_iteratorINS8_7pointerIjNS8_11hip_rocprim5par_tENS8_11use_defaultESE_EEEENSA_INSB_IlSD_SE_SE_EEEEZNS1_13binary_searchIS3_S5_NSA_INS8_10device_ptrIjEEEESG_SI_NS1_21upper_bound_search_opENS9_16wrapped_functionINS8_6system6detail7generic6detail18binary_search_lessEbEEEE10hipError_tPvRmT1_T2_T3_mmT4_T5_P12ihipStream_tbEUlRKjE_EESV_SZ_S10_mS11_S14_bEUlT_E_NS1_11comp_targetILNS1_3genE8ELNS1_11target_archE1030ELNS1_3gpuE2ELNS1_3repE0EEENS1_30default_config_static_selectorELNS0_4arch9wavefront6targetE1EEEvSY_
; %bb.0:
	.section	.rodata,"a",@progbits
	.p2align	6, 0x0
	.amdhsa_kernel _ZN7rocprim17ROCPRIM_400000_NS6detail17trampoline_kernelINS0_14default_configENS1_27upper_bound_config_selectorIjlEEZNS1_14transform_implILb0ES3_S5_N6thrust23THRUST_200600_302600_NS6detail15normal_iteratorINS8_7pointerIjNS8_11hip_rocprim5par_tENS8_11use_defaultESE_EEEENSA_INSB_IlSD_SE_SE_EEEEZNS1_13binary_searchIS3_S5_NSA_INS8_10device_ptrIjEEEESG_SI_NS1_21upper_bound_search_opENS9_16wrapped_functionINS8_6system6detail7generic6detail18binary_search_lessEbEEEE10hipError_tPvRmT1_T2_T3_mmT4_T5_P12ihipStream_tbEUlRKjE_EESV_SZ_S10_mS11_S14_bEUlT_E_NS1_11comp_targetILNS1_3genE8ELNS1_11target_archE1030ELNS1_3gpuE2ELNS1_3repE0EEENS1_30default_config_static_selectorELNS0_4arch9wavefront6targetE1EEEvSY_
		.amdhsa_group_segment_fixed_size 0
		.amdhsa_private_segment_fixed_size 0
		.amdhsa_kernarg_size 56
		.amdhsa_user_sgpr_count 6
		.amdhsa_user_sgpr_private_segment_buffer 1
		.amdhsa_user_sgpr_dispatch_ptr 0
		.amdhsa_user_sgpr_queue_ptr 0
		.amdhsa_user_sgpr_kernarg_segment_ptr 1
		.amdhsa_user_sgpr_dispatch_id 0
		.amdhsa_user_sgpr_flat_scratch_init 0
		.amdhsa_user_sgpr_private_segment_size 0
		.amdhsa_uses_dynamic_stack 0
		.amdhsa_system_sgpr_private_segment_wavefront_offset 0
		.amdhsa_system_sgpr_workgroup_id_x 1
		.amdhsa_system_sgpr_workgroup_id_y 0
		.amdhsa_system_sgpr_workgroup_id_z 0
		.amdhsa_system_sgpr_workgroup_info 0
		.amdhsa_system_vgpr_workitem_id 0
		.amdhsa_next_free_vgpr 1
		.amdhsa_next_free_sgpr 0
		.amdhsa_reserve_vcc 0
		.amdhsa_reserve_flat_scratch 0
		.amdhsa_float_round_mode_32 0
		.amdhsa_float_round_mode_16_64 0
		.amdhsa_float_denorm_mode_32 3
		.amdhsa_float_denorm_mode_16_64 3
		.amdhsa_dx10_clamp 1
		.amdhsa_ieee_mode 1
		.amdhsa_fp16_overflow 0
		.amdhsa_exception_fp_ieee_invalid_op 0
		.amdhsa_exception_fp_denorm_src 0
		.amdhsa_exception_fp_ieee_div_zero 0
		.amdhsa_exception_fp_ieee_overflow 0
		.amdhsa_exception_fp_ieee_underflow 0
		.amdhsa_exception_fp_ieee_inexact 0
		.amdhsa_exception_int_div_zero 0
	.end_amdhsa_kernel
	.section	.text._ZN7rocprim17ROCPRIM_400000_NS6detail17trampoline_kernelINS0_14default_configENS1_27upper_bound_config_selectorIjlEEZNS1_14transform_implILb0ES3_S5_N6thrust23THRUST_200600_302600_NS6detail15normal_iteratorINS8_7pointerIjNS8_11hip_rocprim5par_tENS8_11use_defaultESE_EEEENSA_INSB_IlSD_SE_SE_EEEEZNS1_13binary_searchIS3_S5_NSA_INS8_10device_ptrIjEEEESG_SI_NS1_21upper_bound_search_opENS9_16wrapped_functionINS8_6system6detail7generic6detail18binary_search_lessEbEEEE10hipError_tPvRmT1_T2_T3_mmT4_T5_P12ihipStream_tbEUlRKjE_EESV_SZ_S10_mS11_S14_bEUlT_E_NS1_11comp_targetILNS1_3genE8ELNS1_11target_archE1030ELNS1_3gpuE2ELNS1_3repE0EEENS1_30default_config_static_selectorELNS0_4arch9wavefront6targetE1EEEvSY_,"axG",@progbits,_ZN7rocprim17ROCPRIM_400000_NS6detail17trampoline_kernelINS0_14default_configENS1_27upper_bound_config_selectorIjlEEZNS1_14transform_implILb0ES3_S5_N6thrust23THRUST_200600_302600_NS6detail15normal_iteratorINS8_7pointerIjNS8_11hip_rocprim5par_tENS8_11use_defaultESE_EEEENSA_INSB_IlSD_SE_SE_EEEEZNS1_13binary_searchIS3_S5_NSA_INS8_10device_ptrIjEEEESG_SI_NS1_21upper_bound_search_opENS9_16wrapped_functionINS8_6system6detail7generic6detail18binary_search_lessEbEEEE10hipError_tPvRmT1_T2_T3_mmT4_T5_P12ihipStream_tbEUlRKjE_EESV_SZ_S10_mS11_S14_bEUlT_E_NS1_11comp_targetILNS1_3genE8ELNS1_11target_archE1030ELNS1_3gpuE2ELNS1_3repE0EEENS1_30default_config_static_selectorELNS0_4arch9wavefront6targetE1EEEvSY_,comdat
.Lfunc_end553:
	.size	_ZN7rocprim17ROCPRIM_400000_NS6detail17trampoline_kernelINS0_14default_configENS1_27upper_bound_config_selectorIjlEEZNS1_14transform_implILb0ES3_S5_N6thrust23THRUST_200600_302600_NS6detail15normal_iteratorINS8_7pointerIjNS8_11hip_rocprim5par_tENS8_11use_defaultESE_EEEENSA_INSB_IlSD_SE_SE_EEEEZNS1_13binary_searchIS3_S5_NSA_INS8_10device_ptrIjEEEESG_SI_NS1_21upper_bound_search_opENS9_16wrapped_functionINS8_6system6detail7generic6detail18binary_search_lessEbEEEE10hipError_tPvRmT1_T2_T3_mmT4_T5_P12ihipStream_tbEUlRKjE_EESV_SZ_S10_mS11_S14_bEUlT_E_NS1_11comp_targetILNS1_3genE8ELNS1_11target_archE1030ELNS1_3gpuE2ELNS1_3repE0EEENS1_30default_config_static_selectorELNS0_4arch9wavefront6targetE1EEEvSY_, .Lfunc_end553-_ZN7rocprim17ROCPRIM_400000_NS6detail17trampoline_kernelINS0_14default_configENS1_27upper_bound_config_selectorIjlEEZNS1_14transform_implILb0ES3_S5_N6thrust23THRUST_200600_302600_NS6detail15normal_iteratorINS8_7pointerIjNS8_11hip_rocprim5par_tENS8_11use_defaultESE_EEEENSA_INSB_IlSD_SE_SE_EEEEZNS1_13binary_searchIS3_S5_NSA_INS8_10device_ptrIjEEEESG_SI_NS1_21upper_bound_search_opENS9_16wrapped_functionINS8_6system6detail7generic6detail18binary_search_lessEbEEEE10hipError_tPvRmT1_T2_T3_mmT4_T5_P12ihipStream_tbEUlRKjE_EESV_SZ_S10_mS11_S14_bEUlT_E_NS1_11comp_targetILNS1_3genE8ELNS1_11target_archE1030ELNS1_3gpuE2ELNS1_3repE0EEENS1_30default_config_static_selectorELNS0_4arch9wavefront6targetE1EEEvSY_
                                        ; -- End function
	.set _ZN7rocprim17ROCPRIM_400000_NS6detail17trampoline_kernelINS0_14default_configENS1_27upper_bound_config_selectorIjlEEZNS1_14transform_implILb0ES3_S5_N6thrust23THRUST_200600_302600_NS6detail15normal_iteratorINS8_7pointerIjNS8_11hip_rocprim5par_tENS8_11use_defaultESE_EEEENSA_INSB_IlSD_SE_SE_EEEEZNS1_13binary_searchIS3_S5_NSA_INS8_10device_ptrIjEEEESG_SI_NS1_21upper_bound_search_opENS9_16wrapped_functionINS8_6system6detail7generic6detail18binary_search_lessEbEEEE10hipError_tPvRmT1_T2_T3_mmT4_T5_P12ihipStream_tbEUlRKjE_EESV_SZ_S10_mS11_S14_bEUlT_E_NS1_11comp_targetILNS1_3genE8ELNS1_11target_archE1030ELNS1_3gpuE2ELNS1_3repE0EEENS1_30default_config_static_selectorELNS0_4arch9wavefront6targetE1EEEvSY_.num_vgpr, 0
	.set _ZN7rocprim17ROCPRIM_400000_NS6detail17trampoline_kernelINS0_14default_configENS1_27upper_bound_config_selectorIjlEEZNS1_14transform_implILb0ES3_S5_N6thrust23THRUST_200600_302600_NS6detail15normal_iteratorINS8_7pointerIjNS8_11hip_rocprim5par_tENS8_11use_defaultESE_EEEENSA_INSB_IlSD_SE_SE_EEEEZNS1_13binary_searchIS3_S5_NSA_INS8_10device_ptrIjEEEESG_SI_NS1_21upper_bound_search_opENS9_16wrapped_functionINS8_6system6detail7generic6detail18binary_search_lessEbEEEE10hipError_tPvRmT1_T2_T3_mmT4_T5_P12ihipStream_tbEUlRKjE_EESV_SZ_S10_mS11_S14_bEUlT_E_NS1_11comp_targetILNS1_3genE8ELNS1_11target_archE1030ELNS1_3gpuE2ELNS1_3repE0EEENS1_30default_config_static_selectorELNS0_4arch9wavefront6targetE1EEEvSY_.num_agpr, 0
	.set _ZN7rocprim17ROCPRIM_400000_NS6detail17trampoline_kernelINS0_14default_configENS1_27upper_bound_config_selectorIjlEEZNS1_14transform_implILb0ES3_S5_N6thrust23THRUST_200600_302600_NS6detail15normal_iteratorINS8_7pointerIjNS8_11hip_rocprim5par_tENS8_11use_defaultESE_EEEENSA_INSB_IlSD_SE_SE_EEEEZNS1_13binary_searchIS3_S5_NSA_INS8_10device_ptrIjEEEESG_SI_NS1_21upper_bound_search_opENS9_16wrapped_functionINS8_6system6detail7generic6detail18binary_search_lessEbEEEE10hipError_tPvRmT1_T2_T3_mmT4_T5_P12ihipStream_tbEUlRKjE_EESV_SZ_S10_mS11_S14_bEUlT_E_NS1_11comp_targetILNS1_3genE8ELNS1_11target_archE1030ELNS1_3gpuE2ELNS1_3repE0EEENS1_30default_config_static_selectorELNS0_4arch9wavefront6targetE1EEEvSY_.numbered_sgpr, 0
	.set _ZN7rocprim17ROCPRIM_400000_NS6detail17trampoline_kernelINS0_14default_configENS1_27upper_bound_config_selectorIjlEEZNS1_14transform_implILb0ES3_S5_N6thrust23THRUST_200600_302600_NS6detail15normal_iteratorINS8_7pointerIjNS8_11hip_rocprim5par_tENS8_11use_defaultESE_EEEENSA_INSB_IlSD_SE_SE_EEEEZNS1_13binary_searchIS3_S5_NSA_INS8_10device_ptrIjEEEESG_SI_NS1_21upper_bound_search_opENS9_16wrapped_functionINS8_6system6detail7generic6detail18binary_search_lessEbEEEE10hipError_tPvRmT1_T2_T3_mmT4_T5_P12ihipStream_tbEUlRKjE_EESV_SZ_S10_mS11_S14_bEUlT_E_NS1_11comp_targetILNS1_3genE8ELNS1_11target_archE1030ELNS1_3gpuE2ELNS1_3repE0EEENS1_30default_config_static_selectorELNS0_4arch9wavefront6targetE1EEEvSY_.num_named_barrier, 0
	.set _ZN7rocprim17ROCPRIM_400000_NS6detail17trampoline_kernelINS0_14default_configENS1_27upper_bound_config_selectorIjlEEZNS1_14transform_implILb0ES3_S5_N6thrust23THRUST_200600_302600_NS6detail15normal_iteratorINS8_7pointerIjNS8_11hip_rocprim5par_tENS8_11use_defaultESE_EEEENSA_INSB_IlSD_SE_SE_EEEEZNS1_13binary_searchIS3_S5_NSA_INS8_10device_ptrIjEEEESG_SI_NS1_21upper_bound_search_opENS9_16wrapped_functionINS8_6system6detail7generic6detail18binary_search_lessEbEEEE10hipError_tPvRmT1_T2_T3_mmT4_T5_P12ihipStream_tbEUlRKjE_EESV_SZ_S10_mS11_S14_bEUlT_E_NS1_11comp_targetILNS1_3genE8ELNS1_11target_archE1030ELNS1_3gpuE2ELNS1_3repE0EEENS1_30default_config_static_selectorELNS0_4arch9wavefront6targetE1EEEvSY_.private_seg_size, 0
	.set _ZN7rocprim17ROCPRIM_400000_NS6detail17trampoline_kernelINS0_14default_configENS1_27upper_bound_config_selectorIjlEEZNS1_14transform_implILb0ES3_S5_N6thrust23THRUST_200600_302600_NS6detail15normal_iteratorINS8_7pointerIjNS8_11hip_rocprim5par_tENS8_11use_defaultESE_EEEENSA_INSB_IlSD_SE_SE_EEEEZNS1_13binary_searchIS3_S5_NSA_INS8_10device_ptrIjEEEESG_SI_NS1_21upper_bound_search_opENS9_16wrapped_functionINS8_6system6detail7generic6detail18binary_search_lessEbEEEE10hipError_tPvRmT1_T2_T3_mmT4_T5_P12ihipStream_tbEUlRKjE_EESV_SZ_S10_mS11_S14_bEUlT_E_NS1_11comp_targetILNS1_3genE8ELNS1_11target_archE1030ELNS1_3gpuE2ELNS1_3repE0EEENS1_30default_config_static_selectorELNS0_4arch9wavefront6targetE1EEEvSY_.uses_vcc, 0
	.set _ZN7rocprim17ROCPRIM_400000_NS6detail17trampoline_kernelINS0_14default_configENS1_27upper_bound_config_selectorIjlEEZNS1_14transform_implILb0ES3_S5_N6thrust23THRUST_200600_302600_NS6detail15normal_iteratorINS8_7pointerIjNS8_11hip_rocprim5par_tENS8_11use_defaultESE_EEEENSA_INSB_IlSD_SE_SE_EEEEZNS1_13binary_searchIS3_S5_NSA_INS8_10device_ptrIjEEEESG_SI_NS1_21upper_bound_search_opENS9_16wrapped_functionINS8_6system6detail7generic6detail18binary_search_lessEbEEEE10hipError_tPvRmT1_T2_T3_mmT4_T5_P12ihipStream_tbEUlRKjE_EESV_SZ_S10_mS11_S14_bEUlT_E_NS1_11comp_targetILNS1_3genE8ELNS1_11target_archE1030ELNS1_3gpuE2ELNS1_3repE0EEENS1_30default_config_static_selectorELNS0_4arch9wavefront6targetE1EEEvSY_.uses_flat_scratch, 0
	.set _ZN7rocprim17ROCPRIM_400000_NS6detail17trampoline_kernelINS0_14default_configENS1_27upper_bound_config_selectorIjlEEZNS1_14transform_implILb0ES3_S5_N6thrust23THRUST_200600_302600_NS6detail15normal_iteratorINS8_7pointerIjNS8_11hip_rocprim5par_tENS8_11use_defaultESE_EEEENSA_INSB_IlSD_SE_SE_EEEEZNS1_13binary_searchIS3_S5_NSA_INS8_10device_ptrIjEEEESG_SI_NS1_21upper_bound_search_opENS9_16wrapped_functionINS8_6system6detail7generic6detail18binary_search_lessEbEEEE10hipError_tPvRmT1_T2_T3_mmT4_T5_P12ihipStream_tbEUlRKjE_EESV_SZ_S10_mS11_S14_bEUlT_E_NS1_11comp_targetILNS1_3genE8ELNS1_11target_archE1030ELNS1_3gpuE2ELNS1_3repE0EEENS1_30default_config_static_selectorELNS0_4arch9wavefront6targetE1EEEvSY_.has_dyn_sized_stack, 0
	.set _ZN7rocprim17ROCPRIM_400000_NS6detail17trampoline_kernelINS0_14default_configENS1_27upper_bound_config_selectorIjlEEZNS1_14transform_implILb0ES3_S5_N6thrust23THRUST_200600_302600_NS6detail15normal_iteratorINS8_7pointerIjNS8_11hip_rocprim5par_tENS8_11use_defaultESE_EEEENSA_INSB_IlSD_SE_SE_EEEEZNS1_13binary_searchIS3_S5_NSA_INS8_10device_ptrIjEEEESG_SI_NS1_21upper_bound_search_opENS9_16wrapped_functionINS8_6system6detail7generic6detail18binary_search_lessEbEEEE10hipError_tPvRmT1_T2_T3_mmT4_T5_P12ihipStream_tbEUlRKjE_EESV_SZ_S10_mS11_S14_bEUlT_E_NS1_11comp_targetILNS1_3genE8ELNS1_11target_archE1030ELNS1_3gpuE2ELNS1_3repE0EEENS1_30default_config_static_selectorELNS0_4arch9wavefront6targetE1EEEvSY_.has_recursion, 0
	.set _ZN7rocprim17ROCPRIM_400000_NS6detail17trampoline_kernelINS0_14default_configENS1_27upper_bound_config_selectorIjlEEZNS1_14transform_implILb0ES3_S5_N6thrust23THRUST_200600_302600_NS6detail15normal_iteratorINS8_7pointerIjNS8_11hip_rocprim5par_tENS8_11use_defaultESE_EEEENSA_INSB_IlSD_SE_SE_EEEEZNS1_13binary_searchIS3_S5_NSA_INS8_10device_ptrIjEEEESG_SI_NS1_21upper_bound_search_opENS9_16wrapped_functionINS8_6system6detail7generic6detail18binary_search_lessEbEEEE10hipError_tPvRmT1_T2_T3_mmT4_T5_P12ihipStream_tbEUlRKjE_EESV_SZ_S10_mS11_S14_bEUlT_E_NS1_11comp_targetILNS1_3genE8ELNS1_11target_archE1030ELNS1_3gpuE2ELNS1_3repE0EEENS1_30default_config_static_selectorELNS0_4arch9wavefront6targetE1EEEvSY_.has_indirect_call, 0
	.section	.AMDGPU.csdata,"",@progbits
; Kernel info:
; codeLenInByte = 0
; TotalNumSgprs: 4
; NumVgprs: 0
; ScratchSize: 0
; MemoryBound: 0
; FloatMode: 240
; IeeeMode: 1
; LDSByteSize: 0 bytes/workgroup (compile time only)
; SGPRBlocks: 0
; VGPRBlocks: 0
; NumSGPRsForWavesPerEU: 4
; NumVGPRsForWavesPerEU: 1
; Occupancy: 10
; WaveLimiterHint : 0
; COMPUTE_PGM_RSRC2:SCRATCH_EN: 0
; COMPUTE_PGM_RSRC2:USER_SGPR: 6
; COMPUTE_PGM_RSRC2:TRAP_HANDLER: 0
; COMPUTE_PGM_RSRC2:TGID_X_EN: 1
; COMPUTE_PGM_RSRC2:TGID_Y_EN: 0
; COMPUTE_PGM_RSRC2:TGID_Z_EN: 0
; COMPUTE_PGM_RSRC2:TIDIG_COMP_CNT: 0
	.section	.text._ZN7rocprim17ROCPRIM_400000_NS6detail17trampoline_kernelINS0_14default_configENS1_27upper_bound_config_selectorItlEEZNS1_14transform_implILb0ES3_S5_N6thrust23THRUST_200600_302600_NS6detail15normal_iteratorINS8_7pointerItNS8_11hip_rocprim5par_tENS8_11use_defaultESE_EEEENSA_INSB_IlSD_SE_SE_EEEEZNS1_13binary_searchIS3_S5_NSA_INS8_10device_ptrItEEEESG_SI_NS1_21upper_bound_search_opENS9_16wrapped_functionINS8_6system6detail7generic6detail18binary_search_lessEbEEEE10hipError_tPvRmT1_T2_T3_mmT4_T5_P12ihipStream_tbEUlRKtE_EESV_SZ_S10_mS11_S14_bEUlT_E_NS1_11comp_targetILNS1_3genE0ELNS1_11target_archE4294967295ELNS1_3gpuE0ELNS1_3repE0EEENS1_30default_config_static_selectorELNS0_4arch9wavefront6targetE1EEEvSY_,"axG",@progbits,_ZN7rocprim17ROCPRIM_400000_NS6detail17trampoline_kernelINS0_14default_configENS1_27upper_bound_config_selectorItlEEZNS1_14transform_implILb0ES3_S5_N6thrust23THRUST_200600_302600_NS6detail15normal_iteratorINS8_7pointerItNS8_11hip_rocprim5par_tENS8_11use_defaultESE_EEEENSA_INSB_IlSD_SE_SE_EEEEZNS1_13binary_searchIS3_S5_NSA_INS8_10device_ptrItEEEESG_SI_NS1_21upper_bound_search_opENS9_16wrapped_functionINS8_6system6detail7generic6detail18binary_search_lessEbEEEE10hipError_tPvRmT1_T2_T3_mmT4_T5_P12ihipStream_tbEUlRKtE_EESV_SZ_S10_mS11_S14_bEUlT_E_NS1_11comp_targetILNS1_3genE0ELNS1_11target_archE4294967295ELNS1_3gpuE0ELNS1_3repE0EEENS1_30default_config_static_selectorELNS0_4arch9wavefront6targetE1EEEvSY_,comdat
	.protected	_ZN7rocprim17ROCPRIM_400000_NS6detail17trampoline_kernelINS0_14default_configENS1_27upper_bound_config_selectorItlEEZNS1_14transform_implILb0ES3_S5_N6thrust23THRUST_200600_302600_NS6detail15normal_iteratorINS8_7pointerItNS8_11hip_rocprim5par_tENS8_11use_defaultESE_EEEENSA_INSB_IlSD_SE_SE_EEEEZNS1_13binary_searchIS3_S5_NSA_INS8_10device_ptrItEEEESG_SI_NS1_21upper_bound_search_opENS9_16wrapped_functionINS8_6system6detail7generic6detail18binary_search_lessEbEEEE10hipError_tPvRmT1_T2_T3_mmT4_T5_P12ihipStream_tbEUlRKtE_EESV_SZ_S10_mS11_S14_bEUlT_E_NS1_11comp_targetILNS1_3genE0ELNS1_11target_archE4294967295ELNS1_3gpuE0ELNS1_3repE0EEENS1_30default_config_static_selectorELNS0_4arch9wavefront6targetE1EEEvSY_ ; -- Begin function _ZN7rocprim17ROCPRIM_400000_NS6detail17trampoline_kernelINS0_14default_configENS1_27upper_bound_config_selectorItlEEZNS1_14transform_implILb0ES3_S5_N6thrust23THRUST_200600_302600_NS6detail15normal_iteratorINS8_7pointerItNS8_11hip_rocprim5par_tENS8_11use_defaultESE_EEEENSA_INSB_IlSD_SE_SE_EEEEZNS1_13binary_searchIS3_S5_NSA_INS8_10device_ptrItEEEESG_SI_NS1_21upper_bound_search_opENS9_16wrapped_functionINS8_6system6detail7generic6detail18binary_search_lessEbEEEE10hipError_tPvRmT1_T2_T3_mmT4_T5_P12ihipStream_tbEUlRKtE_EESV_SZ_S10_mS11_S14_bEUlT_E_NS1_11comp_targetILNS1_3genE0ELNS1_11target_archE4294967295ELNS1_3gpuE0ELNS1_3repE0EEENS1_30default_config_static_selectorELNS0_4arch9wavefront6targetE1EEEvSY_
	.globl	_ZN7rocprim17ROCPRIM_400000_NS6detail17trampoline_kernelINS0_14default_configENS1_27upper_bound_config_selectorItlEEZNS1_14transform_implILb0ES3_S5_N6thrust23THRUST_200600_302600_NS6detail15normal_iteratorINS8_7pointerItNS8_11hip_rocprim5par_tENS8_11use_defaultESE_EEEENSA_INSB_IlSD_SE_SE_EEEEZNS1_13binary_searchIS3_S5_NSA_INS8_10device_ptrItEEEESG_SI_NS1_21upper_bound_search_opENS9_16wrapped_functionINS8_6system6detail7generic6detail18binary_search_lessEbEEEE10hipError_tPvRmT1_T2_T3_mmT4_T5_P12ihipStream_tbEUlRKtE_EESV_SZ_S10_mS11_S14_bEUlT_E_NS1_11comp_targetILNS1_3genE0ELNS1_11target_archE4294967295ELNS1_3gpuE0ELNS1_3repE0EEENS1_30default_config_static_selectorELNS0_4arch9wavefront6targetE1EEEvSY_
	.p2align	8
	.type	_ZN7rocprim17ROCPRIM_400000_NS6detail17trampoline_kernelINS0_14default_configENS1_27upper_bound_config_selectorItlEEZNS1_14transform_implILb0ES3_S5_N6thrust23THRUST_200600_302600_NS6detail15normal_iteratorINS8_7pointerItNS8_11hip_rocprim5par_tENS8_11use_defaultESE_EEEENSA_INSB_IlSD_SE_SE_EEEEZNS1_13binary_searchIS3_S5_NSA_INS8_10device_ptrItEEEESG_SI_NS1_21upper_bound_search_opENS9_16wrapped_functionINS8_6system6detail7generic6detail18binary_search_lessEbEEEE10hipError_tPvRmT1_T2_T3_mmT4_T5_P12ihipStream_tbEUlRKtE_EESV_SZ_S10_mS11_S14_bEUlT_E_NS1_11comp_targetILNS1_3genE0ELNS1_11target_archE4294967295ELNS1_3gpuE0ELNS1_3repE0EEENS1_30default_config_static_selectorELNS0_4arch9wavefront6targetE1EEEvSY_,@function
_ZN7rocprim17ROCPRIM_400000_NS6detail17trampoline_kernelINS0_14default_configENS1_27upper_bound_config_selectorItlEEZNS1_14transform_implILb0ES3_S5_N6thrust23THRUST_200600_302600_NS6detail15normal_iteratorINS8_7pointerItNS8_11hip_rocprim5par_tENS8_11use_defaultESE_EEEENSA_INSB_IlSD_SE_SE_EEEEZNS1_13binary_searchIS3_S5_NSA_INS8_10device_ptrItEEEESG_SI_NS1_21upper_bound_search_opENS9_16wrapped_functionINS8_6system6detail7generic6detail18binary_search_lessEbEEEE10hipError_tPvRmT1_T2_T3_mmT4_T5_P12ihipStream_tbEUlRKtE_EESV_SZ_S10_mS11_S14_bEUlT_E_NS1_11comp_targetILNS1_3genE0ELNS1_11target_archE4294967295ELNS1_3gpuE0ELNS1_3repE0EEENS1_30default_config_static_selectorELNS0_4arch9wavefront6targetE1EEEvSY_: ; @_ZN7rocprim17ROCPRIM_400000_NS6detail17trampoline_kernelINS0_14default_configENS1_27upper_bound_config_selectorItlEEZNS1_14transform_implILb0ES3_S5_N6thrust23THRUST_200600_302600_NS6detail15normal_iteratorINS8_7pointerItNS8_11hip_rocprim5par_tENS8_11use_defaultESE_EEEENSA_INSB_IlSD_SE_SE_EEEEZNS1_13binary_searchIS3_S5_NSA_INS8_10device_ptrItEEEESG_SI_NS1_21upper_bound_search_opENS9_16wrapped_functionINS8_6system6detail7generic6detail18binary_search_lessEbEEEE10hipError_tPvRmT1_T2_T3_mmT4_T5_P12ihipStream_tbEUlRKtE_EESV_SZ_S10_mS11_S14_bEUlT_E_NS1_11comp_targetILNS1_3genE0ELNS1_11target_archE4294967295ELNS1_3gpuE0ELNS1_3repE0EEENS1_30default_config_static_selectorELNS0_4arch9wavefront6targetE1EEEvSY_
; %bb.0:
	.section	.rodata,"a",@progbits
	.p2align	6, 0x0
	.amdhsa_kernel _ZN7rocprim17ROCPRIM_400000_NS6detail17trampoline_kernelINS0_14default_configENS1_27upper_bound_config_selectorItlEEZNS1_14transform_implILb0ES3_S5_N6thrust23THRUST_200600_302600_NS6detail15normal_iteratorINS8_7pointerItNS8_11hip_rocprim5par_tENS8_11use_defaultESE_EEEENSA_INSB_IlSD_SE_SE_EEEEZNS1_13binary_searchIS3_S5_NSA_INS8_10device_ptrItEEEESG_SI_NS1_21upper_bound_search_opENS9_16wrapped_functionINS8_6system6detail7generic6detail18binary_search_lessEbEEEE10hipError_tPvRmT1_T2_T3_mmT4_T5_P12ihipStream_tbEUlRKtE_EESV_SZ_S10_mS11_S14_bEUlT_E_NS1_11comp_targetILNS1_3genE0ELNS1_11target_archE4294967295ELNS1_3gpuE0ELNS1_3repE0EEENS1_30default_config_static_selectorELNS0_4arch9wavefront6targetE1EEEvSY_
		.amdhsa_group_segment_fixed_size 0
		.amdhsa_private_segment_fixed_size 0
		.amdhsa_kernarg_size 56
		.amdhsa_user_sgpr_count 6
		.amdhsa_user_sgpr_private_segment_buffer 1
		.amdhsa_user_sgpr_dispatch_ptr 0
		.amdhsa_user_sgpr_queue_ptr 0
		.amdhsa_user_sgpr_kernarg_segment_ptr 1
		.amdhsa_user_sgpr_dispatch_id 0
		.amdhsa_user_sgpr_flat_scratch_init 0
		.amdhsa_user_sgpr_private_segment_size 0
		.amdhsa_uses_dynamic_stack 0
		.amdhsa_system_sgpr_private_segment_wavefront_offset 0
		.amdhsa_system_sgpr_workgroup_id_x 1
		.amdhsa_system_sgpr_workgroup_id_y 0
		.amdhsa_system_sgpr_workgroup_id_z 0
		.amdhsa_system_sgpr_workgroup_info 0
		.amdhsa_system_vgpr_workitem_id 0
		.amdhsa_next_free_vgpr 1
		.amdhsa_next_free_sgpr 0
		.amdhsa_reserve_vcc 0
		.amdhsa_reserve_flat_scratch 0
		.amdhsa_float_round_mode_32 0
		.amdhsa_float_round_mode_16_64 0
		.amdhsa_float_denorm_mode_32 3
		.amdhsa_float_denorm_mode_16_64 3
		.amdhsa_dx10_clamp 1
		.amdhsa_ieee_mode 1
		.amdhsa_fp16_overflow 0
		.amdhsa_exception_fp_ieee_invalid_op 0
		.amdhsa_exception_fp_denorm_src 0
		.amdhsa_exception_fp_ieee_div_zero 0
		.amdhsa_exception_fp_ieee_overflow 0
		.amdhsa_exception_fp_ieee_underflow 0
		.amdhsa_exception_fp_ieee_inexact 0
		.amdhsa_exception_int_div_zero 0
	.end_amdhsa_kernel
	.section	.text._ZN7rocprim17ROCPRIM_400000_NS6detail17trampoline_kernelINS0_14default_configENS1_27upper_bound_config_selectorItlEEZNS1_14transform_implILb0ES3_S5_N6thrust23THRUST_200600_302600_NS6detail15normal_iteratorINS8_7pointerItNS8_11hip_rocprim5par_tENS8_11use_defaultESE_EEEENSA_INSB_IlSD_SE_SE_EEEEZNS1_13binary_searchIS3_S5_NSA_INS8_10device_ptrItEEEESG_SI_NS1_21upper_bound_search_opENS9_16wrapped_functionINS8_6system6detail7generic6detail18binary_search_lessEbEEEE10hipError_tPvRmT1_T2_T3_mmT4_T5_P12ihipStream_tbEUlRKtE_EESV_SZ_S10_mS11_S14_bEUlT_E_NS1_11comp_targetILNS1_3genE0ELNS1_11target_archE4294967295ELNS1_3gpuE0ELNS1_3repE0EEENS1_30default_config_static_selectorELNS0_4arch9wavefront6targetE1EEEvSY_,"axG",@progbits,_ZN7rocprim17ROCPRIM_400000_NS6detail17trampoline_kernelINS0_14default_configENS1_27upper_bound_config_selectorItlEEZNS1_14transform_implILb0ES3_S5_N6thrust23THRUST_200600_302600_NS6detail15normal_iteratorINS8_7pointerItNS8_11hip_rocprim5par_tENS8_11use_defaultESE_EEEENSA_INSB_IlSD_SE_SE_EEEEZNS1_13binary_searchIS3_S5_NSA_INS8_10device_ptrItEEEESG_SI_NS1_21upper_bound_search_opENS9_16wrapped_functionINS8_6system6detail7generic6detail18binary_search_lessEbEEEE10hipError_tPvRmT1_T2_T3_mmT4_T5_P12ihipStream_tbEUlRKtE_EESV_SZ_S10_mS11_S14_bEUlT_E_NS1_11comp_targetILNS1_3genE0ELNS1_11target_archE4294967295ELNS1_3gpuE0ELNS1_3repE0EEENS1_30default_config_static_selectorELNS0_4arch9wavefront6targetE1EEEvSY_,comdat
.Lfunc_end554:
	.size	_ZN7rocprim17ROCPRIM_400000_NS6detail17trampoline_kernelINS0_14default_configENS1_27upper_bound_config_selectorItlEEZNS1_14transform_implILb0ES3_S5_N6thrust23THRUST_200600_302600_NS6detail15normal_iteratorINS8_7pointerItNS8_11hip_rocprim5par_tENS8_11use_defaultESE_EEEENSA_INSB_IlSD_SE_SE_EEEEZNS1_13binary_searchIS3_S5_NSA_INS8_10device_ptrItEEEESG_SI_NS1_21upper_bound_search_opENS9_16wrapped_functionINS8_6system6detail7generic6detail18binary_search_lessEbEEEE10hipError_tPvRmT1_T2_T3_mmT4_T5_P12ihipStream_tbEUlRKtE_EESV_SZ_S10_mS11_S14_bEUlT_E_NS1_11comp_targetILNS1_3genE0ELNS1_11target_archE4294967295ELNS1_3gpuE0ELNS1_3repE0EEENS1_30default_config_static_selectorELNS0_4arch9wavefront6targetE1EEEvSY_, .Lfunc_end554-_ZN7rocprim17ROCPRIM_400000_NS6detail17trampoline_kernelINS0_14default_configENS1_27upper_bound_config_selectorItlEEZNS1_14transform_implILb0ES3_S5_N6thrust23THRUST_200600_302600_NS6detail15normal_iteratorINS8_7pointerItNS8_11hip_rocprim5par_tENS8_11use_defaultESE_EEEENSA_INSB_IlSD_SE_SE_EEEEZNS1_13binary_searchIS3_S5_NSA_INS8_10device_ptrItEEEESG_SI_NS1_21upper_bound_search_opENS9_16wrapped_functionINS8_6system6detail7generic6detail18binary_search_lessEbEEEE10hipError_tPvRmT1_T2_T3_mmT4_T5_P12ihipStream_tbEUlRKtE_EESV_SZ_S10_mS11_S14_bEUlT_E_NS1_11comp_targetILNS1_3genE0ELNS1_11target_archE4294967295ELNS1_3gpuE0ELNS1_3repE0EEENS1_30default_config_static_selectorELNS0_4arch9wavefront6targetE1EEEvSY_
                                        ; -- End function
	.set _ZN7rocprim17ROCPRIM_400000_NS6detail17trampoline_kernelINS0_14default_configENS1_27upper_bound_config_selectorItlEEZNS1_14transform_implILb0ES3_S5_N6thrust23THRUST_200600_302600_NS6detail15normal_iteratorINS8_7pointerItNS8_11hip_rocprim5par_tENS8_11use_defaultESE_EEEENSA_INSB_IlSD_SE_SE_EEEEZNS1_13binary_searchIS3_S5_NSA_INS8_10device_ptrItEEEESG_SI_NS1_21upper_bound_search_opENS9_16wrapped_functionINS8_6system6detail7generic6detail18binary_search_lessEbEEEE10hipError_tPvRmT1_T2_T3_mmT4_T5_P12ihipStream_tbEUlRKtE_EESV_SZ_S10_mS11_S14_bEUlT_E_NS1_11comp_targetILNS1_3genE0ELNS1_11target_archE4294967295ELNS1_3gpuE0ELNS1_3repE0EEENS1_30default_config_static_selectorELNS0_4arch9wavefront6targetE1EEEvSY_.num_vgpr, 0
	.set _ZN7rocprim17ROCPRIM_400000_NS6detail17trampoline_kernelINS0_14default_configENS1_27upper_bound_config_selectorItlEEZNS1_14transform_implILb0ES3_S5_N6thrust23THRUST_200600_302600_NS6detail15normal_iteratorINS8_7pointerItNS8_11hip_rocprim5par_tENS8_11use_defaultESE_EEEENSA_INSB_IlSD_SE_SE_EEEEZNS1_13binary_searchIS3_S5_NSA_INS8_10device_ptrItEEEESG_SI_NS1_21upper_bound_search_opENS9_16wrapped_functionINS8_6system6detail7generic6detail18binary_search_lessEbEEEE10hipError_tPvRmT1_T2_T3_mmT4_T5_P12ihipStream_tbEUlRKtE_EESV_SZ_S10_mS11_S14_bEUlT_E_NS1_11comp_targetILNS1_3genE0ELNS1_11target_archE4294967295ELNS1_3gpuE0ELNS1_3repE0EEENS1_30default_config_static_selectorELNS0_4arch9wavefront6targetE1EEEvSY_.num_agpr, 0
	.set _ZN7rocprim17ROCPRIM_400000_NS6detail17trampoline_kernelINS0_14default_configENS1_27upper_bound_config_selectorItlEEZNS1_14transform_implILb0ES3_S5_N6thrust23THRUST_200600_302600_NS6detail15normal_iteratorINS8_7pointerItNS8_11hip_rocprim5par_tENS8_11use_defaultESE_EEEENSA_INSB_IlSD_SE_SE_EEEEZNS1_13binary_searchIS3_S5_NSA_INS8_10device_ptrItEEEESG_SI_NS1_21upper_bound_search_opENS9_16wrapped_functionINS8_6system6detail7generic6detail18binary_search_lessEbEEEE10hipError_tPvRmT1_T2_T3_mmT4_T5_P12ihipStream_tbEUlRKtE_EESV_SZ_S10_mS11_S14_bEUlT_E_NS1_11comp_targetILNS1_3genE0ELNS1_11target_archE4294967295ELNS1_3gpuE0ELNS1_3repE0EEENS1_30default_config_static_selectorELNS0_4arch9wavefront6targetE1EEEvSY_.numbered_sgpr, 0
	.set _ZN7rocprim17ROCPRIM_400000_NS6detail17trampoline_kernelINS0_14default_configENS1_27upper_bound_config_selectorItlEEZNS1_14transform_implILb0ES3_S5_N6thrust23THRUST_200600_302600_NS6detail15normal_iteratorINS8_7pointerItNS8_11hip_rocprim5par_tENS8_11use_defaultESE_EEEENSA_INSB_IlSD_SE_SE_EEEEZNS1_13binary_searchIS3_S5_NSA_INS8_10device_ptrItEEEESG_SI_NS1_21upper_bound_search_opENS9_16wrapped_functionINS8_6system6detail7generic6detail18binary_search_lessEbEEEE10hipError_tPvRmT1_T2_T3_mmT4_T5_P12ihipStream_tbEUlRKtE_EESV_SZ_S10_mS11_S14_bEUlT_E_NS1_11comp_targetILNS1_3genE0ELNS1_11target_archE4294967295ELNS1_3gpuE0ELNS1_3repE0EEENS1_30default_config_static_selectorELNS0_4arch9wavefront6targetE1EEEvSY_.num_named_barrier, 0
	.set _ZN7rocprim17ROCPRIM_400000_NS6detail17trampoline_kernelINS0_14default_configENS1_27upper_bound_config_selectorItlEEZNS1_14transform_implILb0ES3_S5_N6thrust23THRUST_200600_302600_NS6detail15normal_iteratorINS8_7pointerItNS8_11hip_rocprim5par_tENS8_11use_defaultESE_EEEENSA_INSB_IlSD_SE_SE_EEEEZNS1_13binary_searchIS3_S5_NSA_INS8_10device_ptrItEEEESG_SI_NS1_21upper_bound_search_opENS9_16wrapped_functionINS8_6system6detail7generic6detail18binary_search_lessEbEEEE10hipError_tPvRmT1_T2_T3_mmT4_T5_P12ihipStream_tbEUlRKtE_EESV_SZ_S10_mS11_S14_bEUlT_E_NS1_11comp_targetILNS1_3genE0ELNS1_11target_archE4294967295ELNS1_3gpuE0ELNS1_3repE0EEENS1_30default_config_static_selectorELNS0_4arch9wavefront6targetE1EEEvSY_.private_seg_size, 0
	.set _ZN7rocprim17ROCPRIM_400000_NS6detail17trampoline_kernelINS0_14default_configENS1_27upper_bound_config_selectorItlEEZNS1_14transform_implILb0ES3_S5_N6thrust23THRUST_200600_302600_NS6detail15normal_iteratorINS8_7pointerItNS8_11hip_rocprim5par_tENS8_11use_defaultESE_EEEENSA_INSB_IlSD_SE_SE_EEEEZNS1_13binary_searchIS3_S5_NSA_INS8_10device_ptrItEEEESG_SI_NS1_21upper_bound_search_opENS9_16wrapped_functionINS8_6system6detail7generic6detail18binary_search_lessEbEEEE10hipError_tPvRmT1_T2_T3_mmT4_T5_P12ihipStream_tbEUlRKtE_EESV_SZ_S10_mS11_S14_bEUlT_E_NS1_11comp_targetILNS1_3genE0ELNS1_11target_archE4294967295ELNS1_3gpuE0ELNS1_3repE0EEENS1_30default_config_static_selectorELNS0_4arch9wavefront6targetE1EEEvSY_.uses_vcc, 0
	.set _ZN7rocprim17ROCPRIM_400000_NS6detail17trampoline_kernelINS0_14default_configENS1_27upper_bound_config_selectorItlEEZNS1_14transform_implILb0ES3_S5_N6thrust23THRUST_200600_302600_NS6detail15normal_iteratorINS8_7pointerItNS8_11hip_rocprim5par_tENS8_11use_defaultESE_EEEENSA_INSB_IlSD_SE_SE_EEEEZNS1_13binary_searchIS3_S5_NSA_INS8_10device_ptrItEEEESG_SI_NS1_21upper_bound_search_opENS9_16wrapped_functionINS8_6system6detail7generic6detail18binary_search_lessEbEEEE10hipError_tPvRmT1_T2_T3_mmT4_T5_P12ihipStream_tbEUlRKtE_EESV_SZ_S10_mS11_S14_bEUlT_E_NS1_11comp_targetILNS1_3genE0ELNS1_11target_archE4294967295ELNS1_3gpuE0ELNS1_3repE0EEENS1_30default_config_static_selectorELNS0_4arch9wavefront6targetE1EEEvSY_.uses_flat_scratch, 0
	.set _ZN7rocprim17ROCPRIM_400000_NS6detail17trampoline_kernelINS0_14default_configENS1_27upper_bound_config_selectorItlEEZNS1_14transform_implILb0ES3_S5_N6thrust23THRUST_200600_302600_NS6detail15normal_iteratorINS8_7pointerItNS8_11hip_rocprim5par_tENS8_11use_defaultESE_EEEENSA_INSB_IlSD_SE_SE_EEEEZNS1_13binary_searchIS3_S5_NSA_INS8_10device_ptrItEEEESG_SI_NS1_21upper_bound_search_opENS9_16wrapped_functionINS8_6system6detail7generic6detail18binary_search_lessEbEEEE10hipError_tPvRmT1_T2_T3_mmT4_T5_P12ihipStream_tbEUlRKtE_EESV_SZ_S10_mS11_S14_bEUlT_E_NS1_11comp_targetILNS1_3genE0ELNS1_11target_archE4294967295ELNS1_3gpuE0ELNS1_3repE0EEENS1_30default_config_static_selectorELNS0_4arch9wavefront6targetE1EEEvSY_.has_dyn_sized_stack, 0
	.set _ZN7rocprim17ROCPRIM_400000_NS6detail17trampoline_kernelINS0_14default_configENS1_27upper_bound_config_selectorItlEEZNS1_14transform_implILb0ES3_S5_N6thrust23THRUST_200600_302600_NS6detail15normal_iteratorINS8_7pointerItNS8_11hip_rocprim5par_tENS8_11use_defaultESE_EEEENSA_INSB_IlSD_SE_SE_EEEEZNS1_13binary_searchIS3_S5_NSA_INS8_10device_ptrItEEEESG_SI_NS1_21upper_bound_search_opENS9_16wrapped_functionINS8_6system6detail7generic6detail18binary_search_lessEbEEEE10hipError_tPvRmT1_T2_T3_mmT4_T5_P12ihipStream_tbEUlRKtE_EESV_SZ_S10_mS11_S14_bEUlT_E_NS1_11comp_targetILNS1_3genE0ELNS1_11target_archE4294967295ELNS1_3gpuE0ELNS1_3repE0EEENS1_30default_config_static_selectorELNS0_4arch9wavefront6targetE1EEEvSY_.has_recursion, 0
	.set _ZN7rocprim17ROCPRIM_400000_NS6detail17trampoline_kernelINS0_14default_configENS1_27upper_bound_config_selectorItlEEZNS1_14transform_implILb0ES3_S5_N6thrust23THRUST_200600_302600_NS6detail15normal_iteratorINS8_7pointerItNS8_11hip_rocprim5par_tENS8_11use_defaultESE_EEEENSA_INSB_IlSD_SE_SE_EEEEZNS1_13binary_searchIS3_S5_NSA_INS8_10device_ptrItEEEESG_SI_NS1_21upper_bound_search_opENS9_16wrapped_functionINS8_6system6detail7generic6detail18binary_search_lessEbEEEE10hipError_tPvRmT1_T2_T3_mmT4_T5_P12ihipStream_tbEUlRKtE_EESV_SZ_S10_mS11_S14_bEUlT_E_NS1_11comp_targetILNS1_3genE0ELNS1_11target_archE4294967295ELNS1_3gpuE0ELNS1_3repE0EEENS1_30default_config_static_selectorELNS0_4arch9wavefront6targetE1EEEvSY_.has_indirect_call, 0
	.section	.AMDGPU.csdata,"",@progbits
; Kernel info:
; codeLenInByte = 0
; TotalNumSgprs: 4
; NumVgprs: 0
; ScratchSize: 0
; MemoryBound: 0
; FloatMode: 240
; IeeeMode: 1
; LDSByteSize: 0 bytes/workgroup (compile time only)
; SGPRBlocks: 0
; VGPRBlocks: 0
; NumSGPRsForWavesPerEU: 4
; NumVGPRsForWavesPerEU: 1
; Occupancy: 10
; WaveLimiterHint : 0
; COMPUTE_PGM_RSRC2:SCRATCH_EN: 0
; COMPUTE_PGM_RSRC2:USER_SGPR: 6
; COMPUTE_PGM_RSRC2:TRAP_HANDLER: 0
; COMPUTE_PGM_RSRC2:TGID_X_EN: 1
; COMPUTE_PGM_RSRC2:TGID_Y_EN: 0
; COMPUTE_PGM_RSRC2:TGID_Z_EN: 0
; COMPUTE_PGM_RSRC2:TIDIG_COMP_CNT: 0
	.section	.text._ZN7rocprim17ROCPRIM_400000_NS6detail17trampoline_kernelINS0_14default_configENS1_27upper_bound_config_selectorItlEEZNS1_14transform_implILb0ES3_S5_N6thrust23THRUST_200600_302600_NS6detail15normal_iteratorINS8_7pointerItNS8_11hip_rocprim5par_tENS8_11use_defaultESE_EEEENSA_INSB_IlSD_SE_SE_EEEEZNS1_13binary_searchIS3_S5_NSA_INS8_10device_ptrItEEEESG_SI_NS1_21upper_bound_search_opENS9_16wrapped_functionINS8_6system6detail7generic6detail18binary_search_lessEbEEEE10hipError_tPvRmT1_T2_T3_mmT4_T5_P12ihipStream_tbEUlRKtE_EESV_SZ_S10_mS11_S14_bEUlT_E_NS1_11comp_targetILNS1_3genE5ELNS1_11target_archE942ELNS1_3gpuE9ELNS1_3repE0EEENS1_30default_config_static_selectorELNS0_4arch9wavefront6targetE1EEEvSY_,"axG",@progbits,_ZN7rocprim17ROCPRIM_400000_NS6detail17trampoline_kernelINS0_14default_configENS1_27upper_bound_config_selectorItlEEZNS1_14transform_implILb0ES3_S5_N6thrust23THRUST_200600_302600_NS6detail15normal_iteratorINS8_7pointerItNS8_11hip_rocprim5par_tENS8_11use_defaultESE_EEEENSA_INSB_IlSD_SE_SE_EEEEZNS1_13binary_searchIS3_S5_NSA_INS8_10device_ptrItEEEESG_SI_NS1_21upper_bound_search_opENS9_16wrapped_functionINS8_6system6detail7generic6detail18binary_search_lessEbEEEE10hipError_tPvRmT1_T2_T3_mmT4_T5_P12ihipStream_tbEUlRKtE_EESV_SZ_S10_mS11_S14_bEUlT_E_NS1_11comp_targetILNS1_3genE5ELNS1_11target_archE942ELNS1_3gpuE9ELNS1_3repE0EEENS1_30default_config_static_selectorELNS0_4arch9wavefront6targetE1EEEvSY_,comdat
	.protected	_ZN7rocprim17ROCPRIM_400000_NS6detail17trampoline_kernelINS0_14default_configENS1_27upper_bound_config_selectorItlEEZNS1_14transform_implILb0ES3_S5_N6thrust23THRUST_200600_302600_NS6detail15normal_iteratorINS8_7pointerItNS8_11hip_rocprim5par_tENS8_11use_defaultESE_EEEENSA_INSB_IlSD_SE_SE_EEEEZNS1_13binary_searchIS3_S5_NSA_INS8_10device_ptrItEEEESG_SI_NS1_21upper_bound_search_opENS9_16wrapped_functionINS8_6system6detail7generic6detail18binary_search_lessEbEEEE10hipError_tPvRmT1_T2_T3_mmT4_T5_P12ihipStream_tbEUlRKtE_EESV_SZ_S10_mS11_S14_bEUlT_E_NS1_11comp_targetILNS1_3genE5ELNS1_11target_archE942ELNS1_3gpuE9ELNS1_3repE0EEENS1_30default_config_static_selectorELNS0_4arch9wavefront6targetE1EEEvSY_ ; -- Begin function _ZN7rocprim17ROCPRIM_400000_NS6detail17trampoline_kernelINS0_14default_configENS1_27upper_bound_config_selectorItlEEZNS1_14transform_implILb0ES3_S5_N6thrust23THRUST_200600_302600_NS6detail15normal_iteratorINS8_7pointerItNS8_11hip_rocprim5par_tENS8_11use_defaultESE_EEEENSA_INSB_IlSD_SE_SE_EEEEZNS1_13binary_searchIS3_S5_NSA_INS8_10device_ptrItEEEESG_SI_NS1_21upper_bound_search_opENS9_16wrapped_functionINS8_6system6detail7generic6detail18binary_search_lessEbEEEE10hipError_tPvRmT1_T2_T3_mmT4_T5_P12ihipStream_tbEUlRKtE_EESV_SZ_S10_mS11_S14_bEUlT_E_NS1_11comp_targetILNS1_3genE5ELNS1_11target_archE942ELNS1_3gpuE9ELNS1_3repE0EEENS1_30default_config_static_selectorELNS0_4arch9wavefront6targetE1EEEvSY_
	.globl	_ZN7rocprim17ROCPRIM_400000_NS6detail17trampoline_kernelINS0_14default_configENS1_27upper_bound_config_selectorItlEEZNS1_14transform_implILb0ES3_S5_N6thrust23THRUST_200600_302600_NS6detail15normal_iteratorINS8_7pointerItNS8_11hip_rocprim5par_tENS8_11use_defaultESE_EEEENSA_INSB_IlSD_SE_SE_EEEEZNS1_13binary_searchIS3_S5_NSA_INS8_10device_ptrItEEEESG_SI_NS1_21upper_bound_search_opENS9_16wrapped_functionINS8_6system6detail7generic6detail18binary_search_lessEbEEEE10hipError_tPvRmT1_T2_T3_mmT4_T5_P12ihipStream_tbEUlRKtE_EESV_SZ_S10_mS11_S14_bEUlT_E_NS1_11comp_targetILNS1_3genE5ELNS1_11target_archE942ELNS1_3gpuE9ELNS1_3repE0EEENS1_30default_config_static_selectorELNS0_4arch9wavefront6targetE1EEEvSY_
	.p2align	8
	.type	_ZN7rocprim17ROCPRIM_400000_NS6detail17trampoline_kernelINS0_14default_configENS1_27upper_bound_config_selectorItlEEZNS1_14transform_implILb0ES3_S5_N6thrust23THRUST_200600_302600_NS6detail15normal_iteratorINS8_7pointerItNS8_11hip_rocprim5par_tENS8_11use_defaultESE_EEEENSA_INSB_IlSD_SE_SE_EEEEZNS1_13binary_searchIS3_S5_NSA_INS8_10device_ptrItEEEESG_SI_NS1_21upper_bound_search_opENS9_16wrapped_functionINS8_6system6detail7generic6detail18binary_search_lessEbEEEE10hipError_tPvRmT1_T2_T3_mmT4_T5_P12ihipStream_tbEUlRKtE_EESV_SZ_S10_mS11_S14_bEUlT_E_NS1_11comp_targetILNS1_3genE5ELNS1_11target_archE942ELNS1_3gpuE9ELNS1_3repE0EEENS1_30default_config_static_selectorELNS0_4arch9wavefront6targetE1EEEvSY_,@function
_ZN7rocprim17ROCPRIM_400000_NS6detail17trampoline_kernelINS0_14default_configENS1_27upper_bound_config_selectorItlEEZNS1_14transform_implILb0ES3_S5_N6thrust23THRUST_200600_302600_NS6detail15normal_iteratorINS8_7pointerItNS8_11hip_rocprim5par_tENS8_11use_defaultESE_EEEENSA_INSB_IlSD_SE_SE_EEEEZNS1_13binary_searchIS3_S5_NSA_INS8_10device_ptrItEEEESG_SI_NS1_21upper_bound_search_opENS9_16wrapped_functionINS8_6system6detail7generic6detail18binary_search_lessEbEEEE10hipError_tPvRmT1_T2_T3_mmT4_T5_P12ihipStream_tbEUlRKtE_EESV_SZ_S10_mS11_S14_bEUlT_E_NS1_11comp_targetILNS1_3genE5ELNS1_11target_archE942ELNS1_3gpuE9ELNS1_3repE0EEENS1_30default_config_static_selectorELNS0_4arch9wavefront6targetE1EEEvSY_: ; @_ZN7rocprim17ROCPRIM_400000_NS6detail17trampoline_kernelINS0_14default_configENS1_27upper_bound_config_selectorItlEEZNS1_14transform_implILb0ES3_S5_N6thrust23THRUST_200600_302600_NS6detail15normal_iteratorINS8_7pointerItNS8_11hip_rocprim5par_tENS8_11use_defaultESE_EEEENSA_INSB_IlSD_SE_SE_EEEEZNS1_13binary_searchIS3_S5_NSA_INS8_10device_ptrItEEEESG_SI_NS1_21upper_bound_search_opENS9_16wrapped_functionINS8_6system6detail7generic6detail18binary_search_lessEbEEEE10hipError_tPvRmT1_T2_T3_mmT4_T5_P12ihipStream_tbEUlRKtE_EESV_SZ_S10_mS11_S14_bEUlT_E_NS1_11comp_targetILNS1_3genE5ELNS1_11target_archE942ELNS1_3gpuE9ELNS1_3repE0EEENS1_30default_config_static_selectorELNS0_4arch9wavefront6targetE1EEEvSY_
; %bb.0:
	.section	.rodata,"a",@progbits
	.p2align	6, 0x0
	.amdhsa_kernel _ZN7rocprim17ROCPRIM_400000_NS6detail17trampoline_kernelINS0_14default_configENS1_27upper_bound_config_selectorItlEEZNS1_14transform_implILb0ES3_S5_N6thrust23THRUST_200600_302600_NS6detail15normal_iteratorINS8_7pointerItNS8_11hip_rocprim5par_tENS8_11use_defaultESE_EEEENSA_INSB_IlSD_SE_SE_EEEEZNS1_13binary_searchIS3_S5_NSA_INS8_10device_ptrItEEEESG_SI_NS1_21upper_bound_search_opENS9_16wrapped_functionINS8_6system6detail7generic6detail18binary_search_lessEbEEEE10hipError_tPvRmT1_T2_T3_mmT4_T5_P12ihipStream_tbEUlRKtE_EESV_SZ_S10_mS11_S14_bEUlT_E_NS1_11comp_targetILNS1_3genE5ELNS1_11target_archE942ELNS1_3gpuE9ELNS1_3repE0EEENS1_30default_config_static_selectorELNS0_4arch9wavefront6targetE1EEEvSY_
		.amdhsa_group_segment_fixed_size 0
		.amdhsa_private_segment_fixed_size 0
		.amdhsa_kernarg_size 56
		.amdhsa_user_sgpr_count 6
		.amdhsa_user_sgpr_private_segment_buffer 1
		.amdhsa_user_sgpr_dispatch_ptr 0
		.amdhsa_user_sgpr_queue_ptr 0
		.amdhsa_user_sgpr_kernarg_segment_ptr 1
		.amdhsa_user_sgpr_dispatch_id 0
		.amdhsa_user_sgpr_flat_scratch_init 0
		.amdhsa_user_sgpr_private_segment_size 0
		.amdhsa_uses_dynamic_stack 0
		.amdhsa_system_sgpr_private_segment_wavefront_offset 0
		.amdhsa_system_sgpr_workgroup_id_x 1
		.amdhsa_system_sgpr_workgroup_id_y 0
		.amdhsa_system_sgpr_workgroup_id_z 0
		.amdhsa_system_sgpr_workgroup_info 0
		.amdhsa_system_vgpr_workitem_id 0
		.amdhsa_next_free_vgpr 1
		.amdhsa_next_free_sgpr 0
		.amdhsa_reserve_vcc 0
		.amdhsa_reserve_flat_scratch 0
		.amdhsa_float_round_mode_32 0
		.amdhsa_float_round_mode_16_64 0
		.amdhsa_float_denorm_mode_32 3
		.amdhsa_float_denorm_mode_16_64 3
		.amdhsa_dx10_clamp 1
		.amdhsa_ieee_mode 1
		.amdhsa_fp16_overflow 0
		.amdhsa_exception_fp_ieee_invalid_op 0
		.amdhsa_exception_fp_denorm_src 0
		.amdhsa_exception_fp_ieee_div_zero 0
		.amdhsa_exception_fp_ieee_overflow 0
		.amdhsa_exception_fp_ieee_underflow 0
		.amdhsa_exception_fp_ieee_inexact 0
		.amdhsa_exception_int_div_zero 0
	.end_amdhsa_kernel
	.section	.text._ZN7rocprim17ROCPRIM_400000_NS6detail17trampoline_kernelINS0_14default_configENS1_27upper_bound_config_selectorItlEEZNS1_14transform_implILb0ES3_S5_N6thrust23THRUST_200600_302600_NS6detail15normal_iteratorINS8_7pointerItNS8_11hip_rocprim5par_tENS8_11use_defaultESE_EEEENSA_INSB_IlSD_SE_SE_EEEEZNS1_13binary_searchIS3_S5_NSA_INS8_10device_ptrItEEEESG_SI_NS1_21upper_bound_search_opENS9_16wrapped_functionINS8_6system6detail7generic6detail18binary_search_lessEbEEEE10hipError_tPvRmT1_T2_T3_mmT4_T5_P12ihipStream_tbEUlRKtE_EESV_SZ_S10_mS11_S14_bEUlT_E_NS1_11comp_targetILNS1_3genE5ELNS1_11target_archE942ELNS1_3gpuE9ELNS1_3repE0EEENS1_30default_config_static_selectorELNS0_4arch9wavefront6targetE1EEEvSY_,"axG",@progbits,_ZN7rocprim17ROCPRIM_400000_NS6detail17trampoline_kernelINS0_14default_configENS1_27upper_bound_config_selectorItlEEZNS1_14transform_implILb0ES3_S5_N6thrust23THRUST_200600_302600_NS6detail15normal_iteratorINS8_7pointerItNS8_11hip_rocprim5par_tENS8_11use_defaultESE_EEEENSA_INSB_IlSD_SE_SE_EEEEZNS1_13binary_searchIS3_S5_NSA_INS8_10device_ptrItEEEESG_SI_NS1_21upper_bound_search_opENS9_16wrapped_functionINS8_6system6detail7generic6detail18binary_search_lessEbEEEE10hipError_tPvRmT1_T2_T3_mmT4_T5_P12ihipStream_tbEUlRKtE_EESV_SZ_S10_mS11_S14_bEUlT_E_NS1_11comp_targetILNS1_3genE5ELNS1_11target_archE942ELNS1_3gpuE9ELNS1_3repE0EEENS1_30default_config_static_selectorELNS0_4arch9wavefront6targetE1EEEvSY_,comdat
.Lfunc_end555:
	.size	_ZN7rocprim17ROCPRIM_400000_NS6detail17trampoline_kernelINS0_14default_configENS1_27upper_bound_config_selectorItlEEZNS1_14transform_implILb0ES3_S5_N6thrust23THRUST_200600_302600_NS6detail15normal_iteratorINS8_7pointerItNS8_11hip_rocprim5par_tENS8_11use_defaultESE_EEEENSA_INSB_IlSD_SE_SE_EEEEZNS1_13binary_searchIS3_S5_NSA_INS8_10device_ptrItEEEESG_SI_NS1_21upper_bound_search_opENS9_16wrapped_functionINS8_6system6detail7generic6detail18binary_search_lessEbEEEE10hipError_tPvRmT1_T2_T3_mmT4_T5_P12ihipStream_tbEUlRKtE_EESV_SZ_S10_mS11_S14_bEUlT_E_NS1_11comp_targetILNS1_3genE5ELNS1_11target_archE942ELNS1_3gpuE9ELNS1_3repE0EEENS1_30default_config_static_selectorELNS0_4arch9wavefront6targetE1EEEvSY_, .Lfunc_end555-_ZN7rocprim17ROCPRIM_400000_NS6detail17trampoline_kernelINS0_14default_configENS1_27upper_bound_config_selectorItlEEZNS1_14transform_implILb0ES3_S5_N6thrust23THRUST_200600_302600_NS6detail15normal_iteratorINS8_7pointerItNS8_11hip_rocprim5par_tENS8_11use_defaultESE_EEEENSA_INSB_IlSD_SE_SE_EEEEZNS1_13binary_searchIS3_S5_NSA_INS8_10device_ptrItEEEESG_SI_NS1_21upper_bound_search_opENS9_16wrapped_functionINS8_6system6detail7generic6detail18binary_search_lessEbEEEE10hipError_tPvRmT1_T2_T3_mmT4_T5_P12ihipStream_tbEUlRKtE_EESV_SZ_S10_mS11_S14_bEUlT_E_NS1_11comp_targetILNS1_3genE5ELNS1_11target_archE942ELNS1_3gpuE9ELNS1_3repE0EEENS1_30default_config_static_selectorELNS0_4arch9wavefront6targetE1EEEvSY_
                                        ; -- End function
	.set _ZN7rocprim17ROCPRIM_400000_NS6detail17trampoline_kernelINS0_14default_configENS1_27upper_bound_config_selectorItlEEZNS1_14transform_implILb0ES3_S5_N6thrust23THRUST_200600_302600_NS6detail15normal_iteratorINS8_7pointerItNS8_11hip_rocprim5par_tENS8_11use_defaultESE_EEEENSA_INSB_IlSD_SE_SE_EEEEZNS1_13binary_searchIS3_S5_NSA_INS8_10device_ptrItEEEESG_SI_NS1_21upper_bound_search_opENS9_16wrapped_functionINS8_6system6detail7generic6detail18binary_search_lessEbEEEE10hipError_tPvRmT1_T2_T3_mmT4_T5_P12ihipStream_tbEUlRKtE_EESV_SZ_S10_mS11_S14_bEUlT_E_NS1_11comp_targetILNS1_3genE5ELNS1_11target_archE942ELNS1_3gpuE9ELNS1_3repE0EEENS1_30default_config_static_selectorELNS0_4arch9wavefront6targetE1EEEvSY_.num_vgpr, 0
	.set _ZN7rocprim17ROCPRIM_400000_NS6detail17trampoline_kernelINS0_14default_configENS1_27upper_bound_config_selectorItlEEZNS1_14transform_implILb0ES3_S5_N6thrust23THRUST_200600_302600_NS6detail15normal_iteratorINS8_7pointerItNS8_11hip_rocprim5par_tENS8_11use_defaultESE_EEEENSA_INSB_IlSD_SE_SE_EEEEZNS1_13binary_searchIS3_S5_NSA_INS8_10device_ptrItEEEESG_SI_NS1_21upper_bound_search_opENS9_16wrapped_functionINS8_6system6detail7generic6detail18binary_search_lessEbEEEE10hipError_tPvRmT1_T2_T3_mmT4_T5_P12ihipStream_tbEUlRKtE_EESV_SZ_S10_mS11_S14_bEUlT_E_NS1_11comp_targetILNS1_3genE5ELNS1_11target_archE942ELNS1_3gpuE9ELNS1_3repE0EEENS1_30default_config_static_selectorELNS0_4arch9wavefront6targetE1EEEvSY_.num_agpr, 0
	.set _ZN7rocprim17ROCPRIM_400000_NS6detail17trampoline_kernelINS0_14default_configENS1_27upper_bound_config_selectorItlEEZNS1_14transform_implILb0ES3_S5_N6thrust23THRUST_200600_302600_NS6detail15normal_iteratorINS8_7pointerItNS8_11hip_rocprim5par_tENS8_11use_defaultESE_EEEENSA_INSB_IlSD_SE_SE_EEEEZNS1_13binary_searchIS3_S5_NSA_INS8_10device_ptrItEEEESG_SI_NS1_21upper_bound_search_opENS9_16wrapped_functionINS8_6system6detail7generic6detail18binary_search_lessEbEEEE10hipError_tPvRmT1_T2_T3_mmT4_T5_P12ihipStream_tbEUlRKtE_EESV_SZ_S10_mS11_S14_bEUlT_E_NS1_11comp_targetILNS1_3genE5ELNS1_11target_archE942ELNS1_3gpuE9ELNS1_3repE0EEENS1_30default_config_static_selectorELNS0_4arch9wavefront6targetE1EEEvSY_.numbered_sgpr, 0
	.set _ZN7rocprim17ROCPRIM_400000_NS6detail17trampoline_kernelINS0_14default_configENS1_27upper_bound_config_selectorItlEEZNS1_14transform_implILb0ES3_S5_N6thrust23THRUST_200600_302600_NS6detail15normal_iteratorINS8_7pointerItNS8_11hip_rocprim5par_tENS8_11use_defaultESE_EEEENSA_INSB_IlSD_SE_SE_EEEEZNS1_13binary_searchIS3_S5_NSA_INS8_10device_ptrItEEEESG_SI_NS1_21upper_bound_search_opENS9_16wrapped_functionINS8_6system6detail7generic6detail18binary_search_lessEbEEEE10hipError_tPvRmT1_T2_T3_mmT4_T5_P12ihipStream_tbEUlRKtE_EESV_SZ_S10_mS11_S14_bEUlT_E_NS1_11comp_targetILNS1_3genE5ELNS1_11target_archE942ELNS1_3gpuE9ELNS1_3repE0EEENS1_30default_config_static_selectorELNS0_4arch9wavefront6targetE1EEEvSY_.num_named_barrier, 0
	.set _ZN7rocprim17ROCPRIM_400000_NS6detail17trampoline_kernelINS0_14default_configENS1_27upper_bound_config_selectorItlEEZNS1_14transform_implILb0ES3_S5_N6thrust23THRUST_200600_302600_NS6detail15normal_iteratorINS8_7pointerItNS8_11hip_rocprim5par_tENS8_11use_defaultESE_EEEENSA_INSB_IlSD_SE_SE_EEEEZNS1_13binary_searchIS3_S5_NSA_INS8_10device_ptrItEEEESG_SI_NS1_21upper_bound_search_opENS9_16wrapped_functionINS8_6system6detail7generic6detail18binary_search_lessEbEEEE10hipError_tPvRmT1_T2_T3_mmT4_T5_P12ihipStream_tbEUlRKtE_EESV_SZ_S10_mS11_S14_bEUlT_E_NS1_11comp_targetILNS1_3genE5ELNS1_11target_archE942ELNS1_3gpuE9ELNS1_3repE0EEENS1_30default_config_static_selectorELNS0_4arch9wavefront6targetE1EEEvSY_.private_seg_size, 0
	.set _ZN7rocprim17ROCPRIM_400000_NS6detail17trampoline_kernelINS0_14default_configENS1_27upper_bound_config_selectorItlEEZNS1_14transform_implILb0ES3_S5_N6thrust23THRUST_200600_302600_NS6detail15normal_iteratorINS8_7pointerItNS8_11hip_rocprim5par_tENS8_11use_defaultESE_EEEENSA_INSB_IlSD_SE_SE_EEEEZNS1_13binary_searchIS3_S5_NSA_INS8_10device_ptrItEEEESG_SI_NS1_21upper_bound_search_opENS9_16wrapped_functionINS8_6system6detail7generic6detail18binary_search_lessEbEEEE10hipError_tPvRmT1_T2_T3_mmT4_T5_P12ihipStream_tbEUlRKtE_EESV_SZ_S10_mS11_S14_bEUlT_E_NS1_11comp_targetILNS1_3genE5ELNS1_11target_archE942ELNS1_3gpuE9ELNS1_3repE0EEENS1_30default_config_static_selectorELNS0_4arch9wavefront6targetE1EEEvSY_.uses_vcc, 0
	.set _ZN7rocprim17ROCPRIM_400000_NS6detail17trampoline_kernelINS0_14default_configENS1_27upper_bound_config_selectorItlEEZNS1_14transform_implILb0ES3_S5_N6thrust23THRUST_200600_302600_NS6detail15normal_iteratorINS8_7pointerItNS8_11hip_rocprim5par_tENS8_11use_defaultESE_EEEENSA_INSB_IlSD_SE_SE_EEEEZNS1_13binary_searchIS3_S5_NSA_INS8_10device_ptrItEEEESG_SI_NS1_21upper_bound_search_opENS9_16wrapped_functionINS8_6system6detail7generic6detail18binary_search_lessEbEEEE10hipError_tPvRmT1_T2_T3_mmT4_T5_P12ihipStream_tbEUlRKtE_EESV_SZ_S10_mS11_S14_bEUlT_E_NS1_11comp_targetILNS1_3genE5ELNS1_11target_archE942ELNS1_3gpuE9ELNS1_3repE0EEENS1_30default_config_static_selectorELNS0_4arch9wavefront6targetE1EEEvSY_.uses_flat_scratch, 0
	.set _ZN7rocprim17ROCPRIM_400000_NS6detail17trampoline_kernelINS0_14default_configENS1_27upper_bound_config_selectorItlEEZNS1_14transform_implILb0ES3_S5_N6thrust23THRUST_200600_302600_NS6detail15normal_iteratorINS8_7pointerItNS8_11hip_rocprim5par_tENS8_11use_defaultESE_EEEENSA_INSB_IlSD_SE_SE_EEEEZNS1_13binary_searchIS3_S5_NSA_INS8_10device_ptrItEEEESG_SI_NS1_21upper_bound_search_opENS9_16wrapped_functionINS8_6system6detail7generic6detail18binary_search_lessEbEEEE10hipError_tPvRmT1_T2_T3_mmT4_T5_P12ihipStream_tbEUlRKtE_EESV_SZ_S10_mS11_S14_bEUlT_E_NS1_11comp_targetILNS1_3genE5ELNS1_11target_archE942ELNS1_3gpuE9ELNS1_3repE0EEENS1_30default_config_static_selectorELNS0_4arch9wavefront6targetE1EEEvSY_.has_dyn_sized_stack, 0
	.set _ZN7rocprim17ROCPRIM_400000_NS6detail17trampoline_kernelINS0_14default_configENS1_27upper_bound_config_selectorItlEEZNS1_14transform_implILb0ES3_S5_N6thrust23THRUST_200600_302600_NS6detail15normal_iteratorINS8_7pointerItNS8_11hip_rocprim5par_tENS8_11use_defaultESE_EEEENSA_INSB_IlSD_SE_SE_EEEEZNS1_13binary_searchIS3_S5_NSA_INS8_10device_ptrItEEEESG_SI_NS1_21upper_bound_search_opENS9_16wrapped_functionINS8_6system6detail7generic6detail18binary_search_lessEbEEEE10hipError_tPvRmT1_T2_T3_mmT4_T5_P12ihipStream_tbEUlRKtE_EESV_SZ_S10_mS11_S14_bEUlT_E_NS1_11comp_targetILNS1_3genE5ELNS1_11target_archE942ELNS1_3gpuE9ELNS1_3repE0EEENS1_30default_config_static_selectorELNS0_4arch9wavefront6targetE1EEEvSY_.has_recursion, 0
	.set _ZN7rocprim17ROCPRIM_400000_NS6detail17trampoline_kernelINS0_14default_configENS1_27upper_bound_config_selectorItlEEZNS1_14transform_implILb0ES3_S5_N6thrust23THRUST_200600_302600_NS6detail15normal_iteratorINS8_7pointerItNS8_11hip_rocprim5par_tENS8_11use_defaultESE_EEEENSA_INSB_IlSD_SE_SE_EEEEZNS1_13binary_searchIS3_S5_NSA_INS8_10device_ptrItEEEESG_SI_NS1_21upper_bound_search_opENS9_16wrapped_functionINS8_6system6detail7generic6detail18binary_search_lessEbEEEE10hipError_tPvRmT1_T2_T3_mmT4_T5_P12ihipStream_tbEUlRKtE_EESV_SZ_S10_mS11_S14_bEUlT_E_NS1_11comp_targetILNS1_3genE5ELNS1_11target_archE942ELNS1_3gpuE9ELNS1_3repE0EEENS1_30default_config_static_selectorELNS0_4arch9wavefront6targetE1EEEvSY_.has_indirect_call, 0
	.section	.AMDGPU.csdata,"",@progbits
; Kernel info:
; codeLenInByte = 0
; TotalNumSgprs: 4
; NumVgprs: 0
; ScratchSize: 0
; MemoryBound: 0
; FloatMode: 240
; IeeeMode: 1
; LDSByteSize: 0 bytes/workgroup (compile time only)
; SGPRBlocks: 0
; VGPRBlocks: 0
; NumSGPRsForWavesPerEU: 4
; NumVGPRsForWavesPerEU: 1
; Occupancy: 10
; WaveLimiterHint : 0
; COMPUTE_PGM_RSRC2:SCRATCH_EN: 0
; COMPUTE_PGM_RSRC2:USER_SGPR: 6
; COMPUTE_PGM_RSRC2:TRAP_HANDLER: 0
; COMPUTE_PGM_RSRC2:TGID_X_EN: 1
; COMPUTE_PGM_RSRC2:TGID_Y_EN: 0
; COMPUTE_PGM_RSRC2:TGID_Z_EN: 0
; COMPUTE_PGM_RSRC2:TIDIG_COMP_CNT: 0
	.section	.text._ZN7rocprim17ROCPRIM_400000_NS6detail17trampoline_kernelINS0_14default_configENS1_27upper_bound_config_selectorItlEEZNS1_14transform_implILb0ES3_S5_N6thrust23THRUST_200600_302600_NS6detail15normal_iteratorINS8_7pointerItNS8_11hip_rocprim5par_tENS8_11use_defaultESE_EEEENSA_INSB_IlSD_SE_SE_EEEEZNS1_13binary_searchIS3_S5_NSA_INS8_10device_ptrItEEEESG_SI_NS1_21upper_bound_search_opENS9_16wrapped_functionINS8_6system6detail7generic6detail18binary_search_lessEbEEEE10hipError_tPvRmT1_T2_T3_mmT4_T5_P12ihipStream_tbEUlRKtE_EESV_SZ_S10_mS11_S14_bEUlT_E_NS1_11comp_targetILNS1_3genE4ELNS1_11target_archE910ELNS1_3gpuE8ELNS1_3repE0EEENS1_30default_config_static_selectorELNS0_4arch9wavefront6targetE1EEEvSY_,"axG",@progbits,_ZN7rocprim17ROCPRIM_400000_NS6detail17trampoline_kernelINS0_14default_configENS1_27upper_bound_config_selectorItlEEZNS1_14transform_implILb0ES3_S5_N6thrust23THRUST_200600_302600_NS6detail15normal_iteratorINS8_7pointerItNS8_11hip_rocprim5par_tENS8_11use_defaultESE_EEEENSA_INSB_IlSD_SE_SE_EEEEZNS1_13binary_searchIS3_S5_NSA_INS8_10device_ptrItEEEESG_SI_NS1_21upper_bound_search_opENS9_16wrapped_functionINS8_6system6detail7generic6detail18binary_search_lessEbEEEE10hipError_tPvRmT1_T2_T3_mmT4_T5_P12ihipStream_tbEUlRKtE_EESV_SZ_S10_mS11_S14_bEUlT_E_NS1_11comp_targetILNS1_3genE4ELNS1_11target_archE910ELNS1_3gpuE8ELNS1_3repE0EEENS1_30default_config_static_selectorELNS0_4arch9wavefront6targetE1EEEvSY_,comdat
	.protected	_ZN7rocprim17ROCPRIM_400000_NS6detail17trampoline_kernelINS0_14default_configENS1_27upper_bound_config_selectorItlEEZNS1_14transform_implILb0ES3_S5_N6thrust23THRUST_200600_302600_NS6detail15normal_iteratorINS8_7pointerItNS8_11hip_rocprim5par_tENS8_11use_defaultESE_EEEENSA_INSB_IlSD_SE_SE_EEEEZNS1_13binary_searchIS3_S5_NSA_INS8_10device_ptrItEEEESG_SI_NS1_21upper_bound_search_opENS9_16wrapped_functionINS8_6system6detail7generic6detail18binary_search_lessEbEEEE10hipError_tPvRmT1_T2_T3_mmT4_T5_P12ihipStream_tbEUlRKtE_EESV_SZ_S10_mS11_S14_bEUlT_E_NS1_11comp_targetILNS1_3genE4ELNS1_11target_archE910ELNS1_3gpuE8ELNS1_3repE0EEENS1_30default_config_static_selectorELNS0_4arch9wavefront6targetE1EEEvSY_ ; -- Begin function _ZN7rocprim17ROCPRIM_400000_NS6detail17trampoline_kernelINS0_14default_configENS1_27upper_bound_config_selectorItlEEZNS1_14transform_implILb0ES3_S5_N6thrust23THRUST_200600_302600_NS6detail15normal_iteratorINS8_7pointerItNS8_11hip_rocprim5par_tENS8_11use_defaultESE_EEEENSA_INSB_IlSD_SE_SE_EEEEZNS1_13binary_searchIS3_S5_NSA_INS8_10device_ptrItEEEESG_SI_NS1_21upper_bound_search_opENS9_16wrapped_functionINS8_6system6detail7generic6detail18binary_search_lessEbEEEE10hipError_tPvRmT1_T2_T3_mmT4_T5_P12ihipStream_tbEUlRKtE_EESV_SZ_S10_mS11_S14_bEUlT_E_NS1_11comp_targetILNS1_3genE4ELNS1_11target_archE910ELNS1_3gpuE8ELNS1_3repE0EEENS1_30default_config_static_selectorELNS0_4arch9wavefront6targetE1EEEvSY_
	.globl	_ZN7rocprim17ROCPRIM_400000_NS6detail17trampoline_kernelINS0_14default_configENS1_27upper_bound_config_selectorItlEEZNS1_14transform_implILb0ES3_S5_N6thrust23THRUST_200600_302600_NS6detail15normal_iteratorINS8_7pointerItNS8_11hip_rocprim5par_tENS8_11use_defaultESE_EEEENSA_INSB_IlSD_SE_SE_EEEEZNS1_13binary_searchIS3_S5_NSA_INS8_10device_ptrItEEEESG_SI_NS1_21upper_bound_search_opENS9_16wrapped_functionINS8_6system6detail7generic6detail18binary_search_lessEbEEEE10hipError_tPvRmT1_T2_T3_mmT4_T5_P12ihipStream_tbEUlRKtE_EESV_SZ_S10_mS11_S14_bEUlT_E_NS1_11comp_targetILNS1_3genE4ELNS1_11target_archE910ELNS1_3gpuE8ELNS1_3repE0EEENS1_30default_config_static_selectorELNS0_4arch9wavefront6targetE1EEEvSY_
	.p2align	8
	.type	_ZN7rocprim17ROCPRIM_400000_NS6detail17trampoline_kernelINS0_14default_configENS1_27upper_bound_config_selectorItlEEZNS1_14transform_implILb0ES3_S5_N6thrust23THRUST_200600_302600_NS6detail15normal_iteratorINS8_7pointerItNS8_11hip_rocprim5par_tENS8_11use_defaultESE_EEEENSA_INSB_IlSD_SE_SE_EEEEZNS1_13binary_searchIS3_S5_NSA_INS8_10device_ptrItEEEESG_SI_NS1_21upper_bound_search_opENS9_16wrapped_functionINS8_6system6detail7generic6detail18binary_search_lessEbEEEE10hipError_tPvRmT1_T2_T3_mmT4_T5_P12ihipStream_tbEUlRKtE_EESV_SZ_S10_mS11_S14_bEUlT_E_NS1_11comp_targetILNS1_3genE4ELNS1_11target_archE910ELNS1_3gpuE8ELNS1_3repE0EEENS1_30default_config_static_selectorELNS0_4arch9wavefront6targetE1EEEvSY_,@function
_ZN7rocprim17ROCPRIM_400000_NS6detail17trampoline_kernelINS0_14default_configENS1_27upper_bound_config_selectorItlEEZNS1_14transform_implILb0ES3_S5_N6thrust23THRUST_200600_302600_NS6detail15normal_iteratorINS8_7pointerItNS8_11hip_rocprim5par_tENS8_11use_defaultESE_EEEENSA_INSB_IlSD_SE_SE_EEEEZNS1_13binary_searchIS3_S5_NSA_INS8_10device_ptrItEEEESG_SI_NS1_21upper_bound_search_opENS9_16wrapped_functionINS8_6system6detail7generic6detail18binary_search_lessEbEEEE10hipError_tPvRmT1_T2_T3_mmT4_T5_P12ihipStream_tbEUlRKtE_EESV_SZ_S10_mS11_S14_bEUlT_E_NS1_11comp_targetILNS1_3genE4ELNS1_11target_archE910ELNS1_3gpuE8ELNS1_3repE0EEENS1_30default_config_static_selectorELNS0_4arch9wavefront6targetE1EEEvSY_: ; @_ZN7rocprim17ROCPRIM_400000_NS6detail17trampoline_kernelINS0_14default_configENS1_27upper_bound_config_selectorItlEEZNS1_14transform_implILb0ES3_S5_N6thrust23THRUST_200600_302600_NS6detail15normal_iteratorINS8_7pointerItNS8_11hip_rocprim5par_tENS8_11use_defaultESE_EEEENSA_INSB_IlSD_SE_SE_EEEEZNS1_13binary_searchIS3_S5_NSA_INS8_10device_ptrItEEEESG_SI_NS1_21upper_bound_search_opENS9_16wrapped_functionINS8_6system6detail7generic6detail18binary_search_lessEbEEEE10hipError_tPvRmT1_T2_T3_mmT4_T5_P12ihipStream_tbEUlRKtE_EESV_SZ_S10_mS11_S14_bEUlT_E_NS1_11comp_targetILNS1_3genE4ELNS1_11target_archE910ELNS1_3gpuE8ELNS1_3repE0EEENS1_30default_config_static_selectorELNS0_4arch9wavefront6targetE1EEEvSY_
; %bb.0:
	.section	.rodata,"a",@progbits
	.p2align	6, 0x0
	.amdhsa_kernel _ZN7rocprim17ROCPRIM_400000_NS6detail17trampoline_kernelINS0_14default_configENS1_27upper_bound_config_selectorItlEEZNS1_14transform_implILb0ES3_S5_N6thrust23THRUST_200600_302600_NS6detail15normal_iteratorINS8_7pointerItNS8_11hip_rocprim5par_tENS8_11use_defaultESE_EEEENSA_INSB_IlSD_SE_SE_EEEEZNS1_13binary_searchIS3_S5_NSA_INS8_10device_ptrItEEEESG_SI_NS1_21upper_bound_search_opENS9_16wrapped_functionINS8_6system6detail7generic6detail18binary_search_lessEbEEEE10hipError_tPvRmT1_T2_T3_mmT4_T5_P12ihipStream_tbEUlRKtE_EESV_SZ_S10_mS11_S14_bEUlT_E_NS1_11comp_targetILNS1_3genE4ELNS1_11target_archE910ELNS1_3gpuE8ELNS1_3repE0EEENS1_30default_config_static_selectorELNS0_4arch9wavefront6targetE1EEEvSY_
		.amdhsa_group_segment_fixed_size 0
		.amdhsa_private_segment_fixed_size 0
		.amdhsa_kernarg_size 56
		.amdhsa_user_sgpr_count 6
		.amdhsa_user_sgpr_private_segment_buffer 1
		.amdhsa_user_sgpr_dispatch_ptr 0
		.amdhsa_user_sgpr_queue_ptr 0
		.amdhsa_user_sgpr_kernarg_segment_ptr 1
		.amdhsa_user_sgpr_dispatch_id 0
		.amdhsa_user_sgpr_flat_scratch_init 0
		.amdhsa_user_sgpr_private_segment_size 0
		.amdhsa_uses_dynamic_stack 0
		.amdhsa_system_sgpr_private_segment_wavefront_offset 0
		.amdhsa_system_sgpr_workgroup_id_x 1
		.amdhsa_system_sgpr_workgroup_id_y 0
		.amdhsa_system_sgpr_workgroup_id_z 0
		.amdhsa_system_sgpr_workgroup_info 0
		.amdhsa_system_vgpr_workitem_id 0
		.amdhsa_next_free_vgpr 1
		.amdhsa_next_free_sgpr 0
		.amdhsa_reserve_vcc 0
		.amdhsa_reserve_flat_scratch 0
		.amdhsa_float_round_mode_32 0
		.amdhsa_float_round_mode_16_64 0
		.amdhsa_float_denorm_mode_32 3
		.amdhsa_float_denorm_mode_16_64 3
		.amdhsa_dx10_clamp 1
		.amdhsa_ieee_mode 1
		.amdhsa_fp16_overflow 0
		.amdhsa_exception_fp_ieee_invalid_op 0
		.amdhsa_exception_fp_denorm_src 0
		.amdhsa_exception_fp_ieee_div_zero 0
		.amdhsa_exception_fp_ieee_overflow 0
		.amdhsa_exception_fp_ieee_underflow 0
		.amdhsa_exception_fp_ieee_inexact 0
		.amdhsa_exception_int_div_zero 0
	.end_amdhsa_kernel
	.section	.text._ZN7rocprim17ROCPRIM_400000_NS6detail17trampoline_kernelINS0_14default_configENS1_27upper_bound_config_selectorItlEEZNS1_14transform_implILb0ES3_S5_N6thrust23THRUST_200600_302600_NS6detail15normal_iteratorINS8_7pointerItNS8_11hip_rocprim5par_tENS8_11use_defaultESE_EEEENSA_INSB_IlSD_SE_SE_EEEEZNS1_13binary_searchIS3_S5_NSA_INS8_10device_ptrItEEEESG_SI_NS1_21upper_bound_search_opENS9_16wrapped_functionINS8_6system6detail7generic6detail18binary_search_lessEbEEEE10hipError_tPvRmT1_T2_T3_mmT4_T5_P12ihipStream_tbEUlRKtE_EESV_SZ_S10_mS11_S14_bEUlT_E_NS1_11comp_targetILNS1_3genE4ELNS1_11target_archE910ELNS1_3gpuE8ELNS1_3repE0EEENS1_30default_config_static_selectorELNS0_4arch9wavefront6targetE1EEEvSY_,"axG",@progbits,_ZN7rocprim17ROCPRIM_400000_NS6detail17trampoline_kernelINS0_14default_configENS1_27upper_bound_config_selectorItlEEZNS1_14transform_implILb0ES3_S5_N6thrust23THRUST_200600_302600_NS6detail15normal_iteratorINS8_7pointerItNS8_11hip_rocprim5par_tENS8_11use_defaultESE_EEEENSA_INSB_IlSD_SE_SE_EEEEZNS1_13binary_searchIS3_S5_NSA_INS8_10device_ptrItEEEESG_SI_NS1_21upper_bound_search_opENS9_16wrapped_functionINS8_6system6detail7generic6detail18binary_search_lessEbEEEE10hipError_tPvRmT1_T2_T3_mmT4_T5_P12ihipStream_tbEUlRKtE_EESV_SZ_S10_mS11_S14_bEUlT_E_NS1_11comp_targetILNS1_3genE4ELNS1_11target_archE910ELNS1_3gpuE8ELNS1_3repE0EEENS1_30default_config_static_selectorELNS0_4arch9wavefront6targetE1EEEvSY_,comdat
.Lfunc_end556:
	.size	_ZN7rocprim17ROCPRIM_400000_NS6detail17trampoline_kernelINS0_14default_configENS1_27upper_bound_config_selectorItlEEZNS1_14transform_implILb0ES3_S5_N6thrust23THRUST_200600_302600_NS6detail15normal_iteratorINS8_7pointerItNS8_11hip_rocprim5par_tENS8_11use_defaultESE_EEEENSA_INSB_IlSD_SE_SE_EEEEZNS1_13binary_searchIS3_S5_NSA_INS8_10device_ptrItEEEESG_SI_NS1_21upper_bound_search_opENS9_16wrapped_functionINS8_6system6detail7generic6detail18binary_search_lessEbEEEE10hipError_tPvRmT1_T2_T3_mmT4_T5_P12ihipStream_tbEUlRKtE_EESV_SZ_S10_mS11_S14_bEUlT_E_NS1_11comp_targetILNS1_3genE4ELNS1_11target_archE910ELNS1_3gpuE8ELNS1_3repE0EEENS1_30default_config_static_selectorELNS0_4arch9wavefront6targetE1EEEvSY_, .Lfunc_end556-_ZN7rocprim17ROCPRIM_400000_NS6detail17trampoline_kernelINS0_14default_configENS1_27upper_bound_config_selectorItlEEZNS1_14transform_implILb0ES3_S5_N6thrust23THRUST_200600_302600_NS6detail15normal_iteratorINS8_7pointerItNS8_11hip_rocprim5par_tENS8_11use_defaultESE_EEEENSA_INSB_IlSD_SE_SE_EEEEZNS1_13binary_searchIS3_S5_NSA_INS8_10device_ptrItEEEESG_SI_NS1_21upper_bound_search_opENS9_16wrapped_functionINS8_6system6detail7generic6detail18binary_search_lessEbEEEE10hipError_tPvRmT1_T2_T3_mmT4_T5_P12ihipStream_tbEUlRKtE_EESV_SZ_S10_mS11_S14_bEUlT_E_NS1_11comp_targetILNS1_3genE4ELNS1_11target_archE910ELNS1_3gpuE8ELNS1_3repE0EEENS1_30default_config_static_selectorELNS0_4arch9wavefront6targetE1EEEvSY_
                                        ; -- End function
	.set _ZN7rocprim17ROCPRIM_400000_NS6detail17trampoline_kernelINS0_14default_configENS1_27upper_bound_config_selectorItlEEZNS1_14transform_implILb0ES3_S5_N6thrust23THRUST_200600_302600_NS6detail15normal_iteratorINS8_7pointerItNS8_11hip_rocprim5par_tENS8_11use_defaultESE_EEEENSA_INSB_IlSD_SE_SE_EEEEZNS1_13binary_searchIS3_S5_NSA_INS8_10device_ptrItEEEESG_SI_NS1_21upper_bound_search_opENS9_16wrapped_functionINS8_6system6detail7generic6detail18binary_search_lessEbEEEE10hipError_tPvRmT1_T2_T3_mmT4_T5_P12ihipStream_tbEUlRKtE_EESV_SZ_S10_mS11_S14_bEUlT_E_NS1_11comp_targetILNS1_3genE4ELNS1_11target_archE910ELNS1_3gpuE8ELNS1_3repE0EEENS1_30default_config_static_selectorELNS0_4arch9wavefront6targetE1EEEvSY_.num_vgpr, 0
	.set _ZN7rocprim17ROCPRIM_400000_NS6detail17trampoline_kernelINS0_14default_configENS1_27upper_bound_config_selectorItlEEZNS1_14transform_implILb0ES3_S5_N6thrust23THRUST_200600_302600_NS6detail15normal_iteratorINS8_7pointerItNS8_11hip_rocprim5par_tENS8_11use_defaultESE_EEEENSA_INSB_IlSD_SE_SE_EEEEZNS1_13binary_searchIS3_S5_NSA_INS8_10device_ptrItEEEESG_SI_NS1_21upper_bound_search_opENS9_16wrapped_functionINS8_6system6detail7generic6detail18binary_search_lessEbEEEE10hipError_tPvRmT1_T2_T3_mmT4_T5_P12ihipStream_tbEUlRKtE_EESV_SZ_S10_mS11_S14_bEUlT_E_NS1_11comp_targetILNS1_3genE4ELNS1_11target_archE910ELNS1_3gpuE8ELNS1_3repE0EEENS1_30default_config_static_selectorELNS0_4arch9wavefront6targetE1EEEvSY_.num_agpr, 0
	.set _ZN7rocprim17ROCPRIM_400000_NS6detail17trampoline_kernelINS0_14default_configENS1_27upper_bound_config_selectorItlEEZNS1_14transform_implILb0ES3_S5_N6thrust23THRUST_200600_302600_NS6detail15normal_iteratorINS8_7pointerItNS8_11hip_rocprim5par_tENS8_11use_defaultESE_EEEENSA_INSB_IlSD_SE_SE_EEEEZNS1_13binary_searchIS3_S5_NSA_INS8_10device_ptrItEEEESG_SI_NS1_21upper_bound_search_opENS9_16wrapped_functionINS8_6system6detail7generic6detail18binary_search_lessEbEEEE10hipError_tPvRmT1_T2_T3_mmT4_T5_P12ihipStream_tbEUlRKtE_EESV_SZ_S10_mS11_S14_bEUlT_E_NS1_11comp_targetILNS1_3genE4ELNS1_11target_archE910ELNS1_3gpuE8ELNS1_3repE0EEENS1_30default_config_static_selectorELNS0_4arch9wavefront6targetE1EEEvSY_.numbered_sgpr, 0
	.set _ZN7rocprim17ROCPRIM_400000_NS6detail17trampoline_kernelINS0_14default_configENS1_27upper_bound_config_selectorItlEEZNS1_14transform_implILb0ES3_S5_N6thrust23THRUST_200600_302600_NS6detail15normal_iteratorINS8_7pointerItNS8_11hip_rocprim5par_tENS8_11use_defaultESE_EEEENSA_INSB_IlSD_SE_SE_EEEEZNS1_13binary_searchIS3_S5_NSA_INS8_10device_ptrItEEEESG_SI_NS1_21upper_bound_search_opENS9_16wrapped_functionINS8_6system6detail7generic6detail18binary_search_lessEbEEEE10hipError_tPvRmT1_T2_T3_mmT4_T5_P12ihipStream_tbEUlRKtE_EESV_SZ_S10_mS11_S14_bEUlT_E_NS1_11comp_targetILNS1_3genE4ELNS1_11target_archE910ELNS1_3gpuE8ELNS1_3repE0EEENS1_30default_config_static_selectorELNS0_4arch9wavefront6targetE1EEEvSY_.num_named_barrier, 0
	.set _ZN7rocprim17ROCPRIM_400000_NS6detail17trampoline_kernelINS0_14default_configENS1_27upper_bound_config_selectorItlEEZNS1_14transform_implILb0ES3_S5_N6thrust23THRUST_200600_302600_NS6detail15normal_iteratorINS8_7pointerItNS8_11hip_rocprim5par_tENS8_11use_defaultESE_EEEENSA_INSB_IlSD_SE_SE_EEEEZNS1_13binary_searchIS3_S5_NSA_INS8_10device_ptrItEEEESG_SI_NS1_21upper_bound_search_opENS9_16wrapped_functionINS8_6system6detail7generic6detail18binary_search_lessEbEEEE10hipError_tPvRmT1_T2_T3_mmT4_T5_P12ihipStream_tbEUlRKtE_EESV_SZ_S10_mS11_S14_bEUlT_E_NS1_11comp_targetILNS1_3genE4ELNS1_11target_archE910ELNS1_3gpuE8ELNS1_3repE0EEENS1_30default_config_static_selectorELNS0_4arch9wavefront6targetE1EEEvSY_.private_seg_size, 0
	.set _ZN7rocprim17ROCPRIM_400000_NS6detail17trampoline_kernelINS0_14default_configENS1_27upper_bound_config_selectorItlEEZNS1_14transform_implILb0ES3_S5_N6thrust23THRUST_200600_302600_NS6detail15normal_iteratorINS8_7pointerItNS8_11hip_rocprim5par_tENS8_11use_defaultESE_EEEENSA_INSB_IlSD_SE_SE_EEEEZNS1_13binary_searchIS3_S5_NSA_INS8_10device_ptrItEEEESG_SI_NS1_21upper_bound_search_opENS9_16wrapped_functionINS8_6system6detail7generic6detail18binary_search_lessEbEEEE10hipError_tPvRmT1_T2_T3_mmT4_T5_P12ihipStream_tbEUlRKtE_EESV_SZ_S10_mS11_S14_bEUlT_E_NS1_11comp_targetILNS1_3genE4ELNS1_11target_archE910ELNS1_3gpuE8ELNS1_3repE0EEENS1_30default_config_static_selectorELNS0_4arch9wavefront6targetE1EEEvSY_.uses_vcc, 0
	.set _ZN7rocprim17ROCPRIM_400000_NS6detail17trampoline_kernelINS0_14default_configENS1_27upper_bound_config_selectorItlEEZNS1_14transform_implILb0ES3_S5_N6thrust23THRUST_200600_302600_NS6detail15normal_iteratorINS8_7pointerItNS8_11hip_rocprim5par_tENS8_11use_defaultESE_EEEENSA_INSB_IlSD_SE_SE_EEEEZNS1_13binary_searchIS3_S5_NSA_INS8_10device_ptrItEEEESG_SI_NS1_21upper_bound_search_opENS9_16wrapped_functionINS8_6system6detail7generic6detail18binary_search_lessEbEEEE10hipError_tPvRmT1_T2_T3_mmT4_T5_P12ihipStream_tbEUlRKtE_EESV_SZ_S10_mS11_S14_bEUlT_E_NS1_11comp_targetILNS1_3genE4ELNS1_11target_archE910ELNS1_3gpuE8ELNS1_3repE0EEENS1_30default_config_static_selectorELNS0_4arch9wavefront6targetE1EEEvSY_.uses_flat_scratch, 0
	.set _ZN7rocprim17ROCPRIM_400000_NS6detail17trampoline_kernelINS0_14default_configENS1_27upper_bound_config_selectorItlEEZNS1_14transform_implILb0ES3_S5_N6thrust23THRUST_200600_302600_NS6detail15normal_iteratorINS8_7pointerItNS8_11hip_rocprim5par_tENS8_11use_defaultESE_EEEENSA_INSB_IlSD_SE_SE_EEEEZNS1_13binary_searchIS3_S5_NSA_INS8_10device_ptrItEEEESG_SI_NS1_21upper_bound_search_opENS9_16wrapped_functionINS8_6system6detail7generic6detail18binary_search_lessEbEEEE10hipError_tPvRmT1_T2_T3_mmT4_T5_P12ihipStream_tbEUlRKtE_EESV_SZ_S10_mS11_S14_bEUlT_E_NS1_11comp_targetILNS1_3genE4ELNS1_11target_archE910ELNS1_3gpuE8ELNS1_3repE0EEENS1_30default_config_static_selectorELNS0_4arch9wavefront6targetE1EEEvSY_.has_dyn_sized_stack, 0
	.set _ZN7rocprim17ROCPRIM_400000_NS6detail17trampoline_kernelINS0_14default_configENS1_27upper_bound_config_selectorItlEEZNS1_14transform_implILb0ES3_S5_N6thrust23THRUST_200600_302600_NS6detail15normal_iteratorINS8_7pointerItNS8_11hip_rocprim5par_tENS8_11use_defaultESE_EEEENSA_INSB_IlSD_SE_SE_EEEEZNS1_13binary_searchIS3_S5_NSA_INS8_10device_ptrItEEEESG_SI_NS1_21upper_bound_search_opENS9_16wrapped_functionINS8_6system6detail7generic6detail18binary_search_lessEbEEEE10hipError_tPvRmT1_T2_T3_mmT4_T5_P12ihipStream_tbEUlRKtE_EESV_SZ_S10_mS11_S14_bEUlT_E_NS1_11comp_targetILNS1_3genE4ELNS1_11target_archE910ELNS1_3gpuE8ELNS1_3repE0EEENS1_30default_config_static_selectorELNS0_4arch9wavefront6targetE1EEEvSY_.has_recursion, 0
	.set _ZN7rocprim17ROCPRIM_400000_NS6detail17trampoline_kernelINS0_14default_configENS1_27upper_bound_config_selectorItlEEZNS1_14transform_implILb0ES3_S5_N6thrust23THRUST_200600_302600_NS6detail15normal_iteratorINS8_7pointerItNS8_11hip_rocprim5par_tENS8_11use_defaultESE_EEEENSA_INSB_IlSD_SE_SE_EEEEZNS1_13binary_searchIS3_S5_NSA_INS8_10device_ptrItEEEESG_SI_NS1_21upper_bound_search_opENS9_16wrapped_functionINS8_6system6detail7generic6detail18binary_search_lessEbEEEE10hipError_tPvRmT1_T2_T3_mmT4_T5_P12ihipStream_tbEUlRKtE_EESV_SZ_S10_mS11_S14_bEUlT_E_NS1_11comp_targetILNS1_3genE4ELNS1_11target_archE910ELNS1_3gpuE8ELNS1_3repE0EEENS1_30default_config_static_selectorELNS0_4arch9wavefront6targetE1EEEvSY_.has_indirect_call, 0
	.section	.AMDGPU.csdata,"",@progbits
; Kernel info:
; codeLenInByte = 0
; TotalNumSgprs: 4
; NumVgprs: 0
; ScratchSize: 0
; MemoryBound: 0
; FloatMode: 240
; IeeeMode: 1
; LDSByteSize: 0 bytes/workgroup (compile time only)
; SGPRBlocks: 0
; VGPRBlocks: 0
; NumSGPRsForWavesPerEU: 4
; NumVGPRsForWavesPerEU: 1
; Occupancy: 10
; WaveLimiterHint : 0
; COMPUTE_PGM_RSRC2:SCRATCH_EN: 0
; COMPUTE_PGM_RSRC2:USER_SGPR: 6
; COMPUTE_PGM_RSRC2:TRAP_HANDLER: 0
; COMPUTE_PGM_RSRC2:TGID_X_EN: 1
; COMPUTE_PGM_RSRC2:TGID_Y_EN: 0
; COMPUTE_PGM_RSRC2:TGID_Z_EN: 0
; COMPUTE_PGM_RSRC2:TIDIG_COMP_CNT: 0
	.section	.text._ZN7rocprim17ROCPRIM_400000_NS6detail17trampoline_kernelINS0_14default_configENS1_27upper_bound_config_selectorItlEEZNS1_14transform_implILb0ES3_S5_N6thrust23THRUST_200600_302600_NS6detail15normal_iteratorINS8_7pointerItNS8_11hip_rocprim5par_tENS8_11use_defaultESE_EEEENSA_INSB_IlSD_SE_SE_EEEEZNS1_13binary_searchIS3_S5_NSA_INS8_10device_ptrItEEEESG_SI_NS1_21upper_bound_search_opENS9_16wrapped_functionINS8_6system6detail7generic6detail18binary_search_lessEbEEEE10hipError_tPvRmT1_T2_T3_mmT4_T5_P12ihipStream_tbEUlRKtE_EESV_SZ_S10_mS11_S14_bEUlT_E_NS1_11comp_targetILNS1_3genE3ELNS1_11target_archE908ELNS1_3gpuE7ELNS1_3repE0EEENS1_30default_config_static_selectorELNS0_4arch9wavefront6targetE1EEEvSY_,"axG",@progbits,_ZN7rocprim17ROCPRIM_400000_NS6detail17trampoline_kernelINS0_14default_configENS1_27upper_bound_config_selectorItlEEZNS1_14transform_implILb0ES3_S5_N6thrust23THRUST_200600_302600_NS6detail15normal_iteratorINS8_7pointerItNS8_11hip_rocprim5par_tENS8_11use_defaultESE_EEEENSA_INSB_IlSD_SE_SE_EEEEZNS1_13binary_searchIS3_S5_NSA_INS8_10device_ptrItEEEESG_SI_NS1_21upper_bound_search_opENS9_16wrapped_functionINS8_6system6detail7generic6detail18binary_search_lessEbEEEE10hipError_tPvRmT1_T2_T3_mmT4_T5_P12ihipStream_tbEUlRKtE_EESV_SZ_S10_mS11_S14_bEUlT_E_NS1_11comp_targetILNS1_3genE3ELNS1_11target_archE908ELNS1_3gpuE7ELNS1_3repE0EEENS1_30default_config_static_selectorELNS0_4arch9wavefront6targetE1EEEvSY_,comdat
	.protected	_ZN7rocprim17ROCPRIM_400000_NS6detail17trampoline_kernelINS0_14default_configENS1_27upper_bound_config_selectorItlEEZNS1_14transform_implILb0ES3_S5_N6thrust23THRUST_200600_302600_NS6detail15normal_iteratorINS8_7pointerItNS8_11hip_rocprim5par_tENS8_11use_defaultESE_EEEENSA_INSB_IlSD_SE_SE_EEEEZNS1_13binary_searchIS3_S5_NSA_INS8_10device_ptrItEEEESG_SI_NS1_21upper_bound_search_opENS9_16wrapped_functionINS8_6system6detail7generic6detail18binary_search_lessEbEEEE10hipError_tPvRmT1_T2_T3_mmT4_T5_P12ihipStream_tbEUlRKtE_EESV_SZ_S10_mS11_S14_bEUlT_E_NS1_11comp_targetILNS1_3genE3ELNS1_11target_archE908ELNS1_3gpuE7ELNS1_3repE0EEENS1_30default_config_static_selectorELNS0_4arch9wavefront6targetE1EEEvSY_ ; -- Begin function _ZN7rocprim17ROCPRIM_400000_NS6detail17trampoline_kernelINS0_14default_configENS1_27upper_bound_config_selectorItlEEZNS1_14transform_implILb0ES3_S5_N6thrust23THRUST_200600_302600_NS6detail15normal_iteratorINS8_7pointerItNS8_11hip_rocprim5par_tENS8_11use_defaultESE_EEEENSA_INSB_IlSD_SE_SE_EEEEZNS1_13binary_searchIS3_S5_NSA_INS8_10device_ptrItEEEESG_SI_NS1_21upper_bound_search_opENS9_16wrapped_functionINS8_6system6detail7generic6detail18binary_search_lessEbEEEE10hipError_tPvRmT1_T2_T3_mmT4_T5_P12ihipStream_tbEUlRKtE_EESV_SZ_S10_mS11_S14_bEUlT_E_NS1_11comp_targetILNS1_3genE3ELNS1_11target_archE908ELNS1_3gpuE7ELNS1_3repE0EEENS1_30default_config_static_selectorELNS0_4arch9wavefront6targetE1EEEvSY_
	.globl	_ZN7rocprim17ROCPRIM_400000_NS6detail17trampoline_kernelINS0_14default_configENS1_27upper_bound_config_selectorItlEEZNS1_14transform_implILb0ES3_S5_N6thrust23THRUST_200600_302600_NS6detail15normal_iteratorINS8_7pointerItNS8_11hip_rocprim5par_tENS8_11use_defaultESE_EEEENSA_INSB_IlSD_SE_SE_EEEEZNS1_13binary_searchIS3_S5_NSA_INS8_10device_ptrItEEEESG_SI_NS1_21upper_bound_search_opENS9_16wrapped_functionINS8_6system6detail7generic6detail18binary_search_lessEbEEEE10hipError_tPvRmT1_T2_T3_mmT4_T5_P12ihipStream_tbEUlRKtE_EESV_SZ_S10_mS11_S14_bEUlT_E_NS1_11comp_targetILNS1_3genE3ELNS1_11target_archE908ELNS1_3gpuE7ELNS1_3repE0EEENS1_30default_config_static_selectorELNS0_4arch9wavefront6targetE1EEEvSY_
	.p2align	8
	.type	_ZN7rocprim17ROCPRIM_400000_NS6detail17trampoline_kernelINS0_14default_configENS1_27upper_bound_config_selectorItlEEZNS1_14transform_implILb0ES3_S5_N6thrust23THRUST_200600_302600_NS6detail15normal_iteratorINS8_7pointerItNS8_11hip_rocprim5par_tENS8_11use_defaultESE_EEEENSA_INSB_IlSD_SE_SE_EEEEZNS1_13binary_searchIS3_S5_NSA_INS8_10device_ptrItEEEESG_SI_NS1_21upper_bound_search_opENS9_16wrapped_functionINS8_6system6detail7generic6detail18binary_search_lessEbEEEE10hipError_tPvRmT1_T2_T3_mmT4_T5_P12ihipStream_tbEUlRKtE_EESV_SZ_S10_mS11_S14_bEUlT_E_NS1_11comp_targetILNS1_3genE3ELNS1_11target_archE908ELNS1_3gpuE7ELNS1_3repE0EEENS1_30default_config_static_selectorELNS0_4arch9wavefront6targetE1EEEvSY_,@function
_ZN7rocprim17ROCPRIM_400000_NS6detail17trampoline_kernelINS0_14default_configENS1_27upper_bound_config_selectorItlEEZNS1_14transform_implILb0ES3_S5_N6thrust23THRUST_200600_302600_NS6detail15normal_iteratorINS8_7pointerItNS8_11hip_rocprim5par_tENS8_11use_defaultESE_EEEENSA_INSB_IlSD_SE_SE_EEEEZNS1_13binary_searchIS3_S5_NSA_INS8_10device_ptrItEEEESG_SI_NS1_21upper_bound_search_opENS9_16wrapped_functionINS8_6system6detail7generic6detail18binary_search_lessEbEEEE10hipError_tPvRmT1_T2_T3_mmT4_T5_P12ihipStream_tbEUlRKtE_EESV_SZ_S10_mS11_S14_bEUlT_E_NS1_11comp_targetILNS1_3genE3ELNS1_11target_archE908ELNS1_3gpuE7ELNS1_3repE0EEENS1_30default_config_static_selectorELNS0_4arch9wavefront6targetE1EEEvSY_: ; @_ZN7rocprim17ROCPRIM_400000_NS6detail17trampoline_kernelINS0_14default_configENS1_27upper_bound_config_selectorItlEEZNS1_14transform_implILb0ES3_S5_N6thrust23THRUST_200600_302600_NS6detail15normal_iteratorINS8_7pointerItNS8_11hip_rocprim5par_tENS8_11use_defaultESE_EEEENSA_INSB_IlSD_SE_SE_EEEEZNS1_13binary_searchIS3_S5_NSA_INS8_10device_ptrItEEEESG_SI_NS1_21upper_bound_search_opENS9_16wrapped_functionINS8_6system6detail7generic6detail18binary_search_lessEbEEEE10hipError_tPvRmT1_T2_T3_mmT4_T5_P12ihipStream_tbEUlRKtE_EESV_SZ_S10_mS11_S14_bEUlT_E_NS1_11comp_targetILNS1_3genE3ELNS1_11target_archE908ELNS1_3gpuE7ELNS1_3repE0EEENS1_30default_config_static_selectorELNS0_4arch9wavefront6targetE1EEEvSY_
; %bb.0:
	.section	.rodata,"a",@progbits
	.p2align	6, 0x0
	.amdhsa_kernel _ZN7rocprim17ROCPRIM_400000_NS6detail17trampoline_kernelINS0_14default_configENS1_27upper_bound_config_selectorItlEEZNS1_14transform_implILb0ES3_S5_N6thrust23THRUST_200600_302600_NS6detail15normal_iteratorINS8_7pointerItNS8_11hip_rocprim5par_tENS8_11use_defaultESE_EEEENSA_INSB_IlSD_SE_SE_EEEEZNS1_13binary_searchIS3_S5_NSA_INS8_10device_ptrItEEEESG_SI_NS1_21upper_bound_search_opENS9_16wrapped_functionINS8_6system6detail7generic6detail18binary_search_lessEbEEEE10hipError_tPvRmT1_T2_T3_mmT4_T5_P12ihipStream_tbEUlRKtE_EESV_SZ_S10_mS11_S14_bEUlT_E_NS1_11comp_targetILNS1_3genE3ELNS1_11target_archE908ELNS1_3gpuE7ELNS1_3repE0EEENS1_30default_config_static_selectorELNS0_4arch9wavefront6targetE1EEEvSY_
		.amdhsa_group_segment_fixed_size 0
		.amdhsa_private_segment_fixed_size 0
		.amdhsa_kernarg_size 56
		.amdhsa_user_sgpr_count 6
		.amdhsa_user_sgpr_private_segment_buffer 1
		.amdhsa_user_sgpr_dispatch_ptr 0
		.amdhsa_user_sgpr_queue_ptr 0
		.amdhsa_user_sgpr_kernarg_segment_ptr 1
		.amdhsa_user_sgpr_dispatch_id 0
		.amdhsa_user_sgpr_flat_scratch_init 0
		.amdhsa_user_sgpr_private_segment_size 0
		.amdhsa_uses_dynamic_stack 0
		.amdhsa_system_sgpr_private_segment_wavefront_offset 0
		.amdhsa_system_sgpr_workgroup_id_x 1
		.amdhsa_system_sgpr_workgroup_id_y 0
		.amdhsa_system_sgpr_workgroup_id_z 0
		.amdhsa_system_sgpr_workgroup_info 0
		.amdhsa_system_vgpr_workitem_id 0
		.amdhsa_next_free_vgpr 1
		.amdhsa_next_free_sgpr 0
		.amdhsa_reserve_vcc 0
		.amdhsa_reserve_flat_scratch 0
		.amdhsa_float_round_mode_32 0
		.amdhsa_float_round_mode_16_64 0
		.amdhsa_float_denorm_mode_32 3
		.amdhsa_float_denorm_mode_16_64 3
		.amdhsa_dx10_clamp 1
		.amdhsa_ieee_mode 1
		.amdhsa_fp16_overflow 0
		.amdhsa_exception_fp_ieee_invalid_op 0
		.amdhsa_exception_fp_denorm_src 0
		.amdhsa_exception_fp_ieee_div_zero 0
		.amdhsa_exception_fp_ieee_overflow 0
		.amdhsa_exception_fp_ieee_underflow 0
		.amdhsa_exception_fp_ieee_inexact 0
		.amdhsa_exception_int_div_zero 0
	.end_amdhsa_kernel
	.section	.text._ZN7rocprim17ROCPRIM_400000_NS6detail17trampoline_kernelINS0_14default_configENS1_27upper_bound_config_selectorItlEEZNS1_14transform_implILb0ES3_S5_N6thrust23THRUST_200600_302600_NS6detail15normal_iteratorINS8_7pointerItNS8_11hip_rocprim5par_tENS8_11use_defaultESE_EEEENSA_INSB_IlSD_SE_SE_EEEEZNS1_13binary_searchIS3_S5_NSA_INS8_10device_ptrItEEEESG_SI_NS1_21upper_bound_search_opENS9_16wrapped_functionINS8_6system6detail7generic6detail18binary_search_lessEbEEEE10hipError_tPvRmT1_T2_T3_mmT4_T5_P12ihipStream_tbEUlRKtE_EESV_SZ_S10_mS11_S14_bEUlT_E_NS1_11comp_targetILNS1_3genE3ELNS1_11target_archE908ELNS1_3gpuE7ELNS1_3repE0EEENS1_30default_config_static_selectorELNS0_4arch9wavefront6targetE1EEEvSY_,"axG",@progbits,_ZN7rocprim17ROCPRIM_400000_NS6detail17trampoline_kernelINS0_14default_configENS1_27upper_bound_config_selectorItlEEZNS1_14transform_implILb0ES3_S5_N6thrust23THRUST_200600_302600_NS6detail15normal_iteratorINS8_7pointerItNS8_11hip_rocprim5par_tENS8_11use_defaultESE_EEEENSA_INSB_IlSD_SE_SE_EEEEZNS1_13binary_searchIS3_S5_NSA_INS8_10device_ptrItEEEESG_SI_NS1_21upper_bound_search_opENS9_16wrapped_functionINS8_6system6detail7generic6detail18binary_search_lessEbEEEE10hipError_tPvRmT1_T2_T3_mmT4_T5_P12ihipStream_tbEUlRKtE_EESV_SZ_S10_mS11_S14_bEUlT_E_NS1_11comp_targetILNS1_3genE3ELNS1_11target_archE908ELNS1_3gpuE7ELNS1_3repE0EEENS1_30default_config_static_selectorELNS0_4arch9wavefront6targetE1EEEvSY_,comdat
.Lfunc_end557:
	.size	_ZN7rocprim17ROCPRIM_400000_NS6detail17trampoline_kernelINS0_14default_configENS1_27upper_bound_config_selectorItlEEZNS1_14transform_implILb0ES3_S5_N6thrust23THRUST_200600_302600_NS6detail15normal_iteratorINS8_7pointerItNS8_11hip_rocprim5par_tENS8_11use_defaultESE_EEEENSA_INSB_IlSD_SE_SE_EEEEZNS1_13binary_searchIS3_S5_NSA_INS8_10device_ptrItEEEESG_SI_NS1_21upper_bound_search_opENS9_16wrapped_functionINS8_6system6detail7generic6detail18binary_search_lessEbEEEE10hipError_tPvRmT1_T2_T3_mmT4_T5_P12ihipStream_tbEUlRKtE_EESV_SZ_S10_mS11_S14_bEUlT_E_NS1_11comp_targetILNS1_3genE3ELNS1_11target_archE908ELNS1_3gpuE7ELNS1_3repE0EEENS1_30default_config_static_selectorELNS0_4arch9wavefront6targetE1EEEvSY_, .Lfunc_end557-_ZN7rocprim17ROCPRIM_400000_NS6detail17trampoline_kernelINS0_14default_configENS1_27upper_bound_config_selectorItlEEZNS1_14transform_implILb0ES3_S5_N6thrust23THRUST_200600_302600_NS6detail15normal_iteratorINS8_7pointerItNS8_11hip_rocprim5par_tENS8_11use_defaultESE_EEEENSA_INSB_IlSD_SE_SE_EEEEZNS1_13binary_searchIS3_S5_NSA_INS8_10device_ptrItEEEESG_SI_NS1_21upper_bound_search_opENS9_16wrapped_functionINS8_6system6detail7generic6detail18binary_search_lessEbEEEE10hipError_tPvRmT1_T2_T3_mmT4_T5_P12ihipStream_tbEUlRKtE_EESV_SZ_S10_mS11_S14_bEUlT_E_NS1_11comp_targetILNS1_3genE3ELNS1_11target_archE908ELNS1_3gpuE7ELNS1_3repE0EEENS1_30default_config_static_selectorELNS0_4arch9wavefront6targetE1EEEvSY_
                                        ; -- End function
	.set _ZN7rocprim17ROCPRIM_400000_NS6detail17trampoline_kernelINS0_14default_configENS1_27upper_bound_config_selectorItlEEZNS1_14transform_implILb0ES3_S5_N6thrust23THRUST_200600_302600_NS6detail15normal_iteratorINS8_7pointerItNS8_11hip_rocprim5par_tENS8_11use_defaultESE_EEEENSA_INSB_IlSD_SE_SE_EEEEZNS1_13binary_searchIS3_S5_NSA_INS8_10device_ptrItEEEESG_SI_NS1_21upper_bound_search_opENS9_16wrapped_functionINS8_6system6detail7generic6detail18binary_search_lessEbEEEE10hipError_tPvRmT1_T2_T3_mmT4_T5_P12ihipStream_tbEUlRKtE_EESV_SZ_S10_mS11_S14_bEUlT_E_NS1_11comp_targetILNS1_3genE3ELNS1_11target_archE908ELNS1_3gpuE7ELNS1_3repE0EEENS1_30default_config_static_selectorELNS0_4arch9wavefront6targetE1EEEvSY_.num_vgpr, 0
	.set _ZN7rocprim17ROCPRIM_400000_NS6detail17trampoline_kernelINS0_14default_configENS1_27upper_bound_config_selectorItlEEZNS1_14transform_implILb0ES3_S5_N6thrust23THRUST_200600_302600_NS6detail15normal_iteratorINS8_7pointerItNS8_11hip_rocprim5par_tENS8_11use_defaultESE_EEEENSA_INSB_IlSD_SE_SE_EEEEZNS1_13binary_searchIS3_S5_NSA_INS8_10device_ptrItEEEESG_SI_NS1_21upper_bound_search_opENS9_16wrapped_functionINS8_6system6detail7generic6detail18binary_search_lessEbEEEE10hipError_tPvRmT1_T2_T3_mmT4_T5_P12ihipStream_tbEUlRKtE_EESV_SZ_S10_mS11_S14_bEUlT_E_NS1_11comp_targetILNS1_3genE3ELNS1_11target_archE908ELNS1_3gpuE7ELNS1_3repE0EEENS1_30default_config_static_selectorELNS0_4arch9wavefront6targetE1EEEvSY_.num_agpr, 0
	.set _ZN7rocprim17ROCPRIM_400000_NS6detail17trampoline_kernelINS0_14default_configENS1_27upper_bound_config_selectorItlEEZNS1_14transform_implILb0ES3_S5_N6thrust23THRUST_200600_302600_NS6detail15normal_iteratorINS8_7pointerItNS8_11hip_rocprim5par_tENS8_11use_defaultESE_EEEENSA_INSB_IlSD_SE_SE_EEEEZNS1_13binary_searchIS3_S5_NSA_INS8_10device_ptrItEEEESG_SI_NS1_21upper_bound_search_opENS9_16wrapped_functionINS8_6system6detail7generic6detail18binary_search_lessEbEEEE10hipError_tPvRmT1_T2_T3_mmT4_T5_P12ihipStream_tbEUlRKtE_EESV_SZ_S10_mS11_S14_bEUlT_E_NS1_11comp_targetILNS1_3genE3ELNS1_11target_archE908ELNS1_3gpuE7ELNS1_3repE0EEENS1_30default_config_static_selectorELNS0_4arch9wavefront6targetE1EEEvSY_.numbered_sgpr, 0
	.set _ZN7rocprim17ROCPRIM_400000_NS6detail17trampoline_kernelINS0_14default_configENS1_27upper_bound_config_selectorItlEEZNS1_14transform_implILb0ES3_S5_N6thrust23THRUST_200600_302600_NS6detail15normal_iteratorINS8_7pointerItNS8_11hip_rocprim5par_tENS8_11use_defaultESE_EEEENSA_INSB_IlSD_SE_SE_EEEEZNS1_13binary_searchIS3_S5_NSA_INS8_10device_ptrItEEEESG_SI_NS1_21upper_bound_search_opENS9_16wrapped_functionINS8_6system6detail7generic6detail18binary_search_lessEbEEEE10hipError_tPvRmT1_T2_T3_mmT4_T5_P12ihipStream_tbEUlRKtE_EESV_SZ_S10_mS11_S14_bEUlT_E_NS1_11comp_targetILNS1_3genE3ELNS1_11target_archE908ELNS1_3gpuE7ELNS1_3repE0EEENS1_30default_config_static_selectorELNS0_4arch9wavefront6targetE1EEEvSY_.num_named_barrier, 0
	.set _ZN7rocprim17ROCPRIM_400000_NS6detail17trampoline_kernelINS0_14default_configENS1_27upper_bound_config_selectorItlEEZNS1_14transform_implILb0ES3_S5_N6thrust23THRUST_200600_302600_NS6detail15normal_iteratorINS8_7pointerItNS8_11hip_rocprim5par_tENS8_11use_defaultESE_EEEENSA_INSB_IlSD_SE_SE_EEEEZNS1_13binary_searchIS3_S5_NSA_INS8_10device_ptrItEEEESG_SI_NS1_21upper_bound_search_opENS9_16wrapped_functionINS8_6system6detail7generic6detail18binary_search_lessEbEEEE10hipError_tPvRmT1_T2_T3_mmT4_T5_P12ihipStream_tbEUlRKtE_EESV_SZ_S10_mS11_S14_bEUlT_E_NS1_11comp_targetILNS1_3genE3ELNS1_11target_archE908ELNS1_3gpuE7ELNS1_3repE0EEENS1_30default_config_static_selectorELNS0_4arch9wavefront6targetE1EEEvSY_.private_seg_size, 0
	.set _ZN7rocprim17ROCPRIM_400000_NS6detail17trampoline_kernelINS0_14default_configENS1_27upper_bound_config_selectorItlEEZNS1_14transform_implILb0ES3_S5_N6thrust23THRUST_200600_302600_NS6detail15normal_iteratorINS8_7pointerItNS8_11hip_rocprim5par_tENS8_11use_defaultESE_EEEENSA_INSB_IlSD_SE_SE_EEEEZNS1_13binary_searchIS3_S5_NSA_INS8_10device_ptrItEEEESG_SI_NS1_21upper_bound_search_opENS9_16wrapped_functionINS8_6system6detail7generic6detail18binary_search_lessEbEEEE10hipError_tPvRmT1_T2_T3_mmT4_T5_P12ihipStream_tbEUlRKtE_EESV_SZ_S10_mS11_S14_bEUlT_E_NS1_11comp_targetILNS1_3genE3ELNS1_11target_archE908ELNS1_3gpuE7ELNS1_3repE0EEENS1_30default_config_static_selectorELNS0_4arch9wavefront6targetE1EEEvSY_.uses_vcc, 0
	.set _ZN7rocprim17ROCPRIM_400000_NS6detail17trampoline_kernelINS0_14default_configENS1_27upper_bound_config_selectorItlEEZNS1_14transform_implILb0ES3_S5_N6thrust23THRUST_200600_302600_NS6detail15normal_iteratorINS8_7pointerItNS8_11hip_rocprim5par_tENS8_11use_defaultESE_EEEENSA_INSB_IlSD_SE_SE_EEEEZNS1_13binary_searchIS3_S5_NSA_INS8_10device_ptrItEEEESG_SI_NS1_21upper_bound_search_opENS9_16wrapped_functionINS8_6system6detail7generic6detail18binary_search_lessEbEEEE10hipError_tPvRmT1_T2_T3_mmT4_T5_P12ihipStream_tbEUlRKtE_EESV_SZ_S10_mS11_S14_bEUlT_E_NS1_11comp_targetILNS1_3genE3ELNS1_11target_archE908ELNS1_3gpuE7ELNS1_3repE0EEENS1_30default_config_static_selectorELNS0_4arch9wavefront6targetE1EEEvSY_.uses_flat_scratch, 0
	.set _ZN7rocprim17ROCPRIM_400000_NS6detail17trampoline_kernelINS0_14default_configENS1_27upper_bound_config_selectorItlEEZNS1_14transform_implILb0ES3_S5_N6thrust23THRUST_200600_302600_NS6detail15normal_iteratorINS8_7pointerItNS8_11hip_rocprim5par_tENS8_11use_defaultESE_EEEENSA_INSB_IlSD_SE_SE_EEEEZNS1_13binary_searchIS3_S5_NSA_INS8_10device_ptrItEEEESG_SI_NS1_21upper_bound_search_opENS9_16wrapped_functionINS8_6system6detail7generic6detail18binary_search_lessEbEEEE10hipError_tPvRmT1_T2_T3_mmT4_T5_P12ihipStream_tbEUlRKtE_EESV_SZ_S10_mS11_S14_bEUlT_E_NS1_11comp_targetILNS1_3genE3ELNS1_11target_archE908ELNS1_3gpuE7ELNS1_3repE0EEENS1_30default_config_static_selectorELNS0_4arch9wavefront6targetE1EEEvSY_.has_dyn_sized_stack, 0
	.set _ZN7rocprim17ROCPRIM_400000_NS6detail17trampoline_kernelINS0_14default_configENS1_27upper_bound_config_selectorItlEEZNS1_14transform_implILb0ES3_S5_N6thrust23THRUST_200600_302600_NS6detail15normal_iteratorINS8_7pointerItNS8_11hip_rocprim5par_tENS8_11use_defaultESE_EEEENSA_INSB_IlSD_SE_SE_EEEEZNS1_13binary_searchIS3_S5_NSA_INS8_10device_ptrItEEEESG_SI_NS1_21upper_bound_search_opENS9_16wrapped_functionINS8_6system6detail7generic6detail18binary_search_lessEbEEEE10hipError_tPvRmT1_T2_T3_mmT4_T5_P12ihipStream_tbEUlRKtE_EESV_SZ_S10_mS11_S14_bEUlT_E_NS1_11comp_targetILNS1_3genE3ELNS1_11target_archE908ELNS1_3gpuE7ELNS1_3repE0EEENS1_30default_config_static_selectorELNS0_4arch9wavefront6targetE1EEEvSY_.has_recursion, 0
	.set _ZN7rocprim17ROCPRIM_400000_NS6detail17trampoline_kernelINS0_14default_configENS1_27upper_bound_config_selectorItlEEZNS1_14transform_implILb0ES3_S5_N6thrust23THRUST_200600_302600_NS6detail15normal_iteratorINS8_7pointerItNS8_11hip_rocprim5par_tENS8_11use_defaultESE_EEEENSA_INSB_IlSD_SE_SE_EEEEZNS1_13binary_searchIS3_S5_NSA_INS8_10device_ptrItEEEESG_SI_NS1_21upper_bound_search_opENS9_16wrapped_functionINS8_6system6detail7generic6detail18binary_search_lessEbEEEE10hipError_tPvRmT1_T2_T3_mmT4_T5_P12ihipStream_tbEUlRKtE_EESV_SZ_S10_mS11_S14_bEUlT_E_NS1_11comp_targetILNS1_3genE3ELNS1_11target_archE908ELNS1_3gpuE7ELNS1_3repE0EEENS1_30default_config_static_selectorELNS0_4arch9wavefront6targetE1EEEvSY_.has_indirect_call, 0
	.section	.AMDGPU.csdata,"",@progbits
; Kernel info:
; codeLenInByte = 0
; TotalNumSgprs: 4
; NumVgprs: 0
; ScratchSize: 0
; MemoryBound: 0
; FloatMode: 240
; IeeeMode: 1
; LDSByteSize: 0 bytes/workgroup (compile time only)
; SGPRBlocks: 0
; VGPRBlocks: 0
; NumSGPRsForWavesPerEU: 4
; NumVGPRsForWavesPerEU: 1
; Occupancy: 10
; WaveLimiterHint : 0
; COMPUTE_PGM_RSRC2:SCRATCH_EN: 0
; COMPUTE_PGM_RSRC2:USER_SGPR: 6
; COMPUTE_PGM_RSRC2:TRAP_HANDLER: 0
; COMPUTE_PGM_RSRC2:TGID_X_EN: 1
; COMPUTE_PGM_RSRC2:TGID_Y_EN: 0
; COMPUTE_PGM_RSRC2:TGID_Z_EN: 0
; COMPUTE_PGM_RSRC2:TIDIG_COMP_CNT: 0
	.section	.text._ZN7rocprim17ROCPRIM_400000_NS6detail17trampoline_kernelINS0_14default_configENS1_27upper_bound_config_selectorItlEEZNS1_14transform_implILb0ES3_S5_N6thrust23THRUST_200600_302600_NS6detail15normal_iteratorINS8_7pointerItNS8_11hip_rocprim5par_tENS8_11use_defaultESE_EEEENSA_INSB_IlSD_SE_SE_EEEEZNS1_13binary_searchIS3_S5_NSA_INS8_10device_ptrItEEEESG_SI_NS1_21upper_bound_search_opENS9_16wrapped_functionINS8_6system6detail7generic6detail18binary_search_lessEbEEEE10hipError_tPvRmT1_T2_T3_mmT4_T5_P12ihipStream_tbEUlRKtE_EESV_SZ_S10_mS11_S14_bEUlT_E_NS1_11comp_targetILNS1_3genE2ELNS1_11target_archE906ELNS1_3gpuE6ELNS1_3repE0EEENS1_30default_config_static_selectorELNS0_4arch9wavefront6targetE1EEEvSY_,"axG",@progbits,_ZN7rocprim17ROCPRIM_400000_NS6detail17trampoline_kernelINS0_14default_configENS1_27upper_bound_config_selectorItlEEZNS1_14transform_implILb0ES3_S5_N6thrust23THRUST_200600_302600_NS6detail15normal_iteratorINS8_7pointerItNS8_11hip_rocprim5par_tENS8_11use_defaultESE_EEEENSA_INSB_IlSD_SE_SE_EEEEZNS1_13binary_searchIS3_S5_NSA_INS8_10device_ptrItEEEESG_SI_NS1_21upper_bound_search_opENS9_16wrapped_functionINS8_6system6detail7generic6detail18binary_search_lessEbEEEE10hipError_tPvRmT1_T2_T3_mmT4_T5_P12ihipStream_tbEUlRKtE_EESV_SZ_S10_mS11_S14_bEUlT_E_NS1_11comp_targetILNS1_3genE2ELNS1_11target_archE906ELNS1_3gpuE6ELNS1_3repE0EEENS1_30default_config_static_selectorELNS0_4arch9wavefront6targetE1EEEvSY_,comdat
	.protected	_ZN7rocprim17ROCPRIM_400000_NS6detail17trampoline_kernelINS0_14default_configENS1_27upper_bound_config_selectorItlEEZNS1_14transform_implILb0ES3_S5_N6thrust23THRUST_200600_302600_NS6detail15normal_iteratorINS8_7pointerItNS8_11hip_rocprim5par_tENS8_11use_defaultESE_EEEENSA_INSB_IlSD_SE_SE_EEEEZNS1_13binary_searchIS3_S5_NSA_INS8_10device_ptrItEEEESG_SI_NS1_21upper_bound_search_opENS9_16wrapped_functionINS8_6system6detail7generic6detail18binary_search_lessEbEEEE10hipError_tPvRmT1_T2_T3_mmT4_T5_P12ihipStream_tbEUlRKtE_EESV_SZ_S10_mS11_S14_bEUlT_E_NS1_11comp_targetILNS1_3genE2ELNS1_11target_archE906ELNS1_3gpuE6ELNS1_3repE0EEENS1_30default_config_static_selectorELNS0_4arch9wavefront6targetE1EEEvSY_ ; -- Begin function _ZN7rocprim17ROCPRIM_400000_NS6detail17trampoline_kernelINS0_14default_configENS1_27upper_bound_config_selectorItlEEZNS1_14transform_implILb0ES3_S5_N6thrust23THRUST_200600_302600_NS6detail15normal_iteratorINS8_7pointerItNS8_11hip_rocprim5par_tENS8_11use_defaultESE_EEEENSA_INSB_IlSD_SE_SE_EEEEZNS1_13binary_searchIS3_S5_NSA_INS8_10device_ptrItEEEESG_SI_NS1_21upper_bound_search_opENS9_16wrapped_functionINS8_6system6detail7generic6detail18binary_search_lessEbEEEE10hipError_tPvRmT1_T2_T3_mmT4_T5_P12ihipStream_tbEUlRKtE_EESV_SZ_S10_mS11_S14_bEUlT_E_NS1_11comp_targetILNS1_3genE2ELNS1_11target_archE906ELNS1_3gpuE6ELNS1_3repE0EEENS1_30default_config_static_selectorELNS0_4arch9wavefront6targetE1EEEvSY_
	.globl	_ZN7rocprim17ROCPRIM_400000_NS6detail17trampoline_kernelINS0_14default_configENS1_27upper_bound_config_selectorItlEEZNS1_14transform_implILb0ES3_S5_N6thrust23THRUST_200600_302600_NS6detail15normal_iteratorINS8_7pointerItNS8_11hip_rocprim5par_tENS8_11use_defaultESE_EEEENSA_INSB_IlSD_SE_SE_EEEEZNS1_13binary_searchIS3_S5_NSA_INS8_10device_ptrItEEEESG_SI_NS1_21upper_bound_search_opENS9_16wrapped_functionINS8_6system6detail7generic6detail18binary_search_lessEbEEEE10hipError_tPvRmT1_T2_T3_mmT4_T5_P12ihipStream_tbEUlRKtE_EESV_SZ_S10_mS11_S14_bEUlT_E_NS1_11comp_targetILNS1_3genE2ELNS1_11target_archE906ELNS1_3gpuE6ELNS1_3repE0EEENS1_30default_config_static_selectorELNS0_4arch9wavefront6targetE1EEEvSY_
	.p2align	8
	.type	_ZN7rocprim17ROCPRIM_400000_NS6detail17trampoline_kernelINS0_14default_configENS1_27upper_bound_config_selectorItlEEZNS1_14transform_implILb0ES3_S5_N6thrust23THRUST_200600_302600_NS6detail15normal_iteratorINS8_7pointerItNS8_11hip_rocprim5par_tENS8_11use_defaultESE_EEEENSA_INSB_IlSD_SE_SE_EEEEZNS1_13binary_searchIS3_S5_NSA_INS8_10device_ptrItEEEESG_SI_NS1_21upper_bound_search_opENS9_16wrapped_functionINS8_6system6detail7generic6detail18binary_search_lessEbEEEE10hipError_tPvRmT1_T2_T3_mmT4_T5_P12ihipStream_tbEUlRKtE_EESV_SZ_S10_mS11_S14_bEUlT_E_NS1_11comp_targetILNS1_3genE2ELNS1_11target_archE906ELNS1_3gpuE6ELNS1_3repE0EEENS1_30default_config_static_selectorELNS0_4arch9wavefront6targetE1EEEvSY_,@function
_ZN7rocprim17ROCPRIM_400000_NS6detail17trampoline_kernelINS0_14default_configENS1_27upper_bound_config_selectorItlEEZNS1_14transform_implILb0ES3_S5_N6thrust23THRUST_200600_302600_NS6detail15normal_iteratorINS8_7pointerItNS8_11hip_rocprim5par_tENS8_11use_defaultESE_EEEENSA_INSB_IlSD_SE_SE_EEEEZNS1_13binary_searchIS3_S5_NSA_INS8_10device_ptrItEEEESG_SI_NS1_21upper_bound_search_opENS9_16wrapped_functionINS8_6system6detail7generic6detail18binary_search_lessEbEEEE10hipError_tPvRmT1_T2_T3_mmT4_T5_P12ihipStream_tbEUlRKtE_EESV_SZ_S10_mS11_S14_bEUlT_E_NS1_11comp_targetILNS1_3genE2ELNS1_11target_archE906ELNS1_3gpuE6ELNS1_3repE0EEENS1_30default_config_static_selectorELNS0_4arch9wavefront6targetE1EEEvSY_: ; @_ZN7rocprim17ROCPRIM_400000_NS6detail17trampoline_kernelINS0_14default_configENS1_27upper_bound_config_selectorItlEEZNS1_14transform_implILb0ES3_S5_N6thrust23THRUST_200600_302600_NS6detail15normal_iteratorINS8_7pointerItNS8_11hip_rocprim5par_tENS8_11use_defaultESE_EEEENSA_INSB_IlSD_SE_SE_EEEEZNS1_13binary_searchIS3_S5_NSA_INS8_10device_ptrItEEEESG_SI_NS1_21upper_bound_search_opENS9_16wrapped_functionINS8_6system6detail7generic6detail18binary_search_lessEbEEEE10hipError_tPvRmT1_T2_T3_mmT4_T5_P12ihipStream_tbEUlRKtE_EESV_SZ_S10_mS11_S14_bEUlT_E_NS1_11comp_targetILNS1_3genE2ELNS1_11target_archE906ELNS1_3gpuE6ELNS1_3repE0EEENS1_30default_config_static_selectorELNS0_4arch9wavefront6targetE1EEEvSY_
; %bb.0:
	s_load_dwordx8 s[8:15], s[4:5], 0x0
	s_load_dwordx4 s[16:19], s[4:5], 0x20
	s_load_dword s2, s[4:5], 0x38
	s_waitcnt lgkmcnt(0)
	s_lshl_b64 s[0:1], s[10:11], 1
	s_add_u32 s3, s8, s0
	s_addc_u32 s4, s9, s1
	s_lshl_b64 s[0:1], s[10:11], 3
	s_add_u32 s20, s14, s0
	s_addc_u32 s21, s15, s1
	s_lshl_b32 s8, s6, 10
	s_mov_b32 s9, 0
	s_add_i32 s2, s2, -1
	s_lshl_b64 s[0:1], s[8:9], 1
	s_add_u32 s13, s3, s0
	s_addc_u32 s14, s4, s1
	s_cmp_lg_u32 s6, s2
	s_cbranch_scc0 .LBB558_14
; %bb.1:
	v_lshlrev_b32_e32 v1, 1, v0
	v_mov_b32_e32 v2, s14
	v_add_co_u32_e32 v1, vcc, s13, v1
	v_addc_co_u32_e32 v2, vcc, 0, v2, vcc
	flat_load_ushort v7, v[1:2] offset:512
	flat_load_ushort v9, v[1:2] offset:1024
	;; [unrolled: 1-line block ×3, first 2 shown]
	s_cmp_lg_u64 s[18:19], 0
	s_cselect_b64 s[2:3], -1, 0
	s_cmp_eq_u64 s[18:19], 0
	s_mov_b64 s[0:1], 0
	s_cbranch_scc1 .LBB558_15
; %bb.2:
	flat_load_ushort v5, v[1:2]
	v_mov_b32_e32 v1, 0
	v_mov_b32_e32 v3, s18
	;; [unrolled: 1-line block ×5, first 2 shown]
.LBB558_3:                              ; =>This Inner Loop Header: Depth=1
	v_sub_co_u32_e32 v12, vcc, v3, v1
	v_subb_co_u32_e32 v13, vcc, v4, v2, vcc
	v_lshrrev_b64 v[14:15], 1, v[12:13]
	v_lshrrev_b64 v[12:13], 6, v[12:13]
	v_add_co_u32_e32 v8, vcc, v14, v1
	v_addc_co_u32_e32 v10, vcc, v15, v2, vcc
	v_add_co_u32_e32 v12, vcc, v8, v12
	v_addc_co_u32_e32 v13, vcc, v10, v13, vcc
	v_lshlrev_b64 v[14:15], 1, v[12:13]
	v_add_co_u32_e32 v14, vcc, s16, v14
	v_addc_co_u32_e32 v15, vcc, v6, v15, vcc
	global_load_ushort v8, v[14:15], off
	v_add_co_u32_e32 v10, vcc, 1, v12
	v_addc_co_u32_e32 v14, vcc, 0, v13, vcc
	s_waitcnt vmcnt(0) lgkmcnt(0)
	v_cmp_lt_u16_e32 vcc, v5, v8
	v_cndmask_b32_e32 v4, v4, v13, vcc
	v_cndmask_b32_e32 v3, v3, v12, vcc
	;; [unrolled: 1-line block ×4, first 2 shown]
	v_cmp_ge_u64_e32 vcc, v[1:2], v[3:4]
	s_or_b64 s[0:1], vcc, s[0:1]
	s_andn2_b64 exec, exec, s[0:1]
	s_cbranch_execnz .LBB558_3
; %bb.4:
	s_or_b64 exec, exec, s[0:1]
	v_cndmask_b32_e64 v3, 0, 1, s[2:3]
	v_cmp_ne_u32_e64 s[0:1], 1, v3
	s_andn2_b64 vcc, exec, s[2:3]
	s_cbranch_vccnz .LBB558_16
.LBB558_5:
	v_mov_b32_e32 v3, 0
	v_mov_b32_e32 v5, s18
	s_mov_b64 s[2:3], 0
	v_mov_b32_e32 v4, 0
	v_mov_b32_e32 v6, s19
	;; [unrolled: 1-line block ×3, first 2 shown]
.LBB558_6:                              ; =>This Inner Loop Header: Depth=1
	v_sub_co_u32_e32 v12, vcc, v5, v3
	v_subb_co_u32_e32 v13, vcc, v6, v4, vcc
	v_lshrrev_b64 v[14:15], 1, v[12:13]
	v_lshrrev_b64 v[12:13], 6, v[12:13]
	v_add_co_u32_e32 v10, vcc, v14, v3
	v_addc_co_u32_e32 v14, vcc, v15, v4, vcc
	v_add_co_u32_e32 v12, vcc, v10, v12
	v_addc_co_u32_e32 v13, vcc, v14, v13, vcc
	v_lshlrev_b64 v[14:15], 1, v[12:13]
	v_add_co_u32_e32 v14, vcc, s16, v14
	v_addc_co_u32_e32 v15, vcc, v8, v15, vcc
	global_load_ushort v10, v[14:15], off
	v_add_co_u32_e32 v14, vcc, 1, v12
	v_addc_co_u32_e32 v15, vcc, 0, v13, vcc
	s_waitcnt vmcnt(0) lgkmcnt(0)
	v_cmp_lt_u16_e32 vcc, v7, v10
	v_cndmask_b32_e32 v6, v6, v13, vcc
	v_cndmask_b32_e32 v5, v5, v12, vcc
	;; [unrolled: 1-line block ×4, first 2 shown]
	v_cmp_ge_u64_e32 vcc, v[3:4], v[5:6]
	s_or_b64 s[2:3], vcc, s[2:3]
	s_andn2_b64 exec, exec, s[2:3]
	s_cbranch_execnz .LBB558_6
; %bb.7:
	s_or_b64 exec, exec, s[2:3]
	s_and_b64 vcc, exec, s[0:1]
	s_cbranch_vccnz .LBB558_17
.LBB558_8:
	v_mov_b32_e32 v5, 0
	s_waitcnt vmcnt(0) lgkmcnt(0)
	v_mov_b32_e32 v7, s18
	s_mov_b64 s[2:3], 0
	v_mov_b32_e32 v6, 0
	v_mov_b32_e32 v8, s19
	;; [unrolled: 1-line block ×3, first 2 shown]
.LBB558_9:                              ; =>This Inner Loop Header: Depth=1
	v_sub_co_u32_e32 v12, vcc, v7, v5
	v_subb_co_u32_e32 v13, vcc, v8, v6, vcc
	v_lshrrev_b64 v[14:15], 1, v[12:13]
	v_lshrrev_b64 v[12:13], 6, v[12:13]
	v_add_co_u32_e32 v14, vcc, v14, v5
	v_addc_co_u32_e32 v15, vcc, v15, v6, vcc
	v_add_co_u32_e32 v12, vcc, v14, v12
	v_addc_co_u32_e32 v13, vcc, v15, v13, vcc
	v_lshlrev_b64 v[14:15], 1, v[12:13]
	v_add_co_u32_e32 v14, vcc, s16, v14
	v_addc_co_u32_e32 v15, vcc, v10, v15, vcc
	global_load_ushort v14, v[14:15], off
	v_add_co_u32_e32 v15, vcc, 1, v12
	v_addc_co_u32_e32 v16, vcc, 0, v13, vcc
	s_waitcnt vmcnt(0)
	v_cmp_lt_u16_e32 vcc, v9, v14
	v_cndmask_b32_e32 v8, v8, v13, vcc
	v_cndmask_b32_e32 v7, v7, v12, vcc
	;; [unrolled: 1-line block ×4, first 2 shown]
	v_cmp_ge_u64_e32 vcc, v[5:6], v[7:8]
	s_or_b64 s[2:3], vcc, s[2:3]
	s_andn2_b64 exec, exec, s[2:3]
	s_cbranch_execnz .LBB558_9
; %bb.10:
	s_or_b64 exec, exec, s[2:3]
	s_and_b64 vcc, exec, s[0:1]
	s_cbranch_vccnz .LBB558_18
.LBB558_11:
	s_waitcnt vmcnt(0) lgkmcnt(0)
	v_mov_b32_e32 v7, 0
	v_mov_b32_e32 v9, s18
	s_mov_b64 s[0:1], 0
	v_mov_b32_e32 v8, 0
	v_mov_b32_e32 v10, s19
	;; [unrolled: 1-line block ×3, first 2 shown]
.LBB558_12:                             ; =>This Inner Loop Header: Depth=1
	v_sub_co_u32_e32 v13, vcc, v9, v7
	v_subb_co_u32_e32 v14, vcc, v10, v8, vcc
	v_lshrrev_b64 v[15:16], 1, v[13:14]
	v_lshrrev_b64 v[13:14], 6, v[13:14]
	v_add_co_u32_e32 v15, vcc, v15, v7
	v_addc_co_u32_e32 v16, vcc, v16, v8, vcc
	v_add_co_u32_e32 v13, vcc, v15, v13
	v_addc_co_u32_e32 v14, vcc, v16, v14, vcc
	v_lshlrev_b64 v[15:16], 1, v[13:14]
	v_add_co_u32_e32 v15, vcc, s16, v15
	v_addc_co_u32_e32 v16, vcc, v12, v16, vcc
	global_load_ushort v15, v[15:16], off
	v_add_co_u32_e32 v16, vcc, 1, v13
	v_addc_co_u32_e32 v17, vcc, 0, v14, vcc
	s_waitcnt vmcnt(0)
	v_cmp_lt_u16_e32 vcc, v11, v15
	v_cndmask_b32_e32 v10, v10, v14, vcc
	v_cndmask_b32_e32 v9, v9, v13, vcc
	;; [unrolled: 1-line block ×4, first 2 shown]
	v_cmp_ge_u64_e32 vcc, v[7:8], v[9:10]
	s_or_b64 s[0:1], vcc, s[0:1]
	s_andn2_b64 exec, exec, s[0:1]
	s_cbranch_execnz .LBB558_12
; %bb.13:
	s_or_b64 exec, exec, s[0:1]
	s_branch .LBB558_19
.LBB558_14:
	s_mov_b64 s[6:7], 0
                                        ; implicit-def: $vgpr7_vgpr8
                                        ; implicit-def: $vgpr11_vgpr12
	s_cbranch_execnz .LBB558_20
	s_branch .LBB558_59
.LBB558_15:
	v_mov_b32_e32 v1, 0
	v_mov_b32_e32 v2, 0
	v_cndmask_b32_e64 v3, 0, 1, s[2:3]
	v_cmp_ne_u32_e64 s[0:1], 1, v3
	s_andn2_b64 vcc, exec, s[2:3]
	s_cbranch_vccz .LBB558_5
.LBB558_16:
	v_mov_b32_e32 v3, 0
	v_mov_b32_e32 v4, 0
	s_and_b64 vcc, exec, s[0:1]
	s_cbranch_vccz .LBB558_8
.LBB558_17:
	v_mov_b32_e32 v5, 0
	v_mov_b32_e32 v6, 0
	s_and_b64 vcc, exec, s[0:1]
	s_cbranch_vccz .LBB558_11
.LBB558_18:
	s_waitcnt vmcnt(0) lgkmcnt(0)
	v_mov_b32_e32 v7, 0
	v_mov_b32_e32 v8, 0
.LBB558_19:
	s_lshl_b64 s[0:1], s[8:9], 3
	s_add_u32 s0, s20, s0
	s_addc_u32 s1, s21, s1
	v_lshlrev_b32_e32 v9, 3, v0
	v_mov_b32_e32 v10, s1
	v_add_co_u32_e32 v11, vcc, s0, v9
	v_addc_co_u32_e32 v12, vcc, 0, v10, vcc
	flat_store_dwordx2 v[11:12], v[1:2]
	flat_store_dwordx2 v[11:12], v[3:4] offset:2048
	v_add_co_u32_e32 v1, vcc, 0x1000, v11
	v_addc_co_u32_e32 v2, vcc, 0, v12, vcc
	flat_store_dwordx2 v[1:2], v[5:6]
	s_mov_b64 s[6:7], -1
	s_branch .LBB558_59
.LBB558_20:
	s_sub_i32 s10, s12, s8
	v_mov_b32_e32 v1, 0
	v_cmp_gt_u32_e64 s[0:1], s10, v0
	v_mov_b32_e32 v2, v1
	s_and_saveexec_b64 s[2:3], s[0:1]
	s_cbranch_execz .LBB558_22
; %bb.21:
	v_lshlrev_b32_e32 v2, 1, v0
	v_mov_b32_e32 v3, s14
	v_add_co_u32_e32 v2, vcc, s13, v2
	v_addc_co_u32_e32 v3, vcc, 0, v3, vcc
	flat_load_ushort v2, v[2:3]
	v_mov_b32_e32 v3, v1
	s_waitcnt vmcnt(0) lgkmcnt(0)
	v_and_b32_e32 v2, 0xffff, v2
	v_mov_b32_e32 v1, v2
	v_mov_b32_e32 v2, v3
.LBB558_22:
	s_or_b64 exec, exec, s[2:3]
	v_or_b32_e32 v3, 0x100, v0
	v_cmp_gt_u32_e64 s[2:3], s10, v3
	s_and_saveexec_b64 s[4:5], s[2:3]
	s_cbranch_execz .LBB558_24
; %bb.23:
	v_lshlrev_b32_e32 v3, 1, v0
	v_mov_b32_e32 v4, s14
	v_add_co_u32_e32 v3, vcc, s13, v3
	v_addc_co_u32_e32 v4, vcc, 0, v4, vcc
	flat_load_ushort v3, v[3:4] offset:512
	s_mov_b32 s6, 0x5040100
	s_waitcnt vmcnt(0) lgkmcnt(0)
	v_perm_b32 v1, v3, v1, s6
.LBB558_24:
	s_or_b64 exec, exec, s[4:5]
	v_or_b32_e32 v3, 0x200, v0
	v_cmp_gt_u32_e64 s[4:5], s10, v3
	s_and_saveexec_b64 s[6:7], s[4:5]
	s_cbranch_execz .LBB558_26
; %bb.25:
	v_lshlrev_b32_e32 v3, 1, v0
	v_mov_b32_e32 v4, s14
	v_add_co_u32_e32 v3, vcc, s13, v3
	v_addc_co_u32_e32 v4, vcc, 0, v4, vcc
	flat_load_ushort v3, v[3:4] offset:1024
	s_mov_b32 s11, 0xffff
	s_waitcnt vmcnt(0) lgkmcnt(0)
	v_bfi_b32 v2, s11, v3, v2
.LBB558_26:
	s_or_b64 exec, exec, s[6:7]
	v_or_b32_e32 v3, 0x300, v0
	v_cmp_gt_u32_e64 s[6:7], s10, v3
	s_and_saveexec_b64 s[10:11], s[6:7]
	s_cbranch_execz .LBB558_28
; %bb.27:
	v_lshlrev_b32_e32 v3, 1, v0
	v_mov_b32_e32 v4, s14
	v_add_co_u32_e32 v3, vcc, s13, v3
	v_addc_co_u32_e32 v4, vcc, 0, v4, vcc
	flat_load_ushort v3, v[3:4] offset:1536
	s_mov_b32 s12, 0x5040100
	s_waitcnt vmcnt(0) lgkmcnt(0)
	v_perm_b32 v2, v3, v2, s12
.LBB558_28:
	s_or_b64 exec, exec, s[10:11]
	s_cmp_lg_u64 s[18:19], 0
	s_cselect_b64 s[10:11], -1, 0
                                        ; implicit-def: $vgpr3_vgpr4
	s_and_saveexec_b64 s[12:13], s[0:1]
	s_cbranch_execnz .LBB558_32
; %bb.29:
	s_or_b64 exec, exec, s[12:13]
                                        ; implicit-def: $vgpr5_vgpr6
	s_and_saveexec_b64 s[12:13], s[2:3]
	s_cbranch_execnz .LBB558_37
.LBB558_30:
	s_or_b64 exec, exec, s[12:13]
                                        ; implicit-def: $vgpr9_vgpr10
	s_and_saveexec_b64 s[12:13], s[4:5]
	s_cbranch_execnz .LBB558_42
.LBB558_31:
	s_or_b64 exec, exec, s[12:13]
                                        ; implicit-def: $vgpr7_vgpr8
	s_and_saveexec_b64 s[12:13], s[6:7]
	s_cbranch_execnz .LBB558_47
	s_branch .LBB558_52
.LBB558_32:
	s_andn2_b64 vcc, exec, s[10:11]
	s_cbranch_vccnz .LBB558_36
; %bb.33:
	v_mov_b32_e32 v3, 0
	v_mov_b32_e32 v5, s18
	s_mov_b64 s[14:15], 0
	v_mov_b32_e32 v4, 0
	v_mov_b32_e32 v6, s19
	;; [unrolled: 1-line block ×3, first 2 shown]
.LBB558_34:                             ; =>This Inner Loop Header: Depth=1
	v_sub_co_u32_e32 v8, vcc, v5, v3
	v_subb_co_u32_e32 v9, vcc, v6, v4, vcc
	v_lshrrev_b64 v[10:11], 1, v[8:9]
	v_lshrrev_b64 v[8:9], 6, v[8:9]
	v_add_co_u32_e32 v10, vcc, v10, v3
	v_addc_co_u32_e32 v11, vcc, v11, v4, vcc
	v_add_co_u32_e32 v8, vcc, v10, v8
	v_addc_co_u32_e32 v9, vcc, v11, v9, vcc
	v_lshlrev_b64 v[10:11], 1, v[8:9]
	v_add_co_u32_e32 v10, vcc, s16, v10
	v_addc_co_u32_e32 v11, vcc, v7, v11, vcc
	global_load_ushort v10, v[10:11], off
	v_add_co_u32_e32 v11, vcc, 1, v8
	v_addc_co_u32_e32 v12, vcc, 0, v9, vcc
	s_waitcnt vmcnt(0)
	v_cmp_lt_u16_e32 vcc, v1, v10
	v_cndmask_b32_e32 v6, v6, v9, vcc
	v_cndmask_b32_e32 v5, v5, v8, vcc
	;; [unrolled: 1-line block ×4, first 2 shown]
	v_cmp_ge_u64_e32 vcc, v[3:4], v[5:6]
	s_or_b64 s[14:15], vcc, s[14:15]
	s_andn2_b64 exec, exec, s[14:15]
	s_cbranch_execnz .LBB558_34
; %bb.35:
	s_or_b64 exec, exec, s[14:15]
	s_or_b64 exec, exec, s[12:13]
                                        ; implicit-def: $vgpr5_vgpr6
	s_and_saveexec_b64 s[12:13], s[2:3]
	s_cbranch_execz .LBB558_30
	s_branch .LBB558_37
.LBB558_36:
	v_mov_b32_e32 v3, 0
	v_mov_b32_e32 v4, 0
	s_or_b64 exec, exec, s[12:13]
                                        ; implicit-def: $vgpr5_vgpr6
	s_and_saveexec_b64 s[12:13], s[2:3]
	s_cbranch_execz .LBB558_30
.LBB558_37:
	s_andn2_b64 vcc, exec, s[10:11]
	s_cbranch_vccnz .LBB558_41
; %bb.38:
	v_mov_b32_e32 v5, 0
	v_mov_b32_e32 v7, s18
	s_mov_b64 s[14:15], 0
	v_mov_b32_e32 v6, 0
	v_mov_b32_e32 v8, s19
	;; [unrolled: 1-line block ×3, first 2 shown]
.LBB558_39:                             ; =>This Inner Loop Header: Depth=1
	v_sub_co_u32_e32 v10, vcc, v7, v5
	v_subb_co_u32_e32 v11, vcc, v8, v6, vcc
	v_lshrrev_b64 v[12:13], 1, v[10:11]
	v_lshrrev_b64 v[10:11], 6, v[10:11]
	v_add_co_u32_e32 v12, vcc, v12, v5
	v_addc_co_u32_e32 v13, vcc, v13, v6, vcc
	v_add_co_u32_e32 v10, vcc, v12, v10
	v_addc_co_u32_e32 v11, vcc, v13, v11, vcc
	v_lshlrev_b64 v[12:13], 1, v[10:11]
	v_add_co_u32_e32 v12, vcc, s16, v12
	v_addc_co_u32_e32 v13, vcc, v9, v13, vcc
	global_load_ushort v12, v[12:13], off
	v_add_co_u32_e32 v13, vcc, 1, v10
	v_addc_co_u32_e32 v14, vcc, 0, v11, vcc
	s_waitcnt vmcnt(0)
	v_cmp_lt_u16_sdwa vcc, v1, v12 src0_sel:WORD_1 src1_sel:DWORD
	v_cndmask_b32_e32 v8, v8, v11, vcc
	v_cndmask_b32_e32 v7, v7, v10, vcc
	;; [unrolled: 1-line block ×4, first 2 shown]
	v_cmp_ge_u64_e32 vcc, v[5:6], v[7:8]
	s_or_b64 s[14:15], vcc, s[14:15]
	s_andn2_b64 exec, exec, s[14:15]
	s_cbranch_execnz .LBB558_39
; %bb.40:
	s_or_b64 exec, exec, s[14:15]
	s_or_b64 exec, exec, s[12:13]
                                        ; implicit-def: $vgpr9_vgpr10
	s_and_saveexec_b64 s[12:13], s[4:5]
	s_cbranch_execz .LBB558_31
	s_branch .LBB558_42
.LBB558_41:
	v_mov_b32_e32 v5, 0
	v_mov_b32_e32 v6, 0
	s_or_b64 exec, exec, s[12:13]
                                        ; implicit-def: $vgpr9_vgpr10
	s_and_saveexec_b64 s[12:13], s[4:5]
	s_cbranch_execz .LBB558_31
.LBB558_42:
	s_andn2_b64 vcc, exec, s[10:11]
	s_cbranch_vccnz .LBB558_46
; %bb.43:
	v_mov_b32_e32 v9, 0
	v_mov_b32_e32 v7, s18
	s_mov_b64 s[14:15], 0
	v_mov_b32_e32 v10, 0
	v_mov_b32_e32 v8, s19
	;; [unrolled: 1-line block ×3, first 2 shown]
.LBB558_44:                             ; =>This Inner Loop Header: Depth=1
	v_sub_co_u32_e32 v11, vcc, v7, v9
	v_subb_co_u32_e32 v12, vcc, v8, v10, vcc
	v_lshrrev_b64 v[13:14], 1, v[11:12]
	v_lshrrev_b64 v[11:12], 6, v[11:12]
	v_add_co_u32_e32 v13, vcc, v13, v9
	v_addc_co_u32_e32 v14, vcc, v14, v10, vcc
	v_add_co_u32_e32 v11, vcc, v13, v11
	v_addc_co_u32_e32 v12, vcc, v14, v12, vcc
	v_lshlrev_b64 v[13:14], 1, v[11:12]
	v_add_co_u32_e32 v13, vcc, s16, v13
	v_addc_co_u32_e32 v14, vcc, v1, v14, vcc
	global_load_ushort v13, v[13:14], off
	v_add_co_u32_e32 v14, vcc, 1, v11
	v_addc_co_u32_e32 v15, vcc, 0, v12, vcc
	s_waitcnt vmcnt(0)
	v_cmp_lt_u16_e32 vcc, v2, v13
	v_cndmask_b32_e32 v8, v8, v12, vcc
	v_cndmask_b32_e32 v7, v7, v11, vcc
	;; [unrolled: 1-line block ×4, first 2 shown]
	v_cmp_ge_u64_e32 vcc, v[9:10], v[7:8]
	s_or_b64 s[14:15], vcc, s[14:15]
	s_andn2_b64 exec, exec, s[14:15]
	s_cbranch_execnz .LBB558_44
; %bb.45:
	s_or_b64 exec, exec, s[14:15]
	s_or_b64 exec, exec, s[12:13]
                                        ; implicit-def: $vgpr7_vgpr8
	s_and_saveexec_b64 s[12:13], s[6:7]
	s_cbranch_execnz .LBB558_47
	s_branch .LBB558_52
.LBB558_46:
	v_mov_b32_e32 v9, 0
	v_mov_b32_e32 v10, 0
	s_or_b64 exec, exec, s[12:13]
                                        ; implicit-def: $vgpr7_vgpr8
	s_and_saveexec_b64 s[12:13], s[6:7]
	s_cbranch_execz .LBB558_52
.LBB558_47:
	s_andn2_b64 vcc, exec, s[10:11]
	s_cbranch_vccnz .LBB558_51
; %bb.48:
	v_mov_b32_e32 v7, 0
	v_mov_b32_e32 v11, s18
	s_mov_b64 s[10:11], 0
	v_mov_b32_e32 v8, 0
	v_mov_b32_e32 v12, s19
	;; [unrolled: 1-line block ×3, first 2 shown]
.LBB558_49:                             ; =>This Inner Loop Header: Depth=1
	v_sub_co_u32_e32 v13, vcc, v11, v7
	v_subb_co_u32_e32 v14, vcc, v12, v8, vcc
	v_lshrrev_b64 v[15:16], 1, v[13:14]
	v_lshrrev_b64 v[13:14], 6, v[13:14]
	v_add_co_u32_e32 v15, vcc, v15, v7
	v_addc_co_u32_e32 v16, vcc, v16, v8, vcc
	v_add_co_u32_e32 v13, vcc, v15, v13
	v_addc_co_u32_e32 v14, vcc, v16, v14, vcc
	v_lshlrev_b64 v[15:16], 1, v[13:14]
	v_add_co_u32_e32 v15, vcc, s16, v15
	v_addc_co_u32_e32 v16, vcc, v1, v16, vcc
	global_load_ushort v15, v[15:16], off
	v_add_co_u32_e32 v16, vcc, 1, v13
	v_addc_co_u32_e32 v17, vcc, 0, v14, vcc
	s_waitcnt vmcnt(0)
	v_cmp_lt_u16_sdwa vcc, v2, v15 src0_sel:WORD_1 src1_sel:DWORD
	v_cndmask_b32_e32 v12, v12, v14, vcc
	v_cndmask_b32_e32 v11, v11, v13, vcc
	;; [unrolled: 1-line block ×4, first 2 shown]
	v_cmp_ge_u64_e32 vcc, v[7:8], v[11:12]
	s_or_b64 s[10:11], vcc, s[10:11]
	s_andn2_b64 exec, exec, s[10:11]
	s_cbranch_execnz .LBB558_49
; %bb.50:
	s_or_b64 exec, exec, s[10:11]
	s_branch .LBB558_52
.LBB558_51:
	v_mov_b32_e32 v7, 0
	v_mov_b32_e32 v8, 0
.LBB558_52:
	s_or_b64 exec, exec, s[12:13]
	s_lshl_b64 s[8:9], s[8:9], 3
	s_add_u32 s8, s20, s8
	s_addc_u32 s9, s21, s9
	v_lshlrev_b32_e32 v0, 3, v0
	v_mov_b32_e32 v1, s9
	v_add_co_u32_e32 v11, vcc, s8, v0
	v_addc_co_u32_e32 v12, vcc, 0, v1, vcc
	s_and_saveexec_b64 s[8:9], s[0:1]
	s_xor_b64 s[0:1], exec, s[8:9]
	s_cbranch_execz .LBB558_54
; %bb.53:
	flat_store_dwordx2 v[11:12], v[3:4]
.LBB558_54:
	s_or_b64 exec, exec, s[0:1]
	s_and_saveexec_b64 s[0:1], s[2:3]
	s_cbranch_execz .LBB558_56
; %bb.55:
	flat_store_dwordx2 v[11:12], v[5:6] offset:2048
.LBB558_56:
	s_or_b64 exec, exec, s[0:1]
	s_and_saveexec_b64 s[0:1], s[4:5]
	s_cbranch_execz .LBB558_58
; %bb.57:
	v_add_co_u32_e32 v0, vcc, 0x1000, v11
	v_addc_co_u32_e32 v1, vcc, 0, v12, vcc
	flat_store_dwordx2 v[0:1], v[9:10]
.LBB558_58:
	s_or_b64 exec, exec, s[0:1]
.LBB558_59:
	s_and_saveexec_b64 s[0:1], s[6:7]
	s_cbranch_execnz .LBB558_61
; %bb.60:
	s_endpgm
.LBB558_61:
	v_add_co_u32_e32 v0, vcc, 0x1000, v11
	v_addc_co_u32_e32 v1, vcc, 0, v12, vcc
	flat_store_dwordx2 v[0:1], v[7:8] offset:2048
	s_endpgm
	.section	.rodata,"a",@progbits
	.p2align	6, 0x0
	.amdhsa_kernel _ZN7rocprim17ROCPRIM_400000_NS6detail17trampoline_kernelINS0_14default_configENS1_27upper_bound_config_selectorItlEEZNS1_14transform_implILb0ES3_S5_N6thrust23THRUST_200600_302600_NS6detail15normal_iteratorINS8_7pointerItNS8_11hip_rocprim5par_tENS8_11use_defaultESE_EEEENSA_INSB_IlSD_SE_SE_EEEEZNS1_13binary_searchIS3_S5_NSA_INS8_10device_ptrItEEEESG_SI_NS1_21upper_bound_search_opENS9_16wrapped_functionINS8_6system6detail7generic6detail18binary_search_lessEbEEEE10hipError_tPvRmT1_T2_T3_mmT4_T5_P12ihipStream_tbEUlRKtE_EESV_SZ_S10_mS11_S14_bEUlT_E_NS1_11comp_targetILNS1_3genE2ELNS1_11target_archE906ELNS1_3gpuE6ELNS1_3repE0EEENS1_30default_config_static_selectorELNS0_4arch9wavefront6targetE1EEEvSY_
		.amdhsa_group_segment_fixed_size 0
		.amdhsa_private_segment_fixed_size 0
		.amdhsa_kernarg_size 312
		.amdhsa_user_sgpr_count 6
		.amdhsa_user_sgpr_private_segment_buffer 1
		.amdhsa_user_sgpr_dispatch_ptr 0
		.amdhsa_user_sgpr_queue_ptr 0
		.amdhsa_user_sgpr_kernarg_segment_ptr 1
		.amdhsa_user_sgpr_dispatch_id 0
		.amdhsa_user_sgpr_flat_scratch_init 0
		.amdhsa_user_sgpr_private_segment_size 0
		.amdhsa_uses_dynamic_stack 0
		.amdhsa_system_sgpr_private_segment_wavefront_offset 0
		.amdhsa_system_sgpr_workgroup_id_x 1
		.amdhsa_system_sgpr_workgroup_id_y 0
		.amdhsa_system_sgpr_workgroup_id_z 0
		.amdhsa_system_sgpr_workgroup_info 0
		.amdhsa_system_vgpr_workitem_id 0
		.amdhsa_next_free_vgpr 18
		.amdhsa_next_free_sgpr 22
		.amdhsa_reserve_vcc 1
		.amdhsa_reserve_flat_scratch 0
		.amdhsa_float_round_mode_32 0
		.amdhsa_float_round_mode_16_64 0
		.amdhsa_float_denorm_mode_32 3
		.amdhsa_float_denorm_mode_16_64 3
		.amdhsa_dx10_clamp 1
		.amdhsa_ieee_mode 1
		.amdhsa_fp16_overflow 0
		.amdhsa_exception_fp_ieee_invalid_op 0
		.amdhsa_exception_fp_denorm_src 0
		.amdhsa_exception_fp_ieee_div_zero 0
		.amdhsa_exception_fp_ieee_overflow 0
		.amdhsa_exception_fp_ieee_underflow 0
		.amdhsa_exception_fp_ieee_inexact 0
		.amdhsa_exception_int_div_zero 0
	.end_amdhsa_kernel
	.section	.text._ZN7rocprim17ROCPRIM_400000_NS6detail17trampoline_kernelINS0_14default_configENS1_27upper_bound_config_selectorItlEEZNS1_14transform_implILb0ES3_S5_N6thrust23THRUST_200600_302600_NS6detail15normal_iteratorINS8_7pointerItNS8_11hip_rocprim5par_tENS8_11use_defaultESE_EEEENSA_INSB_IlSD_SE_SE_EEEEZNS1_13binary_searchIS3_S5_NSA_INS8_10device_ptrItEEEESG_SI_NS1_21upper_bound_search_opENS9_16wrapped_functionINS8_6system6detail7generic6detail18binary_search_lessEbEEEE10hipError_tPvRmT1_T2_T3_mmT4_T5_P12ihipStream_tbEUlRKtE_EESV_SZ_S10_mS11_S14_bEUlT_E_NS1_11comp_targetILNS1_3genE2ELNS1_11target_archE906ELNS1_3gpuE6ELNS1_3repE0EEENS1_30default_config_static_selectorELNS0_4arch9wavefront6targetE1EEEvSY_,"axG",@progbits,_ZN7rocprim17ROCPRIM_400000_NS6detail17trampoline_kernelINS0_14default_configENS1_27upper_bound_config_selectorItlEEZNS1_14transform_implILb0ES3_S5_N6thrust23THRUST_200600_302600_NS6detail15normal_iteratorINS8_7pointerItNS8_11hip_rocprim5par_tENS8_11use_defaultESE_EEEENSA_INSB_IlSD_SE_SE_EEEEZNS1_13binary_searchIS3_S5_NSA_INS8_10device_ptrItEEEESG_SI_NS1_21upper_bound_search_opENS9_16wrapped_functionINS8_6system6detail7generic6detail18binary_search_lessEbEEEE10hipError_tPvRmT1_T2_T3_mmT4_T5_P12ihipStream_tbEUlRKtE_EESV_SZ_S10_mS11_S14_bEUlT_E_NS1_11comp_targetILNS1_3genE2ELNS1_11target_archE906ELNS1_3gpuE6ELNS1_3repE0EEENS1_30default_config_static_selectorELNS0_4arch9wavefront6targetE1EEEvSY_,comdat
.Lfunc_end558:
	.size	_ZN7rocprim17ROCPRIM_400000_NS6detail17trampoline_kernelINS0_14default_configENS1_27upper_bound_config_selectorItlEEZNS1_14transform_implILb0ES3_S5_N6thrust23THRUST_200600_302600_NS6detail15normal_iteratorINS8_7pointerItNS8_11hip_rocprim5par_tENS8_11use_defaultESE_EEEENSA_INSB_IlSD_SE_SE_EEEEZNS1_13binary_searchIS3_S5_NSA_INS8_10device_ptrItEEEESG_SI_NS1_21upper_bound_search_opENS9_16wrapped_functionINS8_6system6detail7generic6detail18binary_search_lessEbEEEE10hipError_tPvRmT1_T2_T3_mmT4_T5_P12ihipStream_tbEUlRKtE_EESV_SZ_S10_mS11_S14_bEUlT_E_NS1_11comp_targetILNS1_3genE2ELNS1_11target_archE906ELNS1_3gpuE6ELNS1_3repE0EEENS1_30default_config_static_selectorELNS0_4arch9wavefront6targetE1EEEvSY_, .Lfunc_end558-_ZN7rocprim17ROCPRIM_400000_NS6detail17trampoline_kernelINS0_14default_configENS1_27upper_bound_config_selectorItlEEZNS1_14transform_implILb0ES3_S5_N6thrust23THRUST_200600_302600_NS6detail15normal_iteratorINS8_7pointerItNS8_11hip_rocprim5par_tENS8_11use_defaultESE_EEEENSA_INSB_IlSD_SE_SE_EEEEZNS1_13binary_searchIS3_S5_NSA_INS8_10device_ptrItEEEESG_SI_NS1_21upper_bound_search_opENS9_16wrapped_functionINS8_6system6detail7generic6detail18binary_search_lessEbEEEE10hipError_tPvRmT1_T2_T3_mmT4_T5_P12ihipStream_tbEUlRKtE_EESV_SZ_S10_mS11_S14_bEUlT_E_NS1_11comp_targetILNS1_3genE2ELNS1_11target_archE906ELNS1_3gpuE6ELNS1_3repE0EEENS1_30default_config_static_selectorELNS0_4arch9wavefront6targetE1EEEvSY_
                                        ; -- End function
	.set _ZN7rocprim17ROCPRIM_400000_NS6detail17trampoline_kernelINS0_14default_configENS1_27upper_bound_config_selectorItlEEZNS1_14transform_implILb0ES3_S5_N6thrust23THRUST_200600_302600_NS6detail15normal_iteratorINS8_7pointerItNS8_11hip_rocprim5par_tENS8_11use_defaultESE_EEEENSA_INSB_IlSD_SE_SE_EEEEZNS1_13binary_searchIS3_S5_NSA_INS8_10device_ptrItEEEESG_SI_NS1_21upper_bound_search_opENS9_16wrapped_functionINS8_6system6detail7generic6detail18binary_search_lessEbEEEE10hipError_tPvRmT1_T2_T3_mmT4_T5_P12ihipStream_tbEUlRKtE_EESV_SZ_S10_mS11_S14_bEUlT_E_NS1_11comp_targetILNS1_3genE2ELNS1_11target_archE906ELNS1_3gpuE6ELNS1_3repE0EEENS1_30default_config_static_selectorELNS0_4arch9wavefront6targetE1EEEvSY_.num_vgpr, 18
	.set _ZN7rocprim17ROCPRIM_400000_NS6detail17trampoline_kernelINS0_14default_configENS1_27upper_bound_config_selectorItlEEZNS1_14transform_implILb0ES3_S5_N6thrust23THRUST_200600_302600_NS6detail15normal_iteratorINS8_7pointerItNS8_11hip_rocprim5par_tENS8_11use_defaultESE_EEEENSA_INSB_IlSD_SE_SE_EEEEZNS1_13binary_searchIS3_S5_NSA_INS8_10device_ptrItEEEESG_SI_NS1_21upper_bound_search_opENS9_16wrapped_functionINS8_6system6detail7generic6detail18binary_search_lessEbEEEE10hipError_tPvRmT1_T2_T3_mmT4_T5_P12ihipStream_tbEUlRKtE_EESV_SZ_S10_mS11_S14_bEUlT_E_NS1_11comp_targetILNS1_3genE2ELNS1_11target_archE906ELNS1_3gpuE6ELNS1_3repE0EEENS1_30default_config_static_selectorELNS0_4arch9wavefront6targetE1EEEvSY_.num_agpr, 0
	.set _ZN7rocprim17ROCPRIM_400000_NS6detail17trampoline_kernelINS0_14default_configENS1_27upper_bound_config_selectorItlEEZNS1_14transform_implILb0ES3_S5_N6thrust23THRUST_200600_302600_NS6detail15normal_iteratorINS8_7pointerItNS8_11hip_rocprim5par_tENS8_11use_defaultESE_EEEENSA_INSB_IlSD_SE_SE_EEEEZNS1_13binary_searchIS3_S5_NSA_INS8_10device_ptrItEEEESG_SI_NS1_21upper_bound_search_opENS9_16wrapped_functionINS8_6system6detail7generic6detail18binary_search_lessEbEEEE10hipError_tPvRmT1_T2_T3_mmT4_T5_P12ihipStream_tbEUlRKtE_EESV_SZ_S10_mS11_S14_bEUlT_E_NS1_11comp_targetILNS1_3genE2ELNS1_11target_archE906ELNS1_3gpuE6ELNS1_3repE0EEENS1_30default_config_static_selectorELNS0_4arch9wavefront6targetE1EEEvSY_.numbered_sgpr, 22
	.set _ZN7rocprim17ROCPRIM_400000_NS6detail17trampoline_kernelINS0_14default_configENS1_27upper_bound_config_selectorItlEEZNS1_14transform_implILb0ES3_S5_N6thrust23THRUST_200600_302600_NS6detail15normal_iteratorINS8_7pointerItNS8_11hip_rocprim5par_tENS8_11use_defaultESE_EEEENSA_INSB_IlSD_SE_SE_EEEEZNS1_13binary_searchIS3_S5_NSA_INS8_10device_ptrItEEEESG_SI_NS1_21upper_bound_search_opENS9_16wrapped_functionINS8_6system6detail7generic6detail18binary_search_lessEbEEEE10hipError_tPvRmT1_T2_T3_mmT4_T5_P12ihipStream_tbEUlRKtE_EESV_SZ_S10_mS11_S14_bEUlT_E_NS1_11comp_targetILNS1_3genE2ELNS1_11target_archE906ELNS1_3gpuE6ELNS1_3repE0EEENS1_30default_config_static_selectorELNS0_4arch9wavefront6targetE1EEEvSY_.num_named_barrier, 0
	.set _ZN7rocprim17ROCPRIM_400000_NS6detail17trampoline_kernelINS0_14default_configENS1_27upper_bound_config_selectorItlEEZNS1_14transform_implILb0ES3_S5_N6thrust23THRUST_200600_302600_NS6detail15normal_iteratorINS8_7pointerItNS8_11hip_rocprim5par_tENS8_11use_defaultESE_EEEENSA_INSB_IlSD_SE_SE_EEEEZNS1_13binary_searchIS3_S5_NSA_INS8_10device_ptrItEEEESG_SI_NS1_21upper_bound_search_opENS9_16wrapped_functionINS8_6system6detail7generic6detail18binary_search_lessEbEEEE10hipError_tPvRmT1_T2_T3_mmT4_T5_P12ihipStream_tbEUlRKtE_EESV_SZ_S10_mS11_S14_bEUlT_E_NS1_11comp_targetILNS1_3genE2ELNS1_11target_archE906ELNS1_3gpuE6ELNS1_3repE0EEENS1_30default_config_static_selectorELNS0_4arch9wavefront6targetE1EEEvSY_.private_seg_size, 0
	.set _ZN7rocprim17ROCPRIM_400000_NS6detail17trampoline_kernelINS0_14default_configENS1_27upper_bound_config_selectorItlEEZNS1_14transform_implILb0ES3_S5_N6thrust23THRUST_200600_302600_NS6detail15normal_iteratorINS8_7pointerItNS8_11hip_rocprim5par_tENS8_11use_defaultESE_EEEENSA_INSB_IlSD_SE_SE_EEEEZNS1_13binary_searchIS3_S5_NSA_INS8_10device_ptrItEEEESG_SI_NS1_21upper_bound_search_opENS9_16wrapped_functionINS8_6system6detail7generic6detail18binary_search_lessEbEEEE10hipError_tPvRmT1_T2_T3_mmT4_T5_P12ihipStream_tbEUlRKtE_EESV_SZ_S10_mS11_S14_bEUlT_E_NS1_11comp_targetILNS1_3genE2ELNS1_11target_archE906ELNS1_3gpuE6ELNS1_3repE0EEENS1_30default_config_static_selectorELNS0_4arch9wavefront6targetE1EEEvSY_.uses_vcc, 1
	.set _ZN7rocprim17ROCPRIM_400000_NS6detail17trampoline_kernelINS0_14default_configENS1_27upper_bound_config_selectorItlEEZNS1_14transform_implILb0ES3_S5_N6thrust23THRUST_200600_302600_NS6detail15normal_iteratorINS8_7pointerItNS8_11hip_rocprim5par_tENS8_11use_defaultESE_EEEENSA_INSB_IlSD_SE_SE_EEEEZNS1_13binary_searchIS3_S5_NSA_INS8_10device_ptrItEEEESG_SI_NS1_21upper_bound_search_opENS9_16wrapped_functionINS8_6system6detail7generic6detail18binary_search_lessEbEEEE10hipError_tPvRmT1_T2_T3_mmT4_T5_P12ihipStream_tbEUlRKtE_EESV_SZ_S10_mS11_S14_bEUlT_E_NS1_11comp_targetILNS1_3genE2ELNS1_11target_archE906ELNS1_3gpuE6ELNS1_3repE0EEENS1_30default_config_static_selectorELNS0_4arch9wavefront6targetE1EEEvSY_.uses_flat_scratch, 0
	.set _ZN7rocprim17ROCPRIM_400000_NS6detail17trampoline_kernelINS0_14default_configENS1_27upper_bound_config_selectorItlEEZNS1_14transform_implILb0ES3_S5_N6thrust23THRUST_200600_302600_NS6detail15normal_iteratorINS8_7pointerItNS8_11hip_rocprim5par_tENS8_11use_defaultESE_EEEENSA_INSB_IlSD_SE_SE_EEEEZNS1_13binary_searchIS3_S5_NSA_INS8_10device_ptrItEEEESG_SI_NS1_21upper_bound_search_opENS9_16wrapped_functionINS8_6system6detail7generic6detail18binary_search_lessEbEEEE10hipError_tPvRmT1_T2_T3_mmT4_T5_P12ihipStream_tbEUlRKtE_EESV_SZ_S10_mS11_S14_bEUlT_E_NS1_11comp_targetILNS1_3genE2ELNS1_11target_archE906ELNS1_3gpuE6ELNS1_3repE0EEENS1_30default_config_static_selectorELNS0_4arch9wavefront6targetE1EEEvSY_.has_dyn_sized_stack, 0
	.set _ZN7rocprim17ROCPRIM_400000_NS6detail17trampoline_kernelINS0_14default_configENS1_27upper_bound_config_selectorItlEEZNS1_14transform_implILb0ES3_S5_N6thrust23THRUST_200600_302600_NS6detail15normal_iteratorINS8_7pointerItNS8_11hip_rocprim5par_tENS8_11use_defaultESE_EEEENSA_INSB_IlSD_SE_SE_EEEEZNS1_13binary_searchIS3_S5_NSA_INS8_10device_ptrItEEEESG_SI_NS1_21upper_bound_search_opENS9_16wrapped_functionINS8_6system6detail7generic6detail18binary_search_lessEbEEEE10hipError_tPvRmT1_T2_T3_mmT4_T5_P12ihipStream_tbEUlRKtE_EESV_SZ_S10_mS11_S14_bEUlT_E_NS1_11comp_targetILNS1_3genE2ELNS1_11target_archE906ELNS1_3gpuE6ELNS1_3repE0EEENS1_30default_config_static_selectorELNS0_4arch9wavefront6targetE1EEEvSY_.has_recursion, 0
	.set _ZN7rocprim17ROCPRIM_400000_NS6detail17trampoline_kernelINS0_14default_configENS1_27upper_bound_config_selectorItlEEZNS1_14transform_implILb0ES3_S5_N6thrust23THRUST_200600_302600_NS6detail15normal_iteratorINS8_7pointerItNS8_11hip_rocprim5par_tENS8_11use_defaultESE_EEEENSA_INSB_IlSD_SE_SE_EEEEZNS1_13binary_searchIS3_S5_NSA_INS8_10device_ptrItEEEESG_SI_NS1_21upper_bound_search_opENS9_16wrapped_functionINS8_6system6detail7generic6detail18binary_search_lessEbEEEE10hipError_tPvRmT1_T2_T3_mmT4_T5_P12ihipStream_tbEUlRKtE_EESV_SZ_S10_mS11_S14_bEUlT_E_NS1_11comp_targetILNS1_3genE2ELNS1_11target_archE906ELNS1_3gpuE6ELNS1_3repE0EEENS1_30default_config_static_selectorELNS0_4arch9wavefront6targetE1EEEvSY_.has_indirect_call, 0
	.section	.AMDGPU.csdata,"",@progbits
; Kernel info:
; codeLenInByte = 2136
; TotalNumSgprs: 26
; NumVgprs: 18
; ScratchSize: 0
; MemoryBound: 0
; FloatMode: 240
; IeeeMode: 1
; LDSByteSize: 0 bytes/workgroup (compile time only)
; SGPRBlocks: 3
; VGPRBlocks: 4
; NumSGPRsForWavesPerEU: 26
; NumVGPRsForWavesPerEU: 18
; Occupancy: 10
; WaveLimiterHint : 1
; COMPUTE_PGM_RSRC2:SCRATCH_EN: 0
; COMPUTE_PGM_RSRC2:USER_SGPR: 6
; COMPUTE_PGM_RSRC2:TRAP_HANDLER: 0
; COMPUTE_PGM_RSRC2:TGID_X_EN: 1
; COMPUTE_PGM_RSRC2:TGID_Y_EN: 0
; COMPUTE_PGM_RSRC2:TGID_Z_EN: 0
; COMPUTE_PGM_RSRC2:TIDIG_COMP_CNT: 0
	.section	.text._ZN7rocprim17ROCPRIM_400000_NS6detail17trampoline_kernelINS0_14default_configENS1_27upper_bound_config_selectorItlEEZNS1_14transform_implILb0ES3_S5_N6thrust23THRUST_200600_302600_NS6detail15normal_iteratorINS8_7pointerItNS8_11hip_rocprim5par_tENS8_11use_defaultESE_EEEENSA_INSB_IlSD_SE_SE_EEEEZNS1_13binary_searchIS3_S5_NSA_INS8_10device_ptrItEEEESG_SI_NS1_21upper_bound_search_opENS9_16wrapped_functionINS8_6system6detail7generic6detail18binary_search_lessEbEEEE10hipError_tPvRmT1_T2_T3_mmT4_T5_P12ihipStream_tbEUlRKtE_EESV_SZ_S10_mS11_S14_bEUlT_E_NS1_11comp_targetILNS1_3genE10ELNS1_11target_archE1201ELNS1_3gpuE5ELNS1_3repE0EEENS1_30default_config_static_selectorELNS0_4arch9wavefront6targetE1EEEvSY_,"axG",@progbits,_ZN7rocprim17ROCPRIM_400000_NS6detail17trampoline_kernelINS0_14default_configENS1_27upper_bound_config_selectorItlEEZNS1_14transform_implILb0ES3_S5_N6thrust23THRUST_200600_302600_NS6detail15normal_iteratorINS8_7pointerItNS8_11hip_rocprim5par_tENS8_11use_defaultESE_EEEENSA_INSB_IlSD_SE_SE_EEEEZNS1_13binary_searchIS3_S5_NSA_INS8_10device_ptrItEEEESG_SI_NS1_21upper_bound_search_opENS9_16wrapped_functionINS8_6system6detail7generic6detail18binary_search_lessEbEEEE10hipError_tPvRmT1_T2_T3_mmT4_T5_P12ihipStream_tbEUlRKtE_EESV_SZ_S10_mS11_S14_bEUlT_E_NS1_11comp_targetILNS1_3genE10ELNS1_11target_archE1201ELNS1_3gpuE5ELNS1_3repE0EEENS1_30default_config_static_selectorELNS0_4arch9wavefront6targetE1EEEvSY_,comdat
	.protected	_ZN7rocprim17ROCPRIM_400000_NS6detail17trampoline_kernelINS0_14default_configENS1_27upper_bound_config_selectorItlEEZNS1_14transform_implILb0ES3_S5_N6thrust23THRUST_200600_302600_NS6detail15normal_iteratorINS8_7pointerItNS8_11hip_rocprim5par_tENS8_11use_defaultESE_EEEENSA_INSB_IlSD_SE_SE_EEEEZNS1_13binary_searchIS3_S5_NSA_INS8_10device_ptrItEEEESG_SI_NS1_21upper_bound_search_opENS9_16wrapped_functionINS8_6system6detail7generic6detail18binary_search_lessEbEEEE10hipError_tPvRmT1_T2_T3_mmT4_T5_P12ihipStream_tbEUlRKtE_EESV_SZ_S10_mS11_S14_bEUlT_E_NS1_11comp_targetILNS1_3genE10ELNS1_11target_archE1201ELNS1_3gpuE5ELNS1_3repE0EEENS1_30default_config_static_selectorELNS0_4arch9wavefront6targetE1EEEvSY_ ; -- Begin function _ZN7rocprim17ROCPRIM_400000_NS6detail17trampoline_kernelINS0_14default_configENS1_27upper_bound_config_selectorItlEEZNS1_14transform_implILb0ES3_S5_N6thrust23THRUST_200600_302600_NS6detail15normal_iteratorINS8_7pointerItNS8_11hip_rocprim5par_tENS8_11use_defaultESE_EEEENSA_INSB_IlSD_SE_SE_EEEEZNS1_13binary_searchIS3_S5_NSA_INS8_10device_ptrItEEEESG_SI_NS1_21upper_bound_search_opENS9_16wrapped_functionINS8_6system6detail7generic6detail18binary_search_lessEbEEEE10hipError_tPvRmT1_T2_T3_mmT4_T5_P12ihipStream_tbEUlRKtE_EESV_SZ_S10_mS11_S14_bEUlT_E_NS1_11comp_targetILNS1_3genE10ELNS1_11target_archE1201ELNS1_3gpuE5ELNS1_3repE0EEENS1_30default_config_static_selectorELNS0_4arch9wavefront6targetE1EEEvSY_
	.globl	_ZN7rocprim17ROCPRIM_400000_NS6detail17trampoline_kernelINS0_14default_configENS1_27upper_bound_config_selectorItlEEZNS1_14transform_implILb0ES3_S5_N6thrust23THRUST_200600_302600_NS6detail15normal_iteratorINS8_7pointerItNS8_11hip_rocprim5par_tENS8_11use_defaultESE_EEEENSA_INSB_IlSD_SE_SE_EEEEZNS1_13binary_searchIS3_S5_NSA_INS8_10device_ptrItEEEESG_SI_NS1_21upper_bound_search_opENS9_16wrapped_functionINS8_6system6detail7generic6detail18binary_search_lessEbEEEE10hipError_tPvRmT1_T2_T3_mmT4_T5_P12ihipStream_tbEUlRKtE_EESV_SZ_S10_mS11_S14_bEUlT_E_NS1_11comp_targetILNS1_3genE10ELNS1_11target_archE1201ELNS1_3gpuE5ELNS1_3repE0EEENS1_30default_config_static_selectorELNS0_4arch9wavefront6targetE1EEEvSY_
	.p2align	8
	.type	_ZN7rocprim17ROCPRIM_400000_NS6detail17trampoline_kernelINS0_14default_configENS1_27upper_bound_config_selectorItlEEZNS1_14transform_implILb0ES3_S5_N6thrust23THRUST_200600_302600_NS6detail15normal_iteratorINS8_7pointerItNS8_11hip_rocprim5par_tENS8_11use_defaultESE_EEEENSA_INSB_IlSD_SE_SE_EEEEZNS1_13binary_searchIS3_S5_NSA_INS8_10device_ptrItEEEESG_SI_NS1_21upper_bound_search_opENS9_16wrapped_functionINS8_6system6detail7generic6detail18binary_search_lessEbEEEE10hipError_tPvRmT1_T2_T3_mmT4_T5_P12ihipStream_tbEUlRKtE_EESV_SZ_S10_mS11_S14_bEUlT_E_NS1_11comp_targetILNS1_3genE10ELNS1_11target_archE1201ELNS1_3gpuE5ELNS1_3repE0EEENS1_30default_config_static_selectorELNS0_4arch9wavefront6targetE1EEEvSY_,@function
_ZN7rocprim17ROCPRIM_400000_NS6detail17trampoline_kernelINS0_14default_configENS1_27upper_bound_config_selectorItlEEZNS1_14transform_implILb0ES3_S5_N6thrust23THRUST_200600_302600_NS6detail15normal_iteratorINS8_7pointerItNS8_11hip_rocprim5par_tENS8_11use_defaultESE_EEEENSA_INSB_IlSD_SE_SE_EEEEZNS1_13binary_searchIS3_S5_NSA_INS8_10device_ptrItEEEESG_SI_NS1_21upper_bound_search_opENS9_16wrapped_functionINS8_6system6detail7generic6detail18binary_search_lessEbEEEE10hipError_tPvRmT1_T2_T3_mmT4_T5_P12ihipStream_tbEUlRKtE_EESV_SZ_S10_mS11_S14_bEUlT_E_NS1_11comp_targetILNS1_3genE10ELNS1_11target_archE1201ELNS1_3gpuE5ELNS1_3repE0EEENS1_30default_config_static_selectorELNS0_4arch9wavefront6targetE1EEEvSY_: ; @_ZN7rocprim17ROCPRIM_400000_NS6detail17trampoline_kernelINS0_14default_configENS1_27upper_bound_config_selectorItlEEZNS1_14transform_implILb0ES3_S5_N6thrust23THRUST_200600_302600_NS6detail15normal_iteratorINS8_7pointerItNS8_11hip_rocprim5par_tENS8_11use_defaultESE_EEEENSA_INSB_IlSD_SE_SE_EEEEZNS1_13binary_searchIS3_S5_NSA_INS8_10device_ptrItEEEESG_SI_NS1_21upper_bound_search_opENS9_16wrapped_functionINS8_6system6detail7generic6detail18binary_search_lessEbEEEE10hipError_tPvRmT1_T2_T3_mmT4_T5_P12ihipStream_tbEUlRKtE_EESV_SZ_S10_mS11_S14_bEUlT_E_NS1_11comp_targetILNS1_3genE10ELNS1_11target_archE1201ELNS1_3gpuE5ELNS1_3repE0EEENS1_30default_config_static_selectorELNS0_4arch9wavefront6targetE1EEEvSY_
; %bb.0:
	.section	.rodata,"a",@progbits
	.p2align	6, 0x0
	.amdhsa_kernel _ZN7rocprim17ROCPRIM_400000_NS6detail17trampoline_kernelINS0_14default_configENS1_27upper_bound_config_selectorItlEEZNS1_14transform_implILb0ES3_S5_N6thrust23THRUST_200600_302600_NS6detail15normal_iteratorINS8_7pointerItNS8_11hip_rocprim5par_tENS8_11use_defaultESE_EEEENSA_INSB_IlSD_SE_SE_EEEEZNS1_13binary_searchIS3_S5_NSA_INS8_10device_ptrItEEEESG_SI_NS1_21upper_bound_search_opENS9_16wrapped_functionINS8_6system6detail7generic6detail18binary_search_lessEbEEEE10hipError_tPvRmT1_T2_T3_mmT4_T5_P12ihipStream_tbEUlRKtE_EESV_SZ_S10_mS11_S14_bEUlT_E_NS1_11comp_targetILNS1_3genE10ELNS1_11target_archE1201ELNS1_3gpuE5ELNS1_3repE0EEENS1_30default_config_static_selectorELNS0_4arch9wavefront6targetE1EEEvSY_
		.amdhsa_group_segment_fixed_size 0
		.amdhsa_private_segment_fixed_size 0
		.amdhsa_kernarg_size 56
		.amdhsa_user_sgpr_count 6
		.amdhsa_user_sgpr_private_segment_buffer 1
		.amdhsa_user_sgpr_dispatch_ptr 0
		.amdhsa_user_sgpr_queue_ptr 0
		.amdhsa_user_sgpr_kernarg_segment_ptr 1
		.amdhsa_user_sgpr_dispatch_id 0
		.amdhsa_user_sgpr_flat_scratch_init 0
		.amdhsa_user_sgpr_private_segment_size 0
		.amdhsa_uses_dynamic_stack 0
		.amdhsa_system_sgpr_private_segment_wavefront_offset 0
		.amdhsa_system_sgpr_workgroup_id_x 1
		.amdhsa_system_sgpr_workgroup_id_y 0
		.amdhsa_system_sgpr_workgroup_id_z 0
		.amdhsa_system_sgpr_workgroup_info 0
		.amdhsa_system_vgpr_workitem_id 0
		.amdhsa_next_free_vgpr 1
		.amdhsa_next_free_sgpr 0
		.amdhsa_reserve_vcc 0
		.amdhsa_reserve_flat_scratch 0
		.amdhsa_float_round_mode_32 0
		.amdhsa_float_round_mode_16_64 0
		.amdhsa_float_denorm_mode_32 3
		.amdhsa_float_denorm_mode_16_64 3
		.amdhsa_dx10_clamp 1
		.amdhsa_ieee_mode 1
		.amdhsa_fp16_overflow 0
		.amdhsa_exception_fp_ieee_invalid_op 0
		.amdhsa_exception_fp_denorm_src 0
		.amdhsa_exception_fp_ieee_div_zero 0
		.amdhsa_exception_fp_ieee_overflow 0
		.amdhsa_exception_fp_ieee_underflow 0
		.amdhsa_exception_fp_ieee_inexact 0
		.amdhsa_exception_int_div_zero 0
	.end_amdhsa_kernel
	.section	.text._ZN7rocprim17ROCPRIM_400000_NS6detail17trampoline_kernelINS0_14default_configENS1_27upper_bound_config_selectorItlEEZNS1_14transform_implILb0ES3_S5_N6thrust23THRUST_200600_302600_NS6detail15normal_iteratorINS8_7pointerItNS8_11hip_rocprim5par_tENS8_11use_defaultESE_EEEENSA_INSB_IlSD_SE_SE_EEEEZNS1_13binary_searchIS3_S5_NSA_INS8_10device_ptrItEEEESG_SI_NS1_21upper_bound_search_opENS9_16wrapped_functionINS8_6system6detail7generic6detail18binary_search_lessEbEEEE10hipError_tPvRmT1_T2_T3_mmT4_T5_P12ihipStream_tbEUlRKtE_EESV_SZ_S10_mS11_S14_bEUlT_E_NS1_11comp_targetILNS1_3genE10ELNS1_11target_archE1201ELNS1_3gpuE5ELNS1_3repE0EEENS1_30default_config_static_selectorELNS0_4arch9wavefront6targetE1EEEvSY_,"axG",@progbits,_ZN7rocprim17ROCPRIM_400000_NS6detail17trampoline_kernelINS0_14default_configENS1_27upper_bound_config_selectorItlEEZNS1_14transform_implILb0ES3_S5_N6thrust23THRUST_200600_302600_NS6detail15normal_iteratorINS8_7pointerItNS8_11hip_rocprim5par_tENS8_11use_defaultESE_EEEENSA_INSB_IlSD_SE_SE_EEEEZNS1_13binary_searchIS3_S5_NSA_INS8_10device_ptrItEEEESG_SI_NS1_21upper_bound_search_opENS9_16wrapped_functionINS8_6system6detail7generic6detail18binary_search_lessEbEEEE10hipError_tPvRmT1_T2_T3_mmT4_T5_P12ihipStream_tbEUlRKtE_EESV_SZ_S10_mS11_S14_bEUlT_E_NS1_11comp_targetILNS1_3genE10ELNS1_11target_archE1201ELNS1_3gpuE5ELNS1_3repE0EEENS1_30default_config_static_selectorELNS0_4arch9wavefront6targetE1EEEvSY_,comdat
.Lfunc_end559:
	.size	_ZN7rocprim17ROCPRIM_400000_NS6detail17trampoline_kernelINS0_14default_configENS1_27upper_bound_config_selectorItlEEZNS1_14transform_implILb0ES3_S5_N6thrust23THRUST_200600_302600_NS6detail15normal_iteratorINS8_7pointerItNS8_11hip_rocprim5par_tENS8_11use_defaultESE_EEEENSA_INSB_IlSD_SE_SE_EEEEZNS1_13binary_searchIS3_S5_NSA_INS8_10device_ptrItEEEESG_SI_NS1_21upper_bound_search_opENS9_16wrapped_functionINS8_6system6detail7generic6detail18binary_search_lessEbEEEE10hipError_tPvRmT1_T2_T3_mmT4_T5_P12ihipStream_tbEUlRKtE_EESV_SZ_S10_mS11_S14_bEUlT_E_NS1_11comp_targetILNS1_3genE10ELNS1_11target_archE1201ELNS1_3gpuE5ELNS1_3repE0EEENS1_30default_config_static_selectorELNS0_4arch9wavefront6targetE1EEEvSY_, .Lfunc_end559-_ZN7rocprim17ROCPRIM_400000_NS6detail17trampoline_kernelINS0_14default_configENS1_27upper_bound_config_selectorItlEEZNS1_14transform_implILb0ES3_S5_N6thrust23THRUST_200600_302600_NS6detail15normal_iteratorINS8_7pointerItNS8_11hip_rocprim5par_tENS8_11use_defaultESE_EEEENSA_INSB_IlSD_SE_SE_EEEEZNS1_13binary_searchIS3_S5_NSA_INS8_10device_ptrItEEEESG_SI_NS1_21upper_bound_search_opENS9_16wrapped_functionINS8_6system6detail7generic6detail18binary_search_lessEbEEEE10hipError_tPvRmT1_T2_T3_mmT4_T5_P12ihipStream_tbEUlRKtE_EESV_SZ_S10_mS11_S14_bEUlT_E_NS1_11comp_targetILNS1_3genE10ELNS1_11target_archE1201ELNS1_3gpuE5ELNS1_3repE0EEENS1_30default_config_static_selectorELNS0_4arch9wavefront6targetE1EEEvSY_
                                        ; -- End function
	.set _ZN7rocprim17ROCPRIM_400000_NS6detail17trampoline_kernelINS0_14default_configENS1_27upper_bound_config_selectorItlEEZNS1_14transform_implILb0ES3_S5_N6thrust23THRUST_200600_302600_NS6detail15normal_iteratorINS8_7pointerItNS8_11hip_rocprim5par_tENS8_11use_defaultESE_EEEENSA_INSB_IlSD_SE_SE_EEEEZNS1_13binary_searchIS3_S5_NSA_INS8_10device_ptrItEEEESG_SI_NS1_21upper_bound_search_opENS9_16wrapped_functionINS8_6system6detail7generic6detail18binary_search_lessEbEEEE10hipError_tPvRmT1_T2_T3_mmT4_T5_P12ihipStream_tbEUlRKtE_EESV_SZ_S10_mS11_S14_bEUlT_E_NS1_11comp_targetILNS1_3genE10ELNS1_11target_archE1201ELNS1_3gpuE5ELNS1_3repE0EEENS1_30default_config_static_selectorELNS0_4arch9wavefront6targetE1EEEvSY_.num_vgpr, 0
	.set _ZN7rocprim17ROCPRIM_400000_NS6detail17trampoline_kernelINS0_14default_configENS1_27upper_bound_config_selectorItlEEZNS1_14transform_implILb0ES3_S5_N6thrust23THRUST_200600_302600_NS6detail15normal_iteratorINS8_7pointerItNS8_11hip_rocprim5par_tENS8_11use_defaultESE_EEEENSA_INSB_IlSD_SE_SE_EEEEZNS1_13binary_searchIS3_S5_NSA_INS8_10device_ptrItEEEESG_SI_NS1_21upper_bound_search_opENS9_16wrapped_functionINS8_6system6detail7generic6detail18binary_search_lessEbEEEE10hipError_tPvRmT1_T2_T3_mmT4_T5_P12ihipStream_tbEUlRKtE_EESV_SZ_S10_mS11_S14_bEUlT_E_NS1_11comp_targetILNS1_3genE10ELNS1_11target_archE1201ELNS1_3gpuE5ELNS1_3repE0EEENS1_30default_config_static_selectorELNS0_4arch9wavefront6targetE1EEEvSY_.num_agpr, 0
	.set _ZN7rocprim17ROCPRIM_400000_NS6detail17trampoline_kernelINS0_14default_configENS1_27upper_bound_config_selectorItlEEZNS1_14transform_implILb0ES3_S5_N6thrust23THRUST_200600_302600_NS6detail15normal_iteratorINS8_7pointerItNS8_11hip_rocprim5par_tENS8_11use_defaultESE_EEEENSA_INSB_IlSD_SE_SE_EEEEZNS1_13binary_searchIS3_S5_NSA_INS8_10device_ptrItEEEESG_SI_NS1_21upper_bound_search_opENS9_16wrapped_functionINS8_6system6detail7generic6detail18binary_search_lessEbEEEE10hipError_tPvRmT1_T2_T3_mmT4_T5_P12ihipStream_tbEUlRKtE_EESV_SZ_S10_mS11_S14_bEUlT_E_NS1_11comp_targetILNS1_3genE10ELNS1_11target_archE1201ELNS1_3gpuE5ELNS1_3repE0EEENS1_30default_config_static_selectorELNS0_4arch9wavefront6targetE1EEEvSY_.numbered_sgpr, 0
	.set _ZN7rocprim17ROCPRIM_400000_NS6detail17trampoline_kernelINS0_14default_configENS1_27upper_bound_config_selectorItlEEZNS1_14transform_implILb0ES3_S5_N6thrust23THRUST_200600_302600_NS6detail15normal_iteratorINS8_7pointerItNS8_11hip_rocprim5par_tENS8_11use_defaultESE_EEEENSA_INSB_IlSD_SE_SE_EEEEZNS1_13binary_searchIS3_S5_NSA_INS8_10device_ptrItEEEESG_SI_NS1_21upper_bound_search_opENS9_16wrapped_functionINS8_6system6detail7generic6detail18binary_search_lessEbEEEE10hipError_tPvRmT1_T2_T3_mmT4_T5_P12ihipStream_tbEUlRKtE_EESV_SZ_S10_mS11_S14_bEUlT_E_NS1_11comp_targetILNS1_3genE10ELNS1_11target_archE1201ELNS1_3gpuE5ELNS1_3repE0EEENS1_30default_config_static_selectorELNS0_4arch9wavefront6targetE1EEEvSY_.num_named_barrier, 0
	.set _ZN7rocprim17ROCPRIM_400000_NS6detail17trampoline_kernelINS0_14default_configENS1_27upper_bound_config_selectorItlEEZNS1_14transform_implILb0ES3_S5_N6thrust23THRUST_200600_302600_NS6detail15normal_iteratorINS8_7pointerItNS8_11hip_rocprim5par_tENS8_11use_defaultESE_EEEENSA_INSB_IlSD_SE_SE_EEEEZNS1_13binary_searchIS3_S5_NSA_INS8_10device_ptrItEEEESG_SI_NS1_21upper_bound_search_opENS9_16wrapped_functionINS8_6system6detail7generic6detail18binary_search_lessEbEEEE10hipError_tPvRmT1_T2_T3_mmT4_T5_P12ihipStream_tbEUlRKtE_EESV_SZ_S10_mS11_S14_bEUlT_E_NS1_11comp_targetILNS1_3genE10ELNS1_11target_archE1201ELNS1_3gpuE5ELNS1_3repE0EEENS1_30default_config_static_selectorELNS0_4arch9wavefront6targetE1EEEvSY_.private_seg_size, 0
	.set _ZN7rocprim17ROCPRIM_400000_NS6detail17trampoline_kernelINS0_14default_configENS1_27upper_bound_config_selectorItlEEZNS1_14transform_implILb0ES3_S5_N6thrust23THRUST_200600_302600_NS6detail15normal_iteratorINS8_7pointerItNS8_11hip_rocprim5par_tENS8_11use_defaultESE_EEEENSA_INSB_IlSD_SE_SE_EEEEZNS1_13binary_searchIS3_S5_NSA_INS8_10device_ptrItEEEESG_SI_NS1_21upper_bound_search_opENS9_16wrapped_functionINS8_6system6detail7generic6detail18binary_search_lessEbEEEE10hipError_tPvRmT1_T2_T3_mmT4_T5_P12ihipStream_tbEUlRKtE_EESV_SZ_S10_mS11_S14_bEUlT_E_NS1_11comp_targetILNS1_3genE10ELNS1_11target_archE1201ELNS1_3gpuE5ELNS1_3repE0EEENS1_30default_config_static_selectorELNS0_4arch9wavefront6targetE1EEEvSY_.uses_vcc, 0
	.set _ZN7rocprim17ROCPRIM_400000_NS6detail17trampoline_kernelINS0_14default_configENS1_27upper_bound_config_selectorItlEEZNS1_14transform_implILb0ES3_S5_N6thrust23THRUST_200600_302600_NS6detail15normal_iteratorINS8_7pointerItNS8_11hip_rocprim5par_tENS8_11use_defaultESE_EEEENSA_INSB_IlSD_SE_SE_EEEEZNS1_13binary_searchIS3_S5_NSA_INS8_10device_ptrItEEEESG_SI_NS1_21upper_bound_search_opENS9_16wrapped_functionINS8_6system6detail7generic6detail18binary_search_lessEbEEEE10hipError_tPvRmT1_T2_T3_mmT4_T5_P12ihipStream_tbEUlRKtE_EESV_SZ_S10_mS11_S14_bEUlT_E_NS1_11comp_targetILNS1_3genE10ELNS1_11target_archE1201ELNS1_3gpuE5ELNS1_3repE0EEENS1_30default_config_static_selectorELNS0_4arch9wavefront6targetE1EEEvSY_.uses_flat_scratch, 0
	.set _ZN7rocprim17ROCPRIM_400000_NS6detail17trampoline_kernelINS0_14default_configENS1_27upper_bound_config_selectorItlEEZNS1_14transform_implILb0ES3_S5_N6thrust23THRUST_200600_302600_NS6detail15normal_iteratorINS8_7pointerItNS8_11hip_rocprim5par_tENS8_11use_defaultESE_EEEENSA_INSB_IlSD_SE_SE_EEEEZNS1_13binary_searchIS3_S5_NSA_INS8_10device_ptrItEEEESG_SI_NS1_21upper_bound_search_opENS9_16wrapped_functionINS8_6system6detail7generic6detail18binary_search_lessEbEEEE10hipError_tPvRmT1_T2_T3_mmT4_T5_P12ihipStream_tbEUlRKtE_EESV_SZ_S10_mS11_S14_bEUlT_E_NS1_11comp_targetILNS1_3genE10ELNS1_11target_archE1201ELNS1_3gpuE5ELNS1_3repE0EEENS1_30default_config_static_selectorELNS0_4arch9wavefront6targetE1EEEvSY_.has_dyn_sized_stack, 0
	.set _ZN7rocprim17ROCPRIM_400000_NS6detail17trampoline_kernelINS0_14default_configENS1_27upper_bound_config_selectorItlEEZNS1_14transform_implILb0ES3_S5_N6thrust23THRUST_200600_302600_NS6detail15normal_iteratorINS8_7pointerItNS8_11hip_rocprim5par_tENS8_11use_defaultESE_EEEENSA_INSB_IlSD_SE_SE_EEEEZNS1_13binary_searchIS3_S5_NSA_INS8_10device_ptrItEEEESG_SI_NS1_21upper_bound_search_opENS9_16wrapped_functionINS8_6system6detail7generic6detail18binary_search_lessEbEEEE10hipError_tPvRmT1_T2_T3_mmT4_T5_P12ihipStream_tbEUlRKtE_EESV_SZ_S10_mS11_S14_bEUlT_E_NS1_11comp_targetILNS1_3genE10ELNS1_11target_archE1201ELNS1_3gpuE5ELNS1_3repE0EEENS1_30default_config_static_selectorELNS0_4arch9wavefront6targetE1EEEvSY_.has_recursion, 0
	.set _ZN7rocprim17ROCPRIM_400000_NS6detail17trampoline_kernelINS0_14default_configENS1_27upper_bound_config_selectorItlEEZNS1_14transform_implILb0ES3_S5_N6thrust23THRUST_200600_302600_NS6detail15normal_iteratorINS8_7pointerItNS8_11hip_rocprim5par_tENS8_11use_defaultESE_EEEENSA_INSB_IlSD_SE_SE_EEEEZNS1_13binary_searchIS3_S5_NSA_INS8_10device_ptrItEEEESG_SI_NS1_21upper_bound_search_opENS9_16wrapped_functionINS8_6system6detail7generic6detail18binary_search_lessEbEEEE10hipError_tPvRmT1_T2_T3_mmT4_T5_P12ihipStream_tbEUlRKtE_EESV_SZ_S10_mS11_S14_bEUlT_E_NS1_11comp_targetILNS1_3genE10ELNS1_11target_archE1201ELNS1_3gpuE5ELNS1_3repE0EEENS1_30default_config_static_selectorELNS0_4arch9wavefront6targetE1EEEvSY_.has_indirect_call, 0
	.section	.AMDGPU.csdata,"",@progbits
; Kernel info:
; codeLenInByte = 0
; TotalNumSgprs: 4
; NumVgprs: 0
; ScratchSize: 0
; MemoryBound: 0
; FloatMode: 240
; IeeeMode: 1
; LDSByteSize: 0 bytes/workgroup (compile time only)
; SGPRBlocks: 0
; VGPRBlocks: 0
; NumSGPRsForWavesPerEU: 4
; NumVGPRsForWavesPerEU: 1
; Occupancy: 10
; WaveLimiterHint : 0
; COMPUTE_PGM_RSRC2:SCRATCH_EN: 0
; COMPUTE_PGM_RSRC2:USER_SGPR: 6
; COMPUTE_PGM_RSRC2:TRAP_HANDLER: 0
; COMPUTE_PGM_RSRC2:TGID_X_EN: 1
; COMPUTE_PGM_RSRC2:TGID_Y_EN: 0
; COMPUTE_PGM_RSRC2:TGID_Z_EN: 0
; COMPUTE_PGM_RSRC2:TIDIG_COMP_CNT: 0
	.section	.text._ZN7rocprim17ROCPRIM_400000_NS6detail17trampoline_kernelINS0_14default_configENS1_27upper_bound_config_selectorItlEEZNS1_14transform_implILb0ES3_S5_N6thrust23THRUST_200600_302600_NS6detail15normal_iteratorINS8_7pointerItNS8_11hip_rocprim5par_tENS8_11use_defaultESE_EEEENSA_INSB_IlSD_SE_SE_EEEEZNS1_13binary_searchIS3_S5_NSA_INS8_10device_ptrItEEEESG_SI_NS1_21upper_bound_search_opENS9_16wrapped_functionINS8_6system6detail7generic6detail18binary_search_lessEbEEEE10hipError_tPvRmT1_T2_T3_mmT4_T5_P12ihipStream_tbEUlRKtE_EESV_SZ_S10_mS11_S14_bEUlT_E_NS1_11comp_targetILNS1_3genE10ELNS1_11target_archE1200ELNS1_3gpuE4ELNS1_3repE0EEENS1_30default_config_static_selectorELNS0_4arch9wavefront6targetE1EEEvSY_,"axG",@progbits,_ZN7rocprim17ROCPRIM_400000_NS6detail17trampoline_kernelINS0_14default_configENS1_27upper_bound_config_selectorItlEEZNS1_14transform_implILb0ES3_S5_N6thrust23THRUST_200600_302600_NS6detail15normal_iteratorINS8_7pointerItNS8_11hip_rocprim5par_tENS8_11use_defaultESE_EEEENSA_INSB_IlSD_SE_SE_EEEEZNS1_13binary_searchIS3_S5_NSA_INS8_10device_ptrItEEEESG_SI_NS1_21upper_bound_search_opENS9_16wrapped_functionINS8_6system6detail7generic6detail18binary_search_lessEbEEEE10hipError_tPvRmT1_T2_T3_mmT4_T5_P12ihipStream_tbEUlRKtE_EESV_SZ_S10_mS11_S14_bEUlT_E_NS1_11comp_targetILNS1_3genE10ELNS1_11target_archE1200ELNS1_3gpuE4ELNS1_3repE0EEENS1_30default_config_static_selectorELNS0_4arch9wavefront6targetE1EEEvSY_,comdat
	.protected	_ZN7rocprim17ROCPRIM_400000_NS6detail17trampoline_kernelINS0_14default_configENS1_27upper_bound_config_selectorItlEEZNS1_14transform_implILb0ES3_S5_N6thrust23THRUST_200600_302600_NS6detail15normal_iteratorINS8_7pointerItNS8_11hip_rocprim5par_tENS8_11use_defaultESE_EEEENSA_INSB_IlSD_SE_SE_EEEEZNS1_13binary_searchIS3_S5_NSA_INS8_10device_ptrItEEEESG_SI_NS1_21upper_bound_search_opENS9_16wrapped_functionINS8_6system6detail7generic6detail18binary_search_lessEbEEEE10hipError_tPvRmT1_T2_T3_mmT4_T5_P12ihipStream_tbEUlRKtE_EESV_SZ_S10_mS11_S14_bEUlT_E_NS1_11comp_targetILNS1_3genE10ELNS1_11target_archE1200ELNS1_3gpuE4ELNS1_3repE0EEENS1_30default_config_static_selectorELNS0_4arch9wavefront6targetE1EEEvSY_ ; -- Begin function _ZN7rocprim17ROCPRIM_400000_NS6detail17trampoline_kernelINS0_14default_configENS1_27upper_bound_config_selectorItlEEZNS1_14transform_implILb0ES3_S5_N6thrust23THRUST_200600_302600_NS6detail15normal_iteratorINS8_7pointerItNS8_11hip_rocprim5par_tENS8_11use_defaultESE_EEEENSA_INSB_IlSD_SE_SE_EEEEZNS1_13binary_searchIS3_S5_NSA_INS8_10device_ptrItEEEESG_SI_NS1_21upper_bound_search_opENS9_16wrapped_functionINS8_6system6detail7generic6detail18binary_search_lessEbEEEE10hipError_tPvRmT1_T2_T3_mmT4_T5_P12ihipStream_tbEUlRKtE_EESV_SZ_S10_mS11_S14_bEUlT_E_NS1_11comp_targetILNS1_3genE10ELNS1_11target_archE1200ELNS1_3gpuE4ELNS1_3repE0EEENS1_30default_config_static_selectorELNS0_4arch9wavefront6targetE1EEEvSY_
	.globl	_ZN7rocprim17ROCPRIM_400000_NS6detail17trampoline_kernelINS0_14default_configENS1_27upper_bound_config_selectorItlEEZNS1_14transform_implILb0ES3_S5_N6thrust23THRUST_200600_302600_NS6detail15normal_iteratorINS8_7pointerItNS8_11hip_rocprim5par_tENS8_11use_defaultESE_EEEENSA_INSB_IlSD_SE_SE_EEEEZNS1_13binary_searchIS3_S5_NSA_INS8_10device_ptrItEEEESG_SI_NS1_21upper_bound_search_opENS9_16wrapped_functionINS8_6system6detail7generic6detail18binary_search_lessEbEEEE10hipError_tPvRmT1_T2_T3_mmT4_T5_P12ihipStream_tbEUlRKtE_EESV_SZ_S10_mS11_S14_bEUlT_E_NS1_11comp_targetILNS1_3genE10ELNS1_11target_archE1200ELNS1_3gpuE4ELNS1_3repE0EEENS1_30default_config_static_selectorELNS0_4arch9wavefront6targetE1EEEvSY_
	.p2align	8
	.type	_ZN7rocprim17ROCPRIM_400000_NS6detail17trampoline_kernelINS0_14default_configENS1_27upper_bound_config_selectorItlEEZNS1_14transform_implILb0ES3_S5_N6thrust23THRUST_200600_302600_NS6detail15normal_iteratorINS8_7pointerItNS8_11hip_rocprim5par_tENS8_11use_defaultESE_EEEENSA_INSB_IlSD_SE_SE_EEEEZNS1_13binary_searchIS3_S5_NSA_INS8_10device_ptrItEEEESG_SI_NS1_21upper_bound_search_opENS9_16wrapped_functionINS8_6system6detail7generic6detail18binary_search_lessEbEEEE10hipError_tPvRmT1_T2_T3_mmT4_T5_P12ihipStream_tbEUlRKtE_EESV_SZ_S10_mS11_S14_bEUlT_E_NS1_11comp_targetILNS1_3genE10ELNS1_11target_archE1200ELNS1_3gpuE4ELNS1_3repE0EEENS1_30default_config_static_selectorELNS0_4arch9wavefront6targetE1EEEvSY_,@function
_ZN7rocprim17ROCPRIM_400000_NS6detail17trampoline_kernelINS0_14default_configENS1_27upper_bound_config_selectorItlEEZNS1_14transform_implILb0ES3_S5_N6thrust23THRUST_200600_302600_NS6detail15normal_iteratorINS8_7pointerItNS8_11hip_rocprim5par_tENS8_11use_defaultESE_EEEENSA_INSB_IlSD_SE_SE_EEEEZNS1_13binary_searchIS3_S5_NSA_INS8_10device_ptrItEEEESG_SI_NS1_21upper_bound_search_opENS9_16wrapped_functionINS8_6system6detail7generic6detail18binary_search_lessEbEEEE10hipError_tPvRmT1_T2_T3_mmT4_T5_P12ihipStream_tbEUlRKtE_EESV_SZ_S10_mS11_S14_bEUlT_E_NS1_11comp_targetILNS1_3genE10ELNS1_11target_archE1200ELNS1_3gpuE4ELNS1_3repE0EEENS1_30default_config_static_selectorELNS0_4arch9wavefront6targetE1EEEvSY_: ; @_ZN7rocprim17ROCPRIM_400000_NS6detail17trampoline_kernelINS0_14default_configENS1_27upper_bound_config_selectorItlEEZNS1_14transform_implILb0ES3_S5_N6thrust23THRUST_200600_302600_NS6detail15normal_iteratorINS8_7pointerItNS8_11hip_rocprim5par_tENS8_11use_defaultESE_EEEENSA_INSB_IlSD_SE_SE_EEEEZNS1_13binary_searchIS3_S5_NSA_INS8_10device_ptrItEEEESG_SI_NS1_21upper_bound_search_opENS9_16wrapped_functionINS8_6system6detail7generic6detail18binary_search_lessEbEEEE10hipError_tPvRmT1_T2_T3_mmT4_T5_P12ihipStream_tbEUlRKtE_EESV_SZ_S10_mS11_S14_bEUlT_E_NS1_11comp_targetILNS1_3genE10ELNS1_11target_archE1200ELNS1_3gpuE4ELNS1_3repE0EEENS1_30default_config_static_selectorELNS0_4arch9wavefront6targetE1EEEvSY_
; %bb.0:
	.section	.rodata,"a",@progbits
	.p2align	6, 0x0
	.amdhsa_kernel _ZN7rocprim17ROCPRIM_400000_NS6detail17trampoline_kernelINS0_14default_configENS1_27upper_bound_config_selectorItlEEZNS1_14transform_implILb0ES3_S5_N6thrust23THRUST_200600_302600_NS6detail15normal_iteratorINS8_7pointerItNS8_11hip_rocprim5par_tENS8_11use_defaultESE_EEEENSA_INSB_IlSD_SE_SE_EEEEZNS1_13binary_searchIS3_S5_NSA_INS8_10device_ptrItEEEESG_SI_NS1_21upper_bound_search_opENS9_16wrapped_functionINS8_6system6detail7generic6detail18binary_search_lessEbEEEE10hipError_tPvRmT1_T2_T3_mmT4_T5_P12ihipStream_tbEUlRKtE_EESV_SZ_S10_mS11_S14_bEUlT_E_NS1_11comp_targetILNS1_3genE10ELNS1_11target_archE1200ELNS1_3gpuE4ELNS1_3repE0EEENS1_30default_config_static_selectorELNS0_4arch9wavefront6targetE1EEEvSY_
		.amdhsa_group_segment_fixed_size 0
		.amdhsa_private_segment_fixed_size 0
		.amdhsa_kernarg_size 56
		.amdhsa_user_sgpr_count 6
		.amdhsa_user_sgpr_private_segment_buffer 1
		.amdhsa_user_sgpr_dispatch_ptr 0
		.amdhsa_user_sgpr_queue_ptr 0
		.amdhsa_user_sgpr_kernarg_segment_ptr 1
		.amdhsa_user_sgpr_dispatch_id 0
		.amdhsa_user_sgpr_flat_scratch_init 0
		.amdhsa_user_sgpr_private_segment_size 0
		.amdhsa_uses_dynamic_stack 0
		.amdhsa_system_sgpr_private_segment_wavefront_offset 0
		.amdhsa_system_sgpr_workgroup_id_x 1
		.amdhsa_system_sgpr_workgroup_id_y 0
		.amdhsa_system_sgpr_workgroup_id_z 0
		.amdhsa_system_sgpr_workgroup_info 0
		.amdhsa_system_vgpr_workitem_id 0
		.amdhsa_next_free_vgpr 1
		.amdhsa_next_free_sgpr 0
		.amdhsa_reserve_vcc 0
		.amdhsa_reserve_flat_scratch 0
		.amdhsa_float_round_mode_32 0
		.amdhsa_float_round_mode_16_64 0
		.amdhsa_float_denorm_mode_32 3
		.amdhsa_float_denorm_mode_16_64 3
		.amdhsa_dx10_clamp 1
		.amdhsa_ieee_mode 1
		.amdhsa_fp16_overflow 0
		.amdhsa_exception_fp_ieee_invalid_op 0
		.amdhsa_exception_fp_denorm_src 0
		.amdhsa_exception_fp_ieee_div_zero 0
		.amdhsa_exception_fp_ieee_overflow 0
		.amdhsa_exception_fp_ieee_underflow 0
		.amdhsa_exception_fp_ieee_inexact 0
		.amdhsa_exception_int_div_zero 0
	.end_amdhsa_kernel
	.section	.text._ZN7rocprim17ROCPRIM_400000_NS6detail17trampoline_kernelINS0_14default_configENS1_27upper_bound_config_selectorItlEEZNS1_14transform_implILb0ES3_S5_N6thrust23THRUST_200600_302600_NS6detail15normal_iteratorINS8_7pointerItNS8_11hip_rocprim5par_tENS8_11use_defaultESE_EEEENSA_INSB_IlSD_SE_SE_EEEEZNS1_13binary_searchIS3_S5_NSA_INS8_10device_ptrItEEEESG_SI_NS1_21upper_bound_search_opENS9_16wrapped_functionINS8_6system6detail7generic6detail18binary_search_lessEbEEEE10hipError_tPvRmT1_T2_T3_mmT4_T5_P12ihipStream_tbEUlRKtE_EESV_SZ_S10_mS11_S14_bEUlT_E_NS1_11comp_targetILNS1_3genE10ELNS1_11target_archE1200ELNS1_3gpuE4ELNS1_3repE0EEENS1_30default_config_static_selectorELNS0_4arch9wavefront6targetE1EEEvSY_,"axG",@progbits,_ZN7rocprim17ROCPRIM_400000_NS6detail17trampoline_kernelINS0_14default_configENS1_27upper_bound_config_selectorItlEEZNS1_14transform_implILb0ES3_S5_N6thrust23THRUST_200600_302600_NS6detail15normal_iteratorINS8_7pointerItNS8_11hip_rocprim5par_tENS8_11use_defaultESE_EEEENSA_INSB_IlSD_SE_SE_EEEEZNS1_13binary_searchIS3_S5_NSA_INS8_10device_ptrItEEEESG_SI_NS1_21upper_bound_search_opENS9_16wrapped_functionINS8_6system6detail7generic6detail18binary_search_lessEbEEEE10hipError_tPvRmT1_T2_T3_mmT4_T5_P12ihipStream_tbEUlRKtE_EESV_SZ_S10_mS11_S14_bEUlT_E_NS1_11comp_targetILNS1_3genE10ELNS1_11target_archE1200ELNS1_3gpuE4ELNS1_3repE0EEENS1_30default_config_static_selectorELNS0_4arch9wavefront6targetE1EEEvSY_,comdat
.Lfunc_end560:
	.size	_ZN7rocprim17ROCPRIM_400000_NS6detail17trampoline_kernelINS0_14default_configENS1_27upper_bound_config_selectorItlEEZNS1_14transform_implILb0ES3_S5_N6thrust23THRUST_200600_302600_NS6detail15normal_iteratorINS8_7pointerItNS8_11hip_rocprim5par_tENS8_11use_defaultESE_EEEENSA_INSB_IlSD_SE_SE_EEEEZNS1_13binary_searchIS3_S5_NSA_INS8_10device_ptrItEEEESG_SI_NS1_21upper_bound_search_opENS9_16wrapped_functionINS8_6system6detail7generic6detail18binary_search_lessEbEEEE10hipError_tPvRmT1_T2_T3_mmT4_T5_P12ihipStream_tbEUlRKtE_EESV_SZ_S10_mS11_S14_bEUlT_E_NS1_11comp_targetILNS1_3genE10ELNS1_11target_archE1200ELNS1_3gpuE4ELNS1_3repE0EEENS1_30default_config_static_selectorELNS0_4arch9wavefront6targetE1EEEvSY_, .Lfunc_end560-_ZN7rocprim17ROCPRIM_400000_NS6detail17trampoline_kernelINS0_14default_configENS1_27upper_bound_config_selectorItlEEZNS1_14transform_implILb0ES3_S5_N6thrust23THRUST_200600_302600_NS6detail15normal_iteratorINS8_7pointerItNS8_11hip_rocprim5par_tENS8_11use_defaultESE_EEEENSA_INSB_IlSD_SE_SE_EEEEZNS1_13binary_searchIS3_S5_NSA_INS8_10device_ptrItEEEESG_SI_NS1_21upper_bound_search_opENS9_16wrapped_functionINS8_6system6detail7generic6detail18binary_search_lessEbEEEE10hipError_tPvRmT1_T2_T3_mmT4_T5_P12ihipStream_tbEUlRKtE_EESV_SZ_S10_mS11_S14_bEUlT_E_NS1_11comp_targetILNS1_3genE10ELNS1_11target_archE1200ELNS1_3gpuE4ELNS1_3repE0EEENS1_30default_config_static_selectorELNS0_4arch9wavefront6targetE1EEEvSY_
                                        ; -- End function
	.set _ZN7rocprim17ROCPRIM_400000_NS6detail17trampoline_kernelINS0_14default_configENS1_27upper_bound_config_selectorItlEEZNS1_14transform_implILb0ES3_S5_N6thrust23THRUST_200600_302600_NS6detail15normal_iteratorINS8_7pointerItNS8_11hip_rocprim5par_tENS8_11use_defaultESE_EEEENSA_INSB_IlSD_SE_SE_EEEEZNS1_13binary_searchIS3_S5_NSA_INS8_10device_ptrItEEEESG_SI_NS1_21upper_bound_search_opENS9_16wrapped_functionINS8_6system6detail7generic6detail18binary_search_lessEbEEEE10hipError_tPvRmT1_T2_T3_mmT4_T5_P12ihipStream_tbEUlRKtE_EESV_SZ_S10_mS11_S14_bEUlT_E_NS1_11comp_targetILNS1_3genE10ELNS1_11target_archE1200ELNS1_3gpuE4ELNS1_3repE0EEENS1_30default_config_static_selectorELNS0_4arch9wavefront6targetE1EEEvSY_.num_vgpr, 0
	.set _ZN7rocprim17ROCPRIM_400000_NS6detail17trampoline_kernelINS0_14default_configENS1_27upper_bound_config_selectorItlEEZNS1_14transform_implILb0ES3_S5_N6thrust23THRUST_200600_302600_NS6detail15normal_iteratorINS8_7pointerItNS8_11hip_rocprim5par_tENS8_11use_defaultESE_EEEENSA_INSB_IlSD_SE_SE_EEEEZNS1_13binary_searchIS3_S5_NSA_INS8_10device_ptrItEEEESG_SI_NS1_21upper_bound_search_opENS9_16wrapped_functionINS8_6system6detail7generic6detail18binary_search_lessEbEEEE10hipError_tPvRmT1_T2_T3_mmT4_T5_P12ihipStream_tbEUlRKtE_EESV_SZ_S10_mS11_S14_bEUlT_E_NS1_11comp_targetILNS1_3genE10ELNS1_11target_archE1200ELNS1_3gpuE4ELNS1_3repE0EEENS1_30default_config_static_selectorELNS0_4arch9wavefront6targetE1EEEvSY_.num_agpr, 0
	.set _ZN7rocprim17ROCPRIM_400000_NS6detail17trampoline_kernelINS0_14default_configENS1_27upper_bound_config_selectorItlEEZNS1_14transform_implILb0ES3_S5_N6thrust23THRUST_200600_302600_NS6detail15normal_iteratorINS8_7pointerItNS8_11hip_rocprim5par_tENS8_11use_defaultESE_EEEENSA_INSB_IlSD_SE_SE_EEEEZNS1_13binary_searchIS3_S5_NSA_INS8_10device_ptrItEEEESG_SI_NS1_21upper_bound_search_opENS9_16wrapped_functionINS8_6system6detail7generic6detail18binary_search_lessEbEEEE10hipError_tPvRmT1_T2_T3_mmT4_T5_P12ihipStream_tbEUlRKtE_EESV_SZ_S10_mS11_S14_bEUlT_E_NS1_11comp_targetILNS1_3genE10ELNS1_11target_archE1200ELNS1_3gpuE4ELNS1_3repE0EEENS1_30default_config_static_selectorELNS0_4arch9wavefront6targetE1EEEvSY_.numbered_sgpr, 0
	.set _ZN7rocprim17ROCPRIM_400000_NS6detail17trampoline_kernelINS0_14default_configENS1_27upper_bound_config_selectorItlEEZNS1_14transform_implILb0ES3_S5_N6thrust23THRUST_200600_302600_NS6detail15normal_iteratorINS8_7pointerItNS8_11hip_rocprim5par_tENS8_11use_defaultESE_EEEENSA_INSB_IlSD_SE_SE_EEEEZNS1_13binary_searchIS3_S5_NSA_INS8_10device_ptrItEEEESG_SI_NS1_21upper_bound_search_opENS9_16wrapped_functionINS8_6system6detail7generic6detail18binary_search_lessEbEEEE10hipError_tPvRmT1_T2_T3_mmT4_T5_P12ihipStream_tbEUlRKtE_EESV_SZ_S10_mS11_S14_bEUlT_E_NS1_11comp_targetILNS1_3genE10ELNS1_11target_archE1200ELNS1_3gpuE4ELNS1_3repE0EEENS1_30default_config_static_selectorELNS0_4arch9wavefront6targetE1EEEvSY_.num_named_barrier, 0
	.set _ZN7rocprim17ROCPRIM_400000_NS6detail17trampoline_kernelINS0_14default_configENS1_27upper_bound_config_selectorItlEEZNS1_14transform_implILb0ES3_S5_N6thrust23THRUST_200600_302600_NS6detail15normal_iteratorINS8_7pointerItNS8_11hip_rocprim5par_tENS8_11use_defaultESE_EEEENSA_INSB_IlSD_SE_SE_EEEEZNS1_13binary_searchIS3_S5_NSA_INS8_10device_ptrItEEEESG_SI_NS1_21upper_bound_search_opENS9_16wrapped_functionINS8_6system6detail7generic6detail18binary_search_lessEbEEEE10hipError_tPvRmT1_T2_T3_mmT4_T5_P12ihipStream_tbEUlRKtE_EESV_SZ_S10_mS11_S14_bEUlT_E_NS1_11comp_targetILNS1_3genE10ELNS1_11target_archE1200ELNS1_3gpuE4ELNS1_3repE0EEENS1_30default_config_static_selectorELNS0_4arch9wavefront6targetE1EEEvSY_.private_seg_size, 0
	.set _ZN7rocprim17ROCPRIM_400000_NS6detail17trampoline_kernelINS0_14default_configENS1_27upper_bound_config_selectorItlEEZNS1_14transform_implILb0ES3_S5_N6thrust23THRUST_200600_302600_NS6detail15normal_iteratorINS8_7pointerItNS8_11hip_rocprim5par_tENS8_11use_defaultESE_EEEENSA_INSB_IlSD_SE_SE_EEEEZNS1_13binary_searchIS3_S5_NSA_INS8_10device_ptrItEEEESG_SI_NS1_21upper_bound_search_opENS9_16wrapped_functionINS8_6system6detail7generic6detail18binary_search_lessEbEEEE10hipError_tPvRmT1_T2_T3_mmT4_T5_P12ihipStream_tbEUlRKtE_EESV_SZ_S10_mS11_S14_bEUlT_E_NS1_11comp_targetILNS1_3genE10ELNS1_11target_archE1200ELNS1_3gpuE4ELNS1_3repE0EEENS1_30default_config_static_selectorELNS0_4arch9wavefront6targetE1EEEvSY_.uses_vcc, 0
	.set _ZN7rocprim17ROCPRIM_400000_NS6detail17trampoline_kernelINS0_14default_configENS1_27upper_bound_config_selectorItlEEZNS1_14transform_implILb0ES3_S5_N6thrust23THRUST_200600_302600_NS6detail15normal_iteratorINS8_7pointerItNS8_11hip_rocprim5par_tENS8_11use_defaultESE_EEEENSA_INSB_IlSD_SE_SE_EEEEZNS1_13binary_searchIS3_S5_NSA_INS8_10device_ptrItEEEESG_SI_NS1_21upper_bound_search_opENS9_16wrapped_functionINS8_6system6detail7generic6detail18binary_search_lessEbEEEE10hipError_tPvRmT1_T2_T3_mmT4_T5_P12ihipStream_tbEUlRKtE_EESV_SZ_S10_mS11_S14_bEUlT_E_NS1_11comp_targetILNS1_3genE10ELNS1_11target_archE1200ELNS1_3gpuE4ELNS1_3repE0EEENS1_30default_config_static_selectorELNS0_4arch9wavefront6targetE1EEEvSY_.uses_flat_scratch, 0
	.set _ZN7rocprim17ROCPRIM_400000_NS6detail17trampoline_kernelINS0_14default_configENS1_27upper_bound_config_selectorItlEEZNS1_14transform_implILb0ES3_S5_N6thrust23THRUST_200600_302600_NS6detail15normal_iteratorINS8_7pointerItNS8_11hip_rocprim5par_tENS8_11use_defaultESE_EEEENSA_INSB_IlSD_SE_SE_EEEEZNS1_13binary_searchIS3_S5_NSA_INS8_10device_ptrItEEEESG_SI_NS1_21upper_bound_search_opENS9_16wrapped_functionINS8_6system6detail7generic6detail18binary_search_lessEbEEEE10hipError_tPvRmT1_T2_T3_mmT4_T5_P12ihipStream_tbEUlRKtE_EESV_SZ_S10_mS11_S14_bEUlT_E_NS1_11comp_targetILNS1_3genE10ELNS1_11target_archE1200ELNS1_3gpuE4ELNS1_3repE0EEENS1_30default_config_static_selectorELNS0_4arch9wavefront6targetE1EEEvSY_.has_dyn_sized_stack, 0
	.set _ZN7rocprim17ROCPRIM_400000_NS6detail17trampoline_kernelINS0_14default_configENS1_27upper_bound_config_selectorItlEEZNS1_14transform_implILb0ES3_S5_N6thrust23THRUST_200600_302600_NS6detail15normal_iteratorINS8_7pointerItNS8_11hip_rocprim5par_tENS8_11use_defaultESE_EEEENSA_INSB_IlSD_SE_SE_EEEEZNS1_13binary_searchIS3_S5_NSA_INS8_10device_ptrItEEEESG_SI_NS1_21upper_bound_search_opENS9_16wrapped_functionINS8_6system6detail7generic6detail18binary_search_lessEbEEEE10hipError_tPvRmT1_T2_T3_mmT4_T5_P12ihipStream_tbEUlRKtE_EESV_SZ_S10_mS11_S14_bEUlT_E_NS1_11comp_targetILNS1_3genE10ELNS1_11target_archE1200ELNS1_3gpuE4ELNS1_3repE0EEENS1_30default_config_static_selectorELNS0_4arch9wavefront6targetE1EEEvSY_.has_recursion, 0
	.set _ZN7rocprim17ROCPRIM_400000_NS6detail17trampoline_kernelINS0_14default_configENS1_27upper_bound_config_selectorItlEEZNS1_14transform_implILb0ES3_S5_N6thrust23THRUST_200600_302600_NS6detail15normal_iteratorINS8_7pointerItNS8_11hip_rocprim5par_tENS8_11use_defaultESE_EEEENSA_INSB_IlSD_SE_SE_EEEEZNS1_13binary_searchIS3_S5_NSA_INS8_10device_ptrItEEEESG_SI_NS1_21upper_bound_search_opENS9_16wrapped_functionINS8_6system6detail7generic6detail18binary_search_lessEbEEEE10hipError_tPvRmT1_T2_T3_mmT4_T5_P12ihipStream_tbEUlRKtE_EESV_SZ_S10_mS11_S14_bEUlT_E_NS1_11comp_targetILNS1_3genE10ELNS1_11target_archE1200ELNS1_3gpuE4ELNS1_3repE0EEENS1_30default_config_static_selectorELNS0_4arch9wavefront6targetE1EEEvSY_.has_indirect_call, 0
	.section	.AMDGPU.csdata,"",@progbits
; Kernel info:
; codeLenInByte = 0
; TotalNumSgprs: 4
; NumVgprs: 0
; ScratchSize: 0
; MemoryBound: 0
; FloatMode: 240
; IeeeMode: 1
; LDSByteSize: 0 bytes/workgroup (compile time only)
; SGPRBlocks: 0
; VGPRBlocks: 0
; NumSGPRsForWavesPerEU: 4
; NumVGPRsForWavesPerEU: 1
; Occupancy: 10
; WaveLimiterHint : 0
; COMPUTE_PGM_RSRC2:SCRATCH_EN: 0
; COMPUTE_PGM_RSRC2:USER_SGPR: 6
; COMPUTE_PGM_RSRC2:TRAP_HANDLER: 0
; COMPUTE_PGM_RSRC2:TGID_X_EN: 1
; COMPUTE_PGM_RSRC2:TGID_Y_EN: 0
; COMPUTE_PGM_RSRC2:TGID_Z_EN: 0
; COMPUTE_PGM_RSRC2:TIDIG_COMP_CNT: 0
	.section	.text._ZN7rocprim17ROCPRIM_400000_NS6detail17trampoline_kernelINS0_14default_configENS1_27upper_bound_config_selectorItlEEZNS1_14transform_implILb0ES3_S5_N6thrust23THRUST_200600_302600_NS6detail15normal_iteratorINS8_7pointerItNS8_11hip_rocprim5par_tENS8_11use_defaultESE_EEEENSA_INSB_IlSD_SE_SE_EEEEZNS1_13binary_searchIS3_S5_NSA_INS8_10device_ptrItEEEESG_SI_NS1_21upper_bound_search_opENS9_16wrapped_functionINS8_6system6detail7generic6detail18binary_search_lessEbEEEE10hipError_tPvRmT1_T2_T3_mmT4_T5_P12ihipStream_tbEUlRKtE_EESV_SZ_S10_mS11_S14_bEUlT_E_NS1_11comp_targetILNS1_3genE9ELNS1_11target_archE1100ELNS1_3gpuE3ELNS1_3repE0EEENS1_30default_config_static_selectorELNS0_4arch9wavefront6targetE1EEEvSY_,"axG",@progbits,_ZN7rocprim17ROCPRIM_400000_NS6detail17trampoline_kernelINS0_14default_configENS1_27upper_bound_config_selectorItlEEZNS1_14transform_implILb0ES3_S5_N6thrust23THRUST_200600_302600_NS6detail15normal_iteratorINS8_7pointerItNS8_11hip_rocprim5par_tENS8_11use_defaultESE_EEEENSA_INSB_IlSD_SE_SE_EEEEZNS1_13binary_searchIS3_S5_NSA_INS8_10device_ptrItEEEESG_SI_NS1_21upper_bound_search_opENS9_16wrapped_functionINS8_6system6detail7generic6detail18binary_search_lessEbEEEE10hipError_tPvRmT1_T2_T3_mmT4_T5_P12ihipStream_tbEUlRKtE_EESV_SZ_S10_mS11_S14_bEUlT_E_NS1_11comp_targetILNS1_3genE9ELNS1_11target_archE1100ELNS1_3gpuE3ELNS1_3repE0EEENS1_30default_config_static_selectorELNS0_4arch9wavefront6targetE1EEEvSY_,comdat
	.protected	_ZN7rocprim17ROCPRIM_400000_NS6detail17trampoline_kernelINS0_14default_configENS1_27upper_bound_config_selectorItlEEZNS1_14transform_implILb0ES3_S5_N6thrust23THRUST_200600_302600_NS6detail15normal_iteratorINS8_7pointerItNS8_11hip_rocprim5par_tENS8_11use_defaultESE_EEEENSA_INSB_IlSD_SE_SE_EEEEZNS1_13binary_searchIS3_S5_NSA_INS8_10device_ptrItEEEESG_SI_NS1_21upper_bound_search_opENS9_16wrapped_functionINS8_6system6detail7generic6detail18binary_search_lessEbEEEE10hipError_tPvRmT1_T2_T3_mmT4_T5_P12ihipStream_tbEUlRKtE_EESV_SZ_S10_mS11_S14_bEUlT_E_NS1_11comp_targetILNS1_3genE9ELNS1_11target_archE1100ELNS1_3gpuE3ELNS1_3repE0EEENS1_30default_config_static_selectorELNS0_4arch9wavefront6targetE1EEEvSY_ ; -- Begin function _ZN7rocprim17ROCPRIM_400000_NS6detail17trampoline_kernelINS0_14default_configENS1_27upper_bound_config_selectorItlEEZNS1_14transform_implILb0ES3_S5_N6thrust23THRUST_200600_302600_NS6detail15normal_iteratorINS8_7pointerItNS8_11hip_rocprim5par_tENS8_11use_defaultESE_EEEENSA_INSB_IlSD_SE_SE_EEEEZNS1_13binary_searchIS3_S5_NSA_INS8_10device_ptrItEEEESG_SI_NS1_21upper_bound_search_opENS9_16wrapped_functionINS8_6system6detail7generic6detail18binary_search_lessEbEEEE10hipError_tPvRmT1_T2_T3_mmT4_T5_P12ihipStream_tbEUlRKtE_EESV_SZ_S10_mS11_S14_bEUlT_E_NS1_11comp_targetILNS1_3genE9ELNS1_11target_archE1100ELNS1_3gpuE3ELNS1_3repE0EEENS1_30default_config_static_selectorELNS0_4arch9wavefront6targetE1EEEvSY_
	.globl	_ZN7rocprim17ROCPRIM_400000_NS6detail17trampoline_kernelINS0_14default_configENS1_27upper_bound_config_selectorItlEEZNS1_14transform_implILb0ES3_S5_N6thrust23THRUST_200600_302600_NS6detail15normal_iteratorINS8_7pointerItNS8_11hip_rocprim5par_tENS8_11use_defaultESE_EEEENSA_INSB_IlSD_SE_SE_EEEEZNS1_13binary_searchIS3_S5_NSA_INS8_10device_ptrItEEEESG_SI_NS1_21upper_bound_search_opENS9_16wrapped_functionINS8_6system6detail7generic6detail18binary_search_lessEbEEEE10hipError_tPvRmT1_T2_T3_mmT4_T5_P12ihipStream_tbEUlRKtE_EESV_SZ_S10_mS11_S14_bEUlT_E_NS1_11comp_targetILNS1_3genE9ELNS1_11target_archE1100ELNS1_3gpuE3ELNS1_3repE0EEENS1_30default_config_static_selectorELNS0_4arch9wavefront6targetE1EEEvSY_
	.p2align	8
	.type	_ZN7rocprim17ROCPRIM_400000_NS6detail17trampoline_kernelINS0_14default_configENS1_27upper_bound_config_selectorItlEEZNS1_14transform_implILb0ES3_S5_N6thrust23THRUST_200600_302600_NS6detail15normal_iteratorINS8_7pointerItNS8_11hip_rocprim5par_tENS8_11use_defaultESE_EEEENSA_INSB_IlSD_SE_SE_EEEEZNS1_13binary_searchIS3_S5_NSA_INS8_10device_ptrItEEEESG_SI_NS1_21upper_bound_search_opENS9_16wrapped_functionINS8_6system6detail7generic6detail18binary_search_lessEbEEEE10hipError_tPvRmT1_T2_T3_mmT4_T5_P12ihipStream_tbEUlRKtE_EESV_SZ_S10_mS11_S14_bEUlT_E_NS1_11comp_targetILNS1_3genE9ELNS1_11target_archE1100ELNS1_3gpuE3ELNS1_3repE0EEENS1_30default_config_static_selectorELNS0_4arch9wavefront6targetE1EEEvSY_,@function
_ZN7rocprim17ROCPRIM_400000_NS6detail17trampoline_kernelINS0_14default_configENS1_27upper_bound_config_selectorItlEEZNS1_14transform_implILb0ES3_S5_N6thrust23THRUST_200600_302600_NS6detail15normal_iteratorINS8_7pointerItNS8_11hip_rocprim5par_tENS8_11use_defaultESE_EEEENSA_INSB_IlSD_SE_SE_EEEEZNS1_13binary_searchIS3_S5_NSA_INS8_10device_ptrItEEEESG_SI_NS1_21upper_bound_search_opENS9_16wrapped_functionINS8_6system6detail7generic6detail18binary_search_lessEbEEEE10hipError_tPvRmT1_T2_T3_mmT4_T5_P12ihipStream_tbEUlRKtE_EESV_SZ_S10_mS11_S14_bEUlT_E_NS1_11comp_targetILNS1_3genE9ELNS1_11target_archE1100ELNS1_3gpuE3ELNS1_3repE0EEENS1_30default_config_static_selectorELNS0_4arch9wavefront6targetE1EEEvSY_: ; @_ZN7rocprim17ROCPRIM_400000_NS6detail17trampoline_kernelINS0_14default_configENS1_27upper_bound_config_selectorItlEEZNS1_14transform_implILb0ES3_S5_N6thrust23THRUST_200600_302600_NS6detail15normal_iteratorINS8_7pointerItNS8_11hip_rocprim5par_tENS8_11use_defaultESE_EEEENSA_INSB_IlSD_SE_SE_EEEEZNS1_13binary_searchIS3_S5_NSA_INS8_10device_ptrItEEEESG_SI_NS1_21upper_bound_search_opENS9_16wrapped_functionINS8_6system6detail7generic6detail18binary_search_lessEbEEEE10hipError_tPvRmT1_T2_T3_mmT4_T5_P12ihipStream_tbEUlRKtE_EESV_SZ_S10_mS11_S14_bEUlT_E_NS1_11comp_targetILNS1_3genE9ELNS1_11target_archE1100ELNS1_3gpuE3ELNS1_3repE0EEENS1_30default_config_static_selectorELNS0_4arch9wavefront6targetE1EEEvSY_
; %bb.0:
	.section	.rodata,"a",@progbits
	.p2align	6, 0x0
	.amdhsa_kernel _ZN7rocprim17ROCPRIM_400000_NS6detail17trampoline_kernelINS0_14default_configENS1_27upper_bound_config_selectorItlEEZNS1_14transform_implILb0ES3_S5_N6thrust23THRUST_200600_302600_NS6detail15normal_iteratorINS8_7pointerItNS8_11hip_rocprim5par_tENS8_11use_defaultESE_EEEENSA_INSB_IlSD_SE_SE_EEEEZNS1_13binary_searchIS3_S5_NSA_INS8_10device_ptrItEEEESG_SI_NS1_21upper_bound_search_opENS9_16wrapped_functionINS8_6system6detail7generic6detail18binary_search_lessEbEEEE10hipError_tPvRmT1_T2_T3_mmT4_T5_P12ihipStream_tbEUlRKtE_EESV_SZ_S10_mS11_S14_bEUlT_E_NS1_11comp_targetILNS1_3genE9ELNS1_11target_archE1100ELNS1_3gpuE3ELNS1_3repE0EEENS1_30default_config_static_selectorELNS0_4arch9wavefront6targetE1EEEvSY_
		.amdhsa_group_segment_fixed_size 0
		.amdhsa_private_segment_fixed_size 0
		.amdhsa_kernarg_size 56
		.amdhsa_user_sgpr_count 6
		.amdhsa_user_sgpr_private_segment_buffer 1
		.amdhsa_user_sgpr_dispatch_ptr 0
		.amdhsa_user_sgpr_queue_ptr 0
		.amdhsa_user_sgpr_kernarg_segment_ptr 1
		.amdhsa_user_sgpr_dispatch_id 0
		.amdhsa_user_sgpr_flat_scratch_init 0
		.amdhsa_user_sgpr_private_segment_size 0
		.amdhsa_uses_dynamic_stack 0
		.amdhsa_system_sgpr_private_segment_wavefront_offset 0
		.amdhsa_system_sgpr_workgroup_id_x 1
		.amdhsa_system_sgpr_workgroup_id_y 0
		.amdhsa_system_sgpr_workgroup_id_z 0
		.amdhsa_system_sgpr_workgroup_info 0
		.amdhsa_system_vgpr_workitem_id 0
		.amdhsa_next_free_vgpr 1
		.amdhsa_next_free_sgpr 0
		.amdhsa_reserve_vcc 0
		.amdhsa_reserve_flat_scratch 0
		.amdhsa_float_round_mode_32 0
		.amdhsa_float_round_mode_16_64 0
		.amdhsa_float_denorm_mode_32 3
		.amdhsa_float_denorm_mode_16_64 3
		.amdhsa_dx10_clamp 1
		.amdhsa_ieee_mode 1
		.amdhsa_fp16_overflow 0
		.amdhsa_exception_fp_ieee_invalid_op 0
		.amdhsa_exception_fp_denorm_src 0
		.amdhsa_exception_fp_ieee_div_zero 0
		.amdhsa_exception_fp_ieee_overflow 0
		.amdhsa_exception_fp_ieee_underflow 0
		.amdhsa_exception_fp_ieee_inexact 0
		.amdhsa_exception_int_div_zero 0
	.end_amdhsa_kernel
	.section	.text._ZN7rocprim17ROCPRIM_400000_NS6detail17trampoline_kernelINS0_14default_configENS1_27upper_bound_config_selectorItlEEZNS1_14transform_implILb0ES3_S5_N6thrust23THRUST_200600_302600_NS6detail15normal_iteratorINS8_7pointerItNS8_11hip_rocprim5par_tENS8_11use_defaultESE_EEEENSA_INSB_IlSD_SE_SE_EEEEZNS1_13binary_searchIS3_S5_NSA_INS8_10device_ptrItEEEESG_SI_NS1_21upper_bound_search_opENS9_16wrapped_functionINS8_6system6detail7generic6detail18binary_search_lessEbEEEE10hipError_tPvRmT1_T2_T3_mmT4_T5_P12ihipStream_tbEUlRKtE_EESV_SZ_S10_mS11_S14_bEUlT_E_NS1_11comp_targetILNS1_3genE9ELNS1_11target_archE1100ELNS1_3gpuE3ELNS1_3repE0EEENS1_30default_config_static_selectorELNS0_4arch9wavefront6targetE1EEEvSY_,"axG",@progbits,_ZN7rocprim17ROCPRIM_400000_NS6detail17trampoline_kernelINS0_14default_configENS1_27upper_bound_config_selectorItlEEZNS1_14transform_implILb0ES3_S5_N6thrust23THRUST_200600_302600_NS6detail15normal_iteratorINS8_7pointerItNS8_11hip_rocprim5par_tENS8_11use_defaultESE_EEEENSA_INSB_IlSD_SE_SE_EEEEZNS1_13binary_searchIS3_S5_NSA_INS8_10device_ptrItEEEESG_SI_NS1_21upper_bound_search_opENS9_16wrapped_functionINS8_6system6detail7generic6detail18binary_search_lessEbEEEE10hipError_tPvRmT1_T2_T3_mmT4_T5_P12ihipStream_tbEUlRKtE_EESV_SZ_S10_mS11_S14_bEUlT_E_NS1_11comp_targetILNS1_3genE9ELNS1_11target_archE1100ELNS1_3gpuE3ELNS1_3repE0EEENS1_30default_config_static_selectorELNS0_4arch9wavefront6targetE1EEEvSY_,comdat
.Lfunc_end561:
	.size	_ZN7rocprim17ROCPRIM_400000_NS6detail17trampoline_kernelINS0_14default_configENS1_27upper_bound_config_selectorItlEEZNS1_14transform_implILb0ES3_S5_N6thrust23THRUST_200600_302600_NS6detail15normal_iteratorINS8_7pointerItNS8_11hip_rocprim5par_tENS8_11use_defaultESE_EEEENSA_INSB_IlSD_SE_SE_EEEEZNS1_13binary_searchIS3_S5_NSA_INS8_10device_ptrItEEEESG_SI_NS1_21upper_bound_search_opENS9_16wrapped_functionINS8_6system6detail7generic6detail18binary_search_lessEbEEEE10hipError_tPvRmT1_T2_T3_mmT4_T5_P12ihipStream_tbEUlRKtE_EESV_SZ_S10_mS11_S14_bEUlT_E_NS1_11comp_targetILNS1_3genE9ELNS1_11target_archE1100ELNS1_3gpuE3ELNS1_3repE0EEENS1_30default_config_static_selectorELNS0_4arch9wavefront6targetE1EEEvSY_, .Lfunc_end561-_ZN7rocprim17ROCPRIM_400000_NS6detail17trampoline_kernelINS0_14default_configENS1_27upper_bound_config_selectorItlEEZNS1_14transform_implILb0ES3_S5_N6thrust23THRUST_200600_302600_NS6detail15normal_iteratorINS8_7pointerItNS8_11hip_rocprim5par_tENS8_11use_defaultESE_EEEENSA_INSB_IlSD_SE_SE_EEEEZNS1_13binary_searchIS3_S5_NSA_INS8_10device_ptrItEEEESG_SI_NS1_21upper_bound_search_opENS9_16wrapped_functionINS8_6system6detail7generic6detail18binary_search_lessEbEEEE10hipError_tPvRmT1_T2_T3_mmT4_T5_P12ihipStream_tbEUlRKtE_EESV_SZ_S10_mS11_S14_bEUlT_E_NS1_11comp_targetILNS1_3genE9ELNS1_11target_archE1100ELNS1_3gpuE3ELNS1_3repE0EEENS1_30default_config_static_selectorELNS0_4arch9wavefront6targetE1EEEvSY_
                                        ; -- End function
	.set _ZN7rocprim17ROCPRIM_400000_NS6detail17trampoline_kernelINS0_14default_configENS1_27upper_bound_config_selectorItlEEZNS1_14transform_implILb0ES3_S5_N6thrust23THRUST_200600_302600_NS6detail15normal_iteratorINS8_7pointerItNS8_11hip_rocprim5par_tENS8_11use_defaultESE_EEEENSA_INSB_IlSD_SE_SE_EEEEZNS1_13binary_searchIS3_S5_NSA_INS8_10device_ptrItEEEESG_SI_NS1_21upper_bound_search_opENS9_16wrapped_functionINS8_6system6detail7generic6detail18binary_search_lessEbEEEE10hipError_tPvRmT1_T2_T3_mmT4_T5_P12ihipStream_tbEUlRKtE_EESV_SZ_S10_mS11_S14_bEUlT_E_NS1_11comp_targetILNS1_3genE9ELNS1_11target_archE1100ELNS1_3gpuE3ELNS1_3repE0EEENS1_30default_config_static_selectorELNS0_4arch9wavefront6targetE1EEEvSY_.num_vgpr, 0
	.set _ZN7rocprim17ROCPRIM_400000_NS6detail17trampoline_kernelINS0_14default_configENS1_27upper_bound_config_selectorItlEEZNS1_14transform_implILb0ES3_S5_N6thrust23THRUST_200600_302600_NS6detail15normal_iteratorINS8_7pointerItNS8_11hip_rocprim5par_tENS8_11use_defaultESE_EEEENSA_INSB_IlSD_SE_SE_EEEEZNS1_13binary_searchIS3_S5_NSA_INS8_10device_ptrItEEEESG_SI_NS1_21upper_bound_search_opENS9_16wrapped_functionINS8_6system6detail7generic6detail18binary_search_lessEbEEEE10hipError_tPvRmT1_T2_T3_mmT4_T5_P12ihipStream_tbEUlRKtE_EESV_SZ_S10_mS11_S14_bEUlT_E_NS1_11comp_targetILNS1_3genE9ELNS1_11target_archE1100ELNS1_3gpuE3ELNS1_3repE0EEENS1_30default_config_static_selectorELNS0_4arch9wavefront6targetE1EEEvSY_.num_agpr, 0
	.set _ZN7rocprim17ROCPRIM_400000_NS6detail17trampoline_kernelINS0_14default_configENS1_27upper_bound_config_selectorItlEEZNS1_14transform_implILb0ES3_S5_N6thrust23THRUST_200600_302600_NS6detail15normal_iteratorINS8_7pointerItNS8_11hip_rocprim5par_tENS8_11use_defaultESE_EEEENSA_INSB_IlSD_SE_SE_EEEEZNS1_13binary_searchIS3_S5_NSA_INS8_10device_ptrItEEEESG_SI_NS1_21upper_bound_search_opENS9_16wrapped_functionINS8_6system6detail7generic6detail18binary_search_lessEbEEEE10hipError_tPvRmT1_T2_T3_mmT4_T5_P12ihipStream_tbEUlRKtE_EESV_SZ_S10_mS11_S14_bEUlT_E_NS1_11comp_targetILNS1_3genE9ELNS1_11target_archE1100ELNS1_3gpuE3ELNS1_3repE0EEENS1_30default_config_static_selectorELNS0_4arch9wavefront6targetE1EEEvSY_.numbered_sgpr, 0
	.set _ZN7rocprim17ROCPRIM_400000_NS6detail17trampoline_kernelINS0_14default_configENS1_27upper_bound_config_selectorItlEEZNS1_14transform_implILb0ES3_S5_N6thrust23THRUST_200600_302600_NS6detail15normal_iteratorINS8_7pointerItNS8_11hip_rocprim5par_tENS8_11use_defaultESE_EEEENSA_INSB_IlSD_SE_SE_EEEEZNS1_13binary_searchIS3_S5_NSA_INS8_10device_ptrItEEEESG_SI_NS1_21upper_bound_search_opENS9_16wrapped_functionINS8_6system6detail7generic6detail18binary_search_lessEbEEEE10hipError_tPvRmT1_T2_T3_mmT4_T5_P12ihipStream_tbEUlRKtE_EESV_SZ_S10_mS11_S14_bEUlT_E_NS1_11comp_targetILNS1_3genE9ELNS1_11target_archE1100ELNS1_3gpuE3ELNS1_3repE0EEENS1_30default_config_static_selectorELNS0_4arch9wavefront6targetE1EEEvSY_.num_named_barrier, 0
	.set _ZN7rocprim17ROCPRIM_400000_NS6detail17trampoline_kernelINS0_14default_configENS1_27upper_bound_config_selectorItlEEZNS1_14transform_implILb0ES3_S5_N6thrust23THRUST_200600_302600_NS6detail15normal_iteratorINS8_7pointerItNS8_11hip_rocprim5par_tENS8_11use_defaultESE_EEEENSA_INSB_IlSD_SE_SE_EEEEZNS1_13binary_searchIS3_S5_NSA_INS8_10device_ptrItEEEESG_SI_NS1_21upper_bound_search_opENS9_16wrapped_functionINS8_6system6detail7generic6detail18binary_search_lessEbEEEE10hipError_tPvRmT1_T2_T3_mmT4_T5_P12ihipStream_tbEUlRKtE_EESV_SZ_S10_mS11_S14_bEUlT_E_NS1_11comp_targetILNS1_3genE9ELNS1_11target_archE1100ELNS1_3gpuE3ELNS1_3repE0EEENS1_30default_config_static_selectorELNS0_4arch9wavefront6targetE1EEEvSY_.private_seg_size, 0
	.set _ZN7rocprim17ROCPRIM_400000_NS6detail17trampoline_kernelINS0_14default_configENS1_27upper_bound_config_selectorItlEEZNS1_14transform_implILb0ES3_S5_N6thrust23THRUST_200600_302600_NS6detail15normal_iteratorINS8_7pointerItNS8_11hip_rocprim5par_tENS8_11use_defaultESE_EEEENSA_INSB_IlSD_SE_SE_EEEEZNS1_13binary_searchIS3_S5_NSA_INS8_10device_ptrItEEEESG_SI_NS1_21upper_bound_search_opENS9_16wrapped_functionINS8_6system6detail7generic6detail18binary_search_lessEbEEEE10hipError_tPvRmT1_T2_T3_mmT4_T5_P12ihipStream_tbEUlRKtE_EESV_SZ_S10_mS11_S14_bEUlT_E_NS1_11comp_targetILNS1_3genE9ELNS1_11target_archE1100ELNS1_3gpuE3ELNS1_3repE0EEENS1_30default_config_static_selectorELNS0_4arch9wavefront6targetE1EEEvSY_.uses_vcc, 0
	.set _ZN7rocprim17ROCPRIM_400000_NS6detail17trampoline_kernelINS0_14default_configENS1_27upper_bound_config_selectorItlEEZNS1_14transform_implILb0ES3_S5_N6thrust23THRUST_200600_302600_NS6detail15normal_iteratorINS8_7pointerItNS8_11hip_rocprim5par_tENS8_11use_defaultESE_EEEENSA_INSB_IlSD_SE_SE_EEEEZNS1_13binary_searchIS3_S5_NSA_INS8_10device_ptrItEEEESG_SI_NS1_21upper_bound_search_opENS9_16wrapped_functionINS8_6system6detail7generic6detail18binary_search_lessEbEEEE10hipError_tPvRmT1_T2_T3_mmT4_T5_P12ihipStream_tbEUlRKtE_EESV_SZ_S10_mS11_S14_bEUlT_E_NS1_11comp_targetILNS1_3genE9ELNS1_11target_archE1100ELNS1_3gpuE3ELNS1_3repE0EEENS1_30default_config_static_selectorELNS0_4arch9wavefront6targetE1EEEvSY_.uses_flat_scratch, 0
	.set _ZN7rocprim17ROCPRIM_400000_NS6detail17trampoline_kernelINS0_14default_configENS1_27upper_bound_config_selectorItlEEZNS1_14transform_implILb0ES3_S5_N6thrust23THRUST_200600_302600_NS6detail15normal_iteratorINS8_7pointerItNS8_11hip_rocprim5par_tENS8_11use_defaultESE_EEEENSA_INSB_IlSD_SE_SE_EEEEZNS1_13binary_searchIS3_S5_NSA_INS8_10device_ptrItEEEESG_SI_NS1_21upper_bound_search_opENS9_16wrapped_functionINS8_6system6detail7generic6detail18binary_search_lessEbEEEE10hipError_tPvRmT1_T2_T3_mmT4_T5_P12ihipStream_tbEUlRKtE_EESV_SZ_S10_mS11_S14_bEUlT_E_NS1_11comp_targetILNS1_3genE9ELNS1_11target_archE1100ELNS1_3gpuE3ELNS1_3repE0EEENS1_30default_config_static_selectorELNS0_4arch9wavefront6targetE1EEEvSY_.has_dyn_sized_stack, 0
	.set _ZN7rocprim17ROCPRIM_400000_NS6detail17trampoline_kernelINS0_14default_configENS1_27upper_bound_config_selectorItlEEZNS1_14transform_implILb0ES3_S5_N6thrust23THRUST_200600_302600_NS6detail15normal_iteratorINS8_7pointerItNS8_11hip_rocprim5par_tENS8_11use_defaultESE_EEEENSA_INSB_IlSD_SE_SE_EEEEZNS1_13binary_searchIS3_S5_NSA_INS8_10device_ptrItEEEESG_SI_NS1_21upper_bound_search_opENS9_16wrapped_functionINS8_6system6detail7generic6detail18binary_search_lessEbEEEE10hipError_tPvRmT1_T2_T3_mmT4_T5_P12ihipStream_tbEUlRKtE_EESV_SZ_S10_mS11_S14_bEUlT_E_NS1_11comp_targetILNS1_3genE9ELNS1_11target_archE1100ELNS1_3gpuE3ELNS1_3repE0EEENS1_30default_config_static_selectorELNS0_4arch9wavefront6targetE1EEEvSY_.has_recursion, 0
	.set _ZN7rocprim17ROCPRIM_400000_NS6detail17trampoline_kernelINS0_14default_configENS1_27upper_bound_config_selectorItlEEZNS1_14transform_implILb0ES3_S5_N6thrust23THRUST_200600_302600_NS6detail15normal_iteratorINS8_7pointerItNS8_11hip_rocprim5par_tENS8_11use_defaultESE_EEEENSA_INSB_IlSD_SE_SE_EEEEZNS1_13binary_searchIS3_S5_NSA_INS8_10device_ptrItEEEESG_SI_NS1_21upper_bound_search_opENS9_16wrapped_functionINS8_6system6detail7generic6detail18binary_search_lessEbEEEE10hipError_tPvRmT1_T2_T3_mmT4_T5_P12ihipStream_tbEUlRKtE_EESV_SZ_S10_mS11_S14_bEUlT_E_NS1_11comp_targetILNS1_3genE9ELNS1_11target_archE1100ELNS1_3gpuE3ELNS1_3repE0EEENS1_30default_config_static_selectorELNS0_4arch9wavefront6targetE1EEEvSY_.has_indirect_call, 0
	.section	.AMDGPU.csdata,"",@progbits
; Kernel info:
; codeLenInByte = 0
; TotalNumSgprs: 4
; NumVgprs: 0
; ScratchSize: 0
; MemoryBound: 0
; FloatMode: 240
; IeeeMode: 1
; LDSByteSize: 0 bytes/workgroup (compile time only)
; SGPRBlocks: 0
; VGPRBlocks: 0
; NumSGPRsForWavesPerEU: 4
; NumVGPRsForWavesPerEU: 1
; Occupancy: 10
; WaveLimiterHint : 0
; COMPUTE_PGM_RSRC2:SCRATCH_EN: 0
; COMPUTE_PGM_RSRC2:USER_SGPR: 6
; COMPUTE_PGM_RSRC2:TRAP_HANDLER: 0
; COMPUTE_PGM_RSRC2:TGID_X_EN: 1
; COMPUTE_PGM_RSRC2:TGID_Y_EN: 0
; COMPUTE_PGM_RSRC2:TGID_Z_EN: 0
; COMPUTE_PGM_RSRC2:TIDIG_COMP_CNT: 0
	.section	.text._ZN7rocprim17ROCPRIM_400000_NS6detail17trampoline_kernelINS0_14default_configENS1_27upper_bound_config_selectorItlEEZNS1_14transform_implILb0ES3_S5_N6thrust23THRUST_200600_302600_NS6detail15normal_iteratorINS8_7pointerItNS8_11hip_rocprim5par_tENS8_11use_defaultESE_EEEENSA_INSB_IlSD_SE_SE_EEEEZNS1_13binary_searchIS3_S5_NSA_INS8_10device_ptrItEEEESG_SI_NS1_21upper_bound_search_opENS9_16wrapped_functionINS8_6system6detail7generic6detail18binary_search_lessEbEEEE10hipError_tPvRmT1_T2_T3_mmT4_T5_P12ihipStream_tbEUlRKtE_EESV_SZ_S10_mS11_S14_bEUlT_E_NS1_11comp_targetILNS1_3genE8ELNS1_11target_archE1030ELNS1_3gpuE2ELNS1_3repE0EEENS1_30default_config_static_selectorELNS0_4arch9wavefront6targetE1EEEvSY_,"axG",@progbits,_ZN7rocprim17ROCPRIM_400000_NS6detail17trampoline_kernelINS0_14default_configENS1_27upper_bound_config_selectorItlEEZNS1_14transform_implILb0ES3_S5_N6thrust23THRUST_200600_302600_NS6detail15normal_iteratorINS8_7pointerItNS8_11hip_rocprim5par_tENS8_11use_defaultESE_EEEENSA_INSB_IlSD_SE_SE_EEEEZNS1_13binary_searchIS3_S5_NSA_INS8_10device_ptrItEEEESG_SI_NS1_21upper_bound_search_opENS9_16wrapped_functionINS8_6system6detail7generic6detail18binary_search_lessEbEEEE10hipError_tPvRmT1_T2_T3_mmT4_T5_P12ihipStream_tbEUlRKtE_EESV_SZ_S10_mS11_S14_bEUlT_E_NS1_11comp_targetILNS1_3genE8ELNS1_11target_archE1030ELNS1_3gpuE2ELNS1_3repE0EEENS1_30default_config_static_selectorELNS0_4arch9wavefront6targetE1EEEvSY_,comdat
	.protected	_ZN7rocprim17ROCPRIM_400000_NS6detail17trampoline_kernelINS0_14default_configENS1_27upper_bound_config_selectorItlEEZNS1_14transform_implILb0ES3_S5_N6thrust23THRUST_200600_302600_NS6detail15normal_iteratorINS8_7pointerItNS8_11hip_rocprim5par_tENS8_11use_defaultESE_EEEENSA_INSB_IlSD_SE_SE_EEEEZNS1_13binary_searchIS3_S5_NSA_INS8_10device_ptrItEEEESG_SI_NS1_21upper_bound_search_opENS9_16wrapped_functionINS8_6system6detail7generic6detail18binary_search_lessEbEEEE10hipError_tPvRmT1_T2_T3_mmT4_T5_P12ihipStream_tbEUlRKtE_EESV_SZ_S10_mS11_S14_bEUlT_E_NS1_11comp_targetILNS1_3genE8ELNS1_11target_archE1030ELNS1_3gpuE2ELNS1_3repE0EEENS1_30default_config_static_selectorELNS0_4arch9wavefront6targetE1EEEvSY_ ; -- Begin function _ZN7rocprim17ROCPRIM_400000_NS6detail17trampoline_kernelINS0_14default_configENS1_27upper_bound_config_selectorItlEEZNS1_14transform_implILb0ES3_S5_N6thrust23THRUST_200600_302600_NS6detail15normal_iteratorINS8_7pointerItNS8_11hip_rocprim5par_tENS8_11use_defaultESE_EEEENSA_INSB_IlSD_SE_SE_EEEEZNS1_13binary_searchIS3_S5_NSA_INS8_10device_ptrItEEEESG_SI_NS1_21upper_bound_search_opENS9_16wrapped_functionINS8_6system6detail7generic6detail18binary_search_lessEbEEEE10hipError_tPvRmT1_T2_T3_mmT4_T5_P12ihipStream_tbEUlRKtE_EESV_SZ_S10_mS11_S14_bEUlT_E_NS1_11comp_targetILNS1_3genE8ELNS1_11target_archE1030ELNS1_3gpuE2ELNS1_3repE0EEENS1_30default_config_static_selectorELNS0_4arch9wavefront6targetE1EEEvSY_
	.globl	_ZN7rocprim17ROCPRIM_400000_NS6detail17trampoline_kernelINS0_14default_configENS1_27upper_bound_config_selectorItlEEZNS1_14transform_implILb0ES3_S5_N6thrust23THRUST_200600_302600_NS6detail15normal_iteratorINS8_7pointerItNS8_11hip_rocprim5par_tENS8_11use_defaultESE_EEEENSA_INSB_IlSD_SE_SE_EEEEZNS1_13binary_searchIS3_S5_NSA_INS8_10device_ptrItEEEESG_SI_NS1_21upper_bound_search_opENS9_16wrapped_functionINS8_6system6detail7generic6detail18binary_search_lessEbEEEE10hipError_tPvRmT1_T2_T3_mmT4_T5_P12ihipStream_tbEUlRKtE_EESV_SZ_S10_mS11_S14_bEUlT_E_NS1_11comp_targetILNS1_3genE8ELNS1_11target_archE1030ELNS1_3gpuE2ELNS1_3repE0EEENS1_30default_config_static_selectorELNS0_4arch9wavefront6targetE1EEEvSY_
	.p2align	8
	.type	_ZN7rocprim17ROCPRIM_400000_NS6detail17trampoline_kernelINS0_14default_configENS1_27upper_bound_config_selectorItlEEZNS1_14transform_implILb0ES3_S5_N6thrust23THRUST_200600_302600_NS6detail15normal_iteratorINS8_7pointerItNS8_11hip_rocprim5par_tENS8_11use_defaultESE_EEEENSA_INSB_IlSD_SE_SE_EEEEZNS1_13binary_searchIS3_S5_NSA_INS8_10device_ptrItEEEESG_SI_NS1_21upper_bound_search_opENS9_16wrapped_functionINS8_6system6detail7generic6detail18binary_search_lessEbEEEE10hipError_tPvRmT1_T2_T3_mmT4_T5_P12ihipStream_tbEUlRKtE_EESV_SZ_S10_mS11_S14_bEUlT_E_NS1_11comp_targetILNS1_3genE8ELNS1_11target_archE1030ELNS1_3gpuE2ELNS1_3repE0EEENS1_30default_config_static_selectorELNS0_4arch9wavefront6targetE1EEEvSY_,@function
_ZN7rocprim17ROCPRIM_400000_NS6detail17trampoline_kernelINS0_14default_configENS1_27upper_bound_config_selectorItlEEZNS1_14transform_implILb0ES3_S5_N6thrust23THRUST_200600_302600_NS6detail15normal_iteratorINS8_7pointerItNS8_11hip_rocprim5par_tENS8_11use_defaultESE_EEEENSA_INSB_IlSD_SE_SE_EEEEZNS1_13binary_searchIS3_S5_NSA_INS8_10device_ptrItEEEESG_SI_NS1_21upper_bound_search_opENS9_16wrapped_functionINS8_6system6detail7generic6detail18binary_search_lessEbEEEE10hipError_tPvRmT1_T2_T3_mmT4_T5_P12ihipStream_tbEUlRKtE_EESV_SZ_S10_mS11_S14_bEUlT_E_NS1_11comp_targetILNS1_3genE8ELNS1_11target_archE1030ELNS1_3gpuE2ELNS1_3repE0EEENS1_30default_config_static_selectorELNS0_4arch9wavefront6targetE1EEEvSY_: ; @_ZN7rocprim17ROCPRIM_400000_NS6detail17trampoline_kernelINS0_14default_configENS1_27upper_bound_config_selectorItlEEZNS1_14transform_implILb0ES3_S5_N6thrust23THRUST_200600_302600_NS6detail15normal_iteratorINS8_7pointerItNS8_11hip_rocprim5par_tENS8_11use_defaultESE_EEEENSA_INSB_IlSD_SE_SE_EEEEZNS1_13binary_searchIS3_S5_NSA_INS8_10device_ptrItEEEESG_SI_NS1_21upper_bound_search_opENS9_16wrapped_functionINS8_6system6detail7generic6detail18binary_search_lessEbEEEE10hipError_tPvRmT1_T2_T3_mmT4_T5_P12ihipStream_tbEUlRKtE_EESV_SZ_S10_mS11_S14_bEUlT_E_NS1_11comp_targetILNS1_3genE8ELNS1_11target_archE1030ELNS1_3gpuE2ELNS1_3repE0EEENS1_30default_config_static_selectorELNS0_4arch9wavefront6targetE1EEEvSY_
; %bb.0:
	.section	.rodata,"a",@progbits
	.p2align	6, 0x0
	.amdhsa_kernel _ZN7rocprim17ROCPRIM_400000_NS6detail17trampoline_kernelINS0_14default_configENS1_27upper_bound_config_selectorItlEEZNS1_14transform_implILb0ES3_S5_N6thrust23THRUST_200600_302600_NS6detail15normal_iteratorINS8_7pointerItNS8_11hip_rocprim5par_tENS8_11use_defaultESE_EEEENSA_INSB_IlSD_SE_SE_EEEEZNS1_13binary_searchIS3_S5_NSA_INS8_10device_ptrItEEEESG_SI_NS1_21upper_bound_search_opENS9_16wrapped_functionINS8_6system6detail7generic6detail18binary_search_lessEbEEEE10hipError_tPvRmT1_T2_T3_mmT4_T5_P12ihipStream_tbEUlRKtE_EESV_SZ_S10_mS11_S14_bEUlT_E_NS1_11comp_targetILNS1_3genE8ELNS1_11target_archE1030ELNS1_3gpuE2ELNS1_3repE0EEENS1_30default_config_static_selectorELNS0_4arch9wavefront6targetE1EEEvSY_
		.amdhsa_group_segment_fixed_size 0
		.amdhsa_private_segment_fixed_size 0
		.amdhsa_kernarg_size 56
		.amdhsa_user_sgpr_count 6
		.amdhsa_user_sgpr_private_segment_buffer 1
		.amdhsa_user_sgpr_dispatch_ptr 0
		.amdhsa_user_sgpr_queue_ptr 0
		.amdhsa_user_sgpr_kernarg_segment_ptr 1
		.amdhsa_user_sgpr_dispatch_id 0
		.amdhsa_user_sgpr_flat_scratch_init 0
		.amdhsa_user_sgpr_private_segment_size 0
		.amdhsa_uses_dynamic_stack 0
		.amdhsa_system_sgpr_private_segment_wavefront_offset 0
		.amdhsa_system_sgpr_workgroup_id_x 1
		.amdhsa_system_sgpr_workgroup_id_y 0
		.amdhsa_system_sgpr_workgroup_id_z 0
		.amdhsa_system_sgpr_workgroup_info 0
		.amdhsa_system_vgpr_workitem_id 0
		.amdhsa_next_free_vgpr 1
		.amdhsa_next_free_sgpr 0
		.amdhsa_reserve_vcc 0
		.amdhsa_reserve_flat_scratch 0
		.amdhsa_float_round_mode_32 0
		.amdhsa_float_round_mode_16_64 0
		.amdhsa_float_denorm_mode_32 3
		.amdhsa_float_denorm_mode_16_64 3
		.amdhsa_dx10_clamp 1
		.amdhsa_ieee_mode 1
		.amdhsa_fp16_overflow 0
		.amdhsa_exception_fp_ieee_invalid_op 0
		.amdhsa_exception_fp_denorm_src 0
		.amdhsa_exception_fp_ieee_div_zero 0
		.amdhsa_exception_fp_ieee_overflow 0
		.amdhsa_exception_fp_ieee_underflow 0
		.amdhsa_exception_fp_ieee_inexact 0
		.amdhsa_exception_int_div_zero 0
	.end_amdhsa_kernel
	.section	.text._ZN7rocprim17ROCPRIM_400000_NS6detail17trampoline_kernelINS0_14default_configENS1_27upper_bound_config_selectorItlEEZNS1_14transform_implILb0ES3_S5_N6thrust23THRUST_200600_302600_NS6detail15normal_iteratorINS8_7pointerItNS8_11hip_rocprim5par_tENS8_11use_defaultESE_EEEENSA_INSB_IlSD_SE_SE_EEEEZNS1_13binary_searchIS3_S5_NSA_INS8_10device_ptrItEEEESG_SI_NS1_21upper_bound_search_opENS9_16wrapped_functionINS8_6system6detail7generic6detail18binary_search_lessEbEEEE10hipError_tPvRmT1_T2_T3_mmT4_T5_P12ihipStream_tbEUlRKtE_EESV_SZ_S10_mS11_S14_bEUlT_E_NS1_11comp_targetILNS1_3genE8ELNS1_11target_archE1030ELNS1_3gpuE2ELNS1_3repE0EEENS1_30default_config_static_selectorELNS0_4arch9wavefront6targetE1EEEvSY_,"axG",@progbits,_ZN7rocprim17ROCPRIM_400000_NS6detail17trampoline_kernelINS0_14default_configENS1_27upper_bound_config_selectorItlEEZNS1_14transform_implILb0ES3_S5_N6thrust23THRUST_200600_302600_NS6detail15normal_iteratorINS8_7pointerItNS8_11hip_rocprim5par_tENS8_11use_defaultESE_EEEENSA_INSB_IlSD_SE_SE_EEEEZNS1_13binary_searchIS3_S5_NSA_INS8_10device_ptrItEEEESG_SI_NS1_21upper_bound_search_opENS9_16wrapped_functionINS8_6system6detail7generic6detail18binary_search_lessEbEEEE10hipError_tPvRmT1_T2_T3_mmT4_T5_P12ihipStream_tbEUlRKtE_EESV_SZ_S10_mS11_S14_bEUlT_E_NS1_11comp_targetILNS1_3genE8ELNS1_11target_archE1030ELNS1_3gpuE2ELNS1_3repE0EEENS1_30default_config_static_selectorELNS0_4arch9wavefront6targetE1EEEvSY_,comdat
.Lfunc_end562:
	.size	_ZN7rocprim17ROCPRIM_400000_NS6detail17trampoline_kernelINS0_14default_configENS1_27upper_bound_config_selectorItlEEZNS1_14transform_implILb0ES3_S5_N6thrust23THRUST_200600_302600_NS6detail15normal_iteratorINS8_7pointerItNS8_11hip_rocprim5par_tENS8_11use_defaultESE_EEEENSA_INSB_IlSD_SE_SE_EEEEZNS1_13binary_searchIS3_S5_NSA_INS8_10device_ptrItEEEESG_SI_NS1_21upper_bound_search_opENS9_16wrapped_functionINS8_6system6detail7generic6detail18binary_search_lessEbEEEE10hipError_tPvRmT1_T2_T3_mmT4_T5_P12ihipStream_tbEUlRKtE_EESV_SZ_S10_mS11_S14_bEUlT_E_NS1_11comp_targetILNS1_3genE8ELNS1_11target_archE1030ELNS1_3gpuE2ELNS1_3repE0EEENS1_30default_config_static_selectorELNS0_4arch9wavefront6targetE1EEEvSY_, .Lfunc_end562-_ZN7rocprim17ROCPRIM_400000_NS6detail17trampoline_kernelINS0_14default_configENS1_27upper_bound_config_selectorItlEEZNS1_14transform_implILb0ES3_S5_N6thrust23THRUST_200600_302600_NS6detail15normal_iteratorINS8_7pointerItNS8_11hip_rocprim5par_tENS8_11use_defaultESE_EEEENSA_INSB_IlSD_SE_SE_EEEEZNS1_13binary_searchIS3_S5_NSA_INS8_10device_ptrItEEEESG_SI_NS1_21upper_bound_search_opENS9_16wrapped_functionINS8_6system6detail7generic6detail18binary_search_lessEbEEEE10hipError_tPvRmT1_T2_T3_mmT4_T5_P12ihipStream_tbEUlRKtE_EESV_SZ_S10_mS11_S14_bEUlT_E_NS1_11comp_targetILNS1_3genE8ELNS1_11target_archE1030ELNS1_3gpuE2ELNS1_3repE0EEENS1_30default_config_static_selectorELNS0_4arch9wavefront6targetE1EEEvSY_
                                        ; -- End function
	.set _ZN7rocprim17ROCPRIM_400000_NS6detail17trampoline_kernelINS0_14default_configENS1_27upper_bound_config_selectorItlEEZNS1_14transform_implILb0ES3_S5_N6thrust23THRUST_200600_302600_NS6detail15normal_iteratorINS8_7pointerItNS8_11hip_rocprim5par_tENS8_11use_defaultESE_EEEENSA_INSB_IlSD_SE_SE_EEEEZNS1_13binary_searchIS3_S5_NSA_INS8_10device_ptrItEEEESG_SI_NS1_21upper_bound_search_opENS9_16wrapped_functionINS8_6system6detail7generic6detail18binary_search_lessEbEEEE10hipError_tPvRmT1_T2_T3_mmT4_T5_P12ihipStream_tbEUlRKtE_EESV_SZ_S10_mS11_S14_bEUlT_E_NS1_11comp_targetILNS1_3genE8ELNS1_11target_archE1030ELNS1_3gpuE2ELNS1_3repE0EEENS1_30default_config_static_selectorELNS0_4arch9wavefront6targetE1EEEvSY_.num_vgpr, 0
	.set _ZN7rocprim17ROCPRIM_400000_NS6detail17trampoline_kernelINS0_14default_configENS1_27upper_bound_config_selectorItlEEZNS1_14transform_implILb0ES3_S5_N6thrust23THRUST_200600_302600_NS6detail15normal_iteratorINS8_7pointerItNS8_11hip_rocprim5par_tENS8_11use_defaultESE_EEEENSA_INSB_IlSD_SE_SE_EEEEZNS1_13binary_searchIS3_S5_NSA_INS8_10device_ptrItEEEESG_SI_NS1_21upper_bound_search_opENS9_16wrapped_functionINS8_6system6detail7generic6detail18binary_search_lessEbEEEE10hipError_tPvRmT1_T2_T3_mmT4_T5_P12ihipStream_tbEUlRKtE_EESV_SZ_S10_mS11_S14_bEUlT_E_NS1_11comp_targetILNS1_3genE8ELNS1_11target_archE1030ELNS1_3gpuE2ELNS1_3repE0EEENS1_30default_config_static_selectorELNS0_4arch9wavefront6targetE1EEEvSY_.num_agpr, 0
	.set _ZN7rocprim17ROCPRIM_400000_NS6detail17trampoline_kernelINS0_14default_configENS1_27upper_bound_config_selectorItlEEZNS1_14transform_implILb0ES3_S5_N6thrust23THRUST_200600_302600_NS6detail15normal_iteratorINS8_7pointerItNS8_11hip_rocprim5par_tENS8_11use_defaultESE_EEEENSA_INSB_IlSD_SE_SE_EEEEZNS1_13binary_searchIS3_S5_NSA_INS8_10device_ptrItEEEESG_SI_NS1_21upper_bound_search_opENS9_16wrapped_functionINS8_6system6detail7generic6detail18binary_search_lessEbEEEE10hipError_tPvRmT1_T2_T3_mmT4_T5_P12ihipStream_tbEUlRKtE_EESV_SZ_S10_mS11_S14_bEUlT_E_NS1_11comp_targetILNS1_3genE8ELNS1_11target_archE1030ELNS1_3gpuE2ELNS1_3repE0EEENS1_30default_config_static_selectorELNS0_4arch9wavefront6targetE1EEEvSY_.numbered_sgpr, 0
	.set _ZN7rocprim17ROCPRIM_400000_NS6detail17trampoline_kernelINS0_14default_configENS1_27upper_bound_config_selectorItlEEZNS1_14transform_implILb0ES3_S5_N6thrust23THRUST_200600_302600_NS6detail15normal_iteratorINS8_7pointerItNS8_11hip_rocprim5par_tENS8_11use_defaultESE_EEEENSA_INSB_IlSD_SE_SE_EEEEZNS1_13binary_searchIS3_S5_NSA_INS8_10device_ptrItEEEESG_SI_NS1_21upper_bound_search_opENS9_16wrapped_functionINS8_6system6detail7generic6detail18binary_search_lessEbEEEE10hipError_tPvRmT1_T2_T3_mmT4_T5_P12ihipStream_tbEUlRKtE_EESV_SZ_S10_mS11_S14_bEUlT_E_NS1_11comp_targetILNS1_3genE8ELNS1_11target_archE1030ELNS1_3gpuE2ELNS1_3repE0EEENS1_30default_config_static_selectorELNS0_4arch9wavefront6targetE1EEEvSY_.num_named_barrier, 0
	.set _ZN7rocprim17ROCPRIM_400000_NS6detail17trampoline_kernelINS0_14default_configENS1_27upper_bound_config_selectorItlEEZNS1_14transform_implILb0ES3_S5_N6thrust23THRUST_200600_302600_NS6detail15normal_iteratorINS8_7pointerItNS8_11hip_rocprim5par_tENS8_11use_defaultESE_EEEENSA_INSB_IlSD_SE_SE_EEEEZNS1_13binary_searchIS3_S5_NSA_INS8_10device_ptrItEEEESG_SI_NS1_21upper_bound_search_opENS9_16wrapped_functionINS8_6system6detail7generic6detail18binary_search_lessEbEEEE10hipError_tPvRmT1_T2_T3_mmT4_T5_P12ihipStream_tbEUlRKtE_EESV_SZ_S10_mS11_S14_bEUlT_E_NS1_11comp_targetILNS1_3genE8ELNS1_11target_archE1030ELNS1_3gpuE2ELNS1_3repE0EEENS1_30default_config_static_selectorELNS0_4arch9wavefront6targetE1EEEvSY_.private_seg_size, 0
	.set _ZN7rocprim17ROCPRIM_400000_NS6detail17trampoline_kernelINS0_14default_configENS1_27upper_bound_config_selectorItlEEZNS1_14transform_implILb0ES3_S5_N6thrust23THRUST_200600_302600_NS6detail15normal_iteratorINS8_7pointerItNS8_11hip_rocprim5par_tENS8_11use_defaultESE_EEEENSA_INSB_IlSD_SE_SE_EEEEZNS1_13binary_searchIS3_S5_NSA_INS8_10device_ptrItEEEESG_SI_NS1_21upper_bound_search_opENS9_16wrapped_functionINS8_6system6detail7generic6detail18binary_search_lessEbEEEE10hipError_tPvRmT1_T2_T3_mmT4_T5_P12ihipStream_tbEUlRKtE_EESV_SZ_S10_mS11_S14_bEUlT_E_NS1_11comp_targetILNS1_3genE8ELNS1_11target_archE1030ELNS1_3gpuE2ELNS1_3repE0EEENS1_30default_config_static_selectorELNS0_4arch9wavefront6targetE1EEEvSY_.uses_vcc, 0
	.set _ZN7rocprim17ROCPRIM_400000_NS6detail17trampoline_kernelINS0_14default_configENS1_27upper_bound_config_selectorItlEEZNS1_14transform_implILb0ES3_S5_N6thrust23THRUST_200600_302600_NS6detail15normal_iteratorINS8_7pointerItNS8_11hip_rocprim5par_tENS8_11use_defaultESE_EEEENSA_INSB_IlSD_SE_SE_EEEEZNS1_13binary_searchIS3_S5_NSA_INS8_10device_ptrItEEEESG_SI_NS1_21upper_bound_search_opENS9_16wrapped_functionINS8_6system6detail7generic6detail18binary_search_lessEbEEEE10hipError_tPvRmT1_T2_T3_mmT4_T5_P12ihipStream_tbEUlRKtE_EESV_SZ_S10_mS11_S14_bEUlT_E_NS1_11comp_targetILNS1_3genE8ELNS1_11target_archE1030ELNS1_3gpuE2ELNS1_3repE0EEENS1_30default_config_static_selectorELNS0_4arch9wavefront6targetE1EEEvSY_.uses_flat_scratch, 0
	.set _ZN7rocprim17ROCPRIM_400000_NS6detail17trampoline_kernelINS0_14default_configENS1_27upper_bound_config_selectorItlEEZNS1_14transform_implILb0ES3_S5_N6thrust23THRUST_200600_302600_NS6detail15normal_iteratorINS8_7pointerItNS8_11hip_rocprim5par_tENS8_11use_defaultESE_EEEENSA_INSB_IlSD_SE_SE_EEEEZNS1_13binary_searchIS3_S5_NSA_INS8_10device_ptrItEEEESG_SI_NS1_21upper_bound_search_opENS9_16wrapped_functionINS8_6system6detail7generic6detail18binary_search_lessEbEEEE10hipError_tPvRmT1_T2_T3_mmT4_T5_P12ihipStream_tbEUlRKtE_EESV_SZ_S10_mS11_S14_bEUlT_E_NS1_11comp_targetILNS1_3genE8ELNS1_11target_archE1030ELNS1_3gpuE2ELNS1_3repE0EEENS1_30default_config_static_selectorELNS0_4arch9wavefront6targetE1EEEvSY_.has_dyn_sized_stack, 0
	.set _ZN7rocprim17ROCPRIM_400000_NS6detail17trampoline_kernelINS0_14default_configENS1_27upper_bound_config_selectorItlEEZNS1_14transform_implILb0ES3_S5_N6thrust23THRUST_200600_302600_NS6detail15normal_iteratorINS8_7pointerItNS8_11hip_rocprim5par_tENS8_11use_defaultESE_EEEENSA_INSB_IlSD_SE_SE_EEEEZNS1_13binary_searchIS3_S5_NSA_INS8_10device_ptrItEEEESG_SI_NS1_21upper_bound_search_opENS9_16wrapped_functionINS8_6system6detail7generic6detail18binary_search_lessEbEEEE10hipError_tPvRmT1_T2_T3_mmT4_T5_P12ihipStream_tbEUlRKtE_EESV_SZ_S10_mS11_S14_bEUlT_E_NS1_11comp_targetILNS1_3genE8ELNS1_11target_archE1030ELNS1_3gpuE2ELNS1_3repE0EEENS1_30default_config_static_selectorELNS0_4arch9wavefront6targetE1EEEvSY_.has_recursion, 0
	.set _ZN7rocprim17ROCPRIM_400000_NS6detail17trampoline_kernelINS0_14default_configENS1_27upper_bound_config_selectorItlEEZNS1_14transform_implILb0ES3_S5_N6thrust23THRUST_200600_302600_NS6detail15normal_iteratorINS8_7pointerItNS8_11hip_rocprim5par_tENS8_11use_defaultESE_EEEENSA_INSB_IlSD_SE_SE_EEEEZNS1_13binary_searchIS3_S5_NSA_INS8_10device_ptrItEEEESG_SI_NS1_21upper_bound_search_opENS9_16wrapped_functionINS8_6system6detail7generic6detail18binary_search_lessEbEEEE10hipError_tPvRmT1_T2_T3_mmT4_T5_P12ihipStream_tbEUlRKtE_EESV_SZ_S10_mS11_S14_bEUlT_E_NS1_11comp_targetILNS1_3genE8ELNS1_11target_archE1030ELNS1_3gpuE2ELNS1_3repE0EEENS1_30default_config_static_selectorELNS0_4arch9wavefront6targetE1EEEvSY_.has_indirect_call, 0
	.section	.AMDGPU.csdata,"",@progbits
; Kernel info:
; codeLenInByte = 0
; TotalNumSgprs: 4
; NumVgprs: 0
; ScratchSize: 0
; MemoryBound: 0
; FloatMode: 240
; IeeeMode: 1
; LDSByteSize: 0 bytes/workgroup (compile time only)
; SGPRBlocks: 0
; VGPRBlocks: 0
; NumSGPRsForWavesPerEU: 4
; NumVGPRsForWavesPerEU: 1
; Occupancy: 10
; WaveLimiterHint : 0
; COMPUTE_PGM_RSRC2:SCRATCH_EN: 0
; COMPUTE_PGM_RSRC2:USER_SGPR: 6
; COMPUTE_PGM_RSRC2:TRAP_HANDLER: 0
; COMPUTE_PGM_RSRC2:TGID_X_EN: 1
; COMPUTE_PGM_RSRC2:TGID_Y_EN: 0
; COMPUTE_PGM_RSRC2:TGID_Z_EN: 0
; COMPUTE_PGM_RSRC2:TIDIG_COMP_CNT: 0
	.section	.text._ZN7rocprim17ROCPRIM_400000_NS6detail17trampoline_kernelINS0_14default_configENS1_27upper_bound_config_selectorIxlEEZNS1_14transform_implILb0ES3_S5_N6thrust23THRUST_200600_302600_NS6detail15normal_iteratorINS8_7pointerIxNS8_11hip_rocprim5par_tENS8_11use_defaultESE_EEEENSA_INSB_IlSD_SE_SE_EEEEZNS1_13binary_searchIS3_S5_NSA_INS8_10device_ptrIxEEEESG_SI_NS1_21upper_bound_search_opENS9_16wrapped_functionINS8_6system6detail7generic6detail18binary_search_lessEbEEEE10hipError_tPvRmT1_T2_T3_mmT4_T5_P12ihipStream_tbEUlRKxE_EESV_SZ_S10_mS11_S14_bEUlT_E_NS1_11comp_targetILNS1_3genE0ELNS1_11target_archE4294967295ELNS1_3gpuE0ELNS1_3repE0EEENS1_30default_config_static_selectorELNS0_4arch9wavefront6targetE1EEEvSY_,"axG",@progbits,_ZN7rocprim17ROCPRIM_400000_NS6detail17trampoline_kernelINS0_14default_configENS1_27upper_bound_config_selectorIxlEEZNS1_14transform_implILb0ES3_S5_N6thrust23THRUST_200600_302600_NS6detail15normal_iteratorINS8_7pointerIxNS8_11hip_rocprim5par_tENS8_11use_defaultESE_EEEENSA_INSB_IlSD_SE_SE_EEEEZNS1_13binary_searchIS3_S5_NSA_INS8_10device_ptrIxEEEESG_SI_NS1_21upper_bound_search_opENS9_16wrapped_functionINS8_6system6detail7generic6detail18binary_search_lessEbEEEE10hipError_tPvRmT1_T2_T3_mmT4_T5_P12ihipStream_tbEUlRKxE_EESV_SZ_S10_mS11_S14_bEUlT_E_NS1_11comp_targetILNS1_3genE0ELNS1_11target_archE4294967295ELNS1_3gpuE0ELNS1_3repE0EEENS1_30default_config_static_selectorELNS0_4arch9wavefront6targetE1EEEvSY_,comdat
	.protected	_ZN7rocprim17ROCPRIM_400000_NS6detail17trampoline_kernelINS0_14default_configENS1_27upper_bound_config_selectorIxlEEZNS1_14transform_implILb0ES3_S5_N6thrust23THRUST_200600_302600_NS6detail15normal_iteratorINS8_7pointerIxNS8_11hip_rocprim5par_tENS8_11use_defaultESE_EEEENSA_INSB_IlSD_SE_SE_EEEEZNS1_13binary_searchIS3_S5_NSA_INS8_10device_ptrIxEEEESG_SI_NS1_21upper_bound_search_opENS9_16wrapped_functionINS8_6system6detail7generic6detail18binary_search_lessEbEEEE10hipError_tPvRmT1_T2_T3_mmT4_T5_P12ihipStream_tbEUlRKxE_EESV_SZ_S10_mS11_S14_bEUlT_E_NS1_11comp_targetILNS1_3genE0ELNS1_11target_archE4294967295ELNS1_3gpuE0ELNS1_3repE0EEENS1_30default_config_static_selectorELNS0_4arch9wavefront6targetE1EEEvSY_ ; -- Begin function _ZN7rocprim17ROCPRIM_400000_NS6detail17trampoline_kernelINS0_14default_configENS1_27upper_bound_config_selectorIxlEEZNS1_14transform_implILb0ES3_S5_N6thrust23THRUST_200600_302600_NS6detail15normal_iteratorINS8_7pointerIxNS8_11hip_rocprim5par_tENS8_11use_defaultESE_EEEENSA_INSB_IlSD_SE_SE_EEEEZNS1_13binary_searchIS3_S5_NSA_INS8_10device_ptrIxEEEESG_SI_NS1_21upper_bound_search_opENS9_16wrapped_functionINS8_6system6detail7generic6detail18binary_search_lessEbEEEE10hipError_tPvRmT1_T2_T3_mmT4_T5_P12ihipStream_tbEUlRKxE_EESV_SZ_S10_mS11_S14_bEUlT_E_NS1_11comp_targetILNS1_3genE0ELNS1_11target_archE4294967295ELNS1_3gpuE0ELNS1_3repE0EEENS1_30default_config_static_selectorELNS0_4arch9wavefront6targetE1EEEvSY_
	.globl	_ZN7rocprim17ROCPRIM_400000_NS6detail17trampoline_kernelINS0_14default_configENS1_27upper_bound_config_selectorIxlEEZNS1_14transform_implILb0ES3_S5_N6thrust23THRUST_200600_302600_NS6detail15normal_iteratorINS8_7pointerIxNS8_11hip_rocprim5par_tENS8_11use_defaultESE_EEEENSA_INSB_IlSD_SE_SE_EEEEZNS1_13binary_searchIS3_S5_NSA_INS8_10device_ptrIxEEEESG_SI_NS1_21upper_bound_search_opENS9_16wrapped_functionINS8_6system6detail7generic6detail18binary_search_lessEbEEEE10hipError_tPvRmT1_T2_T3_mmT4_T5_P12ihipStream_tbEUlRKxE_EESV_SZ_S10_mS11_S14_bEUlT_E_NS1_11comp_targetILNS1_3genE0ELNS1_11target_archE4294967295ELNS1_3gpuE0ELNS1_3repE0EEENS1_30default_config_static_selectorELNS0_4arch9wavefront6targetE1EEEvSY_
	.p2align	8
	.type	_ZN7rocprim17ROCPRIM_400000_NS6detail17trampoline_kernelINS0_14default_configENS1_27upper_bound_config_selectorIxlEEZNS1_14transform_implILb0ES3_S5_N6thrust23THRUST_200600_302600_NS6detail15normal_iteratorINS8_7pointerIxNS8_11hip_rocprim5par_tENS8_11use_defaultESE_EEEENSA_INSB_IlSD_SE_SE_EEEEZNS1_13binary_searchIS3_S5_NSA_INS8_10device_ptrIxEEEESG_SI_NS1_21upper_bound_search_opENS9_16wrapped_functionINS8_6system6detail7generic6detail18binary_search_lessEbEEEE10hipError_tPvRmT1_T2_T3_mmT4_T5_P12ihipStream_tbEUlRKxE_EESV_SZ_S10_mS11_S14_bEUlT_E_NS1_11comp_targetILNS1_3genE0ELNS1_11target_archE4294967295ELNS1_3gpuE0ELNS1_3repE0EEENS1_30default_config_static_selectorELNS0_4arch9wavefront6targetE1EEEvSY_,@function
_ZN7rocprim17ROCPRIM_400000_NS6detail17trampoline_kernelINS0_14default_configENS1_27upper_bound_config_selectorIxlEEZNS1_14transform_implILb0ES3_S5_N6thrust23THRUST_200600_302600_NS6detail15normal_iteratorINS8_7pointerIxNS8_11hip_rocprim5par_tENS8_11use_defaultESE_EEEENSA_INSB_IlSD_SE_SE_EEEEZNS1_13binary_searchIS3_S5_NSA_INS8_10device_ptrIxEEEESG_SI_NS1_21upper_bound_search_opENS9_16wrapped_functionINS8_6system6detail7generic6detail18binary_search_lessEbEEEE10hipError_tPvRmT1_T2_T3_mmT4_T5_P12ihipStream_tbEUlRKxE_EESV_SZ_S10_mS11_S14_bEUlT_E_NS1_11comp_targetILNS1_3genE0ELNS1_11target_archE4294967295ELNS1_3gpuE0ELNS1_3repE0EEENS1_30default_config_static_selectorELNS0_4arch9wavefront6targetE1EEEvSY_: ; @_ZN7rocprim17ROCPRIM_400000_NS6detail17trampoline_kernelINS0_14default_configENS1_27upper_bound_config_selectorIxlEEZNS1_14transform_implILb0ES3_S5_N6thrust23THRUST_200600_302600_NS6detail15normal_iteratorINS8_7pointerIxNS8_11hip_rocprim5par_tENS8_11use_defaultESE_EEEENSA_INSB_IlSD_SE_SE_EEEEZNS1_13binary_searchIS3_S5_NSA_INS8_10device_ptrIxEEEESG_SI_NS1_21upper_bound_search_opENS9_16wrapped_functionINS8_6system6detail7generic6detail18binary_search_lessEbEEEE10hipError_tPvRmT1_T2_T3_mmT4_T5_P12ihipStream_tbEUlRKxE_EESV_SZ_S10_mS11_S14_bEUlT_E_NS1_11comp_targetILNS1_3genE0ELNS1_11target_archE4294967295ELNS1_3gpuE0ELNS1_3repE0EEENS1_30default_config_static_selectorELNS0_4arch9wavefront6targetE1EEEvSY_
; %bb.0:
	.section	.rodata,"a",@progbits
	.p2align	6, 0x0
	.amdhsa_kernel _ZN7rocprim17ROCPRIM_400000_NS6detail17trampoline_kernelINS0_14default_configENS1_27upper_bound_config_selectorIxlEEZNS1_14transform_implILb0ES3_S5_N6thrust23THRUST_200600_302600_NS6detail15normal_iteratorINS8_7pointerIxNS8_11hip_rocprim5par_tENS8_11use_defaultESE_EEEENSA_INSB_IlSD_SE_SE_EEEEZNS1_13binary_searchIS3_S5_NSA_INS8_10device_ptrIxEEEESG_SI_NS1_21upper_bound_search_opENS9_16wrapped_functionINS8_6system6detail7generic6detail18binary_search_lessEbEEEE10hipError_tPvRmT1_T2_T3_mmT4_T5_P12ihipStream_tbEUlRKxE_EESV_SZ_S10_mS11_S14_bEUlT_E_NS1_11comp_targetILNS1_3genE0ELNS1_11target_archE4294967295ELNS1_3gpuE0ELNS1_3repE0EEENS1_30default_config_static_selectorELNS0_4arch9wavefront6targetE1EEEvSY_
		.amdhsa_group_segment_fixed_size 0
		.amdhsa_private_segment_fixed_size 0
		.amdhsa_kernarg_size 56
		.amdhsa_user_sgpr_count 6
		.amdhsa_user_sgpr_private_segment_buffer 1
		.amdhsa_user_sgpr_dispatch_ptr 0
		.amdhsa_user_sgpr_queue_ptr 0
		.amdhsa_user_sgpr_kernarg_segment_ptr 1
		.amdhsa_user_sgpr_dispatch_id 0
		.amdhsa_user_sgpr_flat_scratch_init 0
		.amdhsa_user_sgpr_private_segment_size 0
		.amdhsa_uses_dynamic_stack 0
		.amdhsa_system_sgpr_private_segment_wavefront_offset 0
		.amdhsa_system_sgpr_workgroup_id_x 1
		.amdhsa_system_sgpr_workgroup_id_y 0
		.amdhsa_system_sgpr_workgroup_id_z 0
		.amdhsa_system_sgpr_workgroup_info 0
		.amdhsa_system_vgpr_workitem_id 0
		.amdhsa_next_free_vgpr 1
		.amdhsa_next_free_sgpr 0
		.amdhsa_reserve_vcc 0
		.amdhsa_reserve_flat_scratch 0
		.amdhsa_float_round_mode_32 0
		.amdhsa_float_round_mode_16_64 0
		.amdhsa_float_denorm_mode_32 3
		.amdhsa_float_denorm_mode_16_64 3
		.amdhsa_dx10_clamp 1
		.amdhsa_ieee_mode 1
		.amdhsa_fp16_overflow 0
		.amdhsa_exception_fp_ieee_invalid_op 0
		.amdhsa_exception_fp_denorm_src 0
		.amdhsa_exception_fp_ieee_div_zero 0
		.amdhsa_exception_fp_ieee_overflow 0
		.amdhsa_exception_fp_ieee_underflow 0
		.amdhsa_exception_fp_ieee_inexact 0
		.amdhsa_exception_int_div_zero 0
	.end_amdhsa_kernel
	.section	.text._ZN7rocprim17ROCPRIM_400000_NS6detail17trampoline_kernelINS0_14default_configENS1_27upper_bound_config_selectorIxlEEZNS1_14transform_implILb0ES3_S5_N6thrust23THRUST_200600_302600_NS6detail15normal_iteratorINS8_7pointerIxNS8_11hip_rocprim5par_tENS8_11use_defaultESE_EEEENSA_INSB_IlSD_SE_SE_EEEEZNS1_13binary_searchIS3_S5_NSA_INS8_10device_ptrIxEEEESG_SI_NS1_21upper_bound_search_opENS9_16wrapped_functionINS8_6system6detail7generic6detail18binary_search_lessEbEEEE10hipError_tPvRmT1_T2_T3_mmT4_T5_P12ihipStream_tbEUlRKxE_EESV_SZ_S10_mS11_S14_bEUlT_E_NS1_11comp_targetILNS1_3genE0ELNS1_11target_archE4294967295ELNS1_3gpuE0ELNS1_3repE0EEENS1_30default_config_static_selectorELNS0_4arch9wavefront6targetE1EEEvSY_,"axG",@progbits,_ZN7rocprim17ROCPRIM_400000_NS6detail17trampoline_kernelINS0_14default_configENS1_27upper_bound_config_selectorIxlEEZNS1_14transform_implILb0ES3_S5_N6thrust23THRUST_200600_302600_NS6detail15normal_iteratorINS8_7pointerIxNS8_11hip_rocprim5par_tENS8_11use_defaultESE_EEEENSA_INSB_IlSD_SE_SE_EEEEZNS1_13binary_searchIS3_S5_NSA_INS8_10device_ptrIxEEEESG_SI_NS1_21upper_bound_search_opENS9_16wrapped_functionINS8_6system6detail7generic6detail18binary_search_lessEbEEEE10hipError_tPvRmT1_T2_T3_mmT4_T5_P12ihipStream_tbEUlRKxE_EESV_SZ_S10_mS11_S14_bEUlT_E_NS1_11comp_targetILNS1_3genE0ELNS1_11target_archE4294967295ELNS1_3gpuE0ELNS1_3repE0EEENS1_30default_config_static_selectorELNS0_4arch9wavefront6targetE1EEEvSY_,comdat
.Lfunc_end563:
	.size	_ZN7rocprim17ROCPRIM_400000_NS6detail17trampoline_kernelINS0_14default_configENS1_27upper_bound_config_selectorIxlEEZNS1_14transform_implILb0ES3_S5_N6thrust23THRUST_200600_302600_NS6detail15normal_iteratorINS8_7pointerIxNS8_11hip_rocprim5par_tENS8_11use_defaultESE_EEEENSA_INSB_IlSD_SE_SE_EEEEZNS1_13binary_searchIS3_S5_NSA_INS8_10device_ptrIxEEEESG_SI_NS1_21upper_bound_search_opENS9_16wrapped_functionINS8_6system6detail7generic6detail18binary_search_lessEbEEEE10hipError_tPvRmT1_T2_T3_mmT4_T5_P12ihipStream_tbEUlRKxE_EESV_SZ_S10_mS11_S14_bEUlT_E_NS1_11comp_targetILNS1_3genE0ELNS1_11target_archE4294967295ELNS1_3gpuE0ELNS1_3repE0EEENS1_30default_config_static_selectorELNS0_4arch9wavefront6targetE1EEEvSY_, .Lfunc_end563-_ZN7rocprim17ROCPRIM_400000_NS6detail17trampoline_kernelINS0_14default_configENS1_27upper_bound_config_selectorIxlEEZNS1_14transform_implILb0ES3_S5_N6thrust23THRUST_200600_302600_NS6detail15normal_iteratorINS8_7pointerIxNS8_11hip_rocprim5par_tENS8_11use_defaultESE_EEEENSA_INSB_IlSD_SE_SE_EEEEZNS1_13binary_searchIS3_S5_NSA_INS8_10device_ptrIxEEEESG_SI_NS1_21upper_bound_search_opENS9_16wrapped_functionINS8_6system6detail7generic6detail18binary_search_lessEbEEEE10hipError_tPvRmT1_T2_T3_mmT4_T5_P12ihipStream_tbEUlRKxE_EESV_SZ_S10_mS11_S14_bEUlT_E_NS1_11comp_targetILNS1_3genE0ELNS1_11target_archE4294967295ELNS1_3gpuE0ELNS1_3repE0EEENS1_30default_config_static_selectorELNS0_4arch9wavefront6targetE1EEEvSY_
                                        ; -- End function
	.set _ZN7rocprim17ROCPRIM_400000_NS6detail17trampoline_kernelINS0_14default_configENS1_27upper_bound_config_selectorIxlEEZNS1_14transform_implILb0ES3_S5_N6thrust23THRUST_200600_302600_NS6detail15normal_iteratorINS8_7pointerIxNS8_11hip_rocprim5par_tENS8_11use_defaultESE_EEEENSA_INSB_IlSD_SE_SE_EEEEZNS1_13binary_searchIS3_S5_NSA_INS8_10device_ptrIxEEEESG_SI_NS1_21upper_bound_search_opENS9_16wrapped_functionINS8_6system6detail7generic6detail18binary_search_lessEbEEEE10hipError_tPvRmT1_T2_T3_mmT4_T5_P12ihipStream_tbEUlRKxE_EESV_SZ_S10_mS11_S14_bEUlT_E_NS1_11comp_targetILNS1_3genE0ELNS1_11target_archE4294967295ELNS1_3gpuE0ELNS1_3repE0EEENS1_30default_config_static_selectorELNS0_4arch9wavefront6targetE1EEEvSY_.num_vgpr, 0
	.set _ZN7rocprim17ROCPRIM_400000_NS6detail17trampoline_kernelINS0_14default_configENS1_27upper_bound_config_selectorIxlEEZNS1_14transform_implILb0ES3_S5_N6thrust23THRUST_200600_302600_NS6detail15normal_iteratorINS8_7pointerIxNS8_11hip_rocprim5par_tENS8_11use_defaultESE_EEEENSA_INSB_IlSD_SE_SE_EEEEZNS1_13binary_searchIS3_S5_NSA_INS8_10device_ptrIxEEEESG_SI_NS1_21upper_bound_search_opENS9_16wrapped_functionINS8_6system6detail7generic6detail18binary_search_lessEbEEEE10hipError_tPvRmT1_T2_T3_mmT4_T5_P12ihipStream_tbEUlRKxE_EESV_SZ_S10_mS11_S14_bEUlT_E_NS1_11comp_targetILNS1_3genE0ELNS1_11target_archE4294967295ELNS1_3gpuE0ELNS1_3repE0EEENS1_30default_config_static_selectorELNS0_4arch9wavefront6targetE1EEEvSY_.num_agpr, 0
	.set _ZN7rocprim17ROCPRIM_400000_NS6detail17trampoline_kernelINS0_14default_configENS1_27upper_bound_config_selectorIxlEEZNS1_14transform_implILb0ES3_S5_N6thrust23THRUST_200600_302600_NS6detail15normal_iteratorINS8_7pointerIxNS8_11hip_rocprim5par_tENS8_11use_defaultESE_EEEENSA_INSB_IlSD_SE_SE_EEEEZNS1_13binary_searchIS3_S5_NSA_INS8_10device_ptrIxEEEESG_SI_NS1_21upper_bound_search_opENS9_16wrapped_functionINS8_6system6detail7generic6detail18binary_search_lessEbEEEE10hipError_tPvRmT1_T2_T3_mmT4_T5_P12ihipStream_tbEUlRKxE_EESV_SZ_S10_mS11_S14_bEUlT_E_NS1_11comp_targetILNS1_3genE0ELNS1_11target_archE4294967295ELNS1_3gpuE0ELNS1_3repE0EEENS1_30default_config_static_selectorELNS0_4arch9wavefront6targetE1EEEvSY_.numbered_sgpr, 0
	.set _ZN7rocprim17ROCPRIM_400000_NS6detail17trampoline_kernelINS0_14default_configENS1_27upper_bound_config_selectorIxlEEZNS1_14transform_implILb0ES3_S5_N6thrust23THRUST_200600_302600_NS6detail15normal_iteratorINS8_7pointerIxNS8_11hip_rocprim5par_tENS8_11use_defaultESE_EEEENSA_INSB_IlSD_SE_SE_EEEEZNS1_13binary_searchIS3_S5_NSA_INS8_10device_ptrIxEEEESG_SI_NS1_21upper_bound_search_opENS9_16wrapped_functionINS8_6system6detail7generic6detail18binary_search_lessEbEEEE10hipError_tPvRmT1_T2_T3_mmT4_T5_P12ihipStream_tbEUlRKxE_EESV_SZ_S10_mS11_S14_bEUlT_E_NS1_11comp_targetILNS1_3genE0ELNS1_11target_archE4294967295ELNS1_3gpuE0ELNS1_3repE0EEENS1_30default_config_static_selectorELNS0_4arch9wavefront6targetE1EEEvSY_.num_named_barrier, 0
	.set _ZN7rocprim17ROCPRIM_400000_NS6detail17trampoline_kernelINS0_14default_configENS1_27upper_bound_config_selectorIxlEEZNS1_14transform_implILb0ES3_S5_N6thrust23THRUST_200600_302600_NS6detail15normal_iteratorINS8_7pointerIxNS8_11hip_rocprim5par_tENS8_11use_defaultESE_EEEENSA_INSB_IlSD_SE_SE_EEEEZNS1_13binary_searchIS3_S5_NSA_INS8_10device_ptrIxEEEESG_SI_NS1_21upper_bound_search_opENS9_16wrapped_functionINS8_6system6detail7generic6detail18binary_search_lessEbEEEE10hipError_tPvRmT1_T2_T3_mmT4_T5_P12ihipStream_tbEUlRKxE_EESV_SZ_S10_mS11_S14_bEUlT_E_NS1_11comp_targetILNS1_3genE0ELNS1_11target_archE4294967295ELNS1_3gpuE0ELNS1_3repE0EEENS1_30default_config_static_selectorELNS0_4arch9wavefront6targetE1EEEvSY_.private_seg_size, 0
	.set _ZN7rocprim17ROCPRIM_400000_NS6detail17trampoline_kernelINS0_14default_configENS1_27upper_bound_config_selectorIxlEEZNS1_14transform_implILb0ES3_S5_N6thrust23THRUST_200600_302600_NS6detail15normal_iteratorINS8_7pointerIxNS8_11hip_rocprim5par_tENS8_11use_defaultESE_EEEENSA_INSB_IlSD_SE_SE_EEEEZNS1_13binary_searchIS3_S5_NSA_INS8_10device_ptrIxEEEESG_SI_NS1_21upper_bound_search_opENS9_16wrapped_functionINS8_6system6detail7generic6detail18binary_search_lessEbEEEE10hipError_tPvRmT1_T2_T3_mmT4_T5_P12ihipStream_tbEUlRKxE_EESV_SZ_S10_mS11_S14_bEUlT_E_NS1_11comp_targetILNS1_3genE0ELNS1_11target_archE4294967295ELNS1_3gpuE0ELNS1_3repE0EEENS1_30default_config_static_selectorELNS0_4arch9wavefront6targetE1EEEvSY_.uses_vcc, 0
	.set _ZN7rocprim17ROCPRIM_400000_NS6detail17trampoline_kernelINS0_14default_configENS1_27upper_bound_config_selectorIxlEEZNS1_14transform_implILb0ES3_S5_N6thrust23THRUST_200600_302600_NS6detail15normal_iteratorINS8_7pointerIxNS8_11hip_rocprim5par_tENS8_11use_defaultESE_EEEENSA_INSB_IlSD_SE_SE_EEEEZNS1_13binary_searchIS3_S5_NSA_INS8_10device_ptrIxEEEESG_SI_NS1_21upper_bound_search_opENS9_16wrapped_functionINS8_6system6detail7generic6detail18binary_search_lessEbEEEE10hipError_tPvRmT1_T2_T3_mmT4_T5_P12ihipStream_tbEUlRKxE_EESV_SZ_S10_mS11_S14_bEUlT_E_NS1_11comp_targetILNS1_3genE0ELNS1_11target_archE4294967295ELNS1_3gpuE0ELNS1_3repE0EEENS1_30default_config_static_selectorELNS0_4arch9wavefront6targetE1EEEvSY_.uses_flat_scratch, 0
	.set _ZN7rocprim17ROCPRIM_400000_NS6detail17trampoline_kernelINS0_14default_configENS1_27upper_bound_config_selectorIxlEEZNS1_14transform_implILb0ES3_S5_N6thrust23THRUST_200600_302600_NS6detail15normal_iteratorINS8_7pointerIxNS8_11hip_rocprim5par_tENS8_11use_defaultESE_EEEENSA_INSB_IlSD_SE_SE_EEEEZNS1_13binary_searchIS3_S5_NSA_INS8_10device_ptrIxEEEESG_SI_NS1_21upper_bound_search_opENS9_16wrapped_functionINS8_6system6detail7generic6detail18binary_search_lessEbEEEE10hipError_tPvRmT1_T2_T3_mmT4_T5_P12ihipStream_tbEUlRKxE_EESV_SZ_S10_mS11_S14_bEUlT_E_NS1_11comp_targetILNS1_3genE0ELNS1_11target_archE4294967295ELNS1_3gpuE0ELNS1_3repE0EEENS1_30default_config_static_selectorELNS0_4arch9wavefront6targetE1EEEvSY_.has_dyn_sized_stack, 0
	.set _ZN7rocprim17ROCPRIM_400000_NS6detail17trampoline_kernelINS0_14default_configENS1_27upper_bound_config_selectorIxlEEZNS1_14transform_implILb0ES3_S5_N6thrust23THRUST_200600_302600_NS6detail15normal_iteratorINS8_7pointerIxNS8_11hip_rocprim5par_tENS8_11use_defaultESE_EEEENSA_INSB_IlSD_SE_SE_EEEEZNS1_13binary_searchIS3_S5_NSA_INS8_10device_ptrIxEEEESG_SI_NS1_21upper_bound_search_opENS9_16wrapped_functionINS8_6system6detail7generic6detail18binary_search_lessEbEEEE10hipError_tPvRmT1_T2_T3_mmT4_T5_P12ihipStream_tbEUlRKxE_EESV_SZ_S10_mS11_S14_bEUlT_E_NS1_11comp_targetILNS1_3genE0ELNS1_11target_archE4294967295ELNS1_3gpuE0ELNS1_3repE0EEENS1_30default_config_static_selectorELNS0_4arch9wavefront6targetE1EEEvSY_.has_recursion, 0
	.set _ZN7rocprim17ROCPRIM_400000_NS6detail17trampoline_kernelINS0_14default_configENS1_27upper_bound_config_selectorIxlEEZNS1_14transform_implILb0ES3_S5_N6thrust23THRUST_200600_302600_NS6detail15normal_iteratorINS8_7pointerIxNS8_11hip_rocprim5par_tENS8_11use_defaultESE_EEEENSA_INSB_IlSD_SE_SE_EEEEZNS1_13binary_searchIS3_S5_NSA_INS8_10device_ptrIxEEEESG_SI_NS1_21upper_bound_search_opENS9_16wrapped_functionINS8_6system6detail7generic6detail18binary_search_lessEbEEEE10hipError_tPvRmT1_T2_T3_mmT4_T5_P12ihipStream_tbEUlRKxE_EESV_SZ_S10_mS11_S14_bEUlT_E_NS1_11comp_targetILNS1_3genE0ELNS1_11target_archE4294967295ELNS1_3gpuE0ELNS1_3repE0EEENS1_30default_config_static_selectorELNS0_4arch9wavefront6targetE1EEEvSY_.has_indirect_call, 0
	.section	.AMDGPU.csdata,"",@progbits
; Kernel info:
; codeLenInByte = 0
; TotalNumSgprs: 4
; NumVgprs: 0
; ScratchSize: 0
; MemoryBound: 0
; FloatMode: 240
; IeeeMode: 1
; LDSByteSize: 0 bytes/workgroup (compile time only)
; SGPRBlocks: 0
; VGPRBlocks: 0
; NumSGPRsForWavesPerEU: 4
; NumVGPRsForWavesPerEU: 1
; Occupancy: 10
; WaveLimiterHint : 0
; COMPUTE_PGM_RSRC2:SCRATCH_EN: 0
; COMPUTE_PGM_RSRC2:USER_SGPR: 6
; COMPUTE_PGM_RSRC2:TRAP_HANDLER: 0
; COMPUTE_PGM_RSRC2:TGID_X_EN: 1
; COMPUTE_PGM_RSRC2:TGID_Y_EN: 0
; COMPUTE_PGM_RSRC2:TGID_Z_EN: 0
; COMPUTE_PGM_RSRC2:TIDIG_COMP_CNT: 0
	.section	.text._ZN7rocprim17ROCPRIM_400000_NS6detail17trampoline_kernelINS0_14default_configENS1_27upper_bound_config_selectorIxlEEZNS1_14transform_implILb0ES3_S5_N6thrust23THRUST_200600_302600_NS6detail15normal_iteratorINS8_7pointerIxNS8_11hip_rocprim5par_tENS8_11use_defaultESE_EEEENSA_INSB_IlSD_SE_SE_EEEEZNS1_13binary_searchIS3_S5_NSA_INS8_10device_ptrIxEEEESG_SI_NS1_21upper_bound_search_opENS9_16wrapped_functionINS8_6system6detail7generic6detail18binary_search_lessEbEEEE10hipError_tPvRmT1_T2_T3_mmT4_T5_P12ihipStream_tbEUlRKxE_EESV_SZ_S10_mS11_S14_bEUlT_E_NS1_11comp_targetILNS1_3genE5ELNS1_11target_archE942ELNS1_3gpuE9ELNS1_3repE0EEENS1_30default_config_static_selectorELNS0_4arch9wavefront6targetE1EEEvSY_,"axG",@progbits,_ZN7rocprim17ROCPRIM_400000_NS6detail17trampoline_kernelINS0_14default_configENS1_27upper_bound_config_selectorIxlEEZNS1_14transform_implILb0ES3_S5_N6thrust23THRUST_200600_302600_NS6detail15normal_iteratorINS8_7pointerIxNS8_11hip_rocprim5par_tENS8_11use_defaultESE_EEEENSA_INSB_IlSD_SE_SE_EEEEZNS1_13binary_searchIS3_S5_NSA_INS8_10device_ptrIxEEEESG_SI_NS1_21upper_bound_search_opENS9_16wrapped_functionINS8_6system6detail7generic6detail18binary_search_lessEbEEEE10hipError_tPvRmT1_T2_T3_mmT4_T5_P12ihipStream_tbEUlRKxE_EESV_SZ_S10_mS11_S14_bEUlT_E_NS1_11comp_targetILNS1_3genE5ELNS1_11target_archE942ELNS1_3gpuE9ELNS1_3repE0EEENS1_30default_config_static_selectorELNS0_4arch9wavefront6targetE1EEEvSY_,comdat
	.protected	_ZN7rocprim17ROCPRIM_400000_NS6detail17trampoline_kernelINS0_14default_configENS1_27upper_bound_config_selectorIxlEEZNS1_14transform_implILb0ES3_S5_N6thrust23THRUST_200600_302600_NS6detail15normal_iteratorINS8_7pointerIxNS8_11hip_rocprim5par_tENS8_11use_defaultESE_EEEENSA_INSB_IlSD_SE_SE_EEEEZNS1_13binary_searchIS3_S5_NSA_INS8_10device_ptrIxEEEESG_SI_NS1_21upper_bound_search_opENS9_16wrapped_functionINS8_6system6detail7generic6detail18binary_search_lessEbEEEE10hipError_tPvRmT1_T2_T3_mmT4_T5_P12ihipStream_tbEUlRKxE_EESV_SZ_S10_mS11_S14_bEUlT_E_NS1_11comp_targetILNS1_3genE5ELNS1_11target_archE942ELNS1_3gpuE9ELNS1_3repE0EEENS1_30default_config_static_selectorELNS0_4arch9wavefront6targetE1EEEvSY_ ; -- Begin function _ZN7rocprim17ROCPRIM_400000_NS6detail17trampoline_kernelINS0_14default_configENS1_27upper_bound_config_selectorIxlEEZNS1_14transform_implILb0ES3_S5_N6thrust23THRUST_200600_302600_NS6detail15normal_iteratorINS8_7pointerIxNS8_11hip_rocprim5par_tENS8_11use_defaultESE_EEEENSA_INSB_IlSD_SE_SE_EEEEZNS1_13binary_searchIS3_S5_NSA_INS8_10device_ptrIxEEEESG_SI_NS1_21upper_bound_search_opENS9_16wrapped_functionINS8_6system6detail7generic6detail18binary_search_lessEbEEEE10hipError_tPvRmT1_T2_T3_mmT4_T5_P12ihipStream_tbEUlRKxE_EESV_SZ_S10_mS11_S14_bEUlT_E_NS1_11comp_targetILNS1_3genE5ELNS1_11target_archE942ELNS1_3gpuE9ELNS1_3repE0EEENS1_30default_config_static_selectorELNS0_4arch9wavefront6targetE1EEEvSY_
	.globl	_ZN7rocprim17ROCPRIM_400000_NS6detail17trampoline_kernelINS0_14default_configENS1_27upper_bound_config_selectorIxlEEZNS1_14transform_implILb0ES3_S5_N6thrust23THRUST_200600_302600_NS6detail15normal_iteratorINS8_7pointerIxNS8_11hip_rocprim5par_tENS8_11use_defaultESE_EEEENSA_INSB_IlSD_SE_SE_EEEEZNS1_13binary_searchIS3_S5_NSA_INS8_10device_ptrIxEEEESG_SI_NS1_21upper_bound_search_opENS9_16wrapped_functionINS8_6system6detail7generic6detail18binary_search_lessEbEEEE10hipError_tPvRmT1_T2_T3_mmT4_T5_P12ihipStream_tbEUlRKxE_EESV_SZ_S10_mS11_S14_bEUlT_E_NS1_11comp_targetILNS1_3genE5ELNS1_11target_archE942ELNS1_3gpuE9ELNS1_3repE0EEENS1_30default_config_static_selectorELNS0_4arch9wavefront6targetE1EEEvSY_
	.p2align	8
	.type	_ZN7rocprim17ROCPRIM_400000_NS6detail17trampoline_kernelINS0_14default_configENS1_27upper_bound_config_selectorIxlEEZNS1_14transform_implILb0ES3_S5_N6thrust23THRUST_200600_302600_NS6detail15normal_iteratorINS8_7pointerIxNS8_11hip_rocprim5par_tENS8_11use_defaultESE_EEEENSA_INSB_IlSD_SE_SE_EEEEZNS1_13binary_searchIS3_S5_NSA_INS8_10device_ptrIxEEEESG_SI_NS1_21upper_bound_search_opENS9_16wrapped_functionINS8_6system6detail7generic6detail18binary_search_lessEbEEEE10hipError_tPvRmT1_T2_T3_mmT4_T5_P12ihipStream_tbEUlRKxE_EESV_SZ_S10_mS11_S14_bEUlT_E_NS1_11comp_targetILNS1_3genE5ELNS1_11target_archE942ELNS1_3gpuE9ELNS1_3repE0EEENS1_30default_config_static_selectorELNS0_4arch9wavefront6targetE1EEEvSY_,@function
_ZN7rocprim17ROCPRIM_400000_NS6detail17trampoline_kernelINS0_14default_configENS1_27upper_bound_config_selectorIxlEEZNS1_14transform_implILb0ES3_S5_N6thrust23THRUST_200600_302600_NS6detail15normal_iteratorINS8_7pointerIxNS8_11hip_rocprim5par_tENS8_11use_defaultESE_EEEENSA_INSB_IlSD_SE_SE_EEEEZNS1_13binary_searchIS3_S5_NSA_INS8_10device_ptrIxEEEESG_SI_NS1_21upper_bound_search_opENS9_16wrapped_functionINS8_6system6detail7generic6detail18binary_search_lessEbEEEE10hipError_tPvRmT1_T2_T3_mmT4_T5_P12ihipStream_tbEUlRKxE_EESV_SZ_S10_mS11_S14_bEUlT_E_NS1_11comp_targetILNS1_3genE5ELNS1_11target_archE942ELNS1_3gpuE9ELNS1_3repE0EEENS1_30default_config_static_selectorELNS0_4arch9wavefront6targetE1EEEvSY_: ; @_ZN7rocprim17ROCPRIM_400000_NS6detail17trampoline_kernelINS0_14default_configENS1_27upper_bound_config_selectorIxlEEZNS1_14transform_implILb0ES3_S5_N6thrust23THRUST_200600_302600_NS6detail15normal_iteratorINS8_7pointerIxNS8_11hip_rocprim5par_tENS8_11use_defaultESE_EEEENSA_INSB_IlSD_SE_SE_EEEEZNS1_13binary_searchIS3_S5_NSA_INS8_10device_ptrIxEEEESG_SI_NS1_21upper_bound_search_opENS9_16wrapped_functionINS8_6system6detail7generic6detail18binary_search_lessEbEEEE10hipError_tPvRmT1_T2_T3_mmT4_T5_P12ihipStream_tbEUlRKxE_EESV_SZ_S10_mS11_S14_bEUlT_E_NS1_11comp_targetILNS1_3genE5ELNS1_11target_archE942ELNS1_3gpuE9ELNS1_3repE0EEENS1_30default_config_static_selectorELNS0_4arch9wavefront6targetE1EEEvSY_
; %bb.0:
	.section	.rodata,"a",@progbits
	.p2align	6, 0x0
	.amdhsa_kernel _ZN7rocprim17ROCPRIM_400000_NS6detail17trampoline_kernelINS0_14default_configENS1_27upper_bound_config_selectorIxlEEZNS1_14transform_implILb0ES3_S5_N6thrust23THRUST_200600_302600_NS6detail15normal_iteratorINS8_7pointerIxNS8_11hip_rocprim5par_tENS8_11use_defaultESE_EEEENSA_INSB_IlSD_SE_SE_EEEEZNS1_13binary_searchIS3_S5_NSA_INS8_10device_ptrIxEEEESG_SI_NS1_21upper_bound_search_opENS9_16wrapped_functionINS8_6system6detail7generic6detail18binary_search_lessEbEEEE10hipError_tPvRmT1_T2_T3_mmT4_T5_P12ihipStream_tbEUlRKxE_EESV_SZ_S10_mS11_S14_bEUlT_E_NS1_11comp_targetILNS1_3genE5ELNS1_11target_archE942ELNS1_3gpuE9ELNS1_3repE0EEENS1_30default_config_static_selectorELNS0_4arch9wavefront6targetE1EEEvSY_
		.amdhsa_group_segment_fixed_size 0
		.amdhsa_private_segment_fixed_size 0
		.amdhsa_kernarg_size 56
		.amdhsa_user_sgpr_count 6
		.amdhsa_user_sgpr_private_segment_buffer 1
		.amdhsa_user_sgpr_dispatch_ptr 0
		.amdhsa_user_sgpr_queue_ptr 0
		.amdhsa_user_sgpr_kernarg_segment_ptr 1
		.amdhsa_user_sgpr_dispatch_id 0
		.amdhsa_user_sgpr_flat_scratch_init 0
		.amdhsa_user_sgpr_private_segment_size 0
		.amdhsa_uses_dynamic_stack 0
		.amdhsa_system_sgpr_private_segment_wavefront_offset 0
		.amdhsa_system_sgpr_workgroup_id_x 1
		.amdhsa_system_sgpr_workgroup_id_y 0
		.amdhsa_system_sgpr_workgroup_id_z 0
		.amdhsa_system_sgpr_workgroup_info 0
		.amdhsa_system_vgpr_workitem_id 0
		.amdhsa_next_free_vgpr 1
		.amdhsa_next_free_sgpr 0
		.amdhsa_reserve_vcc 0
		.amdhsa_reserve_flat_scratch 0
		.amdhsa_float_round_mode_32 0
		.amdhsa_float_round_mode_16_64 0
		.amdhsa_float_denorm_mode_32 3
		.amdhsa_float_denorm_mode_16_64 3
		.amdhsa_dx10_clamp 1
		.amdhsa_ieee_mode 1
		.amdhsa_fp16_overflow 0
		.amdhsa_exception_fp_ieee_invalid_op 0
		.amdhsa_exception_fp_denorm_src 0
		.amdhsa_exception_fp_ieee_div_zero 0
		.amdhsa_exception_fp_ieee_overflow 0
		.amdhsa_exception_fp_ieee_underflow 0
		.amdhsa_exception_fp_ieee_inexact 0
		.amdhsa_exception_int_div_zero 0
	.end_amdhsa_kernel
	.section	.text._ZN7rocprim17ROCPRIM_400000_NS6detail17trampoline_kernelINS0_14default_configENS1_27upper_bound_config_selectorIxlEEZNS1_14transform_implILb0ES3_S5_N6thrust23THRUST_200600_302600_NS6detail15normal_iteratorINS8_7pointerIxNS8_11hip_rocprim5par_tENS8_11use_defaultESE_EEEENSA_INSB_IlSD_SE_SE_EEEEZNS1_13binary_searchIS3_S5_NSA_INS8_10device_ptrIxEEEESG_SI_NS1_21upper_bound_search_opENS9_16wrapped_functionINS8_6system6detail7generic6detail18binary_search_lessEbEEEE10hipError_tPvRmT1_T2_T3_mmT4_T5_P12ihipStream_tbEUlRKxE_EESV_SZ_S10_mS11_S14_bEUlT_E_NS1_11comp_targetILNS1_3genE5ELNS1_11target_archE942ELNS1_3gpuE9ELNS1_3repE0EEENS1_30default_config_static_selectorELNS0_4arch9wavefront6targetE1EEEvSY_,"axG",@progbits,_ZN7rocprim17ROCPRIM_400000_NS6detail17trampoline_kernelINS0_14default_configENS1_27upper_bound_config_selectorIxlEEZNS1_14transform_implILb0ES3_S5_N6thrust23THRUST_200600_302600_NS6detail15normal_iteratorINS8_7pointerIxNS8_11hip_rocprim5par_tENS8_11use_defaultESE_EEEENSA_INSB_IlSD_SE_SE_EEEEZNS1_13binary_searchIS3_S5_NSA_INS8_10device_ptrIxEEEESG_SI_NS1_21upper_bound_search_opENS9_16wrapped_functionINS8_6system6detail7generic6detail18binary_search_lessEbEEEE10hipError_tPvRmT1_T2_T3_mmT4_T5_P12ihipStream_tbEUlRKxE_EESV_SZ_S10_mS11_S14_bEUlT_E_NS1_11comp_targetILNS1_3genE5ELNS1_11target_archE942ELNS1_3gpuE9ELNS1_3repE0EEENS1_30default_config_static_selectorELNS0_4arch9wavefront6targetE1EEEvSY_,comdat
.Lfunc_end564:
	.size	_ZN7rocprim17ROCPRIM_400000_NS6detail17trampoline_kernelINS0_14default_configENS1_27upper_bound_config_selectorIxlEEZNS1_14transform_implILb0ES3_S5_N6thrust23THRUST_200600_302600_NS6detail15normal_iteratorINS8_7pointerIxNS8_11hip_rocprim5par_tENS8_11use_defaultESE_EEEENSA_INSB_IlSD_SE_SE_EEEEZNS1_13binary_searchIS3_S5_NSA_INS8_10device_ptrIxEEEESG_SI_NS1_21upper_bound_search_opENS9_16wrapped_functionINS8_6system6detail7generic6detail18binary_search_lessEbEEEE10hipError_tPvRmT1_T2_T3_mmT4_T5_P12ihipStream_tbEUlRKxE_EESV_SZ_S10_mS11_S14_bEUlT_E_NS1_11comp_targetILNS1_3genE5ELNS1_11target_archE942ELNS1_3gpuE9ELNS1_3repE0EEENS1_30default_config_static_selectorELNS0_4arch9wavefront6targetE1EEEvSY_, .Lfunc_end564-_ZN7rocprim17ROCPRIM_400000_NS6detail17trampoline_kernelINS0_14default_configENS1_27upper_bound_config_selectorIxlEEZNS1_14transform_implILb0ES3_S5_N6thrust23THRUST_200600_302600_NS6detail15normal_iteratorINS8_7pointerIxNS8_11hip_rocprim5par_tENS8_11use_defaultESE_EEEENSA_INSB_IlSD_SE_SE_EEEEZNS1_13binary_searchIS3_S5_NSA_INS8_10device_ptrIxEEEESG_SI_NS1_21upper_bound_search_opENS9_16wrapped_functionINS8_6system6detail7generic6detail18binary_search_lessEbEEEE10hipError_tPvRmT1_T2_T3_mmT4_T5_P12ihipStream_tbEUlRKxE_EESV_SZ_S10_mS11_S14_bEUlT_E_NS1_11comp_targetILNS1_3genE5ELNS1_11target_archE942ELNS1_3gpuE9ELNS1_3repE0EEENS1_30default_config_static_selectorELNS0_4arch9wavefront6targetE1EEEvSY_
                                        ; -- End function
	.set _ZN7rocprim17ROCPRIM_400000_NS6detail17trampoline_kernelINS0_14default_configENS1_27upper_bound_config_selectorIxlEEZNS1_14transform_implILb0ES3_S5_N6thrust23THRUST_200600_302600_NS6detail15normal_iteratorINS8_7pointerIxNS8_11hip_rocprim5par_tENS8_11use_defaultESE_EEEENSA_INSB_IlSD_SE_SE_EEEEZNS1_13binary_searchIS3_S5_NSA_INS8_10device_ptrIxEEEESG_SI_NS1_21upper_bound_search_opENS9_16wrapped_functionINS8_6system6detail7generic6detail18binary_search_lessEbEEEE10hipError_tPvRmT1_T2_T3_mmT4_T5_P12ihipStream_tbEUlRKxE_EESV_SZ_S10_mS11_S14_bEUlT_E_NS1_11comp_targetILNS1_3genE5ELNS1_11target_archE942ELNS1_3gpuE9ELNS1_3repE0EEENS1_30default_config_static_selectorELNS0_4arch9wavefront6targetE1EEEvSY_.num_vgpr, 0
	.set _ZN7rocprim17ROCPRIM_400000_NS6detail17trampoline_kernelINS0_14default_configENS1_27upper_bound_config_selectorIxlEEZNS1_14transform_implILb0ES3_S5_N6thrust23THRUST_200600_302600_NS6detail15normal_iteratorINS8_7pointerIxNS8_11hip_rocprim5par_tENS8_11use_defaultESE_EEEENSA_INSB_IlSD_SE_SE_EEEEZNS1_13binary_searchIS3_S5_NSA_INS8_10device_ptrIxEEEESG_SI_NS1_21upper_bound_search_opENS9_16wrapped_functionINS8_6system6detail7generic6detail18binary_search_lessEbEEEE10hipError_tPvRmT1_T2_T3_mmT4_T5_P12ihipStream_tbEUlRKxE_EESV_SZ_S10_mS11_S14_bEUlT_E_NS1_11comp_targetILNS1_3genE5ELNS1_11target_archE942ELNS1_3gpuE9ELNS1_3repE0EEENS1_30default_config_static_selectorELNS0_4arch9wavefront6targetE1EEEvSY_.num_agpr, 0
	.set _ZN7rocprim17ROCPRIM_400000_NS6detail17trampoline_kernelINS0_14default_configENS1_27upper_bound_config_selectorIxlEEZNS1_14transform_implILb0ES3_S5_N6thrust23THRUST_200600_302600_NS6detail15normal_iteratorINS8_7pointerIxNS8_11hip_rocprim5par_tENS8_11use_defaultESE_EEEENSA_INSB_IlSD_SE_SE_EEEEZNS1_13binary_searchIS3_S5_NSA_INS8_10device_ptrIxEEEESG_SI_NS1_21upper_bound_search_opENS9_16wrapped_functionINS8_6system6detail7generic6detail18binary_search_lessEbEEEE10hipError_tPvRmT1_T2_T3_mmT4_T5_P12ihipStream_tbEUlRKxE_EESV_SZ_S10_mS11_S14_bEUlT_E_NS1_11comp_targetILNS1_3genE5ELNS1_11target_archE942ELNS1_3gpuE9ELNS1_3repE0EEENS1_30default_config_static_selectorELNS0_4arch9wavefront6targetE1EEEvSY_.numbered_sgpr, 0
	.set _ZN7rocprim17ROCPRIM_400000_NS6detail17trampoline_kernelINS0_14default_configENS1_27upper_bound_config_selectorIxlEEZNS1_14transform_implILb0ES3_S5_N6thrust23THRUST_200600_302600_NS6detail15normal_iteratorINS8_7pointerIxNS8_11hip_rocprim5par_tENS8_11use_defaultESE_EEEENSA_INSB_IlSD_SE_SE_EEEEZNS1_13binary_searchIS3_S5_NSA_INS8_10device_ptrIxEEEESG_SI_NS1_21upper_bound_search_opENS9_16wrapped_functionINS8_6system6detail7generic6detail18binary_search_lessEbEEEE10hipError_tPvRmT1_T2_T3_mmT4_T5_P12ihipStream_tbEUlRKxE_EESV_SZ_S10_mS11_S14_bEUlT_E_NS1_11comp_targetILNS1_3genE5ELNS1_11target_archE942ELNS1_3gpuE9ELNS1_3repE0EEENS1_30default_config_static_selectorELNS0_4arch9wavefront6targetE1EEEvSY_.num_named_barrier, 0
	.set _ZN7rocprim17ROCPRIM_400000_NS6detail17trampoline_kernelINS0_14default_configENS1_27upper_bound_config_selectorIxlEEZNS1_14transform_implILb0ES3_S5_N6thrust23THRUST_200600_302600_NS6detail15normal_iteratorINS8_7pointerIxNS8_11hip_rocprim5par_tENS8_11use_defaultESE_EEEENSA_INSB_IlSD_SE_SE_EEEEZNS1_13binary_searchIS3_S5_NSA_INS8_10device_ptrIxEEEESG_SI_NS1_21upper_bound_search_opENS9_16wrapped_functionINS8_6system6detail7generic6detail18binary_search_lessEbEEEE10hipError_tPvRmT1_T2_T3_mmT4_T5_P12ihipStream_tbEUlRKxE_EESV_SZ_S10_mS11_S14_bEUlT_E_NS1_11comp_targetILNS1_3genE5ELNS1_11target_archE942ELNS1_3gpuE9ELNS1_3repE0EEENS1_30default_config_static_selectorELNS0_4arch9wavefront6targetE1EEEvSY_.private_seg_size, 0
	.set _ZN7rocprim17ROCPRIM_400000_NS6detail17trampoline_kernelINS0_14default_configENS1_27upper_bound_config_selectorIxlEEZNS1_14transform_implILb0ES3_S5_N6thrust23THRUST_200600_302600_NS6detail15normal_iteratorINS8_7pointerIxNS8_11hip_rocprim5par_tENS8_11use_defaultESE_EEEENSA_INSB_IlSD_SE_SE_EEEEZNS1_13binary_searchIS3_S5_NSA_INS8_10device_ptrIxEEEESG_SI_NS1_21upper_bound_search_opENS9_16wrapped_functionINS8_6system6detail7generic6detail18binary_search_lessEbEEEE10hipError_tPvRmT1_T2_T3_mmT4_T5_P12ihipStream_tbEUlRKxE_EESV_SZ_S10_mS11_S14_bEUlT_E_NS1_11comp_targetILNS1_3genE5ELNS1_11target_archE942ELNS1_3gpuE9ELNS1_3repE0EEENS1_30default_config_static_selectorELNS0_4arch9wavefront6targetE1EEEvSY_.uses_vcc, 0
	.set _ZN7rocprim17ROCPRIM_400000_NS6detail17trampoline_kernelINS0_14default_configENS1_27upper_bound_config_selectorIxlEEZNS1_14transform_implILb0ES3_S5_N6thrust23THRUST_200600_302600_NS6detail15normal_iteratorINS8_7pointerIxNS8_11hip_rocprim5par_tENS8_11use_defaultESE_EEEENSA_INSB_IlSD_SE_SE_EEEEZNS1_13binary_searchIS3_S5_NSA_INS8_10device_ptrIxEEEESG_SI_NS1_21upper_bound_search_opENS9_16wrapped_functionINS8_6system6detail7generic6detail18binary_search_lessEbEEEE10hipError_tPvRmT1_T2_T3_mmT4_T5_P12ihipStream_tbEUlRKxE_EESV_SZ_S10_mS11_S14_bEUlT_E_NS1_11comp_targetILNS1_3genE5ELNS1_11target_archE942ELNS1_3gpuE9ELNS1_3repE0EEENS1_30default_config_static_selectorELNS0_4arch9wavefront6targetE1EEEvSY_.uses_flat_scratch, 0
	.set _ZN7rocprim17ROCPRIM_400000_NS6detail17trampoline_kernelINS0_14default_configENS1_27upper_bound_config_selectorIxlEEZNS1_14transform_implILb0ES3_S5_N6thrust23THRUST_200600_302600_NS6detail15normal_iteratorINS8_7pointerIxNS8_11hip_rocprim5par_tENS8_11use_defaultESE_EEEENSA_INSB_IlSD_SE_SE_EEEEZNS1_13binary_searchIS3_S5_NSA_INS8_10device_ptrIxEEEESG_SI_NS1_21upper_bound_search_opENS9_16wrapped_functionINS8_6system6detail7generic6detail18binary_search_lessEbEEEE10hipError_tPvRmT1_T2_T3_mmT4_T5_P12ihipStream_tbEUlRKxE_EESV_SZ_S10_mS11_S14_bEUlT_E_NS1_11comp_targetILNS1_3genE5ELNS1_11target_archE942ELNS1_3gpuE9ELNS1_3repE0EEENS1_30default_config_static_selectorELNS0_4arch9wavefront6targetE1EEEvSY_.has_dyn_sized_stack, 0
	.set _ZN7rocprim17ROCPRIM_400000_NS6detail17trampoline_kernelINS0_14default_configENS1_27upper_bound_config_selectorIxlEEZNS1_14transform_implILb0ES3_S5_N6thrust23THRUST_200600_302600_NS6detail15normal_iteratorINS8_7pointerIxNS8_11hip_rocprim5par_tENS8_11use_defaultESE_EEEENSA_INSB_IlSD_SE_SE_EEEEZNS1_13binary_searchIS3_S5_NSA_INS8_10device_ptrIxEEEESG_SI_NS1_21upper_bound_search_opENS9_16wrapped_functionINS8_6system6detail7generic6detail18binary_search_lessEbEEEE10hipError_tPvRmT1_T2_T3_mmT4_T5_P12ihipStream_tbEUlRKxE_EESV_SZ_S10_mS11_S14_bEUlT_E_NS1_11comp_targetILNS1_3genE5ELNS1_11target_archE942ELNS1_3gpuE9ELNS1_3repE0EEENS1_30default_config_static_selectorELNS0_4arch9wavefront6targetE1EEEvSY_.has_recursion, 0
	.set _ZN7rocprim17ROCPRIM_400000_NS6detail17trampoline_kernelINS0_14default_configENS1_27upper_bound_config_selectorIxlEEZNS1_14transform_implILb0ES3_S5_N6thrust23THRUST_200600_302600_NS6detail15normal_iteratorINS8_7pointerIxNS8_11hip_rocprim5par_tENS8_11use_defaultESE_EEEENSA_INSB_IlSD_SE_SE_EEEEZNS1_13binary_searchIS3_S5_NSA_INS8_10device_ptrIxEEEESG_SI_NS1_21upper_bound_search_opENS9_16wrapped_functionINS8_6system6detail7generic6detail18binary_search_lessEbEEEE10hipError_tPvRmT1_T2_T3_mmT4_T5_P12ihipStream_tbEUlRKxE_EESV_SZ_S10_mS11_S14_bEUlT_E_NS1_11comp_targetILNS1_3genE5ELNS1_11target_archE942ELNS1_3gpuE9ELNS1_3repE0EEENS1_30default_config_static_selectorELNS0_4arch9wavefront6targetE1EEEvSY_.has_indirect_call, 0
	.section	.AMDGPU.csdata,"",@progbits
; Kernel info:
; codeLenInByte = 0
; TotalNumSgprs: 4
; NumVgprs: 0
; ScratchSize: 0
; MemoryBound: 0
; FloatMode: 240
; IeeeMode: 1
; LDSByteSize: 0 bytes/workgroup (compile time only)
; SGPRBlocks: 0
; VGPRBlocks: 0
; NumSGPRsForWavesPerEU: 4
; NumVGPRsForWavesPerEU: 1
; Occupancy: 10
; WaveLimiterHint : 0
; COMPUTE_PGM_RSRC2:SCRATCH_EN: 0
; COMPUTE_PGM_RSRC2:USER_SGPR: 6
; COMPUTE_PGM_RSRC2:TRAP_HANDLER: 0
; COMPUTE_PGM_RSRC2:TGID_X_EN: 1
; COMPUTE_PGM_RSRC2:TGID_Y_EN: 0
; COMPUTE_PGM_RSRC2:TGID_Z_EN: 0
; COMPUTE_PGM_RSRC2:TIDIG_COMP_CNT: 0
	.section	.text._ZN7rocprim17ROCPRIM_400000_NS6detail17trampoline_kernelINS0_14default_configENS1_27upper_bound_config_selectorIxlEEZNS1_14transform_implILb0ES3_S5_N6thrust23THRUST_200600_302600_NS6detail15normal_iteratorINS8_7pointerIxNS8_11hip_rocprim5par_tENS8_11use_defaultESE_EEEENSA_INSB_IlSD_SE_SE_EEEEZNS1_13binary_searchIS3_S5_NSA_INS8_10device_ptrIxEEEESG_SI_NS1_21upper_bound_search_opENS9_16wrapped_functionINS8_6system6detail7generic6detail18binary_search_lessEbEEEE10hipError_tPvRmT1_T2_T3_mmT4_T5_P12ihipStream_tbEUlRKxE_EESV_SZ_S10_mS11_S14_bEUlT_E_NS1_11comp_targetILNS1_3genE4ELNS1_11target_archE910ELNS1_3gpuE8ELNS1_3repE0EEENS1_30default_config_static_selectorELNS0_4arch9wavefront6targetE1EEEvSY_,"axG",@progbits,_ZN7rocprim17ROCPRIM_400000_NS6detail17trampoline_kernelINS0_14default_configENS1_27upper_bound_config_selectorIxlEEZNS1_14transform_implILb0ES3_S5_N6thrust23THRUST_200600_302600_NS6detail15normal_iteratorINS8_7pointerIxNS8_11hip_rocprim5par_tENS8_11use_defaultESE_EEEENSA_INSB_IlSD_SE_SE_EEEEZNS1_13binary_searchIS3_S5_NSA_INS8_10device_ptrIxEEEESG_SI_NS1_21upper_bound_search_opENS9_16wrapped_functionINS8_6system6detail7generic6detail18binary_search_lessEbEEEE10hipError_tPvRmT1_T2_T3_mmT4_T5_P12ihipStream_tbEUlRKxE_EESV_SZ_S10_mS11_S14_bEUlT_E_NS1_11comp_targetILNS1_3genE4ELNS1_11target_archE910ELNS1_3gpuE8ELNS1_3repE0EEENS1_30default_config_static_selectorELNS0_4arch9wavefront6targetE1EEEvSY_,comdat
	.protected	_ZN7rocprim17ROCPRIM_400000_NS6detail17trampoline_kernelINS0_14default_configENS1_27upper_bound_config_selectorIxlEEZNS1_14transform_implILb0ES3_S5_N6thrust23THRUST_200600_302600_NS6detail15normal_iteratorINS8_7pointerIxNS8_11hip_rocprim5par_tENS8_11use_defaultESE_EEEENSA_INSB_IlSD_SE_SE_EEEEZNS1_13binary_searchIS3_S5_NSA_INS8_10device_ptrIxEEEESG_SI_NS1_21upper_bound_search_opENS9_16wrapped_functionINS8_6system6detail7generic6detail18binary_search_lessEbEEEE10hipError_tPvRmT1_T2_T3_mmT4_T5_P12ihipStream_tbEUlRKxE_EESV_SZ_S10_mS11_S14_bEUlT_E_NS1_11comp_targetILNS1_3genE4ELNS1_11target_archE910ELNS1_3gpuE8ELNS1_3repE0EEENS1_30default_config_static_selectorELNS0_4arch9wavefront6targetE1EEEvSY_ ; -- Begin function _ZN7rocprim17ROCPRIM_400000_NS6detail17trampoline_kernelINS0_14default_configENS1_27upper_bound_config_selectorIxlEEZNS1_14transform_implILb0ES3_S5_N6thrust23THRUST_200600_302600_NS6detail15normal_iteratorINS8_7pointerIxNS8_11hip_rocprim5par_tENS8_11use_defaultESE_EEEENSA_INSB_IlSD_SE_SE_EEEEZNS1_13binary_searchIS3_S5_NSA_INS8_10device_ptrIxEEEESG_SI_NS1_21upper_bound_search_opENS9_16wrapped_functionINS8_6system6detail7generic6detail18binary_search_lessEbEEEE10hipError_tPvRmT1_T2_T3_mmT4_T5_P12ihipStream_tbEUlRKxE_EESV_SZ_S10_mS11_S14_bEUlT_E_NS1_11comp_targetILNS1_3genE4ELNS1_11target_archE910ELNS1_3gpuE8ELNS1_3repE0EEENS1_30default_config_static_selectorELNS0_4arch9wavefront6targetE1EEEvSY_
	.globl	_ZN7rocprim17ROCPRIM_400000_NS6detail17trampoline_kernelINS0_14default_configENS1_27upper_bound_config_selectorIxlEEZNS1_14transform_implILb0ES3_S5_N6thrust23THRUST_200600_302600_NS6detail15normal_iteratorINS8_7pointerIxNS8_11hip_rocprim5par_tENS8_11use_defaultESE_EEEENSA_INSB_IlSD_SE_SE_EEEEZNS1_13binary_searchIS3_S5_NSA_INS8_10device_ptrIxEEEESG_SI_NS1_21upper_bound_search_opENS9_16wrapped_functionINS8_6system6detail7generic6detail18binary_search_lessEbEEEE10hipError_tPvRmT1_T2_T3_mmT4_T5_P12ihipStream_tbEUlRKxE_EESV_SZ_S10_mS11_S14_bEUlT_E_NS1_11comp_targetILNS1_3genE4ELNS1_11target_archE910ELNS1_3gpuE8ELNS1_3repE0EEENS1_30default_config_static_selectorELNS0_4arch9wavefront6targetE1EEEvSY_
	.p2align	8
	.type	_ZN7rocprim17ROCPRIM_400000_NS6detail17trampoline_kernelINS0_14default_configENS1_27upper_bound_config_selectorIxlEEZNS1_14transform_implILb0ES3_S5_N6thrust23THRUST_200600_302600_NS6detail15normal_iteratorINS8_7pointerIxNS8_11hip_rocprim5par_tENS8_11use_defaultESE_EEEENSA_INSB_IlSD_SE_SE_EEEEZNS1_13binary_searchIS3_S5_NSA_INS8_10device_ptrIxEEEESG_SI_NS1_21upper_bound_search_opENS9_16wrapped_functionINS8_6system6detail7generic6detail18binary_search_lessEbEEEE10hipError_tPvRmT1_T2_T3_mmT4_T5_P12ihipStream_tbEUlRKxE_EESV_SZ_S10_mS11_S14_bEUlT_E_NS1_11comp_targetILNS1_3genE4ELNS1_11target_archE910ELNS1_3gpuE8ELNS1_3repE0EEENS1_30default_config_static_selectorELNS0_4arch9wavefront6targetE1EEEvSY_,@function
_ZN7rocprim17ROCPRIM_400000_NS6detail17trampoline_kernelINS0_14default_configENS1_27upper_bound_config_selectorIxlEEZNS1_14transform_implILb0ES3_S5_N6thrust23THRUST_200600_302600_NS6detail15normal_iteratorINS8_7pointerIxNS8_11hip_rocprim5par_tENS8_11use_defaultESE_EEEENSA_INSB_IlSD_SE_SE_EEEEZNS1_13binary_searchIS3_S5_NSA_INS8_10device_ptrIxEEEESG_SI_NS1_21upper_bound_search_opENS9_16wrapped_functionINS8_6system6detail7generic6detail18binary_search_lessEbEEEE10hipError_tPvRmT1_T2_T3_mmT4_T5_P12ihipStream_tbEUlRKxE_EESV_SZ_S10_mS11_S14_bEUlT_E_NS1_11comp_targetILNS1_3genE4ELNS1_11target_archE910ELNS1_3gpuE8ELNS1_3repE0EEENS1_30default_config_static_selectorELNS0_4arch9wavefront6targetE1EEEvSY_: ; @_ZN7rocprim17ROCPRIM_400000_NS6detail17trampoline_kernelINS0_14default_configENS1_27upper_bound_config_selectorIxlEEZNS1_14transform_implILb0ES3_S5_N6thrust23THRUST_200600_302600_NS6detail15normal_iteratorINS8_7pointerIxNS8_11hip_rocprim5par_tENS8_11use_defaultESE_EEEENSA_INSB_IlSD_SE_SE_EEEEZNS1_13binary_searchIS3_S5_NSA_INS8_10device_ptrIxEEEESG_SI_NS1_21upper_bound_search_opENS9_16wrapped_functionINS8_6system6detail7generic6detail18binary_search_lessEbEEEE10hipError_tPvRmT1_T2_T3_mmT4_T5_P12ihipStream_tbEUlRKxE_EESV_SZ_S10_mS11_S14_bEUlT_E_NS1_11comp_targetILNS1_3genE4ELNS1_11target_archE910ELNS1_3gpuE8ELNS1_3repE0EEENS1_30default_config_static_selectorELNS0_4arch9wavefront6targetE1EEEvSY_
; %bb.0:
	.section	.rodata,"a",@progbits
	.p2align	6, 0x0
	.amdhsa_kernel _ZN7rocprim17ROCPRIM_400000_NS6detail17trampoline_kernelINS0_14default_configENS1_27upper_bound_config_selectorIxlEEZNS1_14transform_implILb0ES3_S5_N6thrust23THRUST_200600_302600_NS6detail15normal_iteratorINS8_7pointerIxNS8_11hip_rocprim5par_tENS8_11use_defaultESE_EEEENSA_INSB_IlSD_SE_SE_EEEEZNS1_13binary_searchIS3_S5_NSA_INS8_10device_ptrIxEEEESG_SI_NS1_21upper_bound_search_opENS9_16wrapped_functionINS8_6system6detail7generic6detail18binary_search_lessEbEEEE10hipError_tPvRmT1_T2_T3_mmT4_T5_P12ihipStream_tbEUlRKxE_EESV_SZ_S10_mS11_S14_bEUlT_E_NS1_11comp_targetILNS1_3genE4ELNS1_11target_archE910ELNS1_3gpuE8ELNS1_3repE0EEENS1_30default_config_static_selectorELNS0_4arch9wavefront6targetE1EEEvSY_
		.amdhsa_group_segment_fixed_size 0
		.amdhsa_private_segment_fixed_size 0
		.amdhsa_kernarg_size 56
		.amdhsa_user_sgpr_count 6
		.amdhsa_user_sgpr_private_segment_buffer 1
		.amdhsa_user_sgpr_dispatch_ptr 0
		.amdhsa_user_sgpr_queue_ptr 0
		.amdhsa_user_sgpr_kernarg_segment_ptr 1
		.amdhsa_user_sgpr_dispatch_id 0
		.amdhsa_user_sgpr_flat_scratch_init 0
		.amdhsa_user_sgpr_private_segment_size 0
		.amdhsa_uses_dynamic_stack 0
		.amdhsa_system_sgpr_private_segment_wavefront_offset 0
		.amdhsa_system_sgpr_workgroup_id_x 1
		.amdhsa_system_sgpr_workgroup_id_y 0
		.amdhsa_system_sgpr_workgroup_id_z 0
		.amdhsa_system_sgpr_workgroup_info 0
		.amdhsa_system_vgpr_workitem_id 0
		.amdhsa_next_free_vgpr 1
		.amdhsa_next_free_sgpr 0
		.amdhsa_reserve_vcc 0
		.amdhsa_reserve_flat_scratch 0
		.amdhsa_float_round_mode_32 0
		.amdhsa_float_round_mode_16_64 0
		.amdhsa_float_denorm_mode_32 3
		.amdhsa_float_denorm_mode_16_64 3
		.amdhsa_dx10_clamp 1
		.amdhsa_ieee_mode 1
		.amdhsa_fp16_overflow 0
		.amdhsa_exception_fp_ieee_invalid_op 0
		.amdhsa_exception_fp_denorm_src 0
		.amdhsa_exception_fp_ieee_div_zero 0
		.amdhsa_exception_fp_ieee_overflow 0
		.amdhsa_exception_fp_ieee_underflow 0
		.amdhsa_exception_fp_ieee_inexact 0
		.amdhsa_exception_int_div_zero 0
	.end_amdhsa_kernel
	.section	.text._ZN7rocprim17ROCPRIM_400000_NS6detail17trampoline_kernelINS0_14default_configENS1_27upper_bound_config_selectorIxlEEZNS1_14transform_implILb0ES3_S5_N6thrust23THRUST_200600_302600_NS6detail15normal_iteratorINS8_7pointerIxNS8_11hip_rocprim5par_tENS8_11use_defaultESE_EEEENSA_INSB_IlSD_SE_SE_EEEEZNS1_13binary_searchIS3_S5_NSA_INS8_10device_ptrIxEEEESG_SI_NS1_21upper_bound_search_opENS9_16wrapped_functionINS8_6system6detail7generic6detail18binary_search_lessEbEEEE10hipError_tPvRmT1_T2_T3_mmT4_T5_P12ihipStream_tbEUlRKxE_EESV_SZ_S10_mS11_S14_bEUlT_E_NS1_11comp_targetILNS1_3genE4ELNS1_11target_archE910ELNS1_3gpuE8ELNS1_3repE0EEENS1_30default_config_static_selectorELNS0_4arch9wavefront6targetE1EEEvSY_,"axG",@progbits,_ZN7rocprim17ROCPRIM_400000_NS6detail17trampoline_kernelINS0_14default_configENS1_27upper_bound_config_selectorIxlEEZNS1_14transform_implILb0ES3_S5_N6thrust23THRUST_200600_302600_NS6detail15normal_iteratorINS8_7pointerIxNS8_11hip_rocprim5par_tENS8_11use_defaultESE_EEEENSA_INSB_IlSD_SE_SE_EEEEZNS1_13binary_searchIS3_S5_NSA_INS8_10device_ptrIxEEEESG_SI_NS1_21upper_bound_search_opENS9_16wrapped_functionINS8_6system6detail7generic6detail18binary_search_lessEbEEEE10hipError_tPvRmT1_T2_T3_mmT4_T5_P12ihipStream_tbEUlRKxE_EESV_SZ_S10_mS11_S14_bEUlT_E_NS1_11comp_targetILNS1_3genE4ELNS1_11target_archE910ELNS1_3gpuE8ELNS1_3repE0EEENS1_30default_config_static_selectorELNS0_4arch9wavefront6targetE1EEEvSY_,comdat
.Lfunc_end565:
	.size	_ZN7rocprim17ROCPRIM_400000_NS6detail17trampoline_kernelINS0_14default_configENS1_27upper_bound_config_selectorIxlEEZNS1_14transform_implILb0ES3_S5_N6thrust23THRUST_200600_302600_NS6detail15normal_iteratorINS8_7pointerIxNS8_11hip_rocprim5par_tENS8_11use_defaultESE_EEEENSA_INSB_IlSD_SE_SE_EEEEZNS1_13binary_searchIS3_S5_NSA_INS8_10device_ptrIxEEEESG_SI_NS1_21upper_bound_search_opENS9_16wrapped_functionINS8_6system6detail7generic6detail18binary_search_lessEbEEEE10hipError_tPvRmT1_T2_T3_mmT4_T5_P12ihipStream_tbEUlRKxE_EESV_SZ_S10_mS11_S14_bEUlT_E_NS1_11comp_targetILNS1_3genE4ELNS1_11target_archE910ELNS1_3gpuE8ELNS1_3repE0EEENS1_30default_config_static_selectorELNS0_4arch9wavefront6targetE1EEEvSY_, .Lfunc_end565-_ZN7rocprim17ROCPRIM_400000_NS6detail17trampoline_kernelINS0_14default_configENS1_27upper_bound_config_selectorIxlEEZNS1_14transform_implILb0ES3_S5_N6thrust23THRUST_200600_302600_NS6detail15normal_iteratorINS8_7pointerIxNS8_11hip_rocprim5par_tENS8_11use_defaultESE_EEEENSA_INSB_IlSD_SE_SE_EEEEZNS1_13binary_searchIS3_S5_NSA_INS8_10device_ptrIxEEEESG_SI_NS1_21upper_bound_search_opENS9_16wrapped_functionINS8_6system6detail7generic6detail18binary_search_lessEbEEEE10hipError_tPvRmT1_T2_T3_mmT4_T5_P12ihipStream_tbEUlRKxE_EESV_SZ_S10_mS11_S14_bEUlT_E_NS1_11comp_targetILNS1_3genE4ELNS1_11target_archE910ELNS1_3gpuE8ELNS1_3repE0EEENS1_30default_config_static_selectorELNS0_4arch9wavefront6targetE1EEEvSY_
                                        ; -- End function
	.set _ZN7rocprim17ROCPRIM_400000_NS6detail17trampoline_kernelINS0_14default_configENS1_27upper_bound_config_selectorIxlEEZNS1_14transform_implILb0ES3_S5_N6thrust23THRUST_200600_302600_NS6detail15normal_iteratorINS8_7pointerIxNS8_11hip_rocprim5par_tENS8_11use_defaultESE_EEEENSA_INSB_IlSD_SE_SE_EEEEZNS1_13binary_searchIS3_S5_NSA_INS8_10device_ptrIxEEEESG_SI_NS1_21upper_bound_search_opENS9_16wrapped_functionINS8_6system6detail7generic6detail18binary_search_lessEbEEEE10hipError_tPvRmT1_T2_T3_mmT4_T5_P12ihipStream_tbEUlRKxE_EESV_SZ_S10_mS11_S14_bEUlT_E_NS1_11comp_targetILNS1_3genE4ELNS1_11target_archE910ELNS1_3gpuE8ELNS1_3repE0EEENS1_30default_config_static_selectorELNS0_4arch9wavefront6targetE1EEEvSY_.num_vgpr, 0
	.set _ZN7rocprim17ROCPRIM_400000_NS6detail17trampoline_kernelINS0_14default_configENS1_27upper_bound_config_selectorIxlEEZNS1_14transform_implILb0ES3_S5_N6thrust23THRUST_200600_302600_NS6detail15normal_iteratorINS8_7pointerIxNS8_11hip_rocprim5par_tENS8_11use_defaultESE_EEEENSA_INSB_IlSD_SE_SE_EEEEZNS1_13binary_searchIS3_S5_NSA_INS8_10device_ptrIxEEEESG_SI_NS1_21upper_bound_search_opENS9_16wrapped_functionINS8_6system6detail7generic6detail18binary_search_lessEbEEEE10hipError_tPvRmT1_T2_T3_mmT4_T5_P12ihipStream_tbEUlRKxE_EESV_SZ_S10_mS11_S14_bEUlT_E_NS1_11comp_targetILNS1_3genE4ELNS1_11target_archE910ELNS1_3gpuE8ELNS1_3repE0EEENS1_30default_config_static_selectorELNS0_4arch9wavefront6targetE1EEEvSY_.num_agpr, 0
	.set _ZN7rocprim17ROCPRIM_400000_NS6detail17trampoline_kernelINS0_14default_configENS1_27upper_bound_config_selectorIxlEEZNS1_14transform_implILb0ES3_S5_N6thrust23THRUST_200600_302600_NS6detail15normal_iteratorINS8_7pointerIxNS8_11hip_rocprim5par_tENS8_11use_defaultESE_EEEENSA_INSB_IlSD_SE_SE_EEEEZNS1_13binary_searchIS3_S5_NSA_INS8_10device_ptrIxEEEESG_SI_NS1_21upper_bound_search_opENS9_16wrapped_functionINS8_6system6detail7generic6detail18binary_search_lessEbEEEE10hipError_tPvRmT1_T2_T3_mmT4_T5_P12ihipStream_tbEUlRKxE_EESV_SZ_S10_mS11_S14_bEUlT_E_NS1_11comp_targetILNS1_3genE4ELNS1_11target_archE910ELNS1_3gpuE8ELNS1_3repE0EEENS1_30default_config_static_selectorELNS0_4arch9wavefront6targetE1EEEvSY_.numbered_sgpr, 0
	.set _ZN7rocprim17ROCPRIM_400000_NS6detail17trampoline_kernelINS0_14default_configENS1_27upper_bound_config_selectorIxlEEZNS1_14transform_implILb0ES3_S5_N6thrust23THRUST_200600_302600_NS6detail15normal_iteratorINS8_7pointerIxNS8_11hip_rocprim5par_tENS8_11use_defaultESE_EEEENSA_INSB_IlSD_SE_SE_EEEEZNS1_13binary_searchIS3_S5_NSA_INS8_10device_ptrIxEEEESG_SI_NS1_21upper_bound_search_opENS9_16wrapped_functionINS8_6system6detail7generic6detail18binary_search_lessEbEEEE10hipError_tPvRmT1_T2_T3_mmT4_T5_P12ihipStream_tbEUlRKxE_EESV_SZ_S10_mS11_S14_bEUlT_E_NS1_11comp_targetILNS1_3genE4ELNS1_11target_archE910ELNS1_3gpuE8ELNS1_3repE0EEENS1_30default_config_static_selectorELNS0_4arch9wavefront6targetE1EEEvSY_.num_named_barrier, 0
	.set _ZN7rocprim17ROCPRIM_400000_NS6detail17trampoline_kernelINS0_14default_configENS1_27upper_bound_config_selectorIxlEEZNS1_14transform_implILb0ES3_S5_N6thrust23THRUST_200600_302600_NS6detail15normal_iteratorINS8_7pointerIxNS8_11hip_rocprim5par_tENS8_11use_defaultESE_EEEENSA_INSB_IlSD_SE_SE_EEEEZNS1_13binary_searchIS3_S5_NSA_INS8_10device_ptrIxEEEESG_SI_NS1_21upper_bound_search_opENS9_16wrapped_functionINS8_6system6detail7generic6detail18binary_search_lessEbEEEE10hipError_tPvRmT1_T2_T3_mmT4_T5_P12ihipStream_tbEUlRKxE_EESV_SZ_S10_mS11_S14_bEUlT_E_NS1_11comp_targetILNS1_3genE4ELNS1_11target_archE910ELNS1_3gpuE8ELNS1_3repE0EEENS1_30default_config_static_selectorELNS0_4arch9wavefront6targetE1EEEvSY_.private_seg_size, 0
	.set _ZN7rocprim17ROCPRIM_400000_NS6detail17trampoline_kernelINS0_14default_configENS1_27upper_bound_config_selectorIxlEEZNS1_14transform_implILb0ES3_S5_N6thrust23THRUST_200600_302600_NS6detail15normal_iteratorINS8_7pointerIxNS8_11hip_rocprim5par_tENS8_11use_defaultESE_EEEENSA_INSB_IlSD_SE_SE_EEEEZNS1_13binary_searchIS3_S5_NSA_INS8_10device_ptrIxEEEESG_SI_NS1_21upper_bound_search_opENS9_16wrapped_functionINS8_6system6detail7generic6detail18binary_search_lessEbEEEE10hipError_tPvRmT1_T2_T3_mmT4_T5_P12ihipStream_tbEUlRKxE_EESV_SZ_S10_mS11_S14_bEUlT_E_NS1_11comp_targetILNS1_3genE4ELNS1_11target_archE910ELNS1_3gpuE8ELNS1_3repE0EEENS1_30default_config_static_selectorELNS0_4arch9wavefront6targetE1EEEvSY_.uses_vcc, 0
	.set _ZN7rocprim17ROCPRIM_400000_NS6detail17trampoline_kernelINS0_14default_configENS1_27upper_bound_config_selectorIxlEEZNS1_14transform_implILb0ES3_S5_N6thrust23THRUST_200600_302600_NS6detail15normal_iteratorINS8_7pointerIxNS8_11hip_rocprim5par_tENS8_11use_defaultESE_EEEENSA_INSB_IlSD_SE_SE_EEEEZNS1_13binary_searchIS3_S5_NSA_INS8_10device_ptrIxEEEESG_SI_NS1_21upper_bound_search_opENS9_16wrapped_functionINS8_6system6detail7generic6detail18binary_search_lessEbEEEE10hipError_tPvRmT1_T2_T3_mmT4_T5_P12ihipStream_tbEUlRKxE_EESV_SZ_S10_mS11_S14_bEUlT_E_NS1_11comp_targetILNS1_3genE4ELNS1_11target_archE910ELNS1_3gpuE8ELNS1_3repE0EEENS1_30default_config_static_selectorELNS0_4arch9wavefront6targetE1EEEvSY_.uses_flat_scratch, 0
	.set _ZN7rocprim17ROCPRIM_400000_NS6detail17trampoline_kernelINS0_14default_configENS1_27upper_bound_config_selectorIxlEEZNS1_14transform_implILb0ES3_S5_N6thrust23THRUST_200600_302600_NS6detail15normal_iteratorINS8_7pointerIxNS8_11hip_rocprim5par_tENS8_11use_defaultESE_EEEENSA_INSB_IlSD_SE_SE_EEEEZNS1_13binary_searchIS3_S5_NSA_INS8_10device_ptrIxEEEESG_SI_NS1_21upper_bound_search_opENS9_16wrapped_functionINS8_6system6detail7generic6detail18binary_search_lessEbEEEE10hipError_tPvRmT1_T2_T3_mmT4_T5_P12ihipStream_tbEUlRKxE_EESV_SZ_S10_mS11_S14_bEUlT_E_NS1_11comp_targetILNS1_3genE4ELNS1_11target_archE910ELNS1_3gpuE8ELNS1_3repE0EEENS1_30default_config_static_selectorELNS0_4arch9wavefront6targetE1EEEvSY_.has_dyn_sized_stack, 0
	.set _ZN7rocprim17ROCPRIM_400000_NS6detail17trampoline_kernelINS0_14default_configENS1_27upper_bound_config_selectorIxlEEZNS1_14transform_implILb0ES3_S5_N6thrust23THRUST_200600_302600_NS6detail15normal_iteratorINS8_7pointerIxNS8_11hip_rocprim5par_tENS8_11use_defaultESE_EEEENSA_INSB_IlSD_SE_SE_EEEEZNS1_13binary_searchIS3_S5_NSA_INS8_10device_ptrIxEEEESG_SI_NS1_21upper_bound_search_opENS9_16wrapped_functionINS8_6system6detail7generic6detail18binary_search_lessEbEEEE10hipError_tPvRmT1_T2_T3_mmT4_T5_P12ihipStream_tbEUlRKxE_EESV_SZ_S10_mS11_S14_bEUlT_E_NS1_11comp_targetILNS1_3genE4ELNS1_11target_archE910ELNS1_3gpuE8ELNS1_3repE0EEENS1_30default_config_static_selectorELNS0_4arch9wavefront6targetE1EEEvSY_.has_recursion, 0
	.set _ZN7rocprim17ROCPRIM_400000_NS6detail17trampoline_kernelINS0_14default_configENS1_27upper_bound_config_selectorIxlEEZNS1_14transform_implILb0ES3_S5_N6thrust23THRUST_200600_302600_NS6detail15normal_iteratorINS8_7pointerIxNS8_11hip_rocprim5par_tENS8_11use_defaultESE_EEEENSA_INSB_IlSD_SE_SE_EEEEZNS1_13binary_searchIS3_S5_NSA_INS8_10device_ptrIxEEEESG_SI_NS1_21upper_bound_search_opENS9_16wrapped_functionINS8_6system6detail7generic6detail18binary_search_lessEbEEEE10hipError_tPvRmT1_T2_T3_mmT4_T5_P12ihipStream_tbEUlRKxE_EESV_SZ_S10_mS11_S14_bEUlT_E_NS1_11comp_targetILNS1_3genE4ELNS1_11target_archE910ELNS1_3gpuE8ELNS1_3repE0EEENS1_30default_config_static_selectorELNS0_4arch9wavefront6targetE1EEEvSY_.has_indirect_call, 0
	.section	.AMDGPU.csdata,"",@progbits
; Kernel info:
; codeLenInByte = 0
; TotalNumSgprs: 4
; NumVgprs: 0
; ScratchSize: 0
; MemoryBound: 0
; FloatMode: 240
; IeeeMode: 1
; LDSByteSize: 0 bytes/workgroup (compile time only)
; SGPRBlocks: 0
; VGPRBlocks: 0
; NumSGPRsForWavesPerEU: 4
; NumVGPRsForWavesPerEU: 1
; Occupancy: 10
; WaveLimiterHint : 0
; COMPUTE_PGM_RSRC2:SCRATCH_EN: 0
; COMPUTE_PGM_RSRC2:USER_SGPR: 6
; COMPUTE_PGM_RSRC2:TRAP_HANDLER: 0
; COMPUTE_PGM_RSRC2:TGID_X_EN: 1
; COMPUTE_PGM_RSRC2:TGID_Y_EN: 0
; COMPUTE_PGM_RSRC2:TGID_Z_EN: 0
; COMPUTE_PGM_RSRC2:TIDIG_COMP_CNT: 0
	.section	.text._ZN7rocprim17ROCPRIM_400000_NS6detail17trampoline_kernelINS0_14default_configENS1_27upper_bound_config_selectorIxlEEZNS1_14transform_implILb0ES3_S5_N6thrust23THRUST_200600_302600_NS6detail15normal_iteratorINS8_7pointerIxNS8_11hip_rocprim5par_tENS8_11use_defaultESE_EEEENSA_INSB_IlSD_SE_SE_EEEEZNS1_13binary_searchIS3_S5_NSA_INS8_10device_ptrIxEEEESG_SI_NS1_21upper_bound_search_opENS9_16wrapped_functionINS8_6system6detail7generic6detail18binary_search_lessEbEEEE10hipError_tPvRmT1_T2_T3_mmT4_T5_P12ihipStream_tbEUlRKxE_EESV_SZ_S10_mS11_S14_bEUlT_E_NS1_11comp_targetILNS1_3genE3ELNS1_11target_archE908ELNS1_3gpuE7ELNS1_3repE0EEENS1_30default_config_static_selectorELNS0_4arch9wavefront6targetE1EEEvSY_,"axG",@progbits,_ZN7rocprim17ROCPRIM_400000_NS6detail17trampoline_kernelINS0_14default_configENS1_27upper_bound_config_selectorIxlEEZNS1_14transform_implILb0ES3_S5_N6thrust23THRUST_200600_302600_NS6detail15normal_iteratorINS8_7pointerIxNS8_11hip_rocprim5par_tENS8_11use_defaultESE_EEEENSA_INSB_IlSD_SE_SE_EEEEZNS1_13binary_searchIS3_S5_NSA_INS8_10device_ptrIxEEEESG_SI_NS1_21upper_bound_search_opENS9_16wrapped_functionINS8_6system6detail7generic6detail18binary_search_lessEbEEEE10hipError_tPvRmT1_T2_T3_mmT4_T5_P12ihipStream_tbEUlRKxE_EESV_SZ_S10_mS11_S14_bEUlT_E_NS1_11comp_targetILNS1_3genE3ELNS1_11target_archE908ELNS1_3gpuE7ELNS1_3repE0EEENS1_30default_config_static_selectorELNS0_4arch9wavefront6targetE1EEEvSY_,comdat
	.protected	_ZN7rocprim17ROCPRIM_400000_NS6detail17trampoline_kernelINS0_14default_configENS1_27upper_bound_config_selectorIxlEEZNS1_14transform_implILb0ES3_S5_N6thrust23THRUST_200600_302600_NS6detail15normal_iteratorINS8_7pointerIxNS8_11hip_rocprim5par_tENS8_11use_defaultESE_EEEENSA_INSB_IlSD_SE_SE_EEEEZNS1_13binary_searchIS3_S5_NSA_INS8_10device_ptrIxEEEESG_SI_NS1_21upper_bound_search_opENS9_16wrapped_functionINS8_6system6detail7generic6detail18binary_search_lessEbEEEE10hipError_tPvRmT1_T2_T3_mmT4_T5_P12ihipStream_tbEUlRKxE_EESV_SZ_S10_mS11_S14_bEUlT_E_NS1_11comp_targetILNS1_3genE3ELNS1_11target_archE908ELNS1_3gpuE7ELNS1_3repE0EEENS1_30default_config_static_selectorELNS0_4arch9wavefront6targetE1EEEvSY_ ; -- Begin function _ZN7rocprim17ROCPRIM_400000_NS6detail17trampoline_kernelINS0_14default_configENS1_27upper_bound_config_selectorIxlEEZNS1_14transform_implILb0ES3_S5_N6thrust23THRUST_200600_302600_NS6detail15normal_iteratorINS8_7pointerIxNS8_11hip_rocprim5par_tENS8_11use_defaultESE_EEEENSA_INSB_IlSD_SE_SE_EEEEZNS1_13binary_searchIS3_S5_NSA_INS8_10device_ptrIxEEEESG_SI_NS1_21upper_bound_search_opENS9_16wrapped_functionINS8_6system6detail7generic6detail18binary_search_lessEbEEEE10hipError_tPvRmT1_T2_T3_mmT4_T5_P12ihipStream_tbEUlRKxE_EESV_SZ_S10_mS11_S14_bEUlT_E_NS1_11comp_targetILNS1_3genE3ELNS1_11target_archE908ELNS1_3gpuE7ELNS1_3repE0EEENS1_30default_config_static_selectorELNS0_4arch9wavefront6targetE1EEEvSY_
	.globl	_ZN7rocprim17ROCPRIM_400000_NS6detail17trampoline_kernelINS0_14default_configENS1_27upper_bound_config_selectorIxlEEZNS1_14transform_implILb0ES3_S5_N6thrust23THRUST_200600_302600_NS6detail15normal_iteratorINS8_7pointerIxNS8_11hip_rocprim5par_tENS8_11use_defaultESE_EEEENSA_INSB_IlSD_SE_SE_EEEEZNS1_13binary_searchIS3_S5_NSA_INS8_10device_ptrIxEEEESG_SI_NS1_21upper_bound_search_opENS9_16wrapped_functionINS8_6system6detail7generic6detail18binary_search_lessEbEEEE10hipError_tPvRmT1_T2_T3_mmT4_T5_P12ihipStream_tbEUlRKxE_EESV_SZ_S10_mS11_S14_bEUlT_E_NS1_11comp_targetILNS1_3genE3ELNS1_11target_archE908ELNS1_3gpuE7ELNS1_3repE0EEENS1_30default_config_static_selectorELNS0_4arch9wavefront6targetE1EEEvSY_
	.p2align	8
	.type	_ZN7rocprim17ROCPRIM_400000_NS6detail17trampoline_kernelINS0_14default_configENS1_27upper_bound_config_selectorIxlEEZNS1_14transform_implILb0ES3_S5_N6thrust23THRUST_200600_302600_NS6detail15normal_iteratorINS8_7pointerIxNS8_11hip_rocprim5par_tENS8_11use_defaultESE_EEEENSA_INSB_IlSD_SE_SE_EEEEZNS1_13binary_searchIS3_S5_NSA_INS8_10device_ptrIxEEEESG_SI_NS1_21upper_bound_search_opENS9_16wrapped_functionINS8_6system6detail7generic6detail18binary_search_lessEbEEEE10hipError_tPvRmT1_T2_T3_mmT4_T5_P12ihipStream_tbEUlRKxE_EESV_SZ_S10_mS11_S14_bEUlT_E_NS1_11comp_targetILNS1_3genE3ELNS1_11target_archE908ELNS1_3gpuE7ELNS1_3repE0EEENS1_30default_config_static_selectorELNS0_4arch9wavefront6targetE1EEEvSY_,@function
_ZN7rocprim17ROCPRIM_400000_NS6detail17trampoline_kernelINS0_14default_configENS1_27upper_bound_config_selectorIxlEEZNS1_14transform_implILb0ES3_S5_N6thrust23THRUST_200600_302600_NS6detail15normal_iteratorINS8_7pointerIxNS8_11hip_rocprim5par_tENS8_11use_defaultESE_EEEENSA_INSB_IlSD_SE_SE_EEEEZNS1_13binary_searchIS3_S5_NSA_INS8_10device_ptrIxEEEESG_SI_NS1_21upper_bound_search_opENS9_16wrapped_functionINS8_6system6detail7generic6detail18binary_search_lessEbEEEE10hipError_tPvRmT1_T2_T3_mmT4_T5_P12ihipStream_tbEUlRKxE_EESV_SZ_S10_mS11_S14_bEUlT_E_NS1_11comp_targetILNS1_3genE3ELNS1_11target_archE908ELNS1_3gpuE7ELNS1_3repE0EEENS1_30default_config_static_selectorELNS0_4arch9wavefront6targetE1EEEvSY_: ; @_ZN7rocprim17ROCPRIM_400000_NS6detail17trampoline_kernelINS0_14default_configENS1_27upper_bound_config_selectorIxlEEZNS1_14transform_implILb0ES3_S5_N6thrust23THRUST_200600_302600_NS6detail15normal_iteratorINS8_7pointerIxNS8_11hip_rocprim5par_tENS8_11use_defaultESE_EEEENSA_INSB_IlSD_SE_SE_EEEEZNS1_13binary_searchIS3_S5_NSA_INS8_10device_ptrIxEEEESG_SI_NS1_21upper_bound_search_opENS9_16wrapped_functionINS8_6system6detail7generic6detail18binary_search_lessEbEEEE10hipError_tPvRmT1_T2_T3_mmT4_T5_P12ihipStream_tbEUlRKxE_EESV_SZ_S10_mS11_S14_bEUlT_E_NS1_11comp_targetILNS1_3genE3ELNS1_11target_archE908ELNS1_3gpuE7ELNS1_3repE0EEENS1_30default_config_static_selectorELNS0_4arch9wavefront6targetE1EEEvSY_
; %bb.0:
	.section	.rodata,"a",@progbits
	.p2align	6, 0x0
	.amdhsa_kernel _ZN7rocprim17ROCPRIM_400000_NS6detail17trampoline_kernelINS0_14default_configENS1_27upper_bound_config_selectorIxlEEZNS1_14transform_implILb0ES3_S5_N6thrust23THRUST_200600_302600_NS6detail15normal_iteratorINS8_7pointerIxNS8_11hip_rocprim5par_tENS8_11use_defaultESE_EEEENSA_INSB_IlSD_SE_SE_EEEEZNS1_13binary_searchIS3_S5_NSA_INS8_10device_ptrIxEEEESG_SI_NS1_21upper_bound_search_opENS9_16wrapped_functionINS8_6system6detail7generic6detail18binary_search_lessEbEEEE10hipError_tPvRmT1_T2_T3_mmT4_T5_P12ihipStream_tbEUlRKxE_EESV_SZ_S10_mS11_S14_bEUlT_E_NS1_11comp_targetILNS1_3genE3ELNS1_11target_archE908ELNS1_3gpuE7ELNS1_3repE0EEENS1_30default_config_static_selectorELNS0_4arch9wavefront6targetE1EEEvSY_
		.amdhsa_group_segment_fixed_size 0
		.amdhsa_private_segment_fixed_size 0
		.amdhsa_kernarg_size 56
		.amdhsa_user_sgpr_count 6
		.amdhsa_user_sgpr_private_segment_buffer 1
		.amdhsa_user_sgpr_dispatch_ptr 0
		.amdhsa_user_sgpr_queue_ptr 0
		.amdhsa_user_sgpr_kernarg_segment_ptr 1
		.amdhsa_user_sgpr_dispatch_id 0
		.amdhsa_user_sgpr_flat_scratch_init 0
		.amdhsa_user_sgpr_private_segment_size 0
		.amdhsa_uses_dynamic_stack 0
		.amdhsa_system_sgpr_private_segment_wavefront_offset 0
		.amdhsa_system_sgpr_workgroup_id_x 1
		.amdhsa_system_sgpr_workgroup_id_y 0
		.amdhsa_system_sgpr_workgroup_id_z 0
		.amdhsa_system_sgpr_workgroup_info 0
		.amdhsa_system_vgpr_workitem_id 0
		.amdhsa_next_free_vgpr 1
		.amdhsa_next_free_sgpr 0
		.amdhsa_reserve_vcc 0
		.amdhsa_reserve_flat_scratch 0
		.amdhsa_float_round_mode_32 0
		.amdhsa_float_round_mode_16_64 0
		.amdhsa_float_denorm_mode_32 3
		.amdhsa_float_denorm_mode_16_64 3
		.amdhsa_dx10_clamp 1
		.amdhsa_ieee_mode 1
		.amdhsa_fp16_overflow 0
		.amdhsa_exception_fp_ieee_invalid_op 0
		.amdhsa_exception_fp_denorm_src 0
		.amdhsa_exception_fp_ieee_div_zero 0
		.amdhsa_exception_fp_ieee_overflow 0
		.amdhsa_exception_fp_ieee_underflow 0
		.amdhsa_exception_fp_ieee_inexact 0
		.amdhsa_exception_int_div_zero 0
	.end_amdhsa_kernel
	.section	.text._ZN7rocprim17ROCPRIM_400000_NS6detail17trampoline_kernelINS0_14default_configENS1_27upper_bound_config_selectorIxlEEZNS1_14transform_implILb0ES3_S5_N6thrust23THRUST_200600_302600_NS6detail15normal_iteratorINS8_7pointerIxNS8_11hip_rocprim5par_tENS8_11use_defaultESE_EEEENSA_INSB_IlSD_SE_SE_EEEEZNS1_13binary_searchIS3_S5_NSA_INS8_10device_ptrIxEEEESG_SI_NS1_21upper_bound_search_opENS9_16wrapped_functionINS8_6system6detail7generic6detail18binary_search_lessEbEEEE10hipError_tPvRmT1_T2_T3_mmT4_T5_P12ihipStream_tbEUlRKxE_EESV_SZ_S10_mS11_S14_bEUlT_E_NS1_11comp_targetILNS1_3genE3ELNS1_11target_archE908ELNS1_3gpuE7ELNS1_3repE0EEENS1_30default_config_static_selectorELNS0_4arch9wavefront6targetE1EEEvSY_,"axG",@progbits,_ZN7rocprim17ROCPRIM_400000_NS6detail17trampoline_kernelINS0_14default_configENS1_27upper_bound_config_selectorIxlEEZNS1_14transform_implILb0ES3_S5_N6thrust23THRUST_200600_302600_NS6detail15normal_iteratorINS8_7pointerIxNS8_11hip_rocprim5par_tENS8_11use_defaultESE_EEEENSA_INSB_IlSD_SE_SE_EEEEZNS1_13binary_searchIS3_S5_NSA_INS8_10device_ptrIxEEEESG_SI_NS1_21upper_bound_search_opENS9_16wrapped_functionINS8_6system6detail7generic6detail18binary_search_lessEbEEEE10hipError_tPvRmT1_T2_T3_mmT4_T5_P12ihipStream_tbEUlRKxE_EESV_SZ_S10_mS11_S14_bEUlT_E_NS1_11comp_targetILNS1_3genE3ELNS1_11target_archE908ELNS1_3gpuE7ELNS1_3repE0EEENS1_30default_config_static_selectorELNS0_4arch9wavefront6targetE1EEEvSY_,comdat
.Lfunc_end566:
	.size	_ZN7rocprim17ROCPRIM_400000_NS6detail17trampoline_kernelINS0_14default_configENS1_27upper_bound_config_selectorIxlEEZNS1_14transform_implILb0ES3_S5_N6thrust23THRUST_200600_302600_NS6detail15normal_iteratorINS8_7pointerIxNS8_11hip_rocprim5par_tENS8_11use_defaultESE_EEEENSA_INSB_IlSD_SE_SE_EEEEZNS1_13binary_searchIS3_S5_NSA_INS8_10device_ptrIxEEEESG_SI_NS1_21upper_bound_search_opENS9_16wrapped_functionINS8_6system6detail7generic6detail18binary_search_lessEbEEEE10hipError_tPvRmT1_T2_T3_mmT4_T5_P12ihipStream_tbEUlRKxE_EESV_SZ_S10_mS11_S14_bEUlT_E_NS1_11comp_targetILNS1_3genE3ELNS1_11target_archE908ELNS1_3gpuE7ELNS1_3repE0EEENS1_30default_config_static_selectorELNS0_4arch9wavefront6targetE1EEEvSY_, .Lfunc_end566-_ZN7rocprim17ROCPRIM_400000_NS6detail17trampoline_kernelINS0_14default_configENS1_27upper_bound_config_selectorIxlEEZNS1_14transform_implILb0ES3_S5_N6thrust23THRUST_200600_302600_NS6detail15normal_iteratorINS8_7pointerIxNS8_11hip_rocprim5par_tENS8_11use_defaultESE_EEEENSA_INSB_IlSD_SE_SE_EEEEZNS1_13binary_searchIS3_S5_NSA_INS8_10device_ptrIxEEEESG_SI_NS1_21upper_bound_search_opENS9_16wrapped_functionINS8_6system6detail7generic6detail18binary_search_lessEbEEEE10hipError_tPvRmT1_T2_T3_mmT4_T5_P12ihipStream_tbEUlRKxE_EESV_SZ_S10_mS11_S14_bEUlT_E_NS1_11comp_targetILNS1_3genE3ELNS1_11target_archE908ELNS1_3gpuE7ELNS1_3repE0EEENS1_30default_config_static_selectorELNS0_4arch9wavefront6targetE1EEEvSY_
                                        ; -- End function
	.set _ZN7rocprim17ROCPRIM_400000_NS6detail17trampoline_kernelINS0_14default_configENS1_27upper_bound_config_selectorIxlEEZNS1_14transform_implILb0ES3_S5_N6thrust23THRUST_200600_302600_NS6detail15normal_iteratorINS8_7pointerIxNS8_11hip_rocprim5par_tENS8_11use_defaultESE_EEEENSA_INSB_IlSD_SE_SE_EEEEZNS1_13binary_searchIS3_S5_NSA_INS8_10device_ptrIxEEEESG_SI_NS1_21upper_bound_search_opENS9_16wrapped_functionINS8_6system6detail7generic6detail18binary_search_lessEbEEEE10hipError_tPvRmT1_T2_T3_mmT4_T5_P12ihipStream_tbEUlRKxE_EESV_SZ_S10_mS11_S14_bEUlT_E_NS1_11comp_targetILNS1_3genE3ELNS1_11target_archE908ELNS1_3gpuE7ELNS1_3repE0EEENS1_30default_config_static_selectorELNS0_4arch9wavefront6targetE1EEEvSY_.num_vgpr, 0
	.set _ZN7rocprim17ROCPRIM_400000_NS6detail17trampoline_kernelINS0_14default_configENS1_27upper_bound_config_selectorIxlEEZNS1_14transform_implILb0ES3_S5_N6thrust23THRUST_200600_302600_NS6detail15normal_iteratorINS8_7pointerIxNS8_11hip_rocprim5par_tENS8_11use_defaultESE_EEEENSA_INSB_IlSD_SE_SE_EEEEZNS1_13binary_searchIS3_S5_NSA_INS8_10device_ptrIxEEEESG_SI_NS1_21upper_bound_search_opENS9_16wrapped_functionINS8_6system6detail7generic6detail18binary_search_lessEbEEEE10hipError_tPvRmT1_T2_T3_mmT4_T5_P12ihipStream_tbEUlRKxE_EESV_SZ_S10_mS11_S14_bEUlT_E_NS1_11comp_targetILNS1_3genE3ELNS1_11target_archE908ELNS1_3gpuE7ELNS1_3repE0EEENS1_30default_config_static_selectorELNS0_4arch9wavefront6targetE1EEEvSY_.num_agpr, 0
	.set _ZN7rocprim17ROCPRIM_400000_NS6detail17trampoline_kernelINS0_14default_configENS1_27upper_bound_config_selectorIxlEEZNS1_14transform_implILb0ES3_S5_N6thrust23THRUST_200600_302600_NS6detail15normal_iteratorINS8_7pointerIxNS8_11hip_rocprim5par_tENS8_11use_defaultESE_EEEENSA_INSB_IlSD_SE_SE_EEEEZNS1_13binary_searchIS3_S5_NSA_INS8_10device_ptrIxEEEESG_SI_NS1_21upper_bound_search_opENS9_16wrapped_functionINS8_6system6detail7generic6detail18binary_search_lessEbEEEE10hipError_tPvRmT1_T2_T3_mmT4_T5_P12ihipStream_tbEUlRKxE_EESV_SZ_S10_mS11_S14_bEUlT_E_NS1_11comp_targetILNS1_3genE3ELNS1_11target_archE908ELNS1_3gpuE7ELNS1_3repE0EEENS1_30default_config_static_selectorELNS0_4arch9wavefront6targetE1EEEvSY_.numbered_sgpr, 0
	.set _ZN7rocprim17ROCPRIM_400000_NS6detail17trampoline_kernelINS0_14default_configENS1_27upper_bound_config_selectorIxlEEZNS1_14transform_implILb0ES3_S5_N6thrust23THRUST_200600_302600_NS6detail15normal_iteratorINS8_7pointerIxNS8_11hip_rocprim5par_tENS8_11use_defaultESE_EEEENSA_INSB_IlSD_SE_SE_EEEEZNS1_13binary_searchIS3_S5_NSA_INS8_10device_ptrIxEEEESG_SI_NS1_21upper_bound_search_opENS9_16wrapped_functionINS8_6system6detail7generic6detail18binary_search_lessEbEEEE10hipError_tPvRmT1_T2_T3_mmT4_T5_P12ihipStream_tbEUlRKxE_EESV_SZ_S10_mS11_S14_bEUlT_E_NS1_11comp_targetILNS1_3genE3ELNS1_11target_archE908ELNS1_3gpuE7ELNS1_3repE0EEENS1_30default_config_static_selectorELNS0_4arch9wavefront6targetE1EEEvSY_.num_named_barrier, 0
	.set _ZN7rocprim17ROCPRIM_400000_NS6detail17trampoline_kernelINS0_14default_configENS1_27upper_bound_config_selectorIxlEEZNS1_14transform_implILb0ES3_S5_N6thrust23THRUST_200600_302600_NS6detail15normal_iteratorINS8_7pointerIxNS8_11hip_rocprim5par_tENS8_11use_defaultESE_EEEENSA_INSB_IlSD_SE_SE_EEEEZNS1_13binary_searchIS3_S5_NSA_INS8_10device_ptrIxEEEESG_SI_NS1_21upper_bound_search_opENS9_16wrapped_functionINS8_6system6detail7generic6detail18binary_search_lessEbEEEE10hipError_tPvRmT1_T2_T3_mmT4_T5_P12ihipStream_tbEUlRKxE_EESV_SZ_S10_mS11_S14_bEUlT_E_NS1_11comp_targetILNS1_3genE3ELNS1_11target_archE908ELNS1_3gpuE7ELNS1_3repE0EEENS1_30default_config_static_selectorELNS0_4arch9wavefront6targetE1EEEvSY_.private_seg_size, 0
	.set _ZN7rocprim17ROCPRIM_400000_NS6detail17trampoline_kernelINS0_14default_configENS1_27upper_bound_config_selectorIxlEEZNS1_14transform_implILb0ES3_S5_N6thrust23THRUST_200600_302600_NS6detail15normal_iteratorINS8_7pointerIxNS8_11hip_rocprim5par_tENS8_11use_defaultESE_EEEENSA_INSB_IlSD_SE_SE_EEEEZNS1_13binary_searchIS3_S5_NSA_INS8_10device_ptrIxEEEESG_SI_NS1_21upper_bound_search_opENS9_16wrapped_functionINS8_6system6detail7generic6detail18binary_search_lessEbEEEE10hipError_tPvRmT1_T2_T3_mmT4_T5_P12ihipStream_tbEUlRKxE_EESV_SZ_S10_mS11_S14_bEUlT_E_NS1_11comp_targetILNS1_3genE3ELNS1_11target_archE908ELNS1_3gpuE7ELNS1_3repE0EEENS1_30default_config_static_selectorELNS0_4arch9wavefront6targetE1EEEvSY_.uses_vcc, 0
	.set _ZN7rocprim17ROCPRIM_400000_NS6detail17trampoline_kernelINS0_14default_configENS1_27upper_bound_config_selectorIxlEEZNS1_14transform_implILb0ES3_S5_N6thrust23THRUST_200600_302600_NS6detail15normal_iteratorINS8_7pointerIxNS8_11hip_rocprim5par_tENS8_11use_defaultESE_EEEENSA_INSB_IlSD_SE_SE_EEEEZNS1_13binary_searchIS3_S5_NSA_INS8_10device_ptrIxEEEESG_SI_NS1_21upper_bound_search_opENS9_16wrapped_functionINS8_6system6detail7generic6detail18binary_search_lessEbEEEE10hipError_tPvRmT1_T2_T3_mmT4_T5_P12ihipStream_tbEUlRKxE_EESV_SZ_S10_mS11_S14_bEUlT_E_NS1_11comp_targetILNS1_3genE3ELNS1_11target_archE908ELNS1_3gpuE7ELNS1_3repE0EEENS1_30default_config_static_selectorELNS0_4arch9wavefront6targetE1EEEvSY_.uses_flat_scratch, 0
	.set _ZN7rocprim17ROCPRIM_400000_NS6detail17trampoline_kernelINS0_14default_configENS1_27upper_bound_config_selectorIxlEEZNS1_14transform_implILb0ES3_S5_N6thrust23THRUST_200600_302600_NS6detail15normal_iteratorINS8_7pointerIxNS8_11hip_rocprim5par_tENS8_11use_defaultESE_EEEENSA_INSB_IlSD_SE_SE_EEEEZNS1_13binary_searchIS3_S5_NSA_INS8_10device_ptrIxEEEESG_SI_NS1_21upper_bound_search_opENS9_16wrapped_functionINS8_6system6detail7generic6detail18binary_search_lessEbEEEE10hipError_tPvRmT1_T2_T3_mmT4_T5_P12ihipStream_tbEUlRKxE_EESV_SZ_S10_mS11_S14_bEUlT_E_NS1_11comp_targetILNS1_3genE3ELNS1_11target_archE908ELNS1_3gpuE7ELNS1_3repE0EEENS1_30default_config_static_selectorELNS0_4arch9wavefront6targetE1EEEvSY_.has_dyn_sized_stack, 0
	.set _ZN7rocprim17ROCPRIM_400000_NS6detail17trampoline_kernelINS0_14default_configENS1_27upper_bound_config_selectorIxlEEZNS1_14transform_implILb0ES3_S5_N6thrust23THRUST_200600_302600_NS6detail15normal_iteratorINS8_7pointerIxNS8_11hip_rocprim5par_tENS8_11use_defaultESE_EEEENSA_INSB_IlSD_SE_SE_EEEEZNS1_13binary_searchIS3_S5_NSA_INS8_10device_ptrIxEEEESG_SI_NS1_21upper_bound_search_opENS9_16wrapped_functionINS8_6system6detail7generic6detail18binary_search_lessEbEEEE10hipError_tPvRmT1_T2_T3_mmT4_T5_P12ihipStream_tbEUlRKxE_EESV_SZ_S10_mS11_S14_bEUlT_E_NS1_11comp_targetILNS1_3genE3ELNS1_11target_archE908ELNS1_3gpuE7ELNS1_3repE0EEENS1_30default_config_static_selectorELNS0_4arch9wavefront6targetE1EEEvSY_.has_recursion, 0
	.set _ZN7rocprim17ROCPRIM_400000_NS6detail17trampoline_kernelINS0_14default_configENS1_27upper_bound_config_selectorIxlEEZNS1_14transform_implILb0ES3_S5_N6thrust23THRUST_200600_302600_NS6detail15normal_iteratorINS8_7pointerIxNS8_11hip_rocprim5par_tENS8_11use_defaultESE_EEEENSA_INSB_IlSD_SE_SE_EEEEZNS1_13binary_searchIS3_S5_NSA_INS8_10device_ptrIxEEEESG_SI_NS1_21upper_bound_search_opENS9_16wrapped_functionINS8_6system6detail7generic6detail18binary_search_lessEbEEEE10hipError_tPvRmT1_T2_T3_mmT4_T5_P12ihipStream_tbEUlRKxE_EESV_SZ_S10_mS11_S14_bEUlT_E_NS1_11comp_targetILNS1_3genE3ELNS1_11target_archE908ELNS1_3gpuE7ELNS1_3repE0EEENS1_30default_config_static_selectorELNS0_4arch9wavefront6targetE1EEEvSY_.has_indirect_call, 0
	.section	.AMDGPU.csdata,"",@progbits
; Kernel info:
; codeLenInByte = 0
; TotalNumSgprs: 4
; NumVgprs: 0
; ScratchSize: 0
; MemoryBound: 0
; FloatMode: 240
; IeeeMode: 1
; LDSByteSize: 0 bytes/workgroup (compile time only)
; SGPRBlocks: 0
; VGPRBlocks: 0
; NumSGPRsForWavesPerEU: 4
; NumVGPRsForWavesPerEU: 1
; Occupancy: 10
; WaveLimiterHint : 0
; COMPUTE_PGM_RSRC2:SCRATCH_EN: 0
; COMPUTE_PGM_RSRC2:USER_SGPR: 6
; COMPUTE_PGM_RSRC2:TRAP_HANDLER: 0
; COMPUTE_PGM_RSRC2:TGID_X_EN: 1
; COMPUTE_PGM_RSRC2:TGID_Y_EN: 0
; COMPUTE_PGM_RSRC2:TGID_Z_EN: 0
; COMPUTE_PGM_RSRC2:TIDIG_COMP_CNT: 0
	.section	.text._ZN7rocprim17ROCPRIM_400000_NS6detail17trampoline_kernelINS0_14default_configENS1_27upper_bound_config_selectorIxlEEZNS1_14transform_implILb0ES3_S5_N6thrust23THRUST_200600_302600_NS6detail15normal_iteratorINS8_7pointerIxNS8_11hip_rocprim5par_tENS8_11use_defaultESE_EEEENSA_INSB_IlSD_SE_SE_EEEEZNS1_13binary_searchIS3_S5_NSA_INS8_10device_ptrIxEEEESG_SI_NS1_21upper_bound_search_opENS9_16wrapped_functionINS8_6system6detail7generic6detail18binary_search_lessEbEEEE10hipError_tPvRmT1_T2_T3_mmT4_T5_P12ihipStream_tbEUlRKxE_EESV_SZ_S10_mS11_S14_bEUlT_E_NS1_11comp_targetILNS1_3genE2ELNS1_11target_archE906ELNS1_3gpuE6ELNS1_3repE0EEENS1_30default_config_static_selectorELNS0_4arch9wavefront6targetE1EEEvSY_,"axG",@progbits,_ZN7rocprim17ROCPRIM_400000_NS6detail17trampoline_kernelINS0_14default_configENS1_27upper_bound_config_selectorIxlEEZNS1_14transform_implILb0ES3_S5_N6thrust23THRUST_200600_302600_NS6detail15normal_iteratorINS8_7pointerIxNS8_11hip_rocprim5par_tENS8_11use_defaultESE_EEEENSA_INSB_IlSD_SE_SE_EEEEZNS1_13binary_searchIS3_S5_NSA_INS8_10device_ptrIxEEEESG_SI_NS1_21upper_bound_search_opENS9_16wrapped_functionINS8_6system6detail7generic6detail18binary_search_lessEbEEEE10hipError_tPvRmT1_T2_T3_mmT4_T5_P12ihipStream_tbEUlRKxE_EESV_SZ_S10_mS11_S14_bEUlT_E_NS1_11comp_targetILNS1_3genE2ELNS1_11target_archE906ELNS1_3gpuE6ELNS1_3repE0EEENS1_30default_config_static_selectorELNS0_4arch9wavefront6targetE1EEEvSY_,comdat
	.protected	_ZN7rocprim17ROCPRIM_400000_NS6detail17trampoline_kernelINS0_14default_configENS1_27upper_bound_config_selectorIxlEEZNS1_14transform_implILb0ES3_S5_N6thrust23THRUST_200600_302600_NS6detail15normal_iteratorINS8_7pointerIxNS8_11hip_rocprim5par_tENS8_11use_defaultESE_EEEENSA_INSB_IlSD_SE_SE_EEEEZNS1_13binary_searchIS3_S5_NSA_INS8_10device_ptrIxEEEESG_SI_NS1_21upper_bound_search_opENS9_16wrapped_functionINS8_6system6detail7generic6detail18binary_search_lessEbEEEE10hipError_tPvRmT1_T2_T3_mmT4_T5_P12ihipStream_tbEUlRKxE_EESV_SZ_S10_mS11_S14_bEUlT_E_NS1_11comp_targetILNS1_3genE2ELNS1_11target_archE906ELNS1_3gpuE6ELNS1_3repE0EEENS1_30default_config_static_selectorELNS0_4arch9wavefront6targetE1EEEvSY_ ; -- Begin function _ZN7rocprim17ROCPRIM_400000_NS6detail17trampoline_kernelINS0_14default_configENS1_27upper_bound_config_selectorIxlEEZNS1_14transform_implILb0ES3_S5_N6thrust23THRUST_200600_302600_NS6detail15normal_iteratorINS8_7pointerIxNS8_11hip_rocprim5par_tENS8_11use_defaultESE_EEEENSA_INSB_IlSD_SE_SE_EEEEZNS1_13binary_searchIS3_S5_NSA_INS8_10device_ptrIxEEEESG_SI_NS1_21upper_bound_search_opENS9_16wrapped_functionINS8_6system6detail7generic6detail18binary_search_lessEbEEEE10hipError_tPvRmT1_T2_T3_mmT4_T5_P12ihipStream_tbEUlRKxE_EESV_SZ_S10_mS11_S14_bEUlT_E_NS1_11comp_targetILNS1_3genE2ELNS1_11target_archE906ELNS1_3gpuE6ELNS1_3repE0EEENS1_30default_config_static_selectorELNS0_4arch9wavefront6targetE1EEEvSY_
	.globl	_ZN7rocprim17ROCPRIM_400000_NS6detail17trampoline_kernelINS0_14default_configENS1_27upper_bound_config_selectorIxlEEZNS1_14transform_implILb0ES3_S5_N6thrust23THRUST_200600_302600_NS6detail15normal_iteratorINS8_7pointerIxNS8_11hip_rocprim5par_tENS8_11use_defaultESE_EEEENSA_INSB_IlSD_SE_SE_EEEEZNS1_13binary_searchIS3_S5_NSA_INS8_10device_ptrIxEEEESG_SI_NS1_21upper_bound_search_opENS9_16wrapped_functionINS8_6system6detail7generic6detail18binary_search_lessEbEEEE10hipError_tPvRmT1_T2_T3_mmT4_T5_P12ihipStream_tbEUlRKxE_EESV_SZ_S10_mS11_S14_bEUlT_E_NS1_11comp_targetILNS1_3genE2ELNS1_11target_archE906ELNS1_3gpuE6ELNS1_3repE0EEENS1_30default_config_static_selectorELNS0_4arch9wavefront6targetE1EEEvSY_
	.p2align	8
	.type	_ZN7rocprim17ROCPRIM_400000_NS6detail17trampoline_kernelINS0_14default_configENS1_27upper_bound_config_selectorIxlEEZNS1_14transform_implILb0ES3_S5_N6thrust23THRUST_200600_302600_NS6detail15normal_iteratorINS8_7pointerIxNS8_11hip_rocprim5par_tENS8_11use_defaultESE_EEEENSA_INSB_IlSD_SE_SE_EEEEZNS1_13binary_searchIS3_S5_NSA_INS8_10device_ptrIxEEEESG_SI_NS1_21upper_bound_search_opENS9_16wrapped_functionINS8_6system6detail7generic6detail18binary_search_lessEbEEEE10hipError_tPvRmT1_T2_T3_mmT4_T5_P12ihipStream_tbEUlRKxE_EESV_SZ_S10_mS11_S14_bEUlT_E_NS1_11comp_targetILNS1_3genE2ELNS1_11target_archE906ELNS1_3gpuE6ELNS1_3repE0EEENS1_30default_config_static_selectorELNS0_4arch9wavefront6targetE1EEEvSY_,@function
_ZN7rocprim17ROCPRIM_400000_NS6detail17trampoline_kernelINS0_14default_configENS1_27upper_bound_config_selectorIxlEEZNS1_14transform_implILb0ES3_S5_N6thrust23THRUST_200600_302600_NS6detail15normal_iteratorINS8_7pointerIxNS8_11hip_rocprim5par_tENS8_11use_defaultESE_EEEENSA_INSB_IlSD_SE_SE_EEEEZNS1_13binary_searchIS3_S5_NSA_INS8_10device_ptrIxEEEESG_SI_NS1_21upper_bound_search_opENS9_16wrapped_functionINS8_6system6detail7generic6detail18binary_search_lessEbEEEE10hipError_tPvRmT1_T2_T3_mmT4_T5_P12ihipStream_tbEUlRKxE_EESV_SZ_S10_mS11_S14_bEUlT_E_NS1_11comp_targetILNS1_3genE2ELNS1_11target_archE906ELNS1_3gpuE6ELNS1_3repE0EEENS1_30default_config_static_selectorELNS0_4arch9wavefront6targetE1EEEvSY_: ; @_ZN7rocprim17ROCPRIM_400000_NS6detail17trampoline_kernelINS0_14default_configENS1_27upper_bound_config_selectorIxlEEZNS1_14transform_implILb0ES3_S5_N6thrust23THRUST_200600_302600_NS6detail15normal_iteratorINS8_7pointerIxNS8_11hip_rocprim5par_tENS8_11use_defaultESE_EEEENSA_INSB_IlSD_SE_SE_EEEEZNS1_13binary_searchIS3_S5_NSA_INS8_10device_ptrIxEEEESG_SI_NS1_21upper_bound_search_opENS9_16wrapped_functionINS8_6system6detail7generic6detail18binary_search_lessEbEEEE10hipError_tPvRmT1_T2_T3_mmT4_T5_P12ihipStream_tbEUlRKxE_EESV_SZ_S10_mS11_S14_bEUlT_E_NS1_11comp_targetILNS1_3genE2ELNS1_11target_archE906ELNS1_3gpuE6ELNS1_3repE0EEENS1_30default_config_static_selectorELNS0_4arch9wavefront6targetE1EEEvSY_
; %bb.0:
	s_load_dwordx4 s[0:3], s[4:5], 0x0
	s_load_dwordx4 s[8:11], s[4:5], 0x18
	s_load_dwordx2 s[12:13], s[4:5], 0x28
	s_load_dword s16, s[4:5], 0x38
	s_waitcnt lgkmcnt(0)
	s_lshl_b64 s[14:15], s[2:3], 3
	s_add_u32 s2, s0, s14
	s_addc_u32 s3, s1, s15
	s_add_u32 s7, s8, s14
	s_addc_u32 s14, s9, s15
	s_lshl_b32 s8, s6, 8
	s_add_i32 s16, s16, -1
	s_mov_b32 s9, 0
	s_cmp_lg_u32 s6, s16
	s_mov_b64 s[0:1], -1
	s_cbranch_scc0 .LBB567_7
; %bb.1:
	s_cmp_eq_u64 s[12:13], 0
	s_mov_b64 s[0:1], 0
	s_cbranch_scc1 .LBB567_5
; %bb.2:
	s_lshl_b64 s[16:17], s[8:9], 3
	s_add_u32 s6, s2, s16
	s_addc_u32 s15, s3, s17
	v_lshlrev_b32_e32 v1, 3, v0
	v_mov_b32_e32 v2, s15
	v_add_co_u32_e32 v1, vcc, s6, v1
	v_addc_co_u32_e32 v2, vcc, 0, v2, vcc
	flat_load_dwordx2 v[3:4], v[1:2]
	v_mov_b32_e32 v1, 0
	v_mov_b32_e32 v5, s12
	;; [unrolled: 1-line block ×5, first 2 shown]
.LBB567_3:                              ; =>This Inner Loop Header: Depth=1
	v_sub_co_u32_e32 v8, vcc, v5, v1
	v_subb_co_u32_e32 v9, vcc, v6, v2, vcc
	v_lshrrev_b64 v[10:11], 1, v[8:9]
	v_lshrrev_b64 v[8:9], 6, v[8:9]
	v_add_co_u32_e32 v10, vcc, v10, v1
	v_addc_co_u32_e32 v11, vcc, v11, v2, vcc
	v_add_co_u32_e32 v8, vcc, v10, v8
	v_addc_co_u32_e32 v9, vcc, v11, v9, vcc
	v_lshlrev_b64 v[10:11], 3, v[8:9]
	v_add_co_u32_e32 v10, vcc, s10, v10
	v_addc_co_u32_e32 v11, vcc, v7, v11, vcc
	global_load_dwordx2 v[10:11], v[10:11], off
	v_add_co_u32_e32 v12, vcc, 1, v8
	v_addc_co_u32_e32 v13, vcc, 0, v9, vcc
	s_waitcnt vmcnt(0) lgkmcnt(0)
	v_cmp_lt_i64_e32 vcc, v[3:4], v[10:11]
	v_cndmask_b32_e32 v6, v6, v9, vcc
	v_cndmask_b32_e32 v5, v5, v8, vcc
	;; [unrolled: 1-line block ×4, first 2 shown]
	v_cmp_ge_u64_e32 vcc, v[1:2], v[5:6]
	s_or_b64 s[0:1], vcc, s[0:1]
	s_andn2_b64 exec, exec, s[0:1]
	s_cbranch_execnz .LBB567_3
; %bb.4:
	s_or_b64 exec, exec, s[0:1]
	s_branch .LBB567_6
.LBB567_5:
	v_mov_b32_e32 v1, 0
	v_mov_b32_e32 v2, 0
.LBB567_6:
	s_lshl_b64 s[0:1], s[8:9], 3
	s_add_u32 s0, s7, s0
	s_addc_u32 s1, s14, s1
	v_lshlrev_b32_e32 v3, 3, v0
	v_mov_b32_e32 v4, s1
	v_add_co_u32_e32 v3, vcc, s0, v3
	v_addc_co_u32_e32 v4, vcc, 0, v4, vcc
	s_mov_b64 s[0:1], 0
	flat_store_dwordx2 v[3:4], v[1:2]
.LBB567_7:
	s_and_b64 vcc, exec, s[0:1]
	s_cbranch_vccz .LBB567_16
; %bb.8:
	s_load_dword s0, s[4:5], 0x10
                                        ; implicit-def: $vgpr3_vgpr4
	s_waitcnt lgkmcnt(0)
	s_sub_i32 s4, s0, s8
	v_cmp_le_u32_e64 s[0:1], s4, v0
	v_cmp_gt_u32_e32 vcc, s4, v0
	s_and_saveexec_b64 s[4:5], vcc
	s_cbranch_execz .LBB567_10
; %bb.9:
	s_lshl_b64 s[16:17], s[8:9], 3
	s_add_u32 s2, s2, s16
	s_addc_u32 s3, s3, s17
	v_lshlrev_b32_e32 v1, 3, v0
	v_mov_b32_e32 v2, s3
	v_add_co_u32_e64 v1, s[2:3], s2, v1
	v_addc_co_u32_e64 v2, s[2:3], 0, v2, s[2:3]
	flat_load_dwordx2 v[3:4], v[1:2]
.LBB567_10:
	s_or_b64 exec, exec, s[4:5]
	s_cmp_lg_u64 s[12:13], 0
	s_cselect_b64 s[4:5], -1, 0
	s_xor_b64 s[0:1], s[0:1], -1
	v_mov_b32_e32 v1, 0
	s_mov_b64 s[2:3], 0
	v_mov_b32_e32 v2, 0
	s_and_b64 s[0:1], s[0:1], s[4:5]
	s_and_saveexec_b64 s[4:5], s[0:1]
	s_cbranch_execz .LBB567_14
; %bb.11:
	v_mov_b32_e32 v1, 0
	v_mov_b32_e32 v5, s12
	;; [unrolled: 1-line block ×5, first 2 shown]
.LBB567_12:                             ; =>This Inner Loop Header: Depth=1
	v_sub_co_u32_e64 v8, s[0:1], v5, v1
	v_subb_co_u32_e64 v9, s[0:1], v6, v2, s[0:1]
	v_lshrrev_b64 v[10:11], 1, v[8:9]
	v_lshrrev_b64 v[8:9], 6, v[8:9]
	v_add_co_u32_e64 v10, s[0:1], v10, v1
	v_addc_co_u32_e64 v11, s[0:1], v11, v2, s[0:1]
	v_add_co_u32_e64 v8, s[0:1], v10, v8
	v_addc_co_u32_e64 v9, s[0:1], v11, v9, s[0:1]
	v_lshlrev_b64 v[10:11], 3, v[8:9]
	v_add_co_u32_e64 v10, s[0:1], s10, v10
	v_addc_co_u32_e64 v11, s[0:1], v7, v11, s[0:1]
	global_load_dwordx2 v[10:11], v[10:11], off
	v_add_co_u32_e64 v12, s[0:1], 1, v8
	v_addc_co_u32_e64 v13, s[0:1], 0, v9, s[0:1]
	s_waitcnt vmcnt(0) lgkmcnt(0)
	v_cmp_lt_i64_e64 s[0:1], v[3:4], v[10:11]
	v_cndmask_b32_e64 v6, v6, v9, s[0:1]
	v_cndmask_b32_e64 v5, v5, v8, s[0:1]
	;; [unrolled: 1-line block ×4, first 2 shown]
	v_cmp_ge_u64_e64 s[0:1], v[1:2], v[5:6]
	s_or_b64 s[2:3], s[0:1], s[2:3]
	s_andn2_b64 exec, exec, s[2:3]
	s_cbranch_execnz .LBB567_12
; %bb.13:
	s_or_b64 exec, exec, s[2:3]
.LBB567_14:
	s_or_b64 exec, exec, s[4:5]
	s_and_saveexec_b64 s[0:1], vcc
	s_cbranch_execz .LBB567_16
; %bb.15:
	s_lshl_b64 s[0:1], s[8:9], 3
	s_add_u32 s0, s7, s0
	s_addc_u32 s1, s14, s1
	v_lshlrev_b32_e32 v0, 3, v0
	s_waitcnt vmcnt(0) lgkmcnt(0)
	v_mov_b32_e32 v4, s1
	v_add_co_u32_e32 v3, vcc, s0, v0
	v_addc_co_u32_e32 v4, vcc, 0, v4, vcc
	flat_store_dwordx2 v[3:4], v[1:2]
.LBB567_16:
	s_endpgm
	.section	.rodata,"a",@progbits
	.p2align	6, 0x0
	.amdhsa_kernel _ZN7rocprim17ROCPRIM_400000_NS6detail17trampoline_kernelINS0_14default_configENS1_27upper_bound_config_selectorIxlEEZNS1_14transform_implILb0ES3_S5_N6thrust23THRUST_200600_302600_NS6detail15normal_iteratorINS8_7pointerIxNS8_11hip_rocprim5par_tENS8_11use_defaultESE_EEEENSA_INSB_IlSD_SE_SE_EEEEZNS1_13binary_searchIS3_S5_NSA_INS8_10device_ptrIxEEEESG_SI_NS1_21upper_bound_search_opENS9_16wrapped_functionINS8_6system6detail7generic6detail18binary_search_lessEbEEEE10hipError_tPvRmT1_T2_T3_mmT4_T5_P12ihipStream_tbEUlRKxE_EESV_SZ_S10_mS11_S14_bEUlT_E_NS1_11comp_targetILNS1_3genE2ELNS1_11target_archE906ELNS1_3gpuE6ELNS1_3repE0EEENS1_30default_config_static_selectorELNS0_4arch9wavefront6targetE1EEEvSY_
		.amdhsa_group_segment_fixed_size 0
		.amdhsa_private_segment_fixed_size 0
		.amdhsa_kernarg_size 312
		.amdhsa_user_sgpr_count 6
		.amdhsa_user_sgpr_private_segment_buffer 1
		.amdhsa_user_sgpr_dispatch_ptr 0
		.amdhsa_user_sgpr_queue_ptr 0
		.amdhsa_user_sgpr_kernarg_segment_ptr 1
		.amdhsa_user_sgpr_dispatch_id 0
		.amdhsa_user_sgpr_flat_scratch_init 0
		.amdhsa_user_sgpr_private_segment_size 0
		.amdhsa_uses_dynamic_stack 0
		.amdhsa_system_sgpr_private_segment_wavefront_offset 0
		.amdhsa_system_sgpr_workgroup_id_x 1
		.amdhsa_system_sgpr_workgroup_id_y 0
		.amdhsa_system_sgpr_workgroup_id_z 0
		.amdhsa_system_sgpr_workgroup_info 0
		.amdhsa_system_vgpr_workitem_id 0
		.amdhsa_next_free_vgpr 14
		.amdhsa_next_free_sgpr 18
		.amdhsa_reserve_vcc 1
		.amdhsa_reserve_flat_scratch 0
		.amdhsa_float_round_mode_32 0
		.amdhsa_float_round_mode_16_64 0
		.amdhsa_float_denorm_mode_32 3
		.amdhsa_float_denorm_mode_16_64 3
		.amdhsa_dx10_clamp 1
		.amdhsa_ieee_mode 1
		.amdhsa_fp16_overflow 0
		.amdhsa_exception_fp_ieee_invalid_op 0
		.amdhsa_exception_fp_denorm_src 0
		.amdhsa_exception_fp_ieee_div_zero 0
		.amdhsa_exception_fp_ieee_overflow 0
		.amdhsa_exception_fp_ieee_underflow 0
		.amdhsa_exception_fp_ieee_inexact 0
		.amdhsa_exception_int_div_zero 0
	.end_amdhsa_kernel
	.section	.text._ZN7rocprim17ROCPRIM_400000_NS6detail17trampoline_kernelINS0_14default_configENS1_27upper_bound_config_selectorIxlEEZNS1_14transform_implILb0ES3_S5_N6thrust23THRUST_200600_302600_NS6detail15normal_iteratorINS8_7pointerIxNS8_11hip_rocprim5par_tENS8_11use_defaultESE_EEEENSA_INSB_IlSD_SE_SE_EEEEZNS1_13binary_searchIS3_S5_NSA_INS8_10device_ptrIxEEEESG_SI_NS1_21upper_bound_search_opENS9_16wrapped_functionINS8_6system6detail7generic6detail18binary_search_lessEbEEEE10hipError_tPvRmT1_T2_T3_mmT4_T5_P12ihipStream_tbEUlRKxE_EESV_SZ_S10_mS11_S14_bEUlT_E_NS1_11comp_targetILNS1_3genE2ELNS1_11target_archE906ELNS1_3gpuE6ELNS1_3repE0EEENS1_30default_config_static_selectorELNS0_4arch9wavefront6targetE1EEEvSY_,"axG",@progbits,_ZN7rocprim17ROCPRIM_400000_NS6detail17trampoline_kernelINS0_14default_configENS1_27upper_bound_config_selectorIxlEEZNS1_14transform_implILb0ES3_S5_N6thrust23THRUST_200600_302600_NS6detail15normal_iteratorINS8_7pointerIxNS8_11hip_rocprim5par_tENS8_11use_defaultESE_EEEENSA_INSB_IlSD_SE_SE_EEEEZNS1_13binary_searchIS3_S5_NSA_INS8_10device_ptrIxEEEESG_SI_NS1_21upper_bound_search_opENS9_16wrapped_functionINS8_6system6detail7generic6detail18binary_search_lessEbEEEE10hipError_tPvRmT1_T2_T3_mmT4_T5_P12ihipStream_tbEUlRKxE_EESV_SZ_S10_mS11_S14_bEUlT_E_NS1_11comp_targetILNS1_3genE2ELNS1_11target_archE906ELNS1_3gpuE6ELNS1_3repE0EEENS1_30default_config_static_selectorELNS0_4arch9wavefront6targetE1EEEvSY_,comdat
.Lfunc_end567:
	.size	_ZN7rocprim17ROCPRIM_400000_NS6detail17trampoline_kernelINS0_14default_configENS1_27upper_bound_config_selectorIxlEEZNS1_14transform_implILb0ES3_S5_N6thrust23THRUST_200600_302600_NS6detail15normal_iteratorINS8_7pointerIxNS8_11hip_rocprim5par_tENS8_11use_defaultESE_EEEENSA_INSB_IlSD_SE_SE_EEEEZNS1_13binary_searchIS3_S5_NSA_INS8_10device_ptrIxEEEESG_SI_NS1_21upper_bound_search_opENS9_16wrapped_functionINS8_6system6detail7generic6detail18binary_search_lessEbEEEE10hipError_tPvRmT1_T2_T3_mmT4_T5_P12ihipStream_tbEUlRKxE_EESV_SZ_S10_mS11_S14_bEUlT_E_NS1_11comp_targetILNS1_3genE2ELNS1_11target_archE906ELNS1_3gpuE6ELNS1_3repE0EEENS1_30default_config_static_selectorELNS0_4arch9wavefront6targetE1EEEvSY_, .Lfunc_end567-_ZN7rocprim17ROCPRIM_400000_NS6detail17trampoline_kernelINS0_14default_configENS1_27upper_bound_config_selectorIxlEEZNS1_14transform_implILb0ES3_S5_N6thrust23THRUST_200600_302600_NS6detail15normal_iteratorINS8_7pointerIxNS8_11hip_rocprim5par_tENS8_11use_defaultESE_EEEENSA_INSB_IlSD_SE_SE_EEEEZNS1_13binary_searchIS3_S5_NSA_INS8_10device_ptrIxEEEESG_SI_NS1_21upper_bound_search_opENS9_16wrapped_functionINS8_6system6detail7generic6detail18binary_search_lessEbEEEE10hipError_tPvRmT1_T2_T3_mmT4_T5_P12ihipStream_tbEUlRKxE_EESV_SZ_S10_mS11_S14_bEUlT_E_NS1_11comp_targetILNS1_3genE2ELNS1_11target_archE906ELNS1_3gpuE6ELNS1_3repE0EEENS1_30default_config_static_selectorELNS0_4arch9wavefront6targetE1EEEvSY_
                                        ; -- End function
	.set _ZN7rocprim17ROCPRIM_400000_NS6detail17trampoline_kernelINS0_14default_configENS1_27upper_bound_config_selectorIxlEEZNS1_14transform_implILb0ES3_S5_N6thrust23THRUST_200600_302600_NS6detail15normal_iteratorINS8_7pointerIxNS8_11hip_rocprim5par_tENS8_11use_defaultESE_EEEENSA_INSB_IlSD_SE_SE_EEEEZNS1_13binary_searchIS3_S5_NSA_INS8_10device_ptrIxEEEESG_SI_NS1_21upper_bound_search_opENS9_16wrapped_functionINS8_6system6detail7generic6detail18binary_search_lessEbEEEE10hipError_tPvRmT1_T2_T3_mmT4_T5_P12ihipStream_tbEUlRKxE_EESV_SZ_S10_mS11_S14_bEUlT_E_NS1_11comp_targetILNS1_3genE2ELNS1_11target_archE906ELNS1_3gpuE6ELNS1_3repE0EEENS1_30default_config_static_selectorELNS0_4arch9wavefront6targetE1EEEvSY_.num_vgpr, 14
	.set _ZN7rocprim17ROCPRIM_400000_NS6detail17trampoline_kernelINS0_14default_configENS1_27upper_bound_config_selectorIxlEEZNS1_14transform_implILb0ES3_S5_N6thrust23THRUST_200600_302600_NS6detail15normal_iteratorINS8_7pointerIxNS8_11hip_rocprim5par_tENS8_11use_defaultESE_EEEENSA_INSB_IlSD_SE_SE_EEEEZNS1_13binary_searchIS3_S5_NSA_INS8_10device_ptrIxEEEESG_SI_NS1_21upper_bound_search_opENS9_16wrapped_functionINS8_6system6detail7generic6detail18binary_search_lessEbEEEE10hipError_tPvRmT1_T2_T3_mmT4_T5_P12ihipStream_tbEUlRKxE_EESV_SZ_S10_mS11_S14_bEUlT_E_NS1_11comp_targetILNS1_3genE2ELNS1_11target_archE906ELNS1_3gpuE6ELNS1_3repE0EEENS1_30default_config_static_selectorELNS0_4arch9wavefront6targetE1EEEvSY_.num_agpr, 0
	.set _ZN7rocprim17ROCPRIM_400000_NS6detail17trampoline_kernelINS0_14default_configENS1_27upper_bound_config_selectorIxlEEZNS1_14transform_implILb0ES3_S5_N6thrust23THRUST_200600_302600_NS6detail15normal_iteratorINS8_7pointerIxNS8_11hip_rocprim5par_tENS8_11use_defaultESE_EEEENSA_INSB_IlSD_SE_SE_EEEEZNS1_13binary_searchIS3_S5_NSA_INS8_10device_ptrIxEEEESG_SI_NS1_21upper_bound_search_opENS9_16wrapped_functionINS8_6system6detail7generic6detail18binary_search_lessEbEEEE10hipError_tPvRmT1_T2_T3_mmT4_T5_P12ihipStream_tbEUlRKxE_EESV_SZ_S10_mS11_S14_bEUlT_E_NS1_11comp_targetILNS1_3genE2ELNS1_11target_archE906ELNS1_3gpuE6ELNS1_3repE0EEENS1_30default_config_static_selectorELNS0_4arch9wavefront6targetE1EEEvSY_.numbered_sgpr, 18
	.set _ZN7rocprim17ROCPRIM_400000_NS6detail17trampoline_kernelINS0_14default_configENS1_27upper_bound_config_selectorIxlEEZNS1_14transform_implILb0ES3_S5_N6thrust23THRUST_200600_302600_NS6detail15normal_iteratorINS8_7pointerIxNS8_11hip_rocprim5par_tENS8_11use_defaultESE_EEEENSA_INSB_IlSD_SE_SE_EEEEZNS1_13binary_searchIS3_S5_NSA_INS8_10device_ptrIxEEEESG_SI_NS1_21upper_bound_search_opENS9_16wrapped_functionINS8_6system6detail7generic6detail18binary_search_lessEbEEEE10hipError_tPvRmT1_T2_T3_mmT4_T5_P12ihipStream_tbEUlRKxE_EESV_SZ_S10_mS11_S14_bEUlT_E_NS1_11comp_targetILNS1_3genE2ELNS1_11target_archE906ELNS1_3gpuE6ELNS1_3repE0EEENS1_30default_config_static_selectorELNS0_4arch9wavefront6targetE1EEEvSY_.num_named_barrier, 0
	.set _ZN7rocprim17ROCPRIM_400000_NS6detail17trampoline_kernelINS0_14default_configENS1_27upper_bound_config_selectorIxlEEZNS1_14transform_implILb0ES3_S5_N6thrust23THRUST_200600_302600_NS6detail15normal_iteratorINS8_7pointerIxNS8_11hip_rocprim5par_tENS8_11use_defaultESE_EEEENSA_INSB_IlSD_SE_SE_EEEEZNS1_13binary_searchIS3_S5_NSA_INS8_10device_ptrIxEEEESG_SI_NS1_21upper_bound_search_opENS9_16wrapped_functionINS8_6system6detail7generic6detail18binary_search_lessEbEEEE10hipError_tPvRmT1_T2_T3_mmT4_T5_P12ihipStream_tbEUlRKxE_EESV_SZ_S10_mS11_S14_bEUlT_E_NS1_11comp_targetILNS1_3genE2ELNS1_11target_archE906ELNS1_3gpuE6ELNS1_3repE0EEENS1_30default_config_static_selectorELNS0_4arch9wavefront6targetE1EEEvSY_.private_seg_size, 0
	.set _ZN7rocprim17ROCPRIM_400000_NS6detail17trampoline_kernelINS0_14default_configENS1_27upper_bound_config_selectorIxlEEZNS1_14transform_implILb0ES3_S5_N6thrust23THRUST_200600_302600_NS6detail15normal_iteratorINS8_7pointerIxNS8_11hip_rocprim5par_tENS8_11use_defaultESE_EEEENSA_INSB_IlSD_SE_SE_EEEEZNS1_13binary_searchIS3_S5_NSA_INS8_10device_ptrIxEEEESG_SI_NS1_21upper_bound_search_opENS9_16wrapped_functionINS8_6system6detail7generic6detail18binary_search_lessEbEEEE10hipError_tPvRmT1_T2_T3_mmT4_T5_P12ihipStream_tbEUlRKxE_EESV_SZ_S10_mS11_S14_bEUlT_E_NS1_11comp_targetILNS1_3genE2ELNS1_11target_archE906ELNS1_3gpuE6ELNS1_3repE0EEENS1_30default_config_static_selectorELNS0_4arch9wavefront6targetE1EEEvSY_.uses_vcc, 1
	.set _ZN7rocprim17ROCPRIM_400000_NS6detail17trampoline_kernelINS0_14default_configENS1_27upper_bound_config_selectorIxlEEZNS1_14transform_implILb0ES3_S5_N6thrust23THRUST_200600_302600_NS6detail15normal_iteratorINS8_7pointerIxNS8_11hip_rocprim5par_tENS8_11use_defaultESE_EEEENSA_INSB_IlSD_SE_SE_EEEEZNS1_13binary_searchIS3_S5_NSA_INS8_10device_ptrIxEEEESG_SI_NS1_21upper_bound_search_opENS9_16wrapped_functionINS8_6system6detail7generic6detail18binary_search_lessEbEEEE10hipError_tPvRmT1_T2_T3_mmT4_T5_P12ihipStream_tbEUlRKxE_EESV_SZ_S10_mS11_S14_bEUlT_E_NS1_11comp_targetILNS1_3genE2ELNS1_11target_archE906ELNS1_3gpuE6ELNS1_3repE0EEENS1_30default_config_static_selectorELNS0_4arch9wavefront6targetE1EEEvSY_.uses_flat_scratch, 0
	.set _ZN7rocprim17ROCPRIM_400000_NS6detail17trampoline_kernelINS0_14default_configENS1_27upper_bound_config_selectorIxlEEZNS1_14transform_implILb0ES3_S5_N6thrust23THRUST_200600_302600_NS6detail15normal_iteratorINS8_7pointerIxNS8_11hip_rocprim5par_tENS8_11use_defaultESE_EEEENSA_INSB_IlSD_SE_SE_EEEEZNS1_13binary_searchIS3_S5_NSA_INS8_10device_ptrIxEEEESG_SI_NS1_21upper_bound_search_opENS9_16wrapped_functionINS8_6system6detail7generic6detail18binary_search_lessEbEEEE10hipError_tPvRmT1_T2_T3_mmT4_T5_P12ihipStream_tbEUlRKxE_EESV_SZ_S10_mS11_S14_bEUlT_E_NS1_11comp_targetILNS1_3genE2ELNS1_11target_archE906ELNS1_3gpuE6ELNS1_3repE0EEENS1_30default_config_static_selectorELNS0_4arch9wavefront6targetE1EEEvSY_.has_dyn_sized_stack, 0
	.set _ZN7rocprim17ROCPRIM_400000_NS6detail17trampoline_kernelINS0_14default_configENS1_27upper_bound_config_selectorIxlEEZNS1_14transform_implILb0ES3_S5_N6thrust23THRUST_200600_302600_NS6detail15normal_iteratorINS8_7pointerIxNS8_11hip_rocprim5par_tENS8_11use_defaultESE_EEEENSA_INSB_IlSD_SE_SE_EEEEZNS1_13binary_searchIS3_S5_NSA_INS8_10device_ptrIxEEEESG_SI_NS1_21upper_bound_search_opENS9_16wrapped_functionINS8_6system6detail7generic6detail18binary_search_lessEbEEEE10hipError_tPvRmT1_T2_T3_mmT4_T5_P12ihipStream_tbEUlRKxE_EESV_SZ_S10_mS11_S14_bEUlT_E_NS1_11comp_targetILNS1_3genE2ELNS1_11target_archE906ELNS1_3gpuE6ELNS1_3repE0EEENS1_30default_config_static_selectorELNS0_4arch9wavefront6targetE1EEEvSY_.has_recursion, 0
	.set _ZN7rocprim17ROCPRIM_400000_NS6detail17trampoline_kernelINS0_14default_configENS1_27upper_bound_config_selectorIxlEEZNS1_14transform_implILb0ES3_S5_N6thrust23THRUST_200600_302600_NS6detail15normal_iteratorINS8_7pointerIxNS8_11hip_rocprim5par_tENS8_11use_defaultESE_EEEENSA_INSB_IlSD_SE_SE_EEEEZNS1_13binary_searchIS3_S5_NSA_INS8_10device_ptrIxEEEESG_SI_NS1_21upper_bound_search_opENS9_16wrapped_functionINS8_6system6detail7generic6detail18binary_search_lessEbEEEE10hipError_tPvRmT1_T2_T3_mmT4_T5_P12ihipStream_tbEUlRKxE_EESV_SZ_S10_mS11_S14_bEUlT_E_NS1_11comp_targetILNS1_3genE2ELNS1_11target_archE906ELNS1_3gpuE6ELNS1_3repE0EEENS1_30default_config_static_selectorELNS0_4arch9wavefront6targetE1EEEvSY_.has_indirect_call, 0
	.section	.AMDGPU.csdata,"",@progbits
; Kernel info:
; codeLenInByte = 700
; TotalNumSgprs: 22
; NumVgprs: 14
; ScratchSize: 0
; MemoryBound: 0
; FloatMode: 240
; IeeeMode: 1
; LDSByteSize: 0 bytes/workgroup (compile time only)
; SGPRBlocks: 2
; VGPRBlocks: 3
; NumSGPRsForWavesPerEU: 22
; NumVGPRsForWavesPerEU: 14
; Occupancy: 10
; WaveLimiterHint : 0
; COMPUTE_PGM_RSRC2:SCRATCH_EN: 0
; COMPUTE_PGM_RSRC2:USER_SGPR: 6
; COMPUTE_PGM_RSRC2:TRAP_HANDLER: 0
; COMPUTE_PGM_RSRC2:TGID_X_EN: 1
; COMPUTE_PGM_RSRC2:TGID_Y_EN: 0
; COMPUTE_PGM_RSRC2:TGID_Z_EN: 0
; COMPUTE_PGM_RSRC2:TIDIG_COMP_CNT: 0
	.section	.text._ZN7rocprim17ROCPRIM_400000_NS6detail17trampoline_kernelINS0_14default_configENS1_27upper_bound_config_selectorIxlEEZNS1_14transform_implILb0ES3_S5_N6thrust23THRUST_200600_302600_NS6detail15normal_iteratorINS8_7pointerIxNS8_11hip_rocprim5par_tENS8_11use_defaultESE_EEEENSA_INSB_IlSD_SE_SE_EEEEZNS1_13binary_searchIS3_S5_NSA_INS8_10device_ptrIxEEEESG_SI_NS1_21upper_bound_search_opENS9_16wrapped_functionINS8_6system6detail7generic6detail18binary_search_lessEbEEEE10hipError_tPvRmT1_T2_T3_mmT4_T5_P12ihipStream_tbEUlRKxE_EESV_SZ_S10_mS11_S14_bEUlT_E_NS1_11comp_targetILNS1_3genE10ELNS1_11target_archE1201ELNS1_3gpuE5ELNS1_3repE0EEENS1_30default_config_static_selectorELNS0_4arch9wavefront6targetE1EEEvSY_,"axG",@progbits,_ZN7rocprim17ROCPRIM_400000_NS6detail17trampoline_kernelINS0_14default_configENS1_27upper_bound_config_selectorIxlEEZNS1_14transform_implILb0ES3_S5_N6thrust23THRUST_200600_302600_NS6detail15normal_iteratorINS8_7pointerIxNS8_11hip_rocprim5par_tENS8_11use_defaultESE_EEEENSA_INSB_IlSD_SE_SE_EEEEZNS1_13binary_searchIS3_S5_NSA_INS8_10device_ptrIxEEEESG_SI_NS1_21upper_bound_search_opENS9_16wrapped_functionINS8_6system6detail7generic6detail18binary_search_lessEbEEEE10hipError_tPvRmT1_T2_T3_mmT4_T5_P12ihipStream_tbEUlRKxE_EESV_SZ_S10_mS11_S14_bEUlT_E_NS1_11comp_targetILNS1_3genE10ELNS1_11target_archE1201ELNS1_3gpuE5ELNS1_3repE0EEENS1_30default_config_static_selectorELNS0_4arch9wavefront6targetE1EEEvSY_,comdat
	.protected	_ZN7rocprim17ROCPRIM_400000_NS6detail17trampoline_kernelINS0_14default_configENS1_27upper_bound_config_selectorIxlEEZNS1_14transform_implILb0ES3_S5_N6thrust23THRUST_200600_302600_NS6detail15normal_iteratorINS8_7pointerIxNS8_11hip_rocprim5par_tENS8_11use_defaultESE_EEEENSA_INSB_IlSD_SE_SE_EEEEZNS1_13binary_searchIS3_S5_NSA_INS8_10device_ptrIxEEEESG_SI_NS1_21upper_bound_search_opENS9_16wrapped_functionINS8_6system6detail7generic6detail18binary_search_lessEbEEEE10hipError_tPvRmT1_T2_T3_mmT4_T5_P12ihipStream_tbEUlRKxE_EESV_SZ_S10_mS11_S14_bEUlT_E_NS1_11comp_targetILNS1_3genE10ELNS1_11target_archE1201ELNS1_3gpuE5ELNS1_3repE0EEENS1_30default_config_static_selectorELNS0_4arch9wavefront6targetE1EEEvSY_ ; -- Begin function _ZN7rocprim17ROCPRIM_400000_NS6detail17trampoline_kernelINS0_14default_configENS1_27upper_bound_config_selectorIxlEEZNS1_14transform_implILb0ES3_S5_N6thrust23THRUST_200600_302600_NS6detail15normal_iteratorINS8_7pointerIxNS8_11hip_rocprim5par_tENS8_11use_defaultESE_EEEENSA_INSB_IlSD_SE_SE_EEEEZNS1_13binary_searchIS3_S5_NSA_INS8_10device_ptrIxEEEESG_SI_NS1_21upper_bound_search_opENS9_16wrapped_functionINS8_6system6detail7generic6detail18binary_search_lessEbEEEE10hipError_tPvRmT1_T2_T3_mmT4_T5_P12ihipStream_tbEUlRKxE_EESV_SZ_S10_mS11_S14_bEUlT_E_NS1_11comp_targetILNS1_3genE10ELNS1_11target_archE1201ELNS1_3gpuE5ELNS1_3repE0EEENS1_30default_config_static_selectorELNS0_4arch9wavefront6targetE1EEEvSY_
	.globl	_ZN7rocprim17ROCPRIM_400000_NS6detail17trampoline_kernelINS0_14default_configENS1_27upper_bound_config_selectorIxlEEZNS1_14transform_implILb0ES3_S5_N6thrust23THRUST_200600_302600_NS6detail15normal_iteratorINS8_7pointerIxNS8_11hip_rocprim5par_tENS8_11use_defaultESE_EEEENSA_INSB_IlSD_SE_SE_EEEEZNS1_13binary_searchIS3_S5_NSA_INS8_10device_ptrIxEEEESG_SI_NS1_21upper_bound_search_opENS9_16wrapped_functionINS8_6system6detail7generic6detail18binary_search_lessEbEEEE10hipError_tPvRmT1_T2_T3_mmT4_T5_P12ihipStream_tbEUlRKxE_EESV_SZ_S10_mS11_S14_bEUlT_E_NS1_11comp_targetILNS1_3genE10ELNS1_11target_archE1201ELNS1_3gpuE5ELNS1_3repE0EEENS1_30default_config_static_selectorELNS0_4arch9wavefront6targetE1EEEvSY_
	.p2align	8
	.type	_ZN7rocprim17ROCPRIM_400000_NS6detail17trampoline_kernelINS0_14default_configENS1_27upper_bound_config_selectorIxlEEZNS1_14transform_implILb0ES3_S5_N6thrust23THRUST_200600_302600_NS6detail15normal_iteratorINS8_7pointerIxNS8_11hip_rocprim5par_tENS8_11use_defaultESE_EEEENSA_INSB_IlSD_SE_SE_EEEEZNS1_13binary_searchIS3_S5_NSA_INS8_10device_ptrIxEEEESG_SI_NS1_21upper_bound_search_opENS9_16wrapped_functionINS8_6system6detail7generic6detail18binary_search_lessEbEEEE10hipError_tPvRmT1_T2_T3_mmT4_T5_P12ihipStream_tbEUlRKxE_EESV_SZ_S10_mS11_S14_bEUlT_E_NS1_11comp_targetILNS1_3genE10ELNS1_11target_archE1201ELNS1_3gpuE5ELNS1_3repE0EEENS1_30default_config_static_selectorELNS0_4arch9wavefront6targetE1EEEvSY_,@function
_ZN7rocprim17ROCPRIM_400000_NS6detail17trampoline_kernelINS0_14default_configENS1_27upper_bound_config_selectorIxlEEZNS1_14transform_implILb0ES3_S5_N6thrust23THRUST_200600_302600_NS6detail15normal_iteratorINS8_7pointerIxNS8_11hip_rocprim5par_tENS8_11use_defaultESE_EEEENSA_INSB_IlSD_SE_SE_EEEEZNS1_13binary_searchIS3_S5_NSA_INS8_10device_ptrIxEEEESG_SI_NS1_21upper_bound_search_opENS9_16wrapped_functionINS8_6system6detail7generic6detail18binary_search_lessEbEEEE10hipError_tPvRmT1_T2_T3_mmT4_T5_P12ihipStream_tbEUlRKxE_EESV_SZ_S10_mS11_S14_bEUlT_E_NS1_11comp_targetILNS1_3genE10ELNS1_11target_archE1201ELNS1_3gpuE5ELNS1_3repE0EEENS1_30default_config_static_selectorELNS0_4arch9wavefront6targetE1EEEvSY_: ; @_ZN7rocprim17ROCPRIM_400000_NS6detail17trampoline_kernelINS0_14default_configENS1_27upper_bound_config_selectorIxlEEZNS1_14transform_implILb0ES3_S5_N6thrust23THRUST_200600_302600_NS6detail15normal_iteratorINS8_7pointerIxNS8_11hip_rocprim5par_tENS8_11use_defaultESE_EEEENSA_INSB_IlSD_SE_SE_EEEEZNS1_13binary_searchIS3_S5_NSA_INS8_10device_ptrIxEEEESG_SI_NS1_21upper_bound_search_opENS9_16wrapped_functionINS8_6system6detail7generic6detail18binary_search_lessEbEEEE10hipError_tPvRmT1_T2_T3_mmT4_T5_P12ihipStream_tbEUlRKxE_EESV_SZ_S10_mS11_S14_bEUlT_E_NS1_11comp_targetILNS1_3genE10ELNS1_11target_archE1201ELNS1_3gpuE5ELNS1_3repE0EEENS1_30default_config_static_selectorELNS0_4arch9wavefront6targetE1EEEvSY_
; %bb.0:
	.section	.rodata,"a",@progbits
	.p2align	6, 0x0
	.amdhsa_kernel _ZN7rocprim17ROCPRIM_400000_NS6detail17trampoline_kernelINS0_14default_configENS1_27upper_bound_config_selectorIxlEEZNS1_14transform_implILb0ES3_S5_N6thrust23THRUST_200600_302600_NS6detail15normal_iteratorINS8_7pointerIxNS8_11hip_rocprim5par_tENS8_11use_defaultESE_EEEENSA_INSB_IlSD_SE_SE_EEEEZNS1_13binary_searchIS3_S5_NSA_INS8_10device_ptrIxEEEESG_SI_NS1_21upper_bound_search_opENS9_16wrapped_functionINS8_6system6detail7generic6detail18binary_search_lessEbEEEE10hipError_tPvRmT1_T2_T3_mmT4_T5_P12ihipStream_tbEUlRKxE_EESV_SZ_S10_mS11_S14_bEUlT_E_NS1_11comp_targetILNS1_3genE10ELNS1_11target_archE1201ELNS1_3gpuE5ELNS1_3repE0EEENS1_30default_config_static_selectorELNS0_4arch9wavefront6targetE1EEEvSY_
		.amdhsa_group_segment_fixed_size 0
		.amdhsa_private_segment_fixed_size 0
		.amdhsa_kernarg_size 56
		.amdhsa_user_sgpr_count 6
		.amdhsa_user_sgpr_private_segment_buffer 1
		.amdhsa_user_sgpr_dispatch_ptr 0
		.amdhsa_user_sgpr_queue_ptr 0
		.amdhsa_user_sgpr_kernarg_segment_ptr 1
		.amdhsa_user_sgpr_dispatch_id 0
		.amdhsa_user_sgpr_flat_scratch_init 0
		.amdhsa_user_sgpr_private_segment_size 0
		.amdhsa_uses_dynamic_stack 0
		.amdhsa_system_sgpr_private_segment_wavefront_offset 0
		.amdhsa_system_sgpr_workgroup_id_x 1
		.amdhsa_system_sgpr_workgroup_id_y 0
		.amdhsa_system_sgpr_workgroup_id_z 0
		.amdhsa_system_sgpr_workgroup_info 0
		.amdhsa_system_vgpr_workitem_id 0
		.amdhsa_next_free_vgpr 1
		.amdhsa_next_free_sgpr 0
		.amdhsa_reserve_vcc 0
		.amdhsa_reserve_flat_scratch 0
		.amdhsa_float_round_mode_32 0
		.amdhsa_float_round_mode_16_64 0
		.amdhsa_float_denorm_mode_32 3
		.amdhsa_float_denorm_mode_16_64 3
		.amdhsa_dx10_clamp 1
		.amdhsa_ieee_mode 1
		.amdhsa_fp16_overflow 0
		.amdhsa_exception_fp_ieee_invalid_op 0
		.amdhsa_exception_fp_denorm_src 0
		.amdhsa_exception_fp_ieee_div_zero 0
		.amdhsa_exception_fp_ieee_overflow 0
		.amdhsa_exception_fp_ieee_underflow 0
		.amdhsa_exception_fp_ieee_inexact 0
		.amdhsa_exception_int_div_zero 0
	.end_amdhsa_kernel
	.section	.text._ZN7rocprim17ROCPRIM_400000_NS6detail17trampoline_kernelINS0_14default_configENS1_27upper_bound_config_selectorIxlEEZNS1_14transform_implILb0ES3_S5_N6thrust23THRUST_200600_302600_NS6detail15normal_iteratorINS8_7pointerIxNS8_11hip_rocprim5par_tENS8_11use_defaultESE_EEEENSA_INSB_IlSD_SE_SE_EEEEZNS1_13binary_searchIS3_S5_NSA_INS8_10device_ptrIxEEEESG_SI_NS1_21upper_bound_search_opENS9_16wrapped_functionINS8_6system6detail7generic6detail18binary_search_lessEbEEEE10hipError_tPvRmT1_T2_T3_mmT4_T5_P12ihipStream_tbEUlRKxE_EESV_SZ_S10_mS11_S14_bEUlT_E_NS1_11comp_targetILNS1_3genE10ELNS1_11target_archE1201ELNS1_3gpuE5ELNS1_3repE0EEENS1_30default_config_static_selectorELNS0_4arch9wavefront6targetE1EEEvSY_,"axG",@progbits,_ZN7rocprim17ROCPRIM_400000_NS6detail17trampoline_kernelINS0_14default_configENS1_27upper_bound_config_selectorIxlEEZNS1_14transform_implILb0ES3_S5_N6thrust23THRUST_200600_302600_NS6detail15normal_iteratorINS8_7pointerIxNS8_11hip_rocprim5par_tENS8_11use_defaultESE_EEEENSA_INSB_IlSD_SE_SE_EEEEZNS1_13binary_searchIS3_S5_NSA_INS8_10device_ptrIxEEEESG_SI_NS1_21upper_bound_search_opENS9_16wrapped_functionINS8_6system6detail7generic6detail18binary_search_lessEbEEEE10hipError_tPvRmT1_T2_T3_mmT4_T5_P12ihipStream_tbEUlRKxE_EESV_SZ_S10_mS11_S14_bEUlT_E_NS1_11comp_targetILNS1_3genE10ELNS1_11target_archE1201ELNS1_3gpuE5ELNS1_3repE0EEENS1_30default_config_static_selectorELNS0_4arch9wavefront6targetE1EEEvSY_,comdat
.Lfunc_end568:
	.size	_ZN7rocprim17ROCPRIM_400000_NS6detail17trampoline_kernelINS0_14default_configENS1_27upper_bound_config_selectorIxlEEZNS1_14transform_implILb0ES3_S5_N6thrust23THRUST_200600_302600_NS6detail15normal_iteratorINS8_7pointerIxNS8_11hip_rocprim5par_tENS8_11use_defaultESE_EEEENSA_INSB_IlSD_SE_SE_EEEEZNS1_13binary_searchIS3_S5_NSA_INS8_10device_ptrIxEEEESG_SI_NS1_21upper_bound_search_opENS9_16wrapped_functionINS8_6system6detail7generic6detail18binary_search_lessEbEEEE10hipError_tPvRmT1_T2_T3_mmT4_T5_P12ihipStream_tbEUlRKxE_EESV_SZ_S10_mS11_S14_bEUlT_E_NS1_11comp_targetILNS1_3genE10ELNS1_11target_archE1201ELNS1_3gpuE5ELNS1_3repE0EEENS1_30default_config_static_selectorELNS0_4arch9wavefront6targetE1EEEvSY_, .Lfunc_end568-_ZN7rocprim17ROCPRIM_400000_NS6detail17trampoline_kernelINS0_14default_configENS1_27upper_bound_config_selectorIxlEEZNS1_14transform_implILb0ES3_S5_N6thrust23THRUST_200600_302600_NS6detail15normal_iteratorINS8_7pointerIxNS8_11hip_rocprim5par_tENS8_11use_defaultESE_EEEENSA_INSB_IlSD_SE_SE_EEEEZNS1_13binary_searchIS3_S5_NSA_INS8_10device_ptrIxEEEESG_SI_NS1_21upper_bound_search_opENS9_16wrapped_functionINS8_6system6detail7generic6detail18binary_search_lessEbEEEE10hipError_tPvRmT1_T2_T3_mmT4_T5_P12ihipStream_tbEUlRKxE_EESV_SZ_S10_mS11_S14_bEUlT_E_NS1_11comp_targetILNS1_3genE10ELNS1_11target_archE1201ELNS1_3gpuE5ELNS1_3repE0EEENS1_30default_config_static_selectorELNS0_4arch9wavefront6targetE1EEEvSY_
                                        ; -- End function
	.set _ZN7rocprim17ROCPRIM_400000_NS6detail17trampoline_kernelINS0_14default_configENS1_27upper_bound_config_selectorIxlEEZNS1_14transform_implILb0ES3_S5_N6thrust23THRUST_200600_302600_NS6detail15normal_iteratorINS8_7pointerIxNS8_11hip_rocprim5par_tENS8_11use_defaultESE_EEEENSA_INSB_IlSD_SE_SE_EEEEZNS1_13binary_searchIS3_S5_NSA_INS8_10device_ptrIxEEEESG_SI_NS1_21upper_bound_search_opENS9_16wrapped_functionINS8_6system6detail7generic6detail18binary_search_lessEbEEEE10hipError_tPvRmT1_T2_T3_mmT4_T5_P12ihipStream_tbEUlRKxE_EESV_SZ_S10_mS11_S14_bEUlT_E_NS1_11comp_targetILNS1_3genE10ELNS1_11target_archE1201ELNS1_3gpuE5ELNS1_3repE0EEENS1_30default_config_static_selectorELNS0_4arch9wavefront6targetE1EEEvSY_.num_vgpr, 0
	.set _ZN7rocprim17ROCPRIM_400000_NS6detail17trampoline_kernelINS0_14default_configENS1_27upper_bound_config_selectorIxlEEZNS1_14transform_implILb0ES3_S5_N6thrust23THRUST_200600_302600_NS6detail15normal_iteratorINS8_7pointerIxNS8_11hip_rocprim5par_tENS8_11use_defaultESE_EEEENSA_INSB_IlSD_SE_SE_EEEEZNS1_13binary_searchIS3_S5_NSA_INS8_10device_ptrIxEEEESG_SI_NS1_21upper_bound_search_opENS9_16wrapped_functionINS8_6system6detail7generic6detail18binary_search_lessEbEEEE10hipError_tPvRmT1_T2_T3_mmT4_T5_P12ihipStream_tbEUlRKxE_EESV_SZ_S10_mS11_S14_bEUlT_E_NS1_11comp_targetILNS1_3genE10ELNS1_11target_archE1201ELNS1_3gpuE5ELNS1_3repE0EEENS1_30default_config_static_selectorELNS0_4arch9wavefront6targetE1EEEvSY_.num_agpr, 0
	.set _ZN7rocprim17ROCPRIM_400000_NS6detail17trampoline_kernelINS0_14default_configENS1_27upper_bound_config_selectorIxlEEZNS1_14transform_implILb0ES3_S5_N6thrust23THRUST_200600_302600_NS6detail15normal_iteratorINS8_7pointerIxNS8_11hip_rocprim5par_tENS8_11use_defaultESE_EEEENSA_INSB_IlSD_SE_SE_EEEEZNS1_13binary_searchIS3_S5_NSA_INS8_10device_ptrIxEEEESG_SI_NS1_21upper_bound_search_opENS9_16wrapped_functionINS8_6system6detail7generic6detail18binary_search_lessEbEEEE10hipError_tPvRmT1_T2_T3_mmT4_T5_P12ihipStream_tbEUlRKxE_EESV_SZ_S10_mS11_S14_bEUlT_E_NS1_11comp_targetILNS1_3genE10ELNS1_11target_archE1201ELNS1_3gpuE5ELNS1_3repE0EEENS1_30default_config_static_selectorELNS0_4arch9wavefront6targetE1EEEvSY_.numbered_sgpr, 0
	.set _ZN7rocprim17ROCPRIM_400000_NS6detail17trampoline_kernelINS0_14default_configENS1_27upper_bound_config_selectorIxlEEZNS1_14transform_implILb0ES3_S5_N6thrust23THRUST_200600_302600_NS6detail15normal_iteratorINS8_7pointerIxNS8_11hip_rocprim5par_tENS8_11use_defaultESE_EEEENSA_INSB_IlSD_SE_SE_EEEEZNS1_13binary_searchIS3_S5_NSA_INS8_10device_ptrIxEEEESG_SI_NS1_21upper_bound_search_opENS9_16wrapped_functionINS8_6system6detail7generic6detail18binary_search_lessEbEEEE10hipError_tPvRmT1_T2_T3_mmT4_T5_P12ihipStream_tbEUlRKxE_EESV_SZ_S10_mS11_S14_bEUlT_E_NS1_11comp_targetILNS1_3genE10ELNS1_11target_archE1201ELNS1_3gpuE5ELNS1_3repE0EEENS1_30default_config_static_selectorELNS0_4arch9wavefront6targetE1EEEvSY_.num_named_barrier, 0
	.set _ZN7rocprim17ROCPRIM_400000_NS6detail17trampoline_kernelINS0_14default_configENS1_27upper_bound_config_selectorIxlEEZNS1_14transform_implILb0ES3_S5_N6thrust23THRUST_200600_302600_NS6detail15normal_iteratorINS8_7pointerIxNS8_11hip_rocprim5par_tENS8_11use_defaultESE_EEEENSA_INSB_IlSD_SE_SE_EEEEZNS1_13binary_searchIS3_S5_NSA_INS8_10device_ptrIxEEEESG_SI_NS1_21upper_bound_search_opENS9_16wrapped_functionINS8_6system6detail7generic6detail18binary_search_lessEbEEEE10hipError_tPvRmT1_T2_T3_mmT4_T5_P12ihipStream_tbEUlRKxE_EESV_SZ_S10_mS11_S14_bEUlT_E_NS1_11comp_targetILNS1_3genE10ELNS1_11target_archE1201ELNS1_3gpuE5ELNS1_3repE0EEENS1_30default_config_static_selectorELNS0_4arch9wavefront6targetE1EEEvSY_.private_seg_size, 0
	.set _ZN7rocprim17ROCPRIM_400000_NS6detail17trampoline_kernelINS0_14default_configENS1_27upper_bound_config_selectorIxlEEZNS1_14transform_implILb0ES3_S5_N6thrust23THRUST_200600_302600_NS6detail15normal_iteratorINS8_7pointerIxNS8_11hip_rocprim5par_tENS8_11use_defaultESE_EEEENSA_INSB_IlSD_SE_SE_EEEEZNS1_13binary_searchIS3_S5_NSA_INS8_10device_ptrIxEEEESG_SI_NS1_21upper_bound_search_opENS9_16wrapped_functionINS8_6system6detail7generic6detail18binary_search_lessEbEEEE10hipError_tPvRmT1_T2_T3_mmT4_T5_P12ihipStream_tbEUlRKxE_EESV_SZ_S10_mS11_S14_bEUlT_E_NS1_11comp_targetILNS1_3genE10ELNS1_11target_archE1201ELNS1_3gpuE5ELNS1_3repE0EEENS1_30default_config_static_selectorELNS0_4arch9wavefront6targetE1EEEvSY_.uses_vcc, 0
	.set _ZN7rocprim17ROCPRIM_400000_NS6detail17trampoline_kernelINS0_14default_configENS1_27upper_bound_config_selectorIxlEEZNS1_14transform_implILb0ES3_S5_N6thrust23THRUST_200600_302600_NS6detail15normal_iteratorINS8_7pointerIxNS8_11hip_rocprim5par_tENS8_11use_defaultESE_EEEENSA_INSB_IlSD_SE_SE_EEEEZNS1_13binary_searchIS3_S5_NSA_INS8_10device_ptrIxEEEESG_SI_NS1_21upper_bound_search_opENS9_16wrapped_functionINS8_6system6detail7generic6detail18binary_search_lessEbEEEE10hipError_tPvRmT1_T2_T3_mmT4_T5_P12ihipStream_tbEUlRKxE_EESV_SZ_S10_mS11_S14_bEUlT_E_NS1_11comp_targetILNS1_3genE10ELNS1_11target_archE1201ELNS1_3gpuE5ELNS1_3repE0EEENS1_30default_config_static_selectorELNS0_4arch9wavefront6targetE1EEEvSY_.uses_flat_scratch, 0
	.set _ZN7rocprim17ROCPRIM_400000_NS6detail17trampoline_kernelINS0_14default_configENS1_27upper_bound_config_selectorIxlEEZNS1_14transform_implILb0ES3_S5_N6thrust23THRUST_200600_302600_NS6detail15normal_iteratorINS8_7pointerIxNS8_11hip_rocprim5par_tENS8_11use_defaultESE_EEEENSA_INSB_IlSD_SE_SE_EEEEZNS1_13binary_searchIS3_S5_NSA_INS8_10device_ptrIxEEEESG_SI_NS1_21upper_bound_search_opENS9_16wrapped_functionINS8_6system6detail7generic6detail18binary_search_lessEbEEEE10hipError_tPvRmT1_T2_T3_mmT4_T5_P12ihipStream_tbEUlRKxE_EESV_SZ_S10_mS11_S14_bEUlT_E_NS1_11comp_targetILNS1_3genE10ELNS1_11target_archE1201ELNS1_3gpuE5ELNS1_3repE0EEENS1_30default_config_static_selectorELNS0_4arch9wavefront6targetE1EEEvSY_.has_dyn_sized_stack, 0
	.set _ZN7rocprim17ROCPRIM_400000_NS6detail17trampoline_kernelINS0_14default_configENS1_27upper_bound_config_selectorIxlEEZNS1_14transform_implILb0ES3_S5_N6thrust23THRUST_200600_302600_NS6detail15normal_iteratorINS8_7pointerIxNS8_11hip_rocprim5par_tENS8_11use_defaultESE_EEEENSA_INSB_IlSD_SE_SE_EEEEZNS1_13binary_searchIS3_S5_NSA_INS8_10device_ptrIxEEEESG_SI_NS1_21upper_bound_search_opENS9_16wrapped_functionINS8_6system6detail7generic6detail18binary_search_lessEbEEEE10hipError_tPvRmT1_T2_T3_mmT4_T5_P12ihipStream_tbEUlRKxE_EESV_SZ_S10_mS11_S14_bEUlT_E_NS1_11comp_targetILNS1_3genE10ELNS1_11target_archE1201ELNS1_3gpuE5ELNS1_3repE0EEENS1_30default_config_static_selectorELNS0_4arch9wavefront6targetE1EEEvSY_.has_recursion, 0
	.set _ZN7rocprim17ROCPRIM_400000_NS6detail17trampoline_kernelINS0_14default_configENS1_27upper_bound_config_selectorIxlEEZNS1_14transform_implILb0ES3_S5_N6thrust23THRUST_200600_302600_NS6detail15normal_iteratorINS8_7pointerIxNS8_11hip_rocprim5par_tENS8_11use_defaultESE_EEEENSA_INSB_IlSD_SE_SE_EEEEZNS1_13binary_searchIS3_S5_NSA_INS8_10device_ptrIxEEEESG_SI_NS1_21upper_bound_search_opENS9_16wrapped_functionINS8_6system6detail7generic6detail18binary_search_lessEbEEEE10hipError_tPvRmT1_T2_T3_mmT4_T5_P12ihipStream_tbEUlRKxE_EESV_SZ_S10_mS11_S14_bEUlT_E_NS1_11comp_targetILNS1_3genE10ELNS1_11target_archE1201ELNS1_3gpuE5ELNS1_3repE0EEENS1_30default_config_static_selectorELNS0_4arch9wavefront6targetE1EEEvSY_.has_indirect_call, 0
	.section	.AMDGPU.csdata,"",@progbits
; Kernel info:
; codeLenInByte = 0
; TotalNumSgprs: 4
; NumVgprs: 0
; ScratchSize: 0
; MemoryBound: 0
; FloatMode: 240
; IeeeMode: 1
; LDSByteSize: 0 bytes/workgroup (compile time only)
; SGPRBlocks: 0
; VGPRBlocks: 0
; NumSGPRsForWavesPerEU: 4
; NumVGPRsForWavesPerEU: 1
; Occupancy: 10
; WaveLimiterHint : 0
; COMPUTE_PGM_RSRC2:SCRATCH_EN: 0
; COMPUTE_PGM_RSRC2:USER_SGPR: 6
; COMPUTE_PGM_RSRC2:TRAP_HANDLER: 0
; COMPUTE_PGM_RSRC2:TGID_X_EN: 1
; COMPUTE_PGM_RSRC2:TGID_Y_EN: 0
; COMPUTE_PGM_RSRC2:TGID_Z_EN: 0
; COMPUTE_PGM_RSRC2:TIDIG_COMP_CNT: 0
	.section	.text._ZN7rocprim17ROCPRIM_400000_NS6detail17trampoline_kernelINS0_14default_configENS1_27upper_bound_config_selectorIxlEEZNS1_14transform_implILb0ES3_S5_N6thrust23THRUST_200600_302600_NS6detail15normal_iteratorINS8_7pointerIxNS8_11hip_rocprim5par_tENS8_11use_defaultESE_EEEENSA_INSB_IlSD_SE_SE_EEEEZNS1_13binary_searchIS3_S5_NSA_INS8_10device_ptrIxEEEESG_SI_NS1_21upper_bound_search_opENS9_16wrapped_functionINS8_6system6detail7generic6detail18binary_search_lessEbEEEE10hipError_tPvRmT1_T2_T3_mmT4_T5_P12ihipStream_tbEUlRKxE_EESV_SZ_S10_mS11_S14_bEUlT_E_NS1_11comp_targetILNS1_3genE10ELNS1_11target_archE1200ELNS1_3gpuE4ELNS1_3repE0EEENS1_30default_config_static_selectorELNS0_4arch9wavefront6targetE1EEEvSY_,"axG",@progbits,_ZN7rocprim17ROCPRIM_400000_NS6detail17trampoline_kernelINS0_14default_configENS1_27upper_bound_config_selectorIxlEEZNS1_14transform_implILb0ES3_S5_N6thrust23THRUST_200600_302600_NS6detail15normal_iteratorINS8_7pointerIxNS8_11hip_rocprim5par_tENS8_11use_defaultESE_EEEENSA_INSB_IlSD_SE_SE_EEEEZNS1_13binary_searchIS3_S5_NSA_INS8_10device_ptrIxEEEESG_SI_NS1_21upper_bound_search_opENS9_16wrapped_functionINS8_6system6detail7generic6detail18binary_search_lessEbEEEE10hipError_tPvRmT1_T2_T3_mmT4_T5_P12ihipStream_tbEUlRKxE_EESV_SZ_S10_mS11_S14_bEUlT_E_NS1_11comp_targetILNS1_3genE10ELNS1_11target_archE1200ELNS1_3gpuE4ELNS1_3repE0EEENS1_30default_config_static_selectorELNS0_4arch9wavefront6targetE1EEEvSY_,comdat
	.protected	_ZN7rocprim17ROCPRIM_400000_NS6detail17trampoline_kernelINS0_14default_configENS1_27upper_bound_config_selectorIxlEEZNS1_14transform_implILb0ES3_S5_N6thrust23THRUST_200600_302600_NS6detail15normal_iteratorINS8_7pointerIxNS8_11hip_rocprim5par_tENS8_11use_defaultESE_EEEENSA_INSB_IlSD_SE_SE_EEEEZNS1_13binary_searchIS3_S5_NSA_INS8_10device_ptrIxEEEESG_SI_NS1_21upper_bound_search_opENS9_16wrapped_functionINS8_6system6detail7generic6detail18binary_search_lessEbEEEE10hipError_tPvRmT1_T2_T3_mmT4_T5_P12ihipStream_tbEUlRKxE_EESV_SZ_S10_mS11_S14_bEUlT_E_NS1_11comp_targetILNS1_3genE10ELNS1_11target_archE1200ELNS1_3gpuE4ELNS1_3repE0EEENS1_30default_config_static_selectorELNS0_4arch9wavefront6targetE1EEEvSY_ ; -- Begin function _ZN7rocprim17ROCPRIM_400000_NS6detail17trampoline_kernelINS0_14default_configENS1_27upper_bound_config_selectorIxlEEZNS1_14transform_implILb0ES3_S5_N6thrust23THRUST_200600_302600_NS6detail15normal_iteratorINS8_7pointerIxNS8_11hip_rocprim5par_tENS8_11use_defaultESE_EEEENSA_INSB_IlSD_SE_SE_EEEEZNS1_13binary_searchIS3_S5_NSA_INS8_10device_ptrIxEEEESG_SI_NS1_21upper_bound_search_opENS9_16wrapped_functionINS8_6system6detail7generic6detail18binary_search_lessEbEEEE10hipError_tPvRmT1_T2_T3_mmT4_T5_P12ihipStream_tbEUlRKxE_EESV_SZ_S10_mS11_S14_bEUlT_E_NS1_11comp_targetILNS1_3genE10ELNS1_11target_archE1200ELNS1_3gpuE4ELNS1_3repE0EEENS1_30default_config_static_selectorELNS0_4arch9wavefront6targetE1EEEvSY_
	.globl	_ZN7rocprim17ROCPRIM_400000_NS6detail17trampoline_kernelINS0_14default_configENS1_27upper_bound_config_selectorIxlEEZNS1_14transform_implILb0ES3_S5_N6thrust23THRUST_200600_302600_NS6detail15normal_iteratorINS8_7pointerIxNS8_11hip_rocprim5par_tENS8_11use_defaultESE_EEEENSA_INSB_IlSD_SE_SE_EEEEZNS1_13binary_searchIS3_S5_NSA_INS8_10device_ptrIxEEEESG_SI_NS1_21upper_bound_search_opENS9_16wrapped_functionINS8_6system6detail7generic6detail18binary_search_lessEbEEEE10hipError_tPvRmT1_T2_T3_mmT4_T5_P12ihipStream_tbEUlRKxE_EESV_SZ_S10_mS11_S14_bEUlT_E_NS1_11comp_targetILNS1_3genE10ELNS1_11target_archE1200ELNS1_3gpuE4ELNS1_3repE0EEENS1_30default_config_static_selectorELNS0_4arch9wavefront6targetE1EEEvSY_
	.p2align	8
	.type	_ZN7rocprim17ROCPRIM_400000_NS6detail17trampoline_kernelINS0_14default_configENS1_27upper_bound_config_selectorIxlEEZNS1_14transform_implILb0ES3_S5_N6thrust23THRUST_200600_302600_NS6detail15normal_iteratorINS8_7pointerIxNS8_11hip_rocprim5par_tENS8_11use_defaultESE_EEEENSA_INSB_IlSD_SE_SE_EEEEZNS1_13binary_searchIS3_S5_NSA_INS8_10device_ptrIxEEEESG_SI_NS1_21upper_bound_search_opENS9_16wrapped_functionINS8_6system6detail7generic6detail18binary_search_lessEbEEEE10hipError_tPvRmT1_T2_T3_mmT4_T5_P12ihipStream_tbEUlRKxE_EESV_SZ_S10_mS11_S14_bEUlT_E_NS1_11comp_targetILNS1_3genE10ELNS1_11target_archE1200ELNS1_3gpuE4ELNS1_3repE0EEENS1_30default_config_static_selectorELNS0_4arch9wavefront6targetE1EEEvSY_,@function
_ZN7rocprim17ROCPRIM_400000_NS6detail17trampoline_kernelINS0_14default_configENS1_27upper_bound_config_selectorIxlEEZNS1_14transform_implILb0ES3_S5_N6thrust23THRUST_200600_302600_NS6detail15normal_iteratorINS8_7pointerIxNS8_11hip_rocprim5par_tENS8_11use_defaultESE_EEEENSA_INSB_IlSD_SE_SE_EEEEZNS1_13binary_searchIS3_S5_NSA_INS8_10device_ptrIxEEEESG_SI_NS1_21upper_bound_search_opENS9_16wrapped_functionINS8_6system6detail7generic6detail18binary_search_lessEbEEEE10hipError_tPvRmT1_T2_T3_mmT4_T5_P12ihipStream_tbEUlRKxE_EESV_SZ_S10_mS11_S14_bEUlT_E_NS1_11comp_targetILNS1_3genE10ELNS1_11target_archE1200ELNS1_3gpuE4ELNS1_3repE0EEENS1_30default_config_static_selectorELNS0_4arch9wavefront6targetE1EEEvSY_: ; @_ZN7rocprim17ROCPRIM_400000_NS6detail17trampoline_kernelINS0_14default_configENS1_27upper_bound_config_selectorIxlEEZNS1_14transform_implILb0ES3_S5_N6thrust23THRUST_200600_302600_NS6detail15normal_iteratorINS8_7pointerIxNS8_11hip_rocprim5par_tENS8_11use_defaultESE_EEEENSA_INSB_IlSD_SE_SE_EEEEZNS1_13binary_searchIS3_S5_NSA_INS8_10device_ptrIxEEEESG_SI_NS1_21upper_bound_search_opENS9_16wrapped_functionINS8_6system6detail7generic6detail18binary_search_lessEbEEEE10hipError_tPvRmT1_T2_T3_mmT4_T5_P12ihipStream_tbEUlRKxE_EESV_SZ_S10_mS11_S14_bEUlT_E_NS1_11comp_targetILNS1_3genE10ELNS1_11target_archE1200ELNS1_3gpuE4ELNS1_3repE0EEENS1_30default_config_static_selectorELNS0_4arch9wavefront6targetE1EEEvSY_
; %bb.0:
	.section	.rodata,"a",@progbits
	.p2align	6, 0x0
	.amdhsa_kernel _ZN7rocprim17ROCPRIM_400000_NS6detail17trampoline_kernelINS0_14default_configENS1_27upper_bound_config_selectorIxlEEZNS1_14transform_implILb0ES3_S5_N6thrust23THRUST_200600_302600_NS6detail15normal_iteratorINS8_7pointerIxNS8_11hip_rocprim5par_tENS8_11use_defaultESE_EEEENSA_INSB_IlSD_SE_SE_EEEEZNS1_13binary_searchIS3_S5_NSA_INS8_10device_ptrIxEEEESG_SI_NS1_21upper_bound_search_opENS9_16wrapped_functionINS8_6system6detail7generic6detail18binary_search_lessEbEEEE10hipError_tPvRmT1_T2_T3_mmT4_T5_P12ihipStream_tbEUlRKxE_EESV_SZ_S10_mS11_S14_bEUlT_E_NS1_11comp_targetILNS1_3genE10ELNS1_11target_archE1200ELNS1_3gpuE4ELNS1_3repE0EEENS1_30default_config_static_selectorELNS0_4arch9wavefront6targetE1EEEvSY_
		.amdhsa_group_segment_fixed_size 0
		.amdhsa_private_segment_fixed_size 0
		.amdhsa_kernarg_size 56
		.amdhsa_user_sgpr_count 6
		.amdhsa_user_sgpr_private_segment_buffer 1
		.amdhsa_user_sgpr_dispatch_ptr 0
		.amdhsa_user_sgpr_queue_ptr 0
		.amdhsa_user_sgpr_kernarg_segment_ptr 1
		.amdhsa_user_sgpr_dispatch_id 0
		.amdhsa_user_sgpr_flat_scratch_init 0
		.amdhsa_user_sgpr_private_segment_size 0
		.amdhsa_uses_dynamic_stack 0
		.amdhsa_system_sgpr_private_segment_wavefront_offset 0
		.amdhsa_system_sgpr_workgroup_id_x 1
		.amdhsa_system_sgpr_workgroup_id_y 0
		.amdhsa_system_sgpr_workgroup_id_z 0
		.amdhsa_system_sgpr_workgroup_info 0
		.amdhsa_system_vgpr_workitem_id 0
		.amdhsa_next_free_vgpr 1
		.amdhsa_next_free_sgpr 0
		.amdhsa_reserve_vcc 0
		.amdhsa_reserve_flat_scratch 0
		.amdhsa_float_round_mode_32 0
		.amdhsa_float_round_mode_16_64 0
		.amdhsa_float_denorm_mode_32 3
		.amdhsa_float_denorm_mode_16_64 3
		.amdhsa_dx10_clamp 1
		.amdhsa_ieee_mode 1
		.amdhsa_fp16_overflow 0
		.amdhsa_exception_fp_ieee_invalid_op 0
		.amdhsa_exception_fp_denorm_src 0
		.amdhsa_exception_fp_ieee_div_zero 0
		.amdhsa_exception_fp_ieee_overflow 0
		.amdhsa_exception_fp_ieee_underflow 0
		.amdhsa_exception_fp_ieee_inexact 0
		.amdhsa_exception_int_div_zero 0
	.end_amdhsa_kernel
	.section	.text._ZN7rocprim17ROCPRIM_400000_NS6detail17trampoline_kernelINS0_14default_configENS1_27upper_bound_config_selectorIxlEEZNS1_14transform_implILb0ES3_S5_N6thrust23THRUST_200600_302600_NS6detail15normal_iteratorINS8_7pointerIxNS8_11hip_rocprim5par_tENS8_11use_defaultESE_EEEENSA_INSB_IlSD_SE_SE_EEEEZNS1_13binary_searchIS3_S5_NSA_INS8_10device_ptrIxEEEESG_SI_NS1_21upper_bound_search_opENS9_16wrapped_functionINS8_6system6detail7generic6detail18binary_search_lessEbEEEE10hipError_tPvRmT1_T2_T3_mmT4_T5_P12ihipStream_tbEUlRKxE_EESV_SZ_S10_mS11_S14_bEUlT_E_NS1_11comp_targetILNS1_3genE10ELNS1_11target_archE1200ELNS1_3gpuE4ELNS1_3repE0EEENS1_30default_config_static_selectorELNS0_4arch9wavefront6targetE1EEEvSY_,"axG",@progbits,_ZN7rocprim17ROCPRIM_400000_NS6detail17trampoline_kernelINS0_14default_configENS1_27upper_bound_config_selectorIxlEEZNS1_14transform_implILb0ES3_S5_N6thrust23THRUST_200600_302600_NS6detail15normal_iteratorINS8_7pointerIxNS8_11hip_rocprim5par_tENS8_11use_defaultESE_EEEENSA_INSB_IlSD_SE_SE_EEEEZNS1_13binary_searchIS3_S5_NSA_INS8_10device_ptrIxEEEESG_SI_NS1_21upper_bound_search_opENS9_16wrapped_functionINS8_6system6detail7generic6detail18binary_search_lessEbEEEE10hipError_tPvRmT1_T2_T3_mmT4_T5_P12ihipStream_tbEUlRKxE_EESV_SZ_S10_mS11_S14_bEUlT_E_NS1_11comp_targetILNS1_3genE10ELNS1_11target_archE1200ELNS1_3gpuE4ELNS1_3repE0EEENS1_30default_config_static_selectorELNS0_4arch9wavefront6targetE1EEEvSY_,comdat
.Lfunc_end569:
	.size	_ZN7rocprim17ROCPRIM_400000_NS6detail17trampoline_kernelINS0_14default_configENS1_27upper_bound_config_selectorIxlEEZNS1_14transform_implILb0ES3_S5_N6thrust23THRUST_200600_302600_NS6detail15normal_iteratorINS8_7pointerIxNS8_11hip_rocprim5par_tENS8_11use_defaultESE_EEEENSA_INSB_IlSD_SE_SE_EEEEZNS1_13binary_searchIS3_S5_NSA_INS8_10device_ptrIxEEEESG_SI_NS1_21upper_bound_search_opENS9_16wrapped_functionINS8_6system6detail7generic6detail18binary_search_lessEbEEEE10hipError_tPvRmT1_T2_T3_mmT4_T5_P12ihipStream_tbEUlRKxE_EESV_SZ_S10_mS11_S14_bEUlT_E_NS1_11comp_targetILNS1_3genE10ELNS1_11target_archE1200ELNS1_3gpuE4ELNS1_3repE0EEENS1_30default_config_static_selectorELNS0_4arch9wavefront6targetE1EEEvSY_, .Lfunc_end569-_ZN7rocprim17ROCPRIM_400000_NS6detail17trampoline_kernelINS0_14default_configENS1_27upper_bound_config_selectorIxlEEZNS1_14transform_implILb0ES3_S5_N6thrust23THRUST_200600_302600_NS6detail15normal_iteratorINS8_7pointerIxNS8_11hip_rocprim5par_tENS8_11use_defaultESE_EEEENSA_INSB_IlSD_SE_SE_EEEEZNS1_13binary_searchIS3_S5_NSA_INS8_10device_ptrIxEEEESG_SI_NS1_21upper_bound_search_opENS9_16wrapped_functionINS8_6system6detail7generic6detail18binary_search_lessEbEEEE10hipError_tPvRmT1_T2_T3_mmT4_T5_P12ihipStream_tbEUlRKxE_EESV_SZ_S10_mS11_S14_bEUlT_E_NS1_11comp_targetILNS1_3genE10ELNS1_11target_archE1200ELNS1_3gpuE4ELNS1_3repE0EEENS1_30default_config_static_selectorELNS0_4arch9wavefront6targetE1EEEvSY_
                                        ; -- End function
	.set _ZN7rocprim17ROCPRIM_400000_NS6detail17trampoline_kernelINS0_14default_configENS1_27upper_bound_config_selectorIxlEEZNS1_14transform_implILb0ES3_S5_N6thrust23THRUST_200600_302600_NS6detail15normal_iteratorINS8_7pointerIxNS8_11hip_rocprim5par_tENS8_11use_defaultESE_EEEENSA_INSB_IlSD_SE_SE_EEEEZNS1_13binary_searchIS3_S5_NSA_INS8_10device_ptrIxEEEESG_SI_NS1_21upper_bound_search_opENS9_16wrapped_functionINS8_6system6detail7generic6detail18binary_search_lessEbEEEE10hipError_tPvRmT1_T2_T3_mmT4_T5_P12ihipStream_tbEUlRKxE_EESV_SZ_S10_mS11_S14_bEUlT_E_NS1_11comp_targetILNS1_3genE10ELNS1_11target_archE1200ELNS1_3gpuE4ELNS1_3repE0EEENS1_30default_config_static_selectorELNS0_4arch9wavefront6targetE1EEEvSY_.num_vgpr, 0
	.set _ZN7rocprim17ROCPRIM_400000_NS6detail17trampoline_kernelINS0_14default_configENS1_27upper_bound_config_selectorIxlEEZNS1_14transform_implILb0ES3_S5_N6thrust23THRUST_200600_302600_NS6detail15normal_iteratorINS8_7pointerIxNS8_11hip_rocprim5par_tENS8_11use_defaultESE_EEEENSA_INSB_IlSD_SE_SE_EEEEZNS1_13binary_searchIS3_S5_NSA_INS8_10device_ptrIxEEEESG_SI_NS1_21upper_bound_search_opENS9_16wrapped_functionINS8_6system6detail7generic6detail18binary_search_lessEbEEEE10hipError_tPvRmT1_T2_T3_mmT4_T5_P12ihipStream_tbEUlRKxE_EESV_SZ_S10_mS11_S14_bEUlT_E_NS1_11comp_targetILNS1_3genE10ELNS1_11target_archE1200ELNS1_3gpuE4ELNS1_3repE0EEENS1_30default_config_static_selectorELNS0_4arch9wavefront6targetE1EEEvSY_.num_agpr, 0
	.set _ZN7rocprim17ROCPRIM_400000_NS6detail17trampoline_kernelINS0_14default_configENS1_27upper_bound_config_selectorIxlEEZNS1_14transform_implILb0ES3_S5_N6thrust23THRUST_200600_302600_NS6detail15normal_iteratorINS8_7pointerIxNS8_11hip_rocprim5par_tENS8_11use_defaultESE_EEEENSA_INSB_IlSD_SE_SE_EEEEZNS1_13binary_searchIS3_S5_NSA_INS8_10device_ptrIxEEEESG_SI_NS1_21upper_bound_search_opENS9_16wrapped_functionINS8_6system6detail7generic6detail18binary_search_lessEbEEEE10hipError_tPvRmT1_T2_T3_mmT4_T5_P12ihipStream_tbEUlRKxE_EESV_SZ_S10_mS11_S14_bEUlT_E_NS1_11comp_targetILNS1_3genE10ELNS1_11target_archE1200ELNS1_3gpuE4ELNS1_3repE0EEENS1_30default_config_static_selectorELNS0_4arch9wavefront6targetE1EEEvSY_.numbered_sgpr, 0
	.set _ZN7rocprim17ROCPRIM_400000_NS6detail17trampoline_kernelINS0_14default_configENS1_27upper_bound_config_selectorIxlEEZNS1_14transform_implILb0ES3_S5_N6thrust23THRUST_200600_302600_NS6detail15normal_iteratorINS8_7pointerIxNS8_11hip_rocprim5par_tENS8_11use_defaultESE_EEEENSA_INSB_IlSD_SE_SE_EEEEZNS1_13binary_searchIS3_S5_NSA_INS8_10device_ptrIxEEEESG_SI_NS1_21upper_bound_search_opENS9_16wrapped_functionINS8_6system6detail7generic6detail18binary_search_lessEbEEEE10hipError_tPvRmT1_T2_T3_mmT4_T5_P12ihipStream_tbEUlRKxE_EESV_SZ_S10_mS11_S14_bEUlT_E_NS1_11comp_targetILNS1_3genE10ELNS1_11target_archE1200ELNS1_3gpuE4ELNS1_3repE0EEENS1_30default_config_static_selectorELNS0_4arch9wavefront6targetE1EEEvSY_.num_named_barrier, 0
	.set _ZN7rocprim17ROCPRIM_400000_NS6detail17trampoline_kernelINS0_14default_configENS1_27upper_bound_config_selectorIxlEEZNS1_14transform_implILb0ES3_S5_N6thrust23THRUST_200600_302600_NS6detail15normal_iteratorINS8_7pointerIxNS8_11hip_rocprim5par_tENS8_11use_defaultESE_EEEENSA_INSB_IlSD_SE_SE_EEEEZNS1_13binary_searchIS3_S5_NSA_INS8_10device_ptrIxEEEESG_SI_NS1_21upper_bound_search_opENS9_16wrapped_functionINS8_6system6detail7generic6detail18binary_search_lessEbEEEE10hipError_tPvRmT1_T2_T3_mmT4_T5_P12ihipStream_tbEUlRKxE_EESV_SZ_S10_mS11_S14_bEUlT_E_NS1_11comp_targetILNS1_3genE10ELNS1_11target_archE1200ELNS1_3gpuE4ELNS1_3repE0EEENS1_30default_config_static_selectorELNS0_4arch9wavefront6targetE1EEEvSY_.private_seg_size, 0
	.set _ZN7rocprim17ROCPRIM_400000_NS6detail17trampoline_kernelINS0_14default_configENS1_27upper_bound_config_selectorIxlEEZNS1_14transform_implILb0ES3_S5_N6thrust23THRUST_200600_302600_NS6detail15normal_iteratorINS8_7pointerIxNS8_11hip_rocprim5par_tENS8_11use_defaultESE_EEEENSA_INSB_IlSD_SE_SE_EEEEZNS1_13binary_searchIS3_S5_NSA_INS8_10device_ptrIxEEEESG_SI_NS1_21upper_bound_search_opENS9_16wrapped_functionINS8_6system6detail7generic6detail18binary_search_lessEbEEEE10hipError_tPvRmT1_T2_T3_mmT4_T5_P12ihipStream_tbEUlRKxE_EESV_SZ_S10_mS11_S14_bEUlT_E_NS1_11comp_targetILNS1_3genE10ELNS1_11target_archE1200ELNS1_3gpuE4ELNS1_3repE0EEENS1_30default_config_static_selectorELNS0_4arch9wavefront6targetE1EEEvSY_.uses_vcc, 0
	.set _ZN7rocprim17ROCPRIM_400000_NS6detail17trampoline_kernelINS0_14default_configENS1_27upper_bound_config_selectorIxlEEZNS1_14transform_implILb0ES3_S5_N6thrust23THRUST_200600_302600_NS6detail15normal_iteratorINS8_7pointerIxNS8_11hip_rocprim5par_tENS8_11use_defaultESE_EEEENSA_INSB_IlSD_SE_SE_EEEEZNS1_13binary_searchIS3_S5_NSA_INS8_10device_ptrIxEEEESG_SI_NS1_21upper_bound_search_opENS9_16wrapped_functionINS8_6system6detail7generic6detail18binary_search_lessEbEEEE10hipError_tPvRmT1_T2_T3_mmT4_T5_P12ihipStream_tbEUlRKxE_EESV_SZ_S10_mS11_S14_bEUlT_E_NS1_11comp_targetILNS1_3genE10ELNS1_11target_archE1200ELNS1_3gpuE4ELNS1_3repE0EEENS1_30default_config_static_selectorELNS0_4arch9wavefront6targetE1EEEvSY_.uses_flat_scratch, 0
	.set _ZN7rocprim17ROCPRIM_400000_NS6detail17trampoline_kernelINS0_14default_configENS1_27upper_bound_config_selectorIxlEEZNS1_14transform_implILb0ES3_S5_N6thrust23THRUST_200600_302600_NS6detail15normal_iteratorINS8_7pointerIxNS8_11hip_rocprim5par_tENS8_11use_defaultESE_EEEENSA_INSB_IlSD_SE_SE_EEEEZNS1_13binary_searchIS3_S5_NSA_INS8_10device_ptrIxEEEESG_SI_NS1_21upper_bound_search_opENS9_16wrapped_functionINS8_6system6detail7generic6detail18binary_search_lessEbEEEE10hipError_tPvRmT1_T2_T3_mmT4_T5_P12ihipStream_tbEUlRKxE_EESV_SZ_S10_mS11_S14_bEUlT_E_NS1_11comp_targetILNS1_3genE10ELNS1_11target_archE1200ELNS1_3gpuE4ELNS1_3repE0EEENS1_30default_config_static_selectorELNS0_4arch9wavefront6targetE1EEEvSY_.has_dyn_sized_stack, 0
	.set _ZN7rocprim17ROCPRIM_400000_NS6detail17trampoline_kernelINS0_14default_configENS1_27upper_bound_config_selectorIxlEEZNS1_14transform_implILb0ES3_S5_N6thrust23THRUST_200600_302600_NS6detail15normal_iteratorINS8_7pointerIxNS8_11hip_rocprim5par_tENS8_11use_defaultESE_EEEENSA_INSB_IlSD_SE_SE_EEEEZNS1_13binary_searchIS3_S5_NSA_INS8_10device_ptrIxEEEESG_SI_NS1_21upper_bound_search_opENS9_16wrapped_functionINS8_6system6detail7generic6detail18binary_search_lessEbEEEE10hipError_tPvRmT1_T2_T3_mmT4_T5_P12ihipStream_tbEUlRKxE_EESV_SZ_S10_mS11_S14_bEUlT_E_NS1_11comp_targetILNS1_3genE10ELNS1_11target_archE1200ELNS1_3gpuE4ELNS1_3repE0EEENS1_30default_config_static_selectorELNS0_4arch9wavefront6targetE1EEEvSY_.has_recursion, 0
	.set _ZN7rocprim17ROCPRIM_400000_NS6detail17trampoline_kernelINS0_14default_configENS1_27upper_bound_config_selectorIxlEEZNS1_14transform_implILb0ES3_S5_N6thrust23THRUST_200600_302600_NS6detail15normal_iteratorINS8_7pointerIxNS8_11hip_rocprim5par_tENS8_11use_defaultESE_EEEENSA_INSB_IlSD_SE_SE_EEEEZNS1_13binary_searchIS3_S5_NSA_INS8_10device_ptrIxEEEESG_SI_NS1_21upper_bound_search_opENS9_16wrapped_functionINS8_6system6detail7generic6detail18binary_search_lessEbEEEE10hipError_tPvRmT1_T2_T3_mmT4_T5_P12ihipStream_tbEUlRKxE_EESV_SZ_S10_mS11_S14_bEUlT_E_NS1_11comp_targetILNS1_3genE10ELNS1_11target_archE1200ELNS1_3gpuE4ELNS1_3repE0EEENS1_30default_config_static_selectorELNS0_4arch9wavefront6targetE1EEEvSY_.has_indirect_call, 0
	.section	.AMDGPU.csdata,"",@progbits
; Kernel info:
; codeLenInByte = 0
; TotalNumSgprs: 4
; NumVgprs: 0
; ScratchSize: 0
; MemoryBound: 0
; FloatMode: 240
; IeeeMode: 1
; LDSByteSize: 0 bytes/workgroup (compile time only)
; SGPRBlocks: 0
; VGPRBlocks: 0
; NumSGPRsForWavesPerEU: 4
; NumVGPRsForWavesPerEU: 1
; Occupancy: 10
; WaveLimiterHint : 0
; COMPUTE_PGM_RSRC2:SCRATCH_EN: 0
; COMPUTE_PGM_RSRC2:USER_SGPR: 6
; COMPUTE_PGM_RSRC2:TRAP_HANDLER: 0
; COMPUTE_PGM_RSRC2:TGID_X_EN: 1
; COMPUTE_PGM_RSRC2:TGID_Y_EN: 0
; COMPUTE_PGM_RSRC2:TGID_Z_EN: 0
; COMPUTE_PGM_RSRC2:TIDIG_COMP_CNT: 0
	.section	.text._ZN7rocprim17ROCPRIM_400000_NS6detail17trampoline_kernelINS0_14default_configENS1_27upper_bound_config_selectorIxlEEZNS1_14transform_implILb0ES3_S5_N6thrust23THRUST_200600_302600_NS6detail15normal_iteratorINS8_7pointerIxNS8_11hip_rocprim5par_tENS8_11use_defaultESE_EEEENSA_INSB_IlSD_SE_SE_EEEEZNS1_13binary_searchIS3_S5_NSA_INS8_10device_ptrIxEEEESG_SI_NS1_21upper_bound_search_opENS9_16wrapped_functionINS8_6system6detail7generic6detail18binary_search_lessEbEEEE10hipError_tPvRmT1_T2_T3_mmT4_T5_P12ihipStream_tbEUlRKxE_EESV_SZ_S10_mS11_S14_bEUlT_E_NS1_11comp_targetILNS1_3genE9ELNS1_11target_archE1100ELNS1_3gpuE3ELNS1_3repE0EEENS1_30default_config_static_selectorELNS0_4arch9wavefront6targetE1EEEvSY_,"axG",@progbits,_ZN7rocprim17ROCPRIM_400000_NS6detail17trampoline_kernelINS0_14default_configENS1_27upper_bound_config_selectorIxlEEZNS1_14transform_implILb0ES3_S5_N6thrust23THRUST_200600_302600_NS6detail15normal_iteratorINS8_7pointerIxNS8_11hip_rocprim5par_tENS8_11use_defaultESE_EEEENSA_INSB_IlSD_SE_SE_EEEEZNS1_13binary_searchIS3_S5_NSA_INS8_10device_ptrIxEEEESG_SI_NS1_21upper_bound_search_opENS9_16wrapped_functionINS8_6system6detail7generic6detail18binary_search_lessEbEEEE10hipError_tPvRmT1_T2_T3_mmT4_T5_P12ihipStream_tbEUlRKxE_EESV_SZ_S10_mS11_S14_bEUlT_E_NS1_11comp_targetILNS1_3genE9ELNS1_11target_archE1100ELNS1_3gpuE3ELNS1_3repE0EEENS1_30default_config_static_selectorELNS0_4arch9wavefront6targetE1EEEvSY_,comdat
	.protected	_ZN7rocprim17ROCPRIM_400000_NS6detail17trampoline_kernelINS0_14default_configENS1_27upper_bound_config_selectorIxlEEZNS1_14transform_implILb0ES3_S5_N6thrust23THRUST_200600_302600_NS6detail15normal_iteratorINS8_7pointerIxNS8_11hip_rocprim5par_tENS8_11use_defaultESE_EEEENSA_INSB_IlSD_SE_SE_EEEEZNS1_13binary_searchIS3_S5_NSA_INS8_10device_ptrIxEEEESG_SI_NS1_21upper_bound_search_opENS9_16wrapped_functionINS8_6system6detail7generic6detail18binary_search_lessEbEEEE10hipError_tPvRmT1_T2_T3_mmT4_T5_P12ihipStream_tbEUlRKxE_EESV_SZ_S10_mS11_S14_bEUlT_E_NS1_11comp_targetILNS1_3genE9ELNS1_11target_archE1100ELNS1_3gpuE3ELNS1_3repE0EEENS1_30default_config_static_selectorELNS0_4arch9wavefront6targetE1EEEvSY_ ; -- Begin function _ZN7rocprim17ROCPRIM_400000_NS6detail17trampoline_kernelINS0_14default_configENS1_27upper_bound_config_selectorIxlEEZNS1_14transform_implILb0ES3_S5_N6thrust23THRUST_200600_302600_NS6detail15normal_iteratorINS8_7pointerIxNS8_11hip_rocprim5par_tENS8_11use_defaultESE_EEEENSA_INSB_IlSD_SE_SE_EEEEZNS1_13binary_searchIS3_S5_NSA_INS8_10device_ptrIxEEEESG_SI_NS1_21upper_bound_search_opENS9_16wrapped_functionINS8_6system6detail7generic6detail18binary_search_lessEbEEEE10hipError_tPvRmT1_T2_T3_mmT4_T5_P12ihipStream_tbEUlRKxE_EESV_SZ_S10_mS11_S14_bEUlT_E_NS1_11comp_targetILNS1_3genE9ELNS1_11target_archE1100ELNS1_3gpuE3ELNS1_3repE0EEENS1_30default_config_static_selectorELNS0_4arch9wavefront6targetE1EEEvSY_
	.globl	_ZN7rocprim17ROCPRIM_400000_NS6detail17trampoline_kernelINS0_14default_configENS1_27upper_bound_config_selectorIxlEEZNS1_14transform_implILb0ES3_S5_N6thrust23THRUST_200600_302600_NS6detail15normal_iteratorINS8_7pointerIxNS8_11hip_rocprim5par_tENS8_11use_defaultESE_EEEENSA_INSB_IlSD_SE_SE_EEEEZNS1_13binary_searchIS3_S5_NSA_INS8_10device_ptrIxEEEESG_SI_NS1_21upper_bound_search_opENS9_16wrapped_functionINS8_6system6detail7generic6detail18binary_search_lessEbEEEE10hipError_tPvRmT1_T2_T3_mmT4_T5_P12ihipStream_tbEUlRKxE_EESV_SZ_S10_mS11_S14_bEUlT_E_NS1_11comp_targetILNS1_3genE9ELNS1_11target_archE1100ELNS1_3gpuE3ELNS1_3repE0EEENS1_30default_config_static_selectorELNS0_4arch9wavefront6targetE1EEEvSY_
	.p2align	8
	.type	_ZN7rocprim17ROCPRIM_400000_NS6detail17trampoline_kernelINS0_14default_configENS1_27upper_bound_config_selectorIxlEEZNS1_14transform_implILb0ES3_S5_N6thrust23THRUST_200600_302600_NS6detail15normal_iteratorINS8_7pointerIxNS8_11hip_rocprim5par_tENS8_11use_defaultESE_EEEENSA_INSB_IlSD_SE_SE_EEEEZNS1_13binary_searchIS3_S5_NSA_INS8_10device_ptrIxEEEESG_SI_NS1_21upper_bound_search_opENS9_16wrapped_functionINS8_6system6detail7generic6detail18binary_search_lessEbEEEE10hipError_tPvRmT1_T2_T3_mmT4_T5_P12ihipStream_tbEUlRKxE_EESV_SZ_S10_mS11_S14_bEUlT_E_NS1_11comp_targetILNS1_3genE9ELNS1_11target_archE1100ELNS1_3gpuE3ELNS1_3repE0EEENS1_30default_config_static_selectorELNS0_4arch9wavefront6targetE1EEEvSY_,@function
_ZN7rocprim17ROCPRIM_400000_NS6detail17trampoline_kernelINS0_14default_configENS1_27upper_bound_config_selectorIxlEEZNS1_14transform_implILb0ES3_S5_N6thrust23THRUST_200600_302600_NS6detail15normal_iteratorINS8_7pointerIxNS8_11hip_rocprim5par_tENS8_11use_defaultESE_EEEENSA_INSB_IlSD_SE_SE_EEEEZNS1_13binary_searchIS3_S5_NSA_INS8_10device_ptrIxEEEESG_SI_NS1_21upper_bound_search_opENS9_16wrapped_functionINS8_6system6detail7generic6detail18binary_search_lessEbEEEE10hipError_tPvRmT1_T2_T3_mmT4_T5_P12ihipStream_tbEUlRKxE_EESV_SZ_S10_mS11_S14_bEUlT_E_NS1_11comp_targetILNS1_3genE9ELNS1_11target_archE1100ELNS1_3gpuE3ELNS1_3repE0EEENS1_30default_config_static_selectorELNS0_4arch9wavefront6targetE1EEEvSY_: ; @_ZN7rocprim17ROCPRIM_400000_NS6detail17trampoline_kernelINS0_14default_configENS1_27upper_bound_config_selectorIxlEEZNS1_14transform_implILb0ES3_S5_N6thrust23THRUST_200600_302600_NS6detail15normal_iteratorINS8_7pointerIxNS8_11hip_rocprim5par_tENS8_11use_defaultESE_EEEENSA_INSB_IlSD_SE_SE_EEEEZNS1_13binary_searchIS3_S5_NSA_INS8_10device_ptrIxEEEESG_SI_NS1_21upper_bound_search_opENS9_16wrapped_functionINS8_6system6detail7generic6detail18binary_search_lessEbEEEE10hipError_tPvRmT1_T2_T3_mmT4_T5_P12ihipStream_tbEUlRKxE_EESV_SZ_S10_mS11_S14_bEUlT_E_NS1_11comp_targetILNS1_3genE9ELNS1_11target_archE1100ELNS1_3gpuE3ELNS1_3repE0EEENS1_30default_config_static_selectorELNS0_4arch9wavefront6targetE1EEEvSY_
; %bb.0:
	.section	.rodata,"a",@progbits
	.p2align	6, 0x0
	.amdhsa_kernel _ZN7rocprim17ROCPRIM_400000_NS6detail17trampoline_kernelINS0_14default_configENS1_27upper_bound_config_selectorIxlEEZNS1_14transform_implILb0ES3_S5_N6thrust23THRUST_200600_302600_NS6detail15normal_iteratorINS8_7pointerIxNS8_11hip_rocprim5par_tENS8_11use_defaultESE_EEEENSA_INSB_IlSD_SE_SE_EEEEZNS1_13binary_searchIS3_S5_NSA_INS8_10device_ptrIxEEEESG_SI_NS1_21upper_bound_search_opENS9_16wrapped_functionINS8_6system6detail7generic6detail18binary_search_lessEbEEEE10hipError_tPvRmT1_T2_T3_mmT4_T5_P12ihipStream_tbEUlRKxE_EESV_SZ_S10_mS11_S14_bEUlT_E_NS1_11comp_targetILNS1_3genE9ELNS1_11target_archE1100ELNS1_3gpuE3ELNS1_3repE0EEENS1_30default_config_static_selectorELNS0_4arch9wavefront6targetE1EEEvSY_
		.amdhsa_group_segment_fixed_size 0
		.amdhsa_private_segment_fixed_size 0
		.amdhsa_kernarg_size 56
		.amdhsa_user_sgpr_count 6
		.amdhsa_user_sgpr_private_segment_buffer 1
		.amdhsa_user_sgpr_dispatch_ptr 0
		.amdhsa_user_sgpr_queue_ptr 0
		.amdhsa_user_sgpr_kernarg_segment_ptr 1
		.amdhsa_user_sgpr_dispatch_id 0
		.amdhsa_user_sgpr_flat_scratch_init 0
		.amdhsa_user_sgpr_private_segment_size 0
		.amdhsa_uses_dynamic_stack 0
		.amdhsa_system_sgpr_private_segment_wavefront_offset 0
		.amdhsa_system_sgpr_workgroup_id_x 1
		.amdhsa_system_sgpr_workgroup_id_y 0
		.amdhsa_system_sgpr_workgroup_id_z 0
		.amdhsa_system_sgpr_workgroup_info 0
		.amdhsa_system_vgpr_workitem_id 0
		.amdhsa_next_free_vgpr 1
		.amdhsa_next_free_sgpr 0
		.amdhsa_reserve_vcc 0
		.amdhsa_reserve_flat_scratch 0
		.amdhsa_float_round_mode_32 0
		.amdhsa_float_round_mode_16_64 0
		.amdhsa_float_denorm_mode_32 3
		.amdhsa_float_denorm_mode_16_64 3
		.amdhsa_dx10_clamp 1
		.amdhsa_ieee_mode 1
		.amdhsa_fp16_overflow 0
		.amdhsa_exception_fp_ieee_invalid_op 0
		.amdhsa_exception_fp_denorm_src 0
		.amdhsa_exception_fp_ieee_div_zero 0
		.amdhsa_exception_fp_ieee_overflow 0
		.amdhsa_exception_fp_ieee_underflow 0
		.amdhsa_exception_fp_ieee_inexact 0
		.amdhsa_exception_int_div_zero 0
	.end_amdhsa_kernel
	.section	.text._ZN7rocprim17ROCPRIM_400000_NS6detail17trampoline_kernelINS0_14default_configENS1_27upper_bound_config_selectorIxlEEZNS1_14transform_implILb0ES3_S5_N6thrust23THRUST_200600_302600_NS6detail15normal_iteratorINS8_7pointerIxNS8_11hip_rocprim5par_tENS8_11use_defaultESE_EEEENSA_INSB_IlSD_SE_SE_EEEEZNS1_13binary_searchIS3_S5_NSA_INS8_10device_ptrIxEEEESG_SI_NS1_21upper_bound_search_opENS9_16wrapped_functionINS8_6system6detail7generic6detail18binary_search_lessEbEEEE10hipError_tPvRmT1_T2_T3_mmT4_T5_P12ihipStream_tbEUlRKxE_EESV_SZ_S10_mS11_S14_bEUlT_E_NS1_11comp_targetILNS1_3genE9ELNS1_11target_archE1100ELNS1_3gpuE3ELNS1_3repE0EEENS1_30default_config_static_selectorELNS0_4arch9wavefront6targetE1EEEvSY_,"axG",@progbits,_ZN7rocprim17ROCPRIM_400000_NS6detail17trampoline_kernelINS0_14default_configENS1_27upper_bound_config_selectorIxlEEZNS1_14transform_implILb0ES3_S5_N6thrust23THRUST_200600_302600_NS6detail15normal_iteratorINS8_7pointerIxNS8_11hip_rocprim5par_tENS8_11use_defaultESE_EEEENSA_INSB_IlSD_SE_SE_EEEEZNS1_13binary_searchIS3_S5_NSA_INS8_10device_ptrIxEEEESG_SI_NS1_21upper_bound_search_opENS9_16wrapped_functionINS8_6system6detail7generic6detail18binary_search_lessEbEEEE10hipError_tPvRmT1_T2_T3_mmT4_T5_P12ihipStream_tbEUlRKxE_EESV_SZ_S10_mS11_S14_bEUlT_E_NS1_11comp_targetILNS1_3genE9ELNS1_11target_archE1100ELNS1_3gpuE3ELNS1_3repE0EEENS1_30default_config_static_selectorELNS0_4arch9wavefront6targetE1EEEvSY_,comdat
.Lfunc_end570:
	.size	_ZN7rocprim17ROCPRIM_400000_NS6detail17trampoline_kernelINS0_14default_configENS1_27upper_bound_config_selectorIxlEEZNS1_14transform_implILb0ES3_S5_N6thrust23THRUST_200600_302600_NS6detail15normal_iteratorINS8_7pointerIxNS8_11hip_rocprim5par_tENS8_11use_defaultESE_EEEENSA_INSB_IlSD_SE_SE_EEEEZNS1_13binary_searchIS3_S5_NSA_INS8_10device_ptrIxEEEESG_SI_NS1_21upper_bound_search_opENS9_16wrapped_functionINS8_6system6detail7generic6detail18binary_search_lessEbEEEE10hipError_tPvRmT1_T2_T3_mmT4_T5_P12ihipStream_tbEUlRKxE_EESV_SZ_S10_mS11_S14_bEUlT_E_NS1_11comp_targetILNS1_3genE9ELNS1_11target_archE1100ELNS1_3gpuE3ELNS1_3repE0EEENS1_30default_config_static_selectorELNS0_4arch9wavefront6targetE1EEEvSY_, .Lfunc_end570-_ZN7rocprim17ROCPRIM_400000_NS6detail17trampoline_kernelINS0_14default_configENS1_27upper_bound_config_selectorIxlEEZNS1_14transform_implILb0ES3_S5_N6thrust23THRUST_200600_302600_NS6detail15normal_iteratorINS8_7pointerIxNS8_11hip_rocprim5par_tENS8_11use_defaultESE_EEEENSA_INSB_IlSD_SE_SE_EEEEZNS1_13binary_searchIS3_S5_NSA_INS8_10device_ptrIxEEEESG_SI_NS1_21upper_bound_search_opENS9_16wrapped_functionINS8_6system6detail7generic6detail18binary_search_lessEbEEEE10hipError_tPvRmT1_T2_T3_mmT4_T5_P12ihipStream_tbEUlRKxE_EESV_SZ_S10_mS11_S14_bEUlT_E_NS1_11comp_targetILNS1_3genE9ELNS1_11target_archE1100ELNS1_3gpuE3ELNS1_3repE0EEENS1_30default_config_static_selectorELNS0_4arch9wavefront6targetE1EEEvSY_
                                        ; -- End function
	.set _ZN7rocprim17ROCPRIM_400000_NS6detail17trampoline_kernelINS0_14default_configENS1_27upper_bound_config_selectorIxlEEZNS1_14transform_implILb0ES3_S5_N6thrust23THRUST_200600_302600_NS6detail15normal_iteratorINS8_7pointerIxNS8_11hip_rocprim5par_tENS8_11use_defaultESE_EEEENSA_INSB_IlSD_SE_SE_EEEEZNS1_13binary_searchIS3_S5_NSA_INS8_10device_ptrIxEEEESG_SI_NS1_21upper_bound_search_opENS9_16wrapped_functionINS8_6system6detail7generic6detail18binary_search_lessEbEEEE10hipError_tPvRmT1_T2_T3_mmT4_T5_P12ihipStream_tbEUlRKxE_EESV_SZ_S10_mS11_S14_bEUlT_E_NS1_11comp_targetILNS1_3genE9ELNS1_11target_archE1100ELNS1_3gpuE3ELNS1_3repE0EEENS1_30default_config_static_selectorELNS0_4arch9wavefront6targetE1EEEvSY_.num_vgpr, 0
	.set _ZN7rocprim17ROCPRIM_400000_NS6detail17trampoline_kernelINS0_14default_configENS1_27upper_bound_config_selectorIxlEEZNS1_14transform_implILb0ES3_S5_N6thrust23THRUST_200600_302600_NS6detail15normal_iteratorINS8_7pointerIxNS8_11hip_rocprim5par_tENS8_11use_defaultESE_EEEENSA_INSB_IlSD_SE_SE_EEEEZNS1_13binary_searchIS3_S5_NSA_INS8_10device_ptrIxEEEESG_SI_NS1_21upper_bound_search_opENS9_16wrapped_functionINS8_6system6detail7generic6detail18binary_search_lessEbEEEE10hipError_tPvRmT1_T2_T3_mmT4_T5_P12ihipStream_tbEUlRKxE_EESV_SZ_S10_mS11_S14_bEUlT_E_NS1_11comp_targetILNS1_3genE9ELNS1_11target_archE1100ELNS1_3gpuE3ELNS1_3repE0EEENS1_30default_config_static_selectorELNS0_4arch9wavefront6targetE1EEEvSY_.num_agpr, 0
	.set _ZN7rocprim17ROCPRIM_400000_NS6detail17trampoline_kernelINS0_14default_configENS1_27upper_bound_config_selectorIxlEEZNS1_14transform_implILb0ES3_S5_N6thrust23THRUST_200600_302600_NS6detail15normal_iteratorINS8_7pointerIxNS8_11hip_rocprim5par_tENS8_11use_defaultESE_EEEENSA_INSB_IlSD_SE_SE_EEEEZNS1_13binary_searchIS3_S5_NSA_INS8_10device_ptrIxEEEESG_SI_NS1_21upper_bound_search_opENS9_16wrapped_functionINS8_6system6detail7generic6detail18binary_search_lessEbEEEE10hipError_tPvRmT1_T2_T3_mmT4_T5_P12ihipStream_tbEUlRKxE_EESV_SZ_S10_mS11_S14_bEUlT_E_NS1_11comp_targetILNS1_3genE9ELNS1_11target_archE1100ELNS1_3gpuE3ELNS1_3repE0EEENS1_30default_config_static_selectorELNS0_4arch9wavefront6targetE1EEEvSY_.numbered_sgpr, 0
	.set _ZN7rocprim17ROCPRIM_400000_NS6detail17trampoline_kernelINS0_14default_configENS1_27upper_bound_config_selectorIxlEEZNS1_14transform_implILb0ES3_S5_N6thrust23THRUST_200600_302600_NS6detail15normal_iteratorINS8_7pointerIxNS8_11hip_rocprim5par_tENS8_11use_defaultESE_EEEENSA_INSB_IlSD_SE_SE_EEEEZNS1_13binary_searchIS3_S5_NSA_INS8_10device_ptrIxEEEESG_SI_NS1_21upper_bound_search_opENS9_16wrapped_functionINS8_6system6detail7generic6detail18binary_search_lessEbEEEE10hipError_tPvRmT1_T2_T3_mmT4_T5_P12ihipStream_tbEUlRKxE_EESV_SZ_S10_mS11_S14_bEUlT_E_NS1_11comp_targetILNS1_3genE9ELNS1_11target_archE1100ELNS1_3gpuE3ELNS1_3repE0EEENS1_30default_config_static_selectorELNS0_4arch9wavefront6targetE1EEEvSY_.num_named_barrier, 0
	.set _ZN7rocprim17ROCPRIM_400000_NS6detail17trampoline_kernelINS0_14default_configENS1_27upper_bound_config_selectorIxlEEZNS1_14transform_implILb0ES3_S5_N6thrust23THRUST_200600_302600_NS6detail15normal_iteratorINS8_7pointerIxNS8_11hip_rocprim5par_tENS8_11use_defaultESE_EEEENSA_INSB_IlSD_SE_SE_EEEEZNS1_13binary_searchIS3_S5_NSA_INS8_10device_ptrIxEEEESG_SI_NS1_21upper_bound_search_opENS9_16wrapped_functionINS8_6system6detail7generic6detail18binary_search_lessEbEEEE10hipError_tPvRmT1_T2_T3_mmT4_T5_P12ihipStream_tbEUlRKxE_EESV_SZ_S10_mS11_S14_bEUlT_E_NS1_11comp_targetILNS1_3genE9ELNS1_11target_archE1100ELNS1_3gpuE3ELNS1_3repE0EEENS1_30default_config_static_selectorELNS0_4arch9wavefront6targetE1EEEvSY_.private_seg_size, 0
	.set _ZN7rocprim17ROCPRIM_400000_NS6detail17trampoline_kernelINS0_14default_configENS1_27upper_bound_config_selectorIxlEEZNS1_14transform_implILb0ES3_S5_N6thrust23THRUST_200600_302600_NS6detail15normal_iteratorINS8_7pointerIxNS8_11hip_rocprim5par_tENS8_11use_defaultESE_EEEENSA_INSB_IlSD_SE_SE_EEEEZNS1_13binary_searchIS3_S5_NSA_INS8_10device_ptrIxEEEESG_SI_NS1_21upper_bound_search_opENS9_16wrapped_functionINS8_6system6detail7generic6detail18binary_search_lessEbEEEE10hipError_tPvRmT1_T2_T3_mmT4_T5_P12ihipStream_tbEUlRKxE_EESV_SZ_S10_mS11_S14_bEUlT_E_NS1_11comp_targetILNS1_3genE9ELNS1_11target_archE1100ELNS1_3gpuE3ELNS1_3repE0EEENS1_30default_config_static_selectorELNS0_4arch9wavefront6targetE1EEEvSY_.uses_vcc, 0
	.set _ZN7rocprim17ROCPRIM_400000_NS6detail17trampoline_kernelINS0_14default_configENS1_27upper_bound_config_selectorIxlEEZNS1_14transform_implILb0ES3_S5_N6thrust23THRUST_200600_302600_NS6detail15normal_iteratorINS8_7pointerIxNS8_11hip_rocprim5par_tENS8_11use_defaultESE_EEEENSA_INSB_IlSD_SE_SE_EEEEZNS1_13binary_searchIS3_S5_NSA_INS8_10device_ptrIxEEEESG_SI_NS1_21upper_bound_search_opENS9_16wrapped_functionINS8_6system6detail7generic6detail18binary_search_lessEbEEEE10hipError_tPvRmT1_T2_T3_mmT4_T5_P12ihipStream_tbEUlRKxE_EESV_SZ_S10_mS11_S14_bEUlT_E_NS1_11comp_targetILNS1_3genE9ELNS1_11target_archE1100ELNS1_3gpuE3ELNS1_3repE0EEENS1_30default_config_static_selectorELNS0_4arch9wavefront6targetE1EEEvSY_.uses_flat_scratch, 0
	.set _ZN7rocprim17ROCPRIM_400000_NS6detail17trampoline_kernelINS0_14default_configENS1_27upper_bound_config_selectorIxlEEZNS1_14transform_implILb0ES3_S5_N6thrust23THRUST_200600_302600_NS6detail15normal_iteratorINS8_7pointerIxNS8_11hip_rocprim5par_tENS8_11use_defaultESE_EEEENSA_INSB_IlSD_SE_SE_EEEEZNS1_13binary_searchIS3_S5_NSA_INS8_10device_ptrIxEEEESG_SI_NS1_21upper_bound_search_opENS9_16wrapped_functionINS8_6system6detail7generic6detail18binary_search_lessEbEEEE10hipError_tPvRmT1_T2_T3_mmT4_T5_P12ihipStream_tbEUlRKxE_EESV_SZ_S10_mS11_S14_bEUlT_E_NS1_11comp_targetILNS1_3genE9ELNS1_11target_archE1100ELNS1_3gpuE3ELNS1_3repE0EEENS1_30default_config_static_selectorELNS0_4arch9wavefront6targetE1EEEvSY_.has_dyn_sized_stack, 0
	.set _ZN7rocprim17ROCPRIM_400000_NS6detail17trampoline_kernelINS0_14default_configENS1_27upper_bound_config_selectorIxlEEZNS1_14transform_implILb0ES3_S5_N6thrust23THRUST_200600_302600_NS6detail15normal_iteratorINS8_7pointerIxNS8_11hip_rocprim5par_tENS8_11use_defaultESE_EEEENSA_INSB_IlSD_SE_SE_EEEEZNS1_13binary_searchIS3_S5_NSA_INS8_10device_ptrIxEEEESG_SI_NS1_21upper_bound_search_opENS9_16wrapped_functionINS8_6system6detail7generic6detail18binary_search_lessEbEEEE10hipError_tPvRmT1_T2_T3_mmT4_T5_P12ihipStream_tbEUlRKxE_EESV_SZ_S10_mS11_S14_bEUlT_E_NS1_11comp_targetILNS1_3genE9ELNS1_11target_archE1100ELNS1_3gpuE3ELNS1_3repE0EEENS1_30default_config_static_selectorELNS0_4arch9wavefront6targetE1EEEvSY_.has_recursion, 0
	.set _ZN7rocprim17ROCPRIM_400000_NS6detail17trampoline_kernelINS0_14default_configENS1_27upper_bound_config_selectorIxlEEZNS1_14transform_implILb0ES3_S5_N6thrust23THRUST_200600_302600_NS6detail15normal_iteratorINS8_7pointerIxNS8_11hip_rocprim5par_tENS8_11use_defaultESE_EEEENSA_INSB_IlSD_SE_SE_EEEEZNS1_13binary_searchIS3_S5_NSA_INS8_10device_ptrIxEEEESG_SI_NS1_21upper_bound_search_opENS9_16wrapped_functionINS8_6system6detail7generic6detail18binary_search_lessEbEEEE10hipError_tPvRmT1_T2_T3_mmT4_T5_P12ihipStream_tbEUlRKxE_EESV_SZ_S10_mS11_S14_bEUlT_E_NS1_11comp_targetILNS1_3genE9ELNS1_11target_archE1100ELNS1_3gpuE3ELNS1_3repE0EEENS1_30default_config_static_selectorELNS0_4arch9wavefront6targetE1EEEvSY_.has_indirect_call, 0
	.section	.AMDGPU.csdata,"",@progbits
; Kernel info:
; codeLenInByte = 0
; TotalNumSgprs: 4
; NumVgprs: 0
; ScratchSize: 0
; MemoryBound: 0
; FloatMode: 240
; IeeeMode: 1
; LDSByteSize: 0 bytes/workgroup (compile time only)
; SGPRBlocks: 0
; VGPRBlocks: 0
; NumSGPRsForWavesPerEU: 4
; NumVGPRsForWavesPerEU: 1
; Occupancy: 10
; WaveLimiterHint : 0
; COMPUTE_PGM_RSRC2:SCRATCH_EN: 0
; COMPUTE_PGM_RSRC2:USER_SGPR: 6
; COMPUTE_PGM_RSRC2:TRAP_HANDLER: 0
; COMPUTE_PGM_RSRC2:TGID_X_EN: 1
; COMPUTE_PGM_RSRC2:TGID_Y_EN: 0
; COMPUTE_PGM_RSRC2:TGID_Z_EN: 0
; COMPUTE_PGM_RSRC2:TIDIG_COMP_CNT: 0
	.section	.text._ZN7rocprim17ROCPRIM_400000_NS6detail17trampoline_kernelINS0_14default_configENS1_27upper_bound_config_selectorIxlEEZNS1_14transform_implILb0ES3_S5_N6thrust23THRUST_200600_302600_NS6detail15normal_iteratorINS8_7pointerIxNS8_11hip_rocprim5par_tENS8_11use_defaultESE_EEEENSA_INSB_IlSD_SE_SE_EEEEZNS1_13binary_searchIS3_S5_NSA_INS8_10device_ptrIxEEEESG_SI_NS1_21upper_bound_search_opENS9_16wrapped_functionINS8_6system6detail7generic6detail18binary_search_lessEbEEEE10hipError_tPvRmT1_T2_T3_mmT4_T5_P12ihipStream_tbEUlRKxE_EESV_SZ_S10_mS11_S14_bEUlT_E_NS1_11comp_targetILNS1_3genE8ELNS1_11target_archE1030ELNS1_3gpuE2ELNS1_3repE0EEENS1_30default_config_static_selectorELNS0_4arch9wavefront6targetE1EEEvSY_,"axG",@progbits,_ZN7rocprim17ROCPRIM_400000_NS6detail17trampoline_kernelINS0_14default_configENS1_27upper_bound_config_selectorIxlEEZNS1_14transform_implILb0ES3_S5_N6thrust23THRUST_200600_302600_NS6detail15normal_iteratorINS8_7pointerIxNS8_11hip_rocprim5par_tENS8_11use_defaultESE_EEEENSA_INSB_IlSD_SE_SE_EEEEZNS1_13binary_searchIS3_S5_NSA_INS8_10device_ptrIxEEEESG_SI_NS1_21upper_bound_search_opENS9_16wrapped_functionINS8_6system6detail7generic6detail18binary_search_lessEbEEEE10hipError_tPvRmT1_T2_T3_mmT4_T5_P12ihipStream_tbEUlRKxE_EESV_SZ_S10_mS11_S14_bEUlT_E_NS1_11comp_targetILNS1_3genE8ELNS1_11target_archE1030ELNS1_3gpuE2ELNS1_3repE0EEENS1_30default_config_static_selectorELNS0_4arch9wavefront6targetE1EEEvSY_,comdat
	.protected	_ZN7rocprim17ROCPRIM_400000_NS6detail17trampoline_kernelINS0_14default_configENS1_27upper_bound_config_selectorIxlEEZNS1_14transform_implILb0ES3_S5_N6thrust23THRUST_200600_302600_NS6detail15normal_iteratorINS8_7pointerIxNS8_11hip_rocprim5par_tENS8_11use_defaultESE_EEEENSA_INSB_IlSD_SE_SE_EEEEZNS1_13binary_searchIS3_S5_NSA_INS8_10device_ptrIxEEEESG_SI_NS1_21upper_bound_search_opENS9_16wrapped_functionINS8_6system6detail7generic6detail18binary_search_lessEbEEEE10hipError_tPvRmT1_T2_T3_mmT4_T5_P12ihipStream_tbEUlRKxE_EESV_SZ_S10_mS11_S14_bEUlT_E_NS1_11comp_targetILNS1_3genE8ELNS1_11target_archE1030ELNS1_3gpuE2ELNS1_3repE0EEENS1_30default_config_static_selectorELNS0_4arch9wavefront6targetE1EEEvSY_ ; -- Begin function _ZN7rocprim17ROCPRIM_400000_NS6detail17trampoline_kernelINS0_14default_configENS1_27upper_bound_config_selectorIxlEEZNS1_14transform_implILb0ES3_S5_N6thrust23THRUST_200600_302600_NS6detail15normal_iteratorINS8_7pointerIxNS8_11hip_rocprim5par_tENS8_11use_defaultESE_EEEENSA_INSB_IlSD_SE_SE_EEEEZNS1_13binary_searchIS3_S5_NSA_INS8_10device_ptrIxEEEESG_SI_NS1_21upper_bound_search_opENS9_16wrapped_functionINS8_6system6detail7generic6detail18binary_search_lessEbEEEE10hipError_tPvRmT1_T2_T3_mmT4_T5_P12ihipStream_tbEUlRKxE_EESV_SZ_S10_mS11_S14_bEUlT_E_NS1_11comp_targetILNS1_3genE8ELNS1_11target_archE1030ELNS1_3gpuE2ELNS1_3repE0EEENS1_30default_config_static_selectorELNS0_4arch9wavefront6targetE1EEEvSY_
	.globl	_ZN7rocprim17ROCPRIM_400000_NS6detail17trampoline_kernelINS0_14default_configENS1_27upper_bound_config_selectorIxlEEZNS1_14transform_implILb0ES3_S5_N6thrust23THRUST_200600_302600_NS6detail15normal_iteratorINS8_7pointerIxNS8_11hip_rocprim5par_tENS8_11use_defaultESE_EEEENSA_INSB_IlSD_SE_SE_EEEEZNS1_13binary_searchIS3_S5_NSA_INS8_10device_ptrIxEEEESG_SI_NS1_21upper_bound_search_opENS9_16wrapped_functionINS8_6system6detail7generic6detail18binary_search_lessEbEEEE10hipError_tPvRmT1_T2_T3_mmT4_T5_P12ihipStream_tbEUlRKxE_EESV_SZ_S10_mS11_S14_bEUlT_E_NS1_11comp_targetILNS1_3genE8ELNS1_11target_archE1030ELNS1_3gpuE2ELNS1_3repE0EEENS1_30default_config_static_selectorELNS0_4arch9wavefront6targetE1EEEvSY_
	.p2align	8
	.type	_ZN7rocprim17ROCPRIM_400000_NS6detail17trampoline_kernelINS0_14default_configENS1_27upper_bound_config_selectorIxlEEZNS1_14transform_implILb0ES3_S5_N6thrust23THRUST_200600_302600_NS6detail15normal_iteratorINS8_7pointerIxNS8_11hip_rocprim5par_tENS8_11use_defaultESE_EEEENSA_INSB_IlSD_SE_SE_EEEEZNS1_13binary_searchIS3_S5_NSA_INS8_10device_ptrIxEEEESG_SI_NS1_21upper_bound_search_opENS9_16wrapped_functionINS8_6system6detail7generic6detail18binary_search_lessEbEEEE10hipError_tPvRmT1_T2_T3_mmT4_T5_P12ihipStream_tbEUlRKxE_EESV_SZ_S10_mS11_S14_bEUlT_E_NS1_11comp_targetILNS1_3genE8ELNS1_11target_archE1030ELNS1_3gpuE2ELNS1_3repE0EEENS1_30default_config_static_selectorELNS0_4arch9wavefront6targetE1EEEvSY_,@function
_ZN7rocprim17ROCPRIM_400000_NS6detail17trampoline_kernelINS0_14default_configENS1_27upper_bound_config_selectorIxlEEZNS1_14transform_implILb0ES3_S5_N6thrust23THRUST_200600_302600_NS6detail15normal_iteratorINS8_7pointerIxNS8_11hip_rocprim5par_tENS8_11use_defaultESE_EEEENSA_INSB_IlSD_SE_SE_EEEEZNS1_13binary_searchIS3_S5_NSA_INS8_10device_ptrIxEEEESG_SI_NS1_21upper_bound_search_opENS9_16wrapped_functionINS8_6system6detail7generic6detail18binary_search_lessEbEEEE10hipError_tPvRmT1_T2_T3_mmT4_T5_P12ihipStream_tbEUlRKxE_EESV_SZ_S10_mS11_S14_bEUlT_E_NS1_11comp_targetILNS1_3genE8ELNS1_11target_archE1030ELNS1_3gpuE2ELNS1_3repE0EEENS1_30default_config_static_selectorELNS0_4arch9wavefront6targetE1EEEvSY_: ; @_ZN7rocprim17ROCPRIM_400000_NS6detail17trampoline_kernelINS0_14default_configENS1_27upper_bound_config_selectorIxlEEZNS1_14transform_implILb0ES3_S5_N6thrust23THRUST_200600_302600_NS6detail15normal_iteratorINS8_7pointerIxNS8_11hip_rocprim5par_tENS8_11use_defaultESE_EEEENSA_INSB_IlSD_SE_SE_EEEEZNS1_13binary_searchIS3_S5_NSA_INS8_10device_ptrIxEEEESG_SI_NS1_21upper_bound_search_opENS9_16wrapped_functionINS8_6system6detail7generic6detail18binary_search_lessEbEEEE10hipError_tPvRmT1_T2_T3_mmT4_T5_P12ihipStream_tbEUlRKxE_EESV_SZ_S10_mS11_S14_bEUlT_E_NS1_11comp_targetILNS1_3genE8ELNS1_11target_archE1030ELNS1_3gpuE2ELNS1_3repE0EEENS1_30default_config_static_selectorELNS0_4arch9wavefront6targetE1EEEvSY_
; %bb.0:
	.section	.rodata,"a",@progbits
	.p2align	6, 0x0
	.amdhsa_kernel _ZN7rocprim17ROCPRIM_400000_NS6detail17trampoline_kernelINS0_14default_configENS1_27upper_bound_config_selectorIxlEEZNS1_14transform_implILb0ES3_S5_N6thrust23THRUST_200600_302600_NS6detail15normal_iteratorINS8_7pointerIxNS8_11hip_rocprim5par_tENS8_11use_defaultESE_EEEENSA_INSB_IlSD_SE_SE_EEEEZNS1_13binary_searchIS3_S5_NSA_INS8_10device_ptrIxEEEESG_SI_NS1_21upper_bound_search_opENS9_16wrapped_functionINS8_6system6detail7generic6detail18binary_search_lessEbEEEE10hipError_tPvRmT1_T2_T3_mmT4_T5_P12ihipStream_tbEUlRKxE_EESV_SZ_S10_mS11_S14_bEUlT_E_NS1_11comp_targetILNS1_3genE8ELNS1_11target_archE1030ELNS1_3gpuE2ELNS1_3repE0EEENS1_30default_config_static_selectorELNS0_4arch9wavefront6targetE1EEEvSY_
		.amdhsa_group_segment_fixed_size 0
		.amdhsa_private_segment_fixed_size 0
		.amdhsa_kernarg_size 56
		.amdhsa_user_sgpr_count 6
		.amdhsa_user_sgpr_private_segment_buffer 1
		.amdhsa_user_sgpr_dispatch_ptr 0
		.amdhsa_user_sgpr_queue_ptr 0
		.amdhsa_user_sgpr_kernarg_segment_ptr 1
		.amdhsa_user_sgpr_dispatch_id 0
		.amdhsa_user_sgpr_flat_scratch_init 0
		.amdhsa_user_sgpr_private_segment_size 0
		.amdhsa_uses_dynamic_stack 0
		.amdhsa_system_sgpr_private_segment_wavefront_offset 0
		.amdhsa_system_sgpr_workgroup_id_x 1
		.amdhsa_system_sgpr_workgroup_id_y 0
		.amdhsa_system_sgpr_workgroup_id_z 0
		.amdhsa_system_sgpr_workgroup_info 0
		.amdhsa_system_vgpr_workitem_id 0
		.amdhsa_next_free_vgpr 1
		.amdhsa_next_free_sgpr 0
		.amdhsa_reserve_vcc 0
		.amdhsa_reserve_flat_scratch 0
		.amdhsa_float_round_mode_32 0
		.amdhsa_float_round_mode_16_64 0
		.amdhsa_float_denorm_mode_32 3
		.amdhsa_float_denorm_mode_16_64 3
		.amdhsa_dx10_clamp 1
		.amdhsa_ieee_mode 1
		.amdhsa_fp16_overflow 0
		.amdhsa_exception_fp_ieee_invalid_op 0
		.amdhsa_exception_fp_denorm_src 0
		.amdhsa_exception_fp_ieee_div_zero 0
		.amdhsa_exception_fp_ieee_overflow 0
		.amdhsa_exception_fp_ieee_underflow 0
		.amdhsa_exception_fp_ieee_inexact 0
		.amdhsa_exception_int_div_zero 0
	.end_amdhsa_kernel
	.section	.text._ZN7rocprim17ROCPRIM_400000_NS6detail17trampoline_kernelINS0_14default_configENS1_27upper_bound_config_selectorIxlEEZNS1_14transform_implILb0ES3_S5_N6thrust23THRUST_200600_302600_NS6detail15normal_iteratorINS8_7pointerIxNS8_11hip_rocprim5par_tENS8_11use_defaultESE_EEEENSA_INSB_IlSD_SE_SE_EEEEZNS1_13binary_searchIS3_S5_NSA_INS8_10device_ptrIxEEEESG_SI_NS1_21upper_bound_search_opENS9_16wrapped_functionINS8_6system6detail7generic6detail18binary_search_lessEbEEEE10hipError_tPvRmT1_T2_T3_mmT4_T5_P12ihipStream_tbEUlRKxE_EESV_SZ_S10_mS11_S14_bEUlT_E_NS1_11comp_targetILNS1_3genE8ELNS1_11target_archE1030ELNS1_3gpuE2ELNS1_3repE0EEENS1_30default_config_static_selectorELNS0_4arch9wavefront6targetE1EEEvSY_,"axG",@progbits,_ZN7rocprim17ROCPRIM_400000_NS6detail17trampoline_kernelINS0_14default_configENS1_27upper_bound_config_selectorIxlEEZNS1_14transform_implILb0ES3_S5_N6thrust23THRUST_200600_302600_NS6detail15normal_iteratorINS8_7pointerIxNS8_11hip_rocprim5par_tENS8_11use_defaultESE_EEEENSA_INSB_IlSD_SE_SE_EEEEZNS1_13binary_searchIS3_S5_NSA_INS8_10device_ptrIxEEEESG_SI_NS1_21upper_bound_search_opENS9_16wrapped_functionINS8_6system6detail7generic6detail18binary_search_lessEbEEEE10hipError_tPvRmT1_T2_T3_mmT4_T5_P12ihipStream_tbEUlRKxE_EESV_SZ_S10_mS11_S14_bEUlT_E_NS1_11comp_targetILNS1_3genE8ELNS1_11target_archE1030ELNS1_3gpuE2ELNS1_3repE0EEENS1_30default_config_static_selectorELNS0_4arch9wavefront6targetE1EEEvSY_,comdat
.Lfunc_end571:
	.size	_ZN7rocprim17ROCPRIM_400000_NS6detail17trampoline_kernelINS0_14default_configENS1_27upper_bound_config_selectorIxlEEZNS1_14transform_implILb0ES3_S5_N6thrust23THRUST_200600_302600_NS6detail15normal_iteratorINS8_7pointerIxNS8_11hip_rocprim5par_tENS8_11use_defaultESE_EEEENSA_INSB_IlSD_SE_SE_EEEEZNS1_13binary_searchIS3_S5_NSA_INS8_10device_ptrIxEEEESG_SI_NS1_21upper_bound_search_opENS9_16wrapped_functionINS8_6system6detail7generic6detail18binary_search_lessEbEEEE10hipError_tPvRmT1_T2_T3_mmT4_T5_P12ihipStream_tbEUlRKxE_EESV_SZ_S10_mS11_S14_bEUlT_E_NS1_11comp_targetILNS1_3genE8ELNS1_11target_archE1030ELNS1_3gpuE2ELNS1_3repE0EEENS1_30default_config_static_selectorELNS0_4arch9wavefront6targetE1EEEvSY_, .Lfunc_end571-_ZN7rocprim17ROCPRIM_400000_NS6detail17trampoline_kernelINS0_14default_configENS1_27upper_bound_config_selectorIxlEEZNS1_14transform_implILb0ES3_S5_N6thrust23THRUST_200600_302600_NS6detail15normal_iteratorINS8_7pointerIxNS8_11hip_rocprim5par_tENS8_11use_defaultESE_EEEENSA_INSB_IlSD_SE_SE_EEEEZNS1_13binary_searchIS3_S5_NSA_INS8_10device_ptrIxEEEESG_SI_NS1_21upper_bound_search_opENS9_16wrapped_functionINS8_6system6detail7generic6detail18binary_search_lessEbEEEE10hipError_tPvRmT1_T2_T3_mmT4_T5_P12ihipStream_tbEUlRKxE_EESV_SZ_S10_mS11_S14_bEUlT_E_NS1_11comp_targetILNS1_3genE8ELNS1_11target_archE1030ELNS1_3gpuE2ELNS1_3repE0EEENS1_30default_config_static_selectorELNS0_4arch9wavefront6targetE1EEEvSY_
                                        ; -- End function
	.set _ZN7rocprim17ROCPRIM_400000_NS6detail17trampoline_kernelINS0_14default_configENS1_27upper_bound_config_selectorIxlEEZNS1_14transform_implILb0ES3_S5_N6thrust23THRUST_200600_302600_NS6detail15normal_iteratorINS8_7pointerIxNS8_11hip_rocprim5par_tENS8_11use_defaultESE_EEEENSA_INSB_IlSD_SE_SE_EEEEZNS1_13binary_searchIS3_S5_NSA_INS8_10device_ptrIxEEEESG_SI_NS1_21upper_bound_search_opENS9_16wrapped_functionINS8_6system6detail7generic6detail18binary_search_lessEbEEEE10hipError_tPvRmT1_T2_T3_mmT4_T5_P12ihipStream_tbEUlRKxE_EESV_SZ_S10_mS11_S14_bEUlT_E_NS1_11comp_targetILNS1_3genE8ELNS1_11target_archE1030ELNS1_3gpuE2ELNS1_3repE0EEENS1_30default_config_static_selectorELNS0_4arch9wavefront6targetE1EEEvSY_.num_vgpr, 0
	.set _ZN7rocprim17ROCPRIM_400000_NS6detail17trampoline_kernelINS0_14default_configENS1_27upper_bound_config_selectorIxlEEZNS1_14transform_implILb0ES3_S5_N6thrust23THRUST_200600_302600_NS6detail15normal_iteratorINS8_7pointerIxNS8_11hip_rocprim5par_tENS8_11use_defaultESE_EEEENSA_INSB_IlSD_SE_SE_EEEEZNS1_13binary_searchIS3_S5_NSA_INS8_10device_ptrIxEEEESG_SI_NS1_21upper_bound_search_opENS9_16wrapped_functionINS8_6system6detail7generic6detail18binary_search_lessEbEEEE10hipError_tPvRmT1_T2_T3_mmT4_T5_P12ihipStream_tbEUlRKxE_EESV_SZ_S10_mS11_S14_bEUlT_E_NS1_11comp_targetILNS1_3genE8ELNS1_11target_archE1030ELNS1_3gpuE2ELNS1_3repE0EEENS1_30default_config_static_selectorELNS0_4arch9wavefront6targetE1EEEvSY_.num_agpr, 0
	.set _ZN7rocprim17ROCPRIM_400000_NS6detail17trampoline_kernelINS0_14default_configENS1_27upper_bound_config_selectorIxlEEZNS1_14transform_implILb0ES3_S5_N6thrust23THRUST_200600_302600_NS6detail15normal_iteratorINS8_7pointerIxNS8_11hip_rocprim5par_tENS8_11use_defaultESE_EEEENSA_INSB_IlSD_SE_SE_EEEEZNS1_13binary_searchIS3_S5_NSA_INS8_10device_ptrIxEEEESG_SI_NS1_21upper_bound_search_opENS9_16wrapped_functionINS8_6system6detail7generic6detail18binary_search_lessEbEEEE10hipError_tPvRmT1_T2_T3_mmT4_T5_P12ihipStream_tbEUlRKxE_EESV_SZ_S10_mS11_S14_bEUlT_E_NS1_11comp_targetILNS1_3genE8ELNS1_11target_archE1030ELNS1_3gpuE2ELNS1_3repE0EEENS1_30default_config_static_selectorELNS0_4arch9wavefront6targetE1EEEvSY_.numbered_sgpr, 0
	.set _ZN7rocprim17ROCPRIM_400000_NS6detail17trampoline_kernelINS0_14default_configENS1_27upper_bound_config_selectorIxlEEZNS1_14transform_implILb0ES3_S5_N6thrust23THRUST_200600_302600_NS6detail15normal_iteratorINS8_7pointerIxNS8_11hip_rocprim5par_tENS8_11use_defaultESE_EEEENSA_INSB_IlSD_SE_SE_EEEEZNS1_13binary_searchIS3_S5_NSA_INS8_10device_ptrIxEEEESG_SI_NS1_21upper_bound_search_opENS9_16wrapped_functionINS8_6system6detail7generic6detail18binary_search_lessEbEEEE10hipError_tPvRmT1_T2_T3_mmT4_T5_P12ihipStream_tbEUlRKxE_EESV_SZ_S10_mS11_S14_bEUlT_E_NS1_11comp_targetILNS1_3genE8ELNS1_11target_archE1030ELNS1_3gpuE2ELNS1_3repE0EEENS1_30default_config_static_selectorELNS0_4arch9wavefront6targetE1EEEvSY_.num_named_barrier, 0
	.set _ZN7rocprim17ROCPRIM_400000_NS6detail17trampoline_kernelINS0_14default_configENS1_27upper_bound_config_selectorIxlEEZNS1_14transform_implILb0ES3_S5_N6thrust23THRUST_200600_302600_NS6detail15normal_iteratorINS8_7pointerIxNS8_11hip_rocprim5par_tENS8_11use_defaultESE_EEEENSA_INSB_IlSD_SE_SE_EEEEZNS1_13binary_searchIS3_S5_NSA_INS8_10device_ptrIxEEEESG_SI_NS1_21upper_bound_search_opENS9_16wrapped_functionINS8_6system6detail7generic6detail18binary_search_lessEbEEEE10hipError_tPvRmT1_T2_T3_mmT4_T5_P12ihipStream_tbEUlRKxE_EESV_SZ_S10_mS11_S14_bEUlT_E_NS1_11comp_targetILNS1_3genE8ELNS1_11target_archE1030ELNS1_3gpuE2ELNS1_3repE0EEENS1_30default_config_static_selectorELNS0_4arch9wavefront6targetE1EEEvSY_.private_seg_size, 0
	.set _ZN7rocprim17ROCPRIM_400000_NS6detail17trampoline_kernelINS0_14default_configENS1_27upper_bound_config_selectorIxlEEZNS1_14transform_implILb0ES3_S5_N6thrust23THRUST_200600_302600_NS6detail15normal_iteratorINS8_7pointerIxNS8_11hip_rocprim5par_tENS8_11use_defaultESE_EEEENSA_INSB_IlSD_SE_SE_EEEEZNS1_13binary_searchIS3_S5_NSA_INS8_10device_ptrIxEEEESG_SI_NS1_21upper_bound_search_opENS9_16wrapped_functionINS8_6system6detail7generic6detail18binary_search_lessEbEEEE10hipError_tPvRmT1_T2_T3_mmT4_T5_P12ihipStream_tbEUlRKxE_EESV_SZ_S10_mS11_S14_bEUlT_E_NS1_11comp_targetILNS1_3genE8ELNS1_11target_archE1030ELNS1_3gpuE2ELNS1_3repE0EEENS1_30default_config_static_selectorELNS0_4arch9wavefront6targetE1EEEvSY_.uses_vcc, 0
	.set _ZN7rocprim17ROCPRIM_400000_NS6detail17trampoline_kernelINS0_14default_configENS1_27upper_bound_config_selectorIxlEEZNS1_14transform_implILb0ES3_S5_N6thrust23THRUST_200600_302600_NS6detail15normal_iteratorINS8_7pointerIxNS8_11hip_rocprim5par_tENS8_11use_defaultESE_EEEENSA_INSB_IlSD_SE_SE_EEEEZNS1_13binary_searchIS3_S5_NSA_INS8_10device_ptrIxEEEESG_SI_NS1_21upper_bound_search_opENS9_16wrapped_functionINS8_6system6detail7generic6detail18binary_search_lessEbEEEE10hipError_tPvRmT1_T2_T3_mmT4_T5_P12ihipStream_tbEUlRKxE_EESV_SZ_S10_mS11_S14_bEUlT_E_NS1_11comp_targetILNS1_3genE8ELNS1_11target_archE1030ELNS1_3gpuE2ELNS1_3repE0EEENS1_30default_config_static_selectorELNS0_4arch9wavefront6targetE1EEEvSY_.uses_flat_scratch, 0
	.set _ZN7rocprim17ROCPRIM_400000_NS6detail17trampoline_kernelINS0_14default_configENS1_27upper_bound_config_selectorIxlEEZNS1_14transform_implILb0ES3_S5_N6thrust23THRUST_200600_302600_NS6detail15normal_iteratorINS8_7pointerIxNS8_11hip_rocprim5par_tENS8_11use_defaultESE_EEEENSA_INSB_IlSD_SE_SE_EEEEZNS1_13binary_searchIS3_S5_NSA_INS8_10device_ptrIxEEEESG_SI_NS1_21upper_bound_search_opENS9_16wrapped_functionINS8_6system6detail7generic6detail18binary_search_lessEbEEEE10hipError_tPvRmT1_T2_T3_mmT4_T5_P12ihipStream_tbEUlRKxE_EESV_SZ_S10_mS11_S14_bEUlT_E_NS1_11comp_targetILNS1_3genE8ELNS1_11target_archE1030ELNS1_3gpuE2ELNS1_3repE0EEENS1_30default_config_static_selectorELNS0_4arch9wavefront6targetE1EEEvSY_.has_dyn_sized_stack, 0
	.set _ZN7rocprim17ROCPRIM_400000_NS6detail17trampoline_kernelINS0_14default_configENS1_27upper_bound_config_selectorIxlEEZNS1_14transform_implILb0ES3_S5_N6thrust23THRUST_200600_302600_NS6detail15normal_iteratorINS8_7pointerIxNS8_11hip_rocprim5par_tENS8_11use_defaultESE_EEEENSA_INSB_IlSD_SE_SE_EEEEZNS1_13binary_searchIS3_S5_NSA_INS8_10device_ptrIxEEEESG_SI_NS1_21upper_bound_search_opENS9_16wrapped_functionINS8_6system6detail7generic6detail18binary_search_lessEbEEEE10hipError_tPvRmT1_T2_T3_mmT4_T5_P12ihipStream_tbEUlRKxE_EESV_SZ_S10_mS11_S14_bEUlT_E_NS1_11comp_targetILNS1_3genE8ELNS1_11target_archE1030ELNS1_3gpuE2ELNS1_3repE0EEENS1_30default_config_static_selectorELNS0_4arch9wavefront6targetE1EEEvSY_.has_recursion, 0
	.set _ZN7rocprim17ROCPRIM_400000_NS6detail17trampoline_kernelINS0_14default_configENS1_27upper_bound_config_selectorIxlEEZNS1_14transform_implILb0ES3_S5_N6thrust23THRUST_200600_302600_NS6detail15normal_iteratorINS8_7pointerIxNS8_11hip_rocprim5par_tENS8_11use_defaultESE_EEEENSA_INSB_IlSD_SE_SE_EEEEZNS1_13binary_searchIS3_S5_NSA_INS8_10device_ptrIxEEEESG_SI_NS1_21upper_bound_search_opENS9_16wrapped_functionINS8_6system6detail7generic6detail18binary_search_lessEbEEEE10hipError_tPvRmT1_T2_T3_mmT4_T5_P12ihipStream_tbEUlRKxE_EESV_SZ_S10_mS11_S14_bEUlT_E_NS1_11comp_targetILNS1_3genE8ELNS1_11target_archE1030ELNS1_3gpuE2ELNS1_3repE0EEENS1_30default_config_static_selectorELNS0_4arch9wavefront6targetE1EEEvSY_.has_indirect_call, 0
	.section	.AMDGPU.csdata,"",@progbits
; Kernel info:
; codeLenInByte = 0
; TotalNumSgprs: 4
; NumVgprs: 0
; ScratchSize: 0
; MemoryBound: 0
; FloatMode: 240
; IeeeMode: 1
; LDSByteSize: 0 bytes/workgroup (compile time only)
; SGPRBlocks: 0
; VGPRBlocks: 0
; NumSGPRsForWavesPerEU: 4
; NumVGPRsForWavesPerEU: 1
; Occupancy: 10
; WaveLimiterHint : 0
; COMPUTE_PGM_RSRC2:SCRATCH_EN: 0
; COMPUTE_PGM_RSRC2:USER_SGPR: 6
; COMPUTE_PGM_RSRC2:TRAP_HANDLER: 0
; COMPUTE_PGM_RSRC2:TGID_X_EN: 1
; COMPUTE_PGM_RSRC2:TGID_Y_EN: 0
; COMPUTE_PGM_RSRC2:TGID_Z_EN: 0
; COMPUTE_PGM_RSRC2:TIDIG_COMP_CNT: 0
	.section	.text._ZN7rocprim17ROCPRIM_400000_NS6detail17trampoline_kernelINS0_14default_configENS1_27upper_bound_config_selectorIilEEZNS1_14transform_implILb0ES3_S5_N6thrust23THRUST_200600_302600_NS6detail15normal_iteratorINS8_7pointerIiNS8_11hip_rocprim12par_nosync_tENS8_11use_defaultESE_EEEENSA_INSB_IlSD_SE_SE_EEEEZNS1_13binary_searchIS3_S5_NSA_INS8_10device_ptrIiEEEESG_SI_NS1_21upper_bound_search_opENS9_16wrapped_functionINS8_6system6detail7generic6detail18binary_search_lessEbEEEE10hipError_tPvRmT1_T2_T3_mmT4_T5_P12ihipStream_tbEUlRKiE_EESV_SZ_S10_mS11_S14_bEUlT_E_NS1_11comp_targetILNS1_3genE0ELNS1_11target_archE4294967295ELNS1_3gpuE0ELNS1_3repE0EEENS1_30default_config_static_selectorELNS0_4arch9wavefront6targetE1EEEvSY_,"axG",@progbits,_ZN7rocprim17ROCPRIM_400000_NS6detail17trampoline_kernelINS0_14default_configENS1_27upper_bound_config_selectorIilEEZNS1_14transform_implILb0ES3_S5_N6thrust23THRUST_200600_302600_NS6detail15normal_iteratorINS8_7pointerIiNS8_11hip_rocprim12par_nosync_tENS8_11use_defaultESE_EEEENSA_INSB_IlSD_SE_SE_EEEEZNS1_13binary_searchIS3_S5_NSA_INS8_10device_ptrIiEEEESG_SI_NS1_21upper_bound_search_opENS9_16wrapped_functionINS8_6system6detail7generic6detail18binary_search_lessEbEEEE10hipError_tPvRmT1_T2_T3_mmT4_T5_P12ihipStream_tbEUlRKiE_EESV_SZ_S10_mS11_S14_bEUlT_E_NS1_11comp_targetILNS1_3genE0ELNS1_11target_archE4294967295ELNS1_3gpuE0ELNS1_3repE0EEENS1_30default_config_static_selectorELNS0_4arch9wavefront6targetE1EEEvSY_,comdat
	.protected	_ZN7rocprim17ROCPRIM_400000_NS6detail17trampoline_kernelINS0_14default_configENS1_27upper_bound_config_selectorIilEEZNS1_14transform_implILb0ES3_S5_N6thrust23THRUST_200600_302600_NS6detail15normal_iteratorINS8_7pointerIiNS8_11hip_rocprim12par_nosync_tENS8_11use_defaultESE_EEEENSA_INSB_IlSD_SE_SE_EEEEZNS1_13binary_searchIS3_S5_NSA_INS8_10device_ptrIiEEEESG_SI_NS1_21upper_bound_search_opENS9_16wrapped_functionINS8_6system6detail7generic6detail18binary_search_lessEbEEEE10hipError_tPvRmT1_T2_T3_mmT4_T5_P12ihipStream_tbEUlRKiE_EESV_SZ_S10_mS11_S14_bEUlT_E_NS1_11comp_targetILNS1_3genE0ELNS1_11target_archE4294967295ELNS1_3gpuE0ELNS1_3repE0EEENS1_30default_config_static_selectorELNS0_4arch9wavefront6targetE1EEEvSY_ ; -- Begin function _ZN7rocprim17ROCPRIM_400000_NS6detail17trampoline_kernelINS0_14default_configENS1_27upper_bound_config_selectorIilEEZNS1_14transform_implILb0ES3_S5_N6thrust23THRUST_200600_302600_NS6detail15normal_iteratorINS8_7pointerIiNS8_11hip_rocprim12par_nosync_tENS8_11use_defaultESE_EEEENSA_INSB_IlSD_SE_SE_EEEEZNS1_13binary_searchIS3_S5_NSA_INS8_10device_ptrIiEEEESG_SI_NS1_21upper_bound_search_opENS9_16wrapped_functionINS8_6system6detail7generic6detail18binary_search_lessEbEEEE10hipError_tPvRmT1_T2_T3_mmT4_T5_P12ihipStream_tbEUlRKiE_EESV_SZ_S10_mS11_S14_bEUlT_E_NS1_11comp_targetILNS1_3genE0ELNS1_11target_archE4294967295ELNS1_3gpuE0ELNS1_3repE0EEENS1_30default_config_static_selectorELNS0_4arch9wavefront6targetE1EEEvSY_
	.globl	_ZN7rocprim17ROCPRIM_400000_NS6detail17trampoline_kernelINS0_14default_configENS1_27upper_bound_config_selectorIilEEZNS1_14transform_implILb0ES3_S5_N6thrust23THRUST_200600_302600_NS6detail15normal_iteratorINS8_7pointerIiNS8_11hip_rocprim12par_nosync_tENS8_11use_defaultESE_EEEENSA_INSB_IlSD_SE_SE_EEEEZNS1_13binary_searchIS3_S5_NSA_INS8_10device_ptrIiEEEESG_SI_NS1_21upper_bound_search_opENS9_16wrapped_functionINS8_6system6detail7generic6detail18binary_search_lessEbEEEE10hipError_tPvRmT1_T2_T3_mmT4_T5_P12ihipStream_tbEUlRKiE_EESV_SZ_S10_mS11_S14_bEUlT_E_NS1_11comp_targetILNS1_3genE0ELNS1_11target_archE4294967295ELNS1_3gpuE0ELNS1_3repE0EEENS1_30default_config_static_selectorELNS0_4arch9wavefront6targetE1EEEvSY_
	.p2align	8
	.type	_ZN7rocprim17ROCPRIM_400000_NS6detail17trampoline_kernelINS0_14default_configENS1_27upper_bound_config_selectorIilEEZNS1_14transform_implILb0ES3_S5_N6thrust23THRUST_200600_302600_NS6detail15normal_iteratorINS8_7pointerIiNS8_11hip_rocprim12par_nosync_tENS8_11use_defaultESE_EEEENSA_INSB_IlSD_SE_SE_EEEEZNS1_13binary_searchIS3_S5_NSA_INS8_10device_ptrIiEEEESG_SI_NS1_21upper_bound_search_opENS9_16wrapped_functionINS8_6system6detail7generic6detail18binary_search_lessEbEEEE10hipError_tPvRmT1_T2_T3_mmT4_T5_P12ihipStream_tbEUlRKiE_EESV_SZ_S10_mS11_S14_bEUlT_E_NS1_11comp_targetILNS1_3genE0ELNS1_11target_archE4294967295ELNS1_3gpuE0ELNS1_3repE0EEENS1_30default_config_static_selectorELNS0_4arch9wavefront6targetE1EEEvSY_,@function
_ZN7rocprim17ROCPRIM_400000_NS6detail17trampoline_kernelINS0_14default_configENS1_27upper_bound_config_selectorIilEEZNS1_14transform_implILb0ES3_S5_N6thrust23THRUST_200600_302600_NS6detail15normal_iteratorINS8_7pointerIiNS8_11hip_rocprim12par_nosync_tENS8_11use_defaultESE_EEEENSA_INSB_IlSD_SE_SE_EEEEZNS1_13binary_searchIS3_S5_NSA_INS8_10device_ptrIiEEEESG_SI_NS1_21upper_bound_search_opENS9_16wrapped_functionINS8_6system6detail7generic6detail18binary_search_lessEbEEEE10hipError_tPvRmT1_T2_T3_mmT4_T5_P12ihipStream_tbEUlRKiE_EESV_SZ_S10_mS11_S14_bEUlT_E_NS1_11comp_targetILNS1_3genE0ELNS1_11target_archE4294967295ELNS1_3gpuE0ELNS1_3repE0EEENS1_30default_config_static_selectorELNS0_4arch9wavefront6targetE1EEEvSY_: ; @_ZN7rocprim17ROCPRIM_400000_NS6detail17trampoline_kernelINS0_14default_configENS1_27upper_bound_config_selectorIilEEZNS1_14transform_implILb0ES3_S5_N6thrust23THRUST_200600_302600_NS6detail15normal_iteratorINS8_7pointerIiNS8_11hip_rocprim12par_nosync_tENS8_11use_defaultESE_EEEENSA_INSB_IlSD_SE_SE_EEEEZNS1_13binary_searchIS3_S5_NSA_INS8_10device_ptrIiEEEESG_SI_NS1_21upper_bound_search_opENS9_16wrapped_functionINS8_6system6detail7generic6detail18binary_search_lessEbEEEE10hipError_tPvRmT1_T2_T3_mmT4_T5_P12ihipStream_tbEUlRKiE_EESV_SZ_S10_mS11_S14_bEUlT_E_NS1_11comp_targetILNS1_3genE0ELNS1_11target_archE4294967295ELNS1_3gpuE0ELNS1_3repE0EEENS1_30default_config_static_selectorELNS0_4arch9wavefront6targetE1EEEvSY_
; %bb.0:
	.section	.rodata,"a",@progbits
	.p2align	6, 0x0
	.amdhsa_kernel _ZN7rocprim17ROCPRIM_400000_NS6detail17trampoline_kernelINS0_14default_configENS1_27upper_bound_config_selectorIilEEZNS1_14transform_implILb0ES3_S5_N6thrust23THRUST_200600_302600_NS6detail15normal_iteratorINS8_7pointerIiNS8_11hip_rocprim12par_nosync_tENS8_11use_defaultESE_EEEENSA_INSB_IlSD_SE_SE_EEEEZNS1_13binary_searchIS3_S5_NSA_INS8_10device_ptrIiEEEESG_SI_NS1_21upper_bound_search_opENS9_16wrapped_functionINS8_6system6detail7generic6detail18binary_search_lessEbEEEE10hipError_tPvRmT1_T2_T3_mmT4_T5_P12ihipStream_tbEUlRKiE_EESV_SZ_S10_mS11_S14_bEUlT_E_NS1_11comp_targetILNS1_3genE0ELNS1_11target_archE4294967295ELNS1_3gpuE0ELNS1_3repE0EEENS1_30default_config_static_selectorELNS0_4arch9wavefront6targetE1EEEvSY_
		.amdhsa_group_segment_fixed_size 0
		.amdhsa_private_segment_fixed_size 0
		.amdhsa_kernarg_size 56
		.amdhsa_user_sgpr_count 6
		.amdhsa_user_sgpr_private_segment_buffer 1
		.amdhsa_user_sgpr_dispatch_ptr 0
		.amdhsa_user_sgpr_queue_ptr 0
		.amdhsa_user_sgpr_kernarg_segment_ptr 1
		.amdhsa_user_sgpr_dispatch_id 0
		.amdhsa_user_sgpr_flat_scratch_init 0
		.amdhsa_user_sgpr_private_segment_size 0
		.amdhsa_uses_dynamic_stack 0
		.amdhsa_system_sgpr_private_segment_wavefront_offset 0
		.amdhsa_system_sgpr_workgroup_id_x 1
		.amdhsa_system_sgpr_workgroup_id_y 0
		.amdhsa_system_sgpr_workgroup_id_z 0
		.amdhsa_system_sgpr_workgroup_info 0
		.amdhsa_system_vgpr_workitem_id 0
		.amdhsa_next_free_vgpr 1
		.amdhsa_next_free_sgpr 0
		.amdhsa_reserve_vcc 0
		.amdhsa_reserve_flat_scratch 0
		.amdhsa_float_round_mode_32 0
		.amdhsa_float_round_mode_16_64 0
		.amdhsa_float_denorm_mode_32 3
		.amdhsa_float_denorm_mode_16_64 3
		.amdhsa_dx10_clamp 1
		.amdhsa_ieee_mode 1
		.amdhsa_fp16_overflow 0
		.amdhsa_exception_fp_ieee_invalid_op 0
		.amdhsa_exception_fp_denorm_src 0
		.amdhsa_exception_fp_ieee_div_zero 0
		.amdhsa_exception_fp_ieee_overflow 0
		.amdhsa_exception_fp_ieee_underflow 0
		.amdhsa_exception_fp_ieee_inexact 0
		.amdhsa_exception_int_div_zero 0
	.end_amdhsa_kernel
	.section	.text._ZN7rocprim17ROCPRIM_400000_NS6detail17trampoline_kernelINS0_14default_configENS1_27upper_bound_config_selectorIilEEZNS1_14transform_implILb0ES3_S5_N6thrust23THRUST_200600_302600_NS6detail15normal_iteratorINS8_7pointerIiNS8_11hip_rocprim12par_nosync_tENS8_11use_defaultESE_EEEENSA_INSB_IlSD_SE_SE_EEEEZNS1_13binary_searchIS3_S5_NSA_INS8_10device_ptrIiEEEESG_SI_NS1_21upper_bound_search_opENS9_16wrapped_functionINS8_6system6detail7generic6detail18binary_search_lessEbEEEE10hipError_tPvRmT1_T2_T3_mmT4_T5_P12ihipStream_tbEUlRKiE_EESV_SZ_S10_mS11_S14_bEUlT_E_NS1_11comp_targetILNS1_3genE0ELNS1_11target_archE4294967295ELNS1_3gpuE0ELNS1_3repE0EEENS1_30default_config_static_selectorELNS0_4arch9wavefront6targetE1EEEvSY_,"axG",@progbits,_ZN7rocprim17ROCPRIM_400000_NS6detail17trampoline_kernelINS0_14default_configENS1_27upper_bound_config_selectorIilEEZNS1_14transform_implILb0ES3_S5_N6thrust23THRUST_200600_302600_NS6detail15normal_iteratorINS8_7pointerIiNS8_11hip_rocprim12par_nosync_tENS8_11use_defaultESE_EEEENSA_INSB_IlSD_SE_SE_EEEEZNS1_13binary_searchIS3_S5_NSA_INS8_10device_ptrIiEEEESG_SI_NS1_21upper_bound_search_opENS9_16wrapped_functionINS8_6system6detail7generic6detail18binary_search_lessEbEEEE10hipError_tPvRmT1_T2_T3_mmT4_T5_P12ihipStream_tbEUlRKiE_EESV_SZ_S10_mS11_S14_bEUlT_E_NS1_11comp_targetILNS1_3genE0ELNS1_11target_archE4294967295ELNS1_3gpuE0ELNS1_3repE0EEENS1_30default_config_static_selectorELNS0_4arch9wavefront6targetE1EEEvSY_,comdat
.Lfunc_end572:
	.size	_ZN7rocprim17ROCPRIM_400000_NS6detail17trampoline_kernelINS0_14default_configENS1_27upper_bound_config_selectorIilEEZNS1_14transform_implILb0ES3_S5_N6thrust23THRUST_200600_302600_NS6detail15normal_iteratorINS8_7pointerIiNS8_11hip_rocprim12par_nosync_tENS8_11use_defaultESE_EEEENSA_INSB_IlSD_SE_SE_EEEEZNS1_13binary_searchIS3_S5_NSA_INS8_10device_ptrIiEEEESG_SI_NS1_21upper_bound_search_opENS9_16wrapped_functionINS8_6system6detail7generic6detail18binary_search_lessEbEEEE10hipError_tPvRmT1_T2_T3_mmT4_T5_P12ihipStream_tbEUlRKiE_EESV_SZ_S10_mS11_S14_bEUlT_E_NS1_11comp_targetILNS1_3genE0ELNS1_11target_archE4294967295ELNS1_3gpuE0ELNS1_3repE0EEENS1_30default_config_static_selectorELNS0_4arch9wavefront6targetE1EEEvSY_, .Lfunc_end572-_ZN7rocprim17ROCPRIM_400000_NS6detail17trampoline_kernelINS0_14default_configENS1_27upper_bound_config_selectorIilEEZNS1_14transform_implILb0ES3_S5_N6thrust23THRUST_200600_302600_NS6detail15normal_iteratorINS8_7pointerIiNS8_11hip_rocprim12par_nosync_tENS8_11use_defaultESE_EEEENSA_INSB_IlSD_SE_SE_EEEEZNS1_13binary_searchIS3_S5_NSA_INS8_10device_ptrIiEEEESG_SI_NS1_21upper_bound_search_opENS9_16wrapped_functionINS8_6system6detail7generic6detail18binary_search_lessEbEEEE10hipError_tPvRmT1_T2_T3_mmT4_T5_P12ihipStream_tbEUlRKiE_EESV_SZ_S10_mS11_S14_bEUlT_E_NS1_11comp_targetILNS1_3genE0ELNS1_11target_archE4294967295ELNS1_3gpuE0ELNS1_3repE0EEENS1_30default_config_static_selectorELNS0_4arch9wavefront6targetE1EEEvSY_
                                        ; -- End function
	.set _ZN7rocprim17ROCPRIM_400000_NS6detail17trampoline_kernelINS0_14default_configENS1_27upper_bound_config_selectorIilEEZNS1_14transform_implILb0ES3_S5_N6thrust23THRUST_200600_302600_NS6detail15normal_iteratorINS8_7pointerIiNS8_11hip_rocprim12par_nosync_tENS8_11use_defaultESE_EEEENSA_INSB_IlSD_SE_SE_EEEEZNS1_13binary_searchIS3_S5_NSA_INS8_10device_ptrIiEEEESG_SI_NS1_21upper_bound_search_opENS9_16wrapped_functionINS8_6system6detail7generic6detail18binary_search_lessEbEEEE10hipError_tPvRmT1_T2_T3_mmT4_T5_P12ihipStream_tbEUlRKiE_EESV_SZ_S10_mS11_S14_bEUlT_E_NS1_11comp_targetILNS1_3genE0ELNS1_11target_archE4294967295ELNS1_3gpuE0ELNS1_3repE0EEENS1_30default_config_static_selectorELNS0_4arch9wavefront6targetE1EEEvSY_.num_vgpr, 0
	.set _ZN7rocprim17ROCPRIM_400000_NS6detail17trampoline_kernelINS0_14default_configENS1_27upper_bound_config_selectorIilEEZNS1_14transform_implILb0ES3_S5_N6thrust23THRUST_200600_302600_NS6detail15normal_iteratorINS8_7pointerIiNS8_11hip_rocprim12par_nosync_tENS8_11use_defaultESE_EEEENSA_INSB_IlSD_SE_SE_EEEEZNS1_13binary_searchIS3_S5_NSA_INS8_10device_ptrIiEEEESG_SI_NS1_21upper_bound_search_opENS9_16wrapped_functionINS8_6system6detail7generic6detail18binary_search_lessEbEEEE10hipError_tPvRmT1_T2_T3_mmT4_T5_P12ihipStream_tbEUlRKiE_EESV_SZ_S10_mS11_S14_bEUlT_E_NS1_11comp_targetILNS1_3genE0ELNS1_11target_archE4294967295ELNS1_3gpuE0ELNS1_3repE0EEENS1_30default_config_static_selectorELNS0_4arch9wavefront6targetE1EEEvSY_.num_agpr, 0
	.set _ZN7rocprim17ROCPRIM_400000_NS6detail17trampoline_kernelINS0_14default_configENS1_27upper_bound_config_selectorIilEEZNS1_14transform_implILb0ES3_S5_N6thrust23THRUST_200600_302600_NS6detail15normal_iteratorINS8_7pointerIiNS8_11hip_rocprim12par_nosync_tENS8_11use_defaultESE_EEEENSA_INSB_IlSD_SE_SE_EEEEZNS1_13binary_searchIS3_S5_NSA_INS8_10device_ptrIiEEEESG_SI_NS1_21upper_bound_search_opENS9_16wrapped_functionINS8_6system6detail7generic6detail18binary_search_lessEbEEEE10hipError_tPvRmT1_T2_T3_mmT4_T5_P12ihipStream_tbEUlRKiE_EESV_SZ_S10_mS11_S14_bEUlT_E_NS1_11comp_targetILNS1_3genE0ELNS1_11target_archE4294967295ELNS1_3gpuE0ELNS1_3repE0EEENS1_30default_config_static_selectorELNS0_4arch9wavefront6targetE1EEEvSY_.numbered_sgpr, 0
	.set _ZN7rocprim17ROCPRIM_400000_NS6detail17trampoline_kernelINS0_14default_configENS1_27upper_bound_config_selectorIilEEZNS1_14transform_implILb0ES3_S5_N6thrust23THRUST_200600_302600_NS6detail15normal_iteratorINS8_7pointerIiNS8_11hip_rocprim12par_nosync_tENS8_11use_defaultESE_EEEENSA_INSB_IlSD_SE_SE_EEEEZNS1_13binary_searchIS3_S5_NSA_INS8_10device_ptrIiEEEESG_SI_NS1_21upper_bound_search_opENS9_16wrapped_functionINS8_6system6detail7generic6detail18binary_search_lessEbEEEE10hipError_tPvRmT1_T2_T3_mmT4_T5_P12ihipStream_tbEUlRKiE_EESV_SZ_S10_mS11_S14_bEUlT_E_NS1_11comp_targetILNS1_3genE0ELNS1_11target_archE4294967295ELNS1_3gpuE0ELNS1_3repE0EEENS1_30default_config_static_selectorELNS0_4arch9wavefront6targetE1EEEvSY_.num_named_barrier, 0
	.set _ZN7rocprim17ROCPRIM_400000_NS6detail17trampoline_kernelINS0_14default_configENS1_27upper_bound_config_selectorIilEEZNS1_14transform_implILb0ES3_S5_N6thrust23THRUST_200600_302600_NS6detail15normal_iteratorINS8_7pointerIiNS8_11hip_rocprim12par_nosync_tENS8_11use_defaultESE_EEEENSA_INSB_IlSD_SE_SE_EEEEZNS1_13binary_searchIS3_S5_NSA_INS8_10device_ptrIiEEEESG_SI_NS1_21upper_bound_search_opENS9_16wrapped_functionINS8_6system6detail7generic6detail18binary_search_lessEbEEEE10hipError_tPvRmT1_T2_T3_mmT4_T5_P12ihipStream_tbEUlRKiE_EESV_SZ_S10_mS11_S14_bEUlT_E_NS1_11comp_targetILNS1_3genE0ELNS1_11target_archE4294967295ELNS1_3gpuE0ELNS1_3repE0EEENS1_30default_config_static_selectorELNS0_4arch9wavefront6targetE1EEEvSY_.private_seg_size, 0
	.set _ZN7rocprim17ROCPRIM_400000_NS6detail17trampoline_kernelINS0_14default_configENS1_27upper_bound_config_selectorIilEEZNS1_14transform_implILb0ES3_S5_N6thrust23THRUST_200600_302600_NS6detail15normal_iteratorINS8_7pointerIiNS8_11hip_rocprim12par_nosync_tENS8_11use_defaultESE_EEEENSA_INSB_IlSD_SE_SE_EEEEZNS1_13binary_searchIS3_S5_NSA_INS8_10device_ptrIiEEEESG_SI_NS1_21upper_bound_search_opENS9_16wrapped_functionINS8_6system6detail7generic6detail18binary_search_lessEbEEEE10hipError_tPvRmT1_T2_T3_mmT4_T5_P12ihipStream_tbEUlRKiE_EESV_SZ_S10_mS11_S14_bEUlT_E_NS1_11comp_targetILNS1_3genE0ELNS1_11target_archE4294967295ELNS1_3gpuE0ELNS1_3repE0EEENS1_30default_config_static_selectorELNS0_4arch9wavefront6targetE1EEEvSY_.uses_vcc, 0
	.set _ZN7rocprim17ROCPRIM_400000_NS6detail17trampoline_kernelINS0_14default_configENS1_27upper_bound_config_selectorIilEEZNS1_14transform_implILb0ES3_S5_N6thrust23THRUST_200600_302600_NS6detail15normal_iteratorINS8_7pointerIiNS8_11hip_rocprim12par_nosync_tENS8_11use_defaultESE_EEEENSA_INSB_IlSD_SE_SE_EEEEZNS1_13binary_searchIS3_S5_NSA_INS8_10device_ptrIiEEEESG_SI_NS1_21upper_bound_search_opENS9_16wrapped_functionINS8_6system6detail7generic6detail18binary_search_lessEbEEEE10hipError_tPvRmT1_T2_T3_mmT4_T5_P12ihipStream_tbEUlRKiE_EESV_SZ_S10_mS11_S14_bEUlT_E_NS1_11comp_targetILNS1_3genE0ELNS1_11target_archE4294967295ELNS1_3gpuE0ELNS1_3repE0EEENS1_30default_config_static_selectorELNS0_4arch9wavefront6targetE1EEEvSY_.uses_flat_scratch, 0
	.set _ZN7rocprim17ROCPRIM_400000_NS6detail17trampoline_kernelINS0_14default_configENS1_27upper_bound_config_selectorIilEEZNS1_14transform_implILb0ES3_S5_N6thrust23THRUST_200600_302600_NS6detail15normal_iteratorINS8_7pointerIiNS8_11hip_rocprim12par_nosync_tENS8_11use_defaultESE_EEEENSA_INSB_IlSD_SE_SE_EEEEZNS1_13binary_searchIS3_S5_NSA_INS8_10device_ptrIiEEEESG_SI_NS1_21upper_bound_search_opENS9_16wrapped_functionINS8_6system6detail7generic6detail18binary_search_lessEbEEEE10hipError_tPvRmT1_T2_T3_mmT4_T5_P12ihipStream_tbEUlRKiE_EESV_SZ_S10_mS11_S14_bEUlT_E_NS1_11comp_targetILNS1_3genE0ELNS1_11target_archE4294967295ELNS1_3gpuE0ELNS1_3repE0EEENS1_30default_config_static_selectorELNS0_4arch9wavefront6targetE1EEEvSY_.has_dyn_sized_stack, 0
	.set _ZN7rocprim17ROCPRIM_400000_NS6detail17trampoline_kernelINS0_14default_configENS1_27upper_bound_config_selectorIilEEZNS1_14transform_implILb0ES3_S5_N6thrust23THRUST_200600_302600_NS6detail15normal_iteratorINS8_7pointerIiNS8_11hip_rocprim12par_nosync_tENS8_11use_defaultESE_EEEENSA_INSB_IlSD_SE_SE_EEEEZNS1_13binary_searchIS3_S5_NSA_INS8_10device_ptrIiEEEESG_SI_NS1_21upper_bound_search_opENS9_16wrapped_functionINS8_6system6detail7generic6detail18binary_search_lessEbEEEE10hipError_tPvRmT1_T2_T3_mmT4_T5_P12ihipStream_tbEUlRKiE_EESV_SZ_S10_mS11_S14_bEUlT_E_NS1_11comp_targetILNS1_3genE0ELNS1_11target_archE4294967295ELNS1_3gpuE0ELNS1_3repE0EEENS1_30default_config_static_selectorELNS0_4arch9wavefront6targetE1EEEvSY_.has_recursion, 0
	.set _ZN7rocprim17ROCPRIM_400000_NS6detail17trampoline_kernelINS0_14default_configENS1_27upper_bound_config_selectorIilEEZNS1_14transform_implILb0ES3_S5_N6thrust23THRUST_200600_302600_NS6detail15normal_iteratorINS8_7pointerIiNS8_11hip_rocprim12par_nosync_tENS8_11use_defaultESE_EEEENSA_INSB_IlSD_SE_SE_EEEEZNS1_13binary_searchIS3_S5_NSA_INS8_10device_ptrIiEEEESG_SI_NS1_21upper_bound_search_opENS9_16wrapped_functionINS8_6system6detail7generic6detail18binary_search_lessEbEEEE10hipError_tPvRmT1_T2_T3_mmT4_T5_P12ihipStream_tbEUlRKiE_EESV_SZ_S10_mS11_S14_bEUlT_E_NS1_11comp_targetILNS1_3genE0ELNS1_11target_archE4294967295ELNS1_3gpuE0ELNS1_3repE0EEENS1_30default_config_static_selectorELNS0_4arch9wavefront6targetE1EEEvSY_.has_indirect_call, 0
	.section	.AMDGPU.csdata,"",@progbits
; Kernel info:
; codeLenInByte = 0
; TotalNumSgprs: 4
; NumVgprs: 0
; ScratchSize: 0
; MemoryBound: 0
; FloatMode: 240
; IeeeMode: 1
; LDSByteSize: 0 bytes/workgroup (compile time only)
; SGPRBlocks: 0
; VGPRBlocks: 0
; NumSGPRsForWavesPerEU: 4
; NumVGPRsForWavesPerEU: 1
; Occupancy: 10
; WaveLimiterHint : 0
; COMPUTE_PGM_RSRC2:SCRATCH_EN: 0
; COMPUTE_PGM_RSRC2:USER_SGPR: 6
; COMPUTE_PGM_RSRC2:TRAP_HANDLER: 0
; COMPUTE_PGM_RSRC2:TGID_X_EN: 1
; COMPUTE_PGM_RSRC2:TGID_Y_EN: 0
; COMPUTE_PGM_RSRC2:TGID_Z_EN: 0
; COMPUTE_PGM_RSRC2:TIDIG_COMP_CNT: 0
	.section	.text._ZN7rocprim17ROCPRIM_400000_NS6detail17trampoline_kernelINS0_14default_configENS1_27upper_bound_config_selectorIilEEZNS1_14transform_implILb0ES3_S5_N6thrust23THRUST_200600_302600_NS6detail15normal_iteratorINS8_7pointerIiNS8_11hip_rocprim12par_nosync_tENS8_11use_defaultESE_EEEENSA_INSB_IlSD_SE_SE_EEEEZNS1_13binary_searchIS3_S5_NSA_INS8_10device_ptrIiEEEESG_SI_NS1_21upper_bound_search_opENS9_16wrapped_functionINS8_6system6detail7generic6detail18binary_search_lessEbEEEE10hipError_tPvRmT1_T2_T3_mmT4_T5_P12ihipStream_tbEUlRKiE_EESV_SZ_S10_mS11_S14_bEUlT_E_NS1_11comp_targetILNS1_3genE5ELNS1_11target_archE942ELNS1_3gpuE9ELNS1_3repE0EEENS1_30default_config_static_selectorELNS0_4arch9wavefront6targetE1EEEvSY_,"axG",@progbits,_ZN7rocprim17ROCPRIM_400000_NS6detail17trampoline_kernelINS0_14default_configENS1_27upper_bound_config_selectorIilEEZNS1_14transform_implILb0ES3_S5_N6thrust23THRUST_200600_302600_NS6detail15normal_iteratorINS8_7pointerIiNS8_11hip_rocprim12par_nosync_tENS8_11use_defaultESE_EEEENSA_INSB_IlSD_SE_SE_EEEEZNS1_13binary_searchIS3_S5_NSA_INS8_10device_ptrIiEEEESG_SI_NS1_21upper_bound_search_opENS9_16wrapped_functionINS8_6system6detail7generic6detail18binary_search_lessEbEEEE10hipError_tPvRmT1_T2_T3_mmT4_T5_P12ihipStream_tbEUlRKiE_EESV_SZ_S10_mS11_S14_bEUlT_E_NS1_11comp_targetILNS1_3genE5ELNS1_11target_archE942ELNS1_3gpuE9ELNS1_3repE0EEENS1_30default_config_static_selectorELNS0_4arch9wavefront6targetE1EEEvSY_,comdat
	.protected	_ZN7rocprim17ROCPRIM_400000_NS6detail17trampoline_kernelINS0_14default_configENS1_27upper_bound_config_selectorIilEEZNS1_14transform_implILb0ES3_S5_N6thrust23THRUST_200600_302600_NS6detail15normal_iteratorINS8_7pointerIiNS8_11hip_rocprim12par_nosync_tENS8_11use_defaultESE_EEEENSA_INSB_IlSD_SE_SE_EEEEZNS1_13binary_searchIS3_S5_NSA_INS8_10device_ptrIiEEEESG_SI_NS1_21upper_bound_search_opENS9_16wrapped_functionINS8_6system6detail7generic6detail18binary_search_lessEbEEEE10hipError_tPvRmT1_T2_T3_mmT4_T5_P12ihipStream_tbEUlRKiE_EESV_SZ_S10_mS11_S14_bEUlT_E_NS1_11comp_targetILNS1_3genE5ELNS1_11target_archE942ELNS1_3gpuE9ELNS1_3repE0EEENS1_30default_config_static_selectorELNS0_4arch9wavefront6targetE1EEEvSY_ ; -- Begin function _ZN7rocprim17ROCPRIM_400000_NS6detail17trampoline_kernelINS0_14default_configENS1_27upper_bound_config_selectorIilEEZNS1_14transform_implILb0ES3_S5_N6thrust23THRUST_200600_302600_NS6detail15normal_iteratorINS8_7pointerIiNS8_11hip_rocprim12par_nosync_tENS8_11use_defaultESE_EEEENSA_INSB_IlSD_SE_SE_EEEEZNS1_13binary_searchIS3_S5_NSA_INS8_10device_ptrIiEEEESG_SI_NS1_21upper_bound_search_opENS9_16wrapped_functionINS8_6system6detail7generic6detail18binary_search_lessEbEEEE10hipError_tPvRmT1_T2_T3_mmT4_T5_P12ihipStream_tbEUlRKiE_EESV_SZ_S10_mS11_S14_bEUlT_E_NS1_11comp_targetILNS1_3genE5ELNS1_11target_archE942ELNS1_3gpuE9ELNS1_3repE0EEENS1_30default_config_static_selectorELNS0_4arch9wavefront6targetE1EEEvSY_
	.globl	_ZN7rocprim17ROCPRIM_400000_NS6detail17trampoline_kernelINS0_14default_configENS1_27upper_bound_config_selectorIilEEZNS1_14transform_implILb0ES3_S5_N6thrust23THRUST_200600_302600_NS6detail15normal_iteratorINS8_7pointerIiNS8_11hip_rocprim12par_nosync_tENS8_11use_defaultESE_EEEENSA_INSB_IlSD_SE_SE_EEEEZNS1_13binary_searchIS3_S5_NSA_INS8_10device_ptrIiEEEESG_SI_NS1_21upper_bound_search_opENS9_16wrapped_functionINS8_6system6detail7generic6detail18binary_search_lessEbEEEE10hipError_tPvRmT1_T2_T3_mmT4_T5_P12ihipStream_tbEUlRKiE_EESV_SZ_S10_mS11_S14_bEUlT_E_NS1_11comp_targetILNS1_3genE5ELNS1_11target_archE942ELNS1_3gpuE9ELNS1_3repE0EEENS1_30default_config_static_selectorELNS0_4arch9wavefront6targetE1EEEvSY_
	.p2align	8
	.type	_ZN7rocprim17ROCPRIM_400000_NS6detail17trampoline_kernelINS0_14default_configENS1_27upper_bound_config_selectorIilEEZNS1_14transform_implILb0ES3_S5_N6thrust23THRUST_200600_302600_NS6detail15normal_iteratorINS8_7pointerIiNS8_11hip_rocprim12par_nosync_tENS8_11use_defaultESE_EEEENSA_INSB_IlSD_SE_SE_EEEEZNS1_13binary_searchIS3_S5_NSA_INS8_10device_ptrIiEEEESG_SI_NS1_21upper_bound_search_opENS9_16wrapped_functionINS8_6system6detail7generic6detail18binary_search_lessEbEEEE10hipError_tPvRmT1_T2_T3_mmT4_T5_P12ihipStream_tbEUlRKiE_EESV_SZ_S10_mS11_S14_bEUlT_E_NS1_11comp_targetILNS1_3genE5ELNS1_11target_archE942ELNS1_3gpuE9ELNS1_3repE0EEENS1_30default_config_static_selectorELNS0_4arch9wavefront6targetE1EEEvSY_,@function
_ZN7rocprim17ROCPRIM_400000_NS6detail17trampoline_kernelINS0_14default_configENS1_27upper_bound_config_selectorIilEEZNS1_14transform_implILb0ES3_S5_N6thrust23THRUST_200600_302600_NS6detail15normal_iteratorINS8_7pointerIiNS8_11hip_rocprim12par_nosync_tENS8_11use_defaultESE_EEEENSA_INSB_IlSD_SE_SE_EEEEZNS1_13binary_searchIS3_S5_NSA_INS8_10device_ptrIiEEEESG_SI_NS1_21upper_bound_search_opENS9_16wrapped_functionINS8_6system6detail7generic6detail18binary_search_lessEbEEEE10hipError_tPvRmT1_T2_T3_mmT4_T5_P12ihipStream_tbEUlRKiE_EESV_SZ_S10_mS11_S14_bEUlT_E_NS1_11comp_targetILNS1_3genE5ELNS1_11target_archE942ELNS1_3gpuE9ELNS1_3repE0EEENS1_30default_config_static_selectorELNS0_4arch9wavefront6targetE1EEEvSY_: ; @_ZN7rocprim17ROCPRIM_400000_NS6detail17trampoline_kernelINS0_14default_configENS1_27upper_bound_config_selectorIilEEZNS1_14transform_implILb0ES3_S5_N6thrust23THRUST_200600_302600_NS6detail15normal_iteratorINS8_7pointerIiNS8_11hip_rocprim12par_nosync_tENS8_11use_defaultESE_EEEENSA_INSB_IlSD_SE_SE_EEEEZNS1_13binary_searchIS3_S5_NSA_INS8_10device_ptrIiEEEESG_SI_NS1_21upper_bound_search_opENS9_16wrapped_functionINS8_6system6detail7generic6detail18binary_search_lessEbEEEE10hipError_tPvRmT1_T2_T3_mmT4_T5_P12ihipStream_tbEUlRKiE_EESV_SZ_S10_mS11_S14_bEUlT_E_NS1_11comp_targetILNS1_3genE5ELNS1_11target_archE942ELNS1_3gpuE9ELNS1_3repE0EEENS1_30default_config_static_selectorELNS0_4arch9wavefront6targetE1EEEvSY_
; %bb.0:
	.section	.rodata,"a",@progbits
	.p2align	6, 0x0
	.amdhsa_kernel _ZN7rocprim17ROCPRIM_400000_NS6detail17trampoline_kernelINS0_14default_configENS1_27upper_bound_config_selectorIilEEZNS1_14transform_implILb0ES3_S5_N6thrust23THRUST_200600_302600_NS6detail15normal_iteratorINS8_7pointerIiNS8_11hip_rocprim12par_nosync_tENS8_11use_defaultESE_EEEENSA_INSB_IlSD_SE_SE_EEEEZNS1_13binary_searchIS3_S5_NSA_INS8_10device_ptrIiEEEESG_SI_NS1_21upper_bound_search_opENS9_16wrapped_functionINS8_6system6detail7generic6detail18binary_search_lessEbEEEE10hipError_tPvRmT1_T2_T3_mmT4_T5_P12ihipStream_tbEUlRKiE_EESV_SZ_S10_mS11_S14_bEUlT_E_NS1_11comp_targetILNS1_3genE5ELNS1_11target_archE942ELNS1_3gpuE9ELNS1_3repE0EEENS1_30default_config_static_selectorELNS0_4arch9wavefront6targetE1EEEvSY_
		.amdhsa_group_segment_fixed_size 0
		.amdhsa_private_segment_fixed_size 0
		.amdhsa_kernarg_size 56
		.amdhsa_user_sgpr_count 6
		.amdhsa_user_sgpr_private_segment_buffer 1
		.amdhsa_user_sgpr_dispatch_ptr 0
		.amdhsa_user_sgpr_queue_ptr 0
		.amdhsa_user_sgpr_kernarg_segment_ptr 1
		.amdhsa_user_sgpr_dispatch_id 0
		.amdhsa_user_sgpr_flat_scratch_init 0
		.amdhsa_user_sgpr_private_segment_size 0
		.amdhsa_uses_dynamic_stack 0
		.amdhsa_system_sgpr_private_segment_wavefront_offset 0
		.amdhsa_system_sgpr_workgroup_id_x 1
		.amdhsa_system_sgpr_workgroup_id_y 0
		.amdhsa_system_sgpr_workgroup_id_z 0
		.amdhsa_system_sgpr_workgroup_info 0
		.amdhsa_system_vgpr_workitem_id 0
		.amdhsa_next_free_vgpr 1
		.amdhsa_next_free_sgpr 0
		.amdhsa_reserve_vcc 0
		.amdhsa_reserve_flat_scratch 0
		.amdhsa_float_round_mode_32 0
		.amdhsa_float_round_mode_16_64 0
		.amdhsa_float_denorm_mode_32 3
		.amdhsa_float_denorm_mode_16_64 3
		.amdhsa_dx10_clamp 1
		.amdhsa_ieee_mode 1
		.amdhsa_fp16_overflow 0
		.amdhsa_exception_fp_ieee_invalid_op 0
		.amdhsa_exception_fp_denorm_src 0
		.amdhsa_exception_fp_ieee_div_zero 0
		.amdhsa_exception_fp_ieee_overflow 0
		.amdhsa_exception_fp_ieee_underflow 0
		.amdhsa_exception_fp_ieee_inexact 0
		.amdhsa_exception_int_div_zero 0
	.end_amdhsa_kernel
	.section	.text._ZN7rocprim17ROCPRIM_400000_NS6detail17trampoline_kernelINS0_14default_configENS1_27upper_bound_config_selectorIilEEZNS1_14transform_implILb0ES3_S5_N6thrust23THRUST_200600_302600_NS6detail15normal_iteratorINS8_7pointerIiNS8_11hip_rocprim12par_nosync_tENS8_11use_defaultESE_EEEENSA_INSB_IlSD_SE_SE_EEEEZNS1_13binary_searchIS3_S5_NSA_INS8_10device_ptrIiEEEESG_SI_NS1_21upper_bound_search_opENS9_16wrapped_functionINS8_6system6detail7generic6detail18binary_search_lessEbEEEE10hipError_tPvRmT1_T2_T3_mmT4_T5_P12ihipStream_tbEUlRKiE_EESV_SZ_S10_mS11_S14_bEUlT_E_NS1_11comp_targetILNS1_3genE5ELNS1_11target_archE942ELNS1_3gpuE9ELNS1_3repE0EEENS1_30default_config_static_selectorELNS0_4arch9wavefront6targetE1EEEvSY_,"axG",@progbits,_ZN7rocprim17ROCPRIM_400000_NS6detail17trampoline_kernelINS0_14default_configENS1_27upper_bound_config_selectorIilEEZNS1_14transform_implILb0ES3_S5_N6thrust23THRUST_200600_302600_NS6detail15normal_iteratorINS8_7pointerIiNS8_11hip_rocprim12par_nosync_tENS8_11use_defaultESE_EEEENSA_INSB_IlSD_SE_SE_EEEEZNS1_13binary_searchIS3_S5_NSA_INS8_10device_ptrIiEEEESG_SI_NS1_21upper_bound_search_opENS9_16wrapped_functionINS8_6system6detail7generic6detail18binary_search_lessEbEEEE10hipError_tPvRmT1_T2_T3_mmT4_T5_P12ihipStream_tbEUlRKiE_EESV_SZ_S10_mS11_S14_bEUlT_E_NS1_11comp_targetILNS1_3genE5ELNS1_11target_archE942ELNS1_3gpuE9ELNS1_3repE0EEENS1_30default_config_static_selectorELNS0_4arch9wavefront6targetE1EEEvSY_,comdat
.Lfunc_end573:
	.size	_ZN7rocprim17ROCPRIM_400000_NS6detail17trampoline_kernelINS0_14default_configENS1_27upper_bound_config_selectorIilEEZNS1_14transform_implILb0ES3_S5_N6thrust23THRUST_200600_302600_NS6detail15normal_iteratorINS8_7pointerIiNS8_11hip_rocprim12par_nosync_tENS8_11use_defaultESE_EEEENSA_INSB_IlSD_SE_SE_EEEEZNS1_13binary_searchIS3_S5_NSA_INS8_10device_ptrIiEEEESG_SI_NS1_21upper_bound_search_opENS9_16wrapped_functionINS8_6system6detail7generic6detail18binary_search_lessEbEEEE10hipError_tPvRmT1_T2_T3_mmT4_T5_P12ihipStream_tbEUlRKiE_EESV_SZ_S10_mS11_S14_bEUlT_E_NS1_11comp_targetILNS1_3genE5ELNS1_11target_archE942ELNS1_3gpuE9ELNS1_3repE0EEENS1_30default_config_static_selectorELNS0_4arch9wavefront6targetE1EEEvSY_, .Lfunc_end573-_ZN7rocprim17ROCPRIM_400000_NS6detail17trampoline_kernelINS0_14default_configENS1_27upper_bound_config_selectorIilEEZNS1_14transform_implILb0ES3_S5_N6thrust23THRUST_200600_302600_NS6detail15normal_iteratorINS8_7pointerIiNS8_11hip_rocprim12par_nosync_tENS8_11use_defaultESE_EEEENSA_INSB_IlSD_SE_SE_EEEEZNS1_13binary_searchIS3_S5_NSA_INS8_10device_ptrIiEEEESG_SI_NS1_21upper_bound_search_opENS9_16wrapped_functionINS8_6system6detail7generic6detail18binary_search_lessEbEEEE10hipError_tPvRmT1_T2_T3_mmT4_T5_P12ihipStream_tbEUlRKiE_EESV_SZ_S10_mS11_S14_bEUlT_E_NS1_11comp_targetILNS1_3genE5ELNS1_11target_archE942ELNS1_3gpuE9ELNS1_3repE0EEENS1_30default_config_static_selectorELNS0_4arch9wavefront6targetE1EEEvSY_
                                        ; -- End function
	.set _ZN7rocprim17ROCPRIM_400000_NS6detail17trampoline_kernelINS0_14default_configENS1_27upper_bound_config_selectorIilEEZNS1_14transform_implILb0ES3_S5_N6thrust23THRUST_200600_302600_NS6detail15normal_iteratorINS8_7pointerIiNS8_11hip_rocprim12par_nosync_tENS8_11use_defaultESE_EEEENSA_INSB_IlSD_SE_SE_EEEEZNS1_13binary_searchIS3_S5_NSA_INS8_10device_ptrIiEEEESG_SI_NS1_21upper_bound_search_opENS9_16wrapped_functionINS8_6system6detail7generic6detail18binary_search_lessEbEEEE10hipError_tPvRmT1_T2_T3_mmT4_T5_P12ihipStream_tbEUlRKiE_EESV_SZ_S10_mS11_S14_bEUlT_E_NS1_11comp_targetILNS1_3genE5ELNS1_11target_archE942ELNS1_3gpuE9ELNS1_3repE0EEENS1_30default_config_static_selectorELNS0_4arch9wavefront6targetE1EEEvSY_.num_vgpr, 0
	.set _ZN7rocprim17ROCPRIM_400000_NS6detail17trampoline_kernelINS0_14default_configENS1_27upper_bound_config_selectorIilEEZNS1_14transform_implILb0ES3_S5_N6thrust23THRUST_200600_302600_NS6detail15normal_iteratorINS8_7pointerIiNS8_11hip_rocprim12par_nosync_tENS8_11use_defaultESE_EEEENSA_INSB_IlSD_SE_SE_EEEEZNS1_13binary_searchIS3_S5_NSA_INS8_10device_ptrIiEEEESG_SI_NS1_21upper_bound_search_opENS9_16wrapped_functionINS8_6system6detail7generic6detail18binary_search_lessEbEEEE10hipError_tPvRmT1_T2_T3_mmT4_T5_P12ihipStream_tbEUlRKiE_EESV_SZ_S10_mS11_S14_bEUlT_E_NS1_11comp_targetILNS1_3genE5ELNS1_11target_archE942ELNS1_3gpuE9ELNS1_3repE0EEENS1_30default_config_static_selectorELNS0_4arch9wavefront6targetE1EEEvSY_.num_agpr, 0
	.set _ZN7rocprim17ROCPRIM_400000_NS6detail17trampoline_kernelINS0_14default_configENS1_27upper_bound_config_selectorIilEEZNS1_14transform_implILb0ES3_S5_N6thrust23THRUST_200600_302600_NS6detail15normal_iteratorINS8_7pointerIiNS8_11hip_rocprim12par_nosync_tENS8_11use_defaultESE_EEEENSA_INSB_IlSD_SE_SE_EEEEZNS1_13binary_searchIS3_S5_NSA_INS8_10device_ptrIiEEEESG_SI_NS1_21upper_bound_search_opENS9_16wrapped_functionINS8_6system6detail7generic6detail18binary_search_lessEbEEEE10hipError_tPvRmT1_T2_T3_mmT4_T5_P12ihipStream_tbEUlRKiE_EESV_SZ_S10_mS11_S14_bEUlT_E_NS1_11comp_targetILNS1_3genE5ELNS1_11target_archE942ELNS1_3gpuE9ELNS1_3repE0EEENS1_30default_config_static_selectorELNS0_4arch9wavefront6targetE1EEEvSY_.numbered_sgpr, 0
	.set _ZN7rocprim17ROCPRIM_400000_NS6detail17trampoline_kernelINS0_14default_configENS1_27upper_bound_config_selectorIilEEZNS1_14transform_implILb0ES3_S5_N6thrust23THRUST_200600_302600_NS6detail15normal_iteratorINS8_7pointerIiNS8_11hip_rocprim12par_nosync_tENS8_11use_defaultESE_EEEENSA_INSB_IlSD_SE_SE_EEEEZNS1_13binary_searchIS3_S5_NSA_INS8_10device_ptrIiEEEESG_SI_NS1_21upper_bound_search_opENS9_16wrapped_functionINS8_6system6detail7generic6detail18binary_search_lessEbEEEE10hipError_tPvRmT1_T2_T3_mmT4_T5_P12ihipStream_tbEUlRKiE_EESV_SZ_S10_mS11_S14_bEUlT_E_NS1_11comp_targetILNS1_3genE5ELNS1_11target_archE942ELNS1_3gpuE9ELNS1_3repE0EEENS1_30default_config_static_selectorELNS0_4arch9wavefront6targetE1EEEvSY_.num_named_barrier, 0
	.set _ZN7rocprim17ROCPRIM_400000_NS6detail17trampoline_kernelINS0_14default_configENS1_27upper_bound_config_selectorIilEEZNS1_14transform_implILb0ES3_S5_N6thrust23THRUST_200600_302600_NS6detail15normal_iteratorINS8_7pointerIiNS8_11hip_rocprim12par_nosync_tENS8_11use_defaultESE_EEEENSA_INSB_IlSD_SE_SE_EEEEZNS1_13binary_searchIS3_S5_NSA_INS8_10device_ptrIiEEEESG_SI_NS1_21upper_bound_search_opENS9_16wrapped_functionINS8_6system6detail7generic6detail18binary_search_lessEbEEEE10hipError_tPvRmT1_T2_T3_mmT4_T5_P12ihipStream_tbEUlRKiE_EESV_SZ_S10_mS11_S14_bEUlT_E_NS1_11comp_targetILNS1_3genE5ELNS1_11target_archE942ELNS1_3gpuE9ELNS1_3repE0EEENS1_30default_config_static_selectorELNS0_4arch9wavefront6targetE1EEEvSY_.private_seg_size, 0
	.set _ZN7rocprim17ROCPRIM_400000_NS6detail17trampoline_kernelINS0_14default_configENS1_27upper_bound_config_selectorIilEEZNS1_14transform_implILb0ES3_S5_N6thrust23THRUST_200600_302600_NS6detail15normal_iteratorINS8_7pointerIiNS8_11hip_rocprim12par_nosync_tENS8_11use_defaultESE_EEEENSA_INSB_IlSD_SE_SE_EEEEZNS1_13binary_searchIS3_S5_NSA_INS8_10device_ptrIiEEEESG_SI_NS1_21upper_bound_search_opENS9_16wrapped_functionINS8_6system6detail7generic6detail18binary_search_lessEbEEEE10hipError_tPvRmT1_T2_T3_mmT4_T5_P12ihipStream_tbEUlRKiE_EESV_SZ_S10_mS11_S14_bEUlT_E_NS1_11comp_targetILNS1_3genE5ELNS1_11target_archE942ELNS1_3gpuE9ELNS1_3repE0EEENS1_30default_config_static_selectorELNS0_4arch9wavefront6targetE1EEEvSY_.uses_vcc, 0
	.set _ZN7rocprim17ROCPRIM_400000_NS6detail17trampoline_kernelINS0_14default_configENS1_27upper_bound_config_selectorIilEEZNS1_14transform_implILb0ES3_S5_N6thrust23THRUST_200600_302600_NS6detail15normal_iteratorINS8_7pointerIiNS8_11hip_rocprim12par_nosync_tENS8_11use_defaultESE_EEEENSA_INSB_IlSD_SE_SE_EEEEZNS1_13binary_searchIS3_S5_NSA_INS8_10device_ptrIiEEEESG_SI_NS1_21upper_bound_search_opENS9_16wrapped_functionINS8_6system6detail7generic6detail18binary_search_lessEbEEEE10hipError_tPvRmT1_T2_T3_mmT4_T5_P12ihipStream_tbEUlRKiE_EESV_SZ_S10_mS11_S14_bEUlT_E_NS1_11comp_targetILNS1_3genE5ELNS1_11target_archE942ELNS1_3gpuE9ELNS1_3repE0EEENS1_30default_config_static_selectorELNS0_4arch9wavefront6targetE1EEEvSY_.uses_flat_scratch, 0
	.set _ZN7rocprim17ROCPRIM_400000_NS6detail17trampoline_kernelINS0_14default_configENS1_27upper_bound_config_selectorIilEEZNS1_14transform_implILb0ES3_S5_N6thrust23THRUST_200600_302600_NS6detail15normal_iteratorINS8_7pointerIiNS8_11hip_rocprim12par_nosync_tENS8_11use_defaultESE_EEEENSA_INSB_IlSD_SE_SE_EEEEZNS1_13binary_searchIS3_S5_NSA_INS8_10device_ptrIiEEEESG_SI_NS1_21upper_bound_search_opENS9_16wrapped_functionINS8_6system6detail7generic6detail18binary_search_lessEbEEEE10hipError_tPvRmT1_T2_T3_mmT4_T5_P12ihipStream_tbEUlRKiE_EESV_SZ_S10_mS11_S14_bEUlT_E_NS1_11comp_targetILNS1_3genE5ELNS1_11target_archE942ELNS1_3gpuE9ELNS1_3repE0EEENS1_30default_config_static_selectorELNS0_4arch9wavefront6targetE1EEEvSY_.has_dyn_sized_stack, 0
	.set _ZN7rocprim17ROCPRIM_400000_NS6detail17trampoline_kernelINS0_14default_configENS1_27upper_bound_config_selectorIilEEZNS1_14transform_implILb0ES3_S5_N6thrust23THRUST_200600_302600_NS6detail15normal_iteratorINS8_7pointerIiNS8_11hip_rocprim12par_nosync_tENS8_11use_defaultESE_EEEENSA_INSB_IlSD_SE_SE_EEEEZNS1_13binary_searchIS3_S5_NSA_INS8_10device_ptrIiEEEESG_SI_NS1_21upper_bound_search_opENS9_16wrapped_functionINS8_6system6detail7generic6detail18binary_search_lessEbEEEE10hipError_tPvRmT1_T2_T3_mmT4_T5_P12ihipStream_tbEUlRKiE_EESV_SZ_S10_mS11_S14_bEUlT_E_NS1_11comp_targetILNS1_3genE5ELNS1_11target_archE942ELNS1_3gpuE9ELNS1_3repE0EEENS1_30default_config_static_selectorELNS0_4arch9wavefront6targetE1EEEvSY_.has_recursion, 0
	.set _ZN7rocprim17ROCPRIM_400000_NS6detail17trampoline_kernelINS0_14default_configENS1_27upper_bound_config_selectorIilEEZNS1_14transform_implILb0ES3_S5_N6thrust23THRUST_200600_302600_NS6detail15normal_iteratorINS8_7pointerIiNS8_11hip_rocprim12par_nosync_tENS8_11use_defaultESE_EEEENSA_INSB_IlSD_SE_SE_EEEEZNS1_13binary_searchIS3_S5_NSA_INS8_10device_ptrIiEEEESG_SI_NS1_21upper_bound_search_opENS9_16wrapped_functionINS8_6system6detail7generic6detail18binary_search_lessEbEEEE10hipError_tPvRmT1_T2_T3_mmT4_T5_P12ihipStream_tbEUlRKiE_EESV_SZ_S10_mS11_S14_bEUlT_E_NS1_11comp_targetILNS1_3genE5ELNS1_11target_archE942ELNS1_3gpuE9ELNS1_3repE0EEENS1_30default_config_static_selectorELNS0_4arch9wavefront6targetE1EEEvSY_.has_indirect_call, 0
	.section	.AMDGPU.csdata,"",@progbits
; Kernel info:
; codeLenInByte = 0
; TotalNumSgprs: 4
; NumVgprs: 0
; ScratchSize: 0
; MemoryBound: 0
; FloatMode: 240
; IeeeMode: 1
; LDSByteSize: 0 bytes/workgroup (compile time only)
; SGPRBlocks: 0
; VGPRBlocks: 0
; NumSGPRsForWavesPerEU: 4
; NumVGPRsForWavesPerEU: 1
; Occupancy: 10
; WaveLimiterHint : 0
; COMPUTE_PGM_RSRC2:SCRATCH_EN: 0
; COMPUTE_PGM_RSRC2:USER_SGPR: 6
; COMPUTE_PGM_RSRC2:TRAP_HANDLER: 0
; COMPUTE_PGM_RSRC2:TGID_X_EN: 1
; COMPUTE_PGM_RSRC2:TGID_Y_EN: 0
; COMPUTE_PGM_RSRC2:TGID_Z_EN: 0
; COMPUTE_PGM_RSRC2:TIDIG_COMP_CNT: 0
	.section	.text._ZN7rocprim17ROCPRIM_400000_NS6detail17trampoline_kernelINS0_14default_configENS1_27upper_bound_config_selectorIilEEZNS1_14transform_implILb0ES3_S5_N6thrust23THRUST_200600_302600_NS6detail15normal_iteratorINS8_7pointerIiNS8_11hip_rocprim12par_nosync_tENS8_11use_defaultESE_EEEENSA_INSB_IlSD_SE_SE_EEEEZNS1_13binary_searchIS3_S5_NSA_INS8_10device_ptrIiEEEESG_SI_NS1_21upper_bound_search_opENS9_16wrapped_functionINS8_6system6detail7generic6detail18binary_search_lessEbEEEE10hipError_tPvRmT1_T2_T3_mmT4_T5_P12ihipStream_tbEUlRKiE_EESV_SZ_S10_mS11_S14_bEUlT_E_NS1_11comp_targetILNS1_3genE4ELNS1_11target_archE910ELNS1_3gpuE8ELNS1_3repE0EEENS1_30default_config_static_selectorELNS0_4arch9wavefront6targetE1EEEvSY_,"axG",@progbits,_ZN7rocprim17ROCPRIM_400000_NS6detail17trampoline_kernelINS0_14default_configENS1_27upper_bound_config_selectorIilEEZNS1_14transform_implILb0ES3_S5_N6thrust23THRUST_200600_302600_NS6detail15normal_iteratorINS8_7pointerIiNS8_11hip_rocprim12par_nosync_tENS8_11use_defaultESE_EEEENSA_INSB_IlSD_SE_SE_EEEEZNS1_13binary_searchIS3_S5_NSA_INS8_10device_ptrIiEEEESG_SI_NS1_21upper_bound_search_opENS9_16wrapped_functionINS8_6system6detail7generic6detail18binary_search_lessEbEEEE10hipError_tPvRmT1_T2_T3_mmT4_T5_P12ihipStream_tbEUlRKiE_EESV_SZ_S10_mS11_S14_bEUlT_E_NS1_11comp_targetILNS1_3genE4ELNS1_11target_archE910ELNS1_3gpuE8ELNS1_3repE0EEENS1_30default_config_static_selectorELNS0_4arch9wavefront6targetE1EEEvSY_,comdat
	.protected	_ZN7rocprim17ROCPRIM_400000_NS6detail17trampoline_kernelINS0_14default_configENS1_27upper_bound_config_selectorIilEEZNS1_14transform_implILb0ES3_S5_N6thrust23THRUST_200600_302600_NS6detail15normal_iteratorINS8_7pointerIiNS8_11hip_rocprim12par_nosync_tENS8_11use_defaultESE_EEEENSA_INSB_IlSD_SE_SE_EEEEZNS1_13binary_searchIS3_S5_NSA_INS8_10device_ptrIiEEEESG_SI_NS1_21upper_bound_search_opENS9_16wrapped_functionINS8_6system6detail7generic6detail18binary_search_lessEbEEEE10hipError_tPvRmT1_T2_T3_mmT4_T5_P12ihipStream_tbEUlRKiE_EESV_SZ_S10_mS11_S14_bEUlT_E_NS1_11comp_targetILNS1_3genE4ELNS1_11target_archE910ELNS1_3gpuE8ELNS1_3repE0EEENS1_30default_config_static_selectorELNS0_4arch9wavefront6targetE1EEEvSY_ ; -- Begin function _ZN7rocprim17ROCPRIM_400000_NS6detail17trampoline_kernelINS0_14default_configENS1_27upper_bound_config_selectorIilEEZNS1_14transform_implILb0ES3_S5_N6thrust23THRUST_200600_302600_NS6detail15normal_iteratorINS8_7pointerIiNS8_11hip_rocprim12par_nosync_tENS8_11use_defaultESE_EEEENSA_INSB_IlSD_SE_SE_EEEEZNS1_13binary_searchIS3_S5_NSA_INS8_10device_ptrIiEEEESG_SI_NS1_21upper_bound_search_opENS9_16wrapped_functionINS8_6system6detail7generic6detail18binary_search_lessEbEEEE10hipError_tPvRmT1_T2_T3_mmT4_T5_P12ihipStream_tbEUlRKiE_EESV_SZ_S10_mS11_S14_bEUlT_E_NS1_11comp_targetILNS1_3genE4ELNS1_11target_archE910ELNS1_3gpuE8ELNS1_3repE0EEENS1_30default_config_static_selectorELNS0_4arch9wavefront6targetE1EEEvSY_
	.globl	_ZN7rocprim17ROCPRIM_400000_NS6detail17trampoline_kernelINS0_14default_configENS1_27upper_bound_config_selectorIilEEZNS1_14transform_implILb0ES3_S5_N6thrust23THRUST_200600_302600_NS6detail15normal_iteratorINS8_7pointerIiNS8_11hip_rocprim12par_nosync_tENS8_11use_defaultESE_EEEENSA_INSB_IlSD_SE_SE_EEEEZNS1_13binary_searchIS3_S5_NSA_INS8_10device_ptrIiEEEESG_SI_NS1_21upper_bound_search_opENS9_16wrapped_functionINS8_6system6detail7generic6detail18binary_search_lessEbEEEE10hipError_tPvRmT1_T2_T3_mmT4_T5_P12ihipStream_tbEUlRKiE_EESV_SZ_S10_mS11_S14_bEUlT_E_NS1_11comp_targetILNS1_3genE4ELNS1_11target_archE910ELNS1_3gpuE8ELNS1_3repE0EEENS1_30default_config_static_selectorELNS0_4arch9wavefront6targetE1EEEvSY_
	.p2align	8
	.type	_ZN7rocprim17ROCPRIM_400000_NS6detail17trampoline_kernelINS0_14default_configENS1_27upper_bound_config_selectorIilEEZNS1_14transform_implILb0ES3_S5_N6thrust23THRUST_200600_302600_NS6detail15normal_iteratorINS8_7pointerIiNS8_11hip_rocprim12par_nosync_tENS8_11use_defaultESE_EEEENSA_INSB_IlSD_SE_SE_EEEEZNS1_13binary_searchIS3_S5_NSA_INS8_10device_ptrIiEEEESG_SI_NS1_21upper_bound_search_opENS9_16wrapped_functionINS8_6system6detail7generic6detail18binary_search_lessEbEEEE10hipError_tPvRmT1_T2_T3_mmT4_T5_P12ihipStream_tbEUlRKiE_EESV_SZ_S10_mS11_S14_bEUlT_E_NS1_11comp_targetILNS1_3genE4ELNS1_11target_archE910ELNS1_3gpuE8ELNS1_3repE0EEENS1_30default_config_static_selectorELNS0_4arch9wavefront6targetE1EEEvSY_,@function
_ZN7rocprim17ROCPRIM_400000_NS6detail17trampoline_kernelINS0_14default_configENS1_27upper_bound_config_selectorIilEEZNS1_14transform_implILb0ES3_S5_N6thrust23THRUST_200600_302600_NS6detail15normal_iteratorINS8_7pointerIiNS8_11hip_rocprim12par_nosync_tENS8_11use_defaultESE_EEEENSA_INSB_IlSD_SE_SE_EEEEZNS1_13binary_searchIS3_S5_NSA_INS8_10device_ptrIiEEEESG_SI_NS1_21upper_bound_search_opENS9_16wrapped_functionINS8_6system6detail7generic6detail18binary_search_lessEbEEEE10hipError_tPvRmT1_T2_T3_mmT4_T5_P12ihipStream_tbEUlRKiE_EESV_SZ_S10_mS11_S14_bEUlT_E_NS1_11comp_targetILNS1_3genE4ELNS1_11target_archE910ELNS1_3gpuE8ELNS1_3repE0EEENS1_30default_config_static_selectorELNS0_4arch9wavefront6targetE1EEEvSY_: ; @_ZN7rocprim17ROCPRIM_400000_NS6detail17trampoline_kernelINS0_14default_configENS1_27upper_bound_config_selectorIilEEZNS1_14transform_implILb0ES3_S5_N6thrust23THRUST_200600_302600_NS6detail15normal_iteratorINS8_7pointerIiNS8_11hip_rocprim12par_nosync_tENS8_11use_defaultESE_EEEENSA_INSB_IlSD_SE_SE_EEEEZNS1_13binary_searchIS3_S5_NSA_INS8_10device_ptrIiEEEESG_SI_NS1_21upper_bound_search_opENS9_16wrapped_functionINS8_6system6detail7generic6detail18binary_search_lessEbEEEE10hipError_tPvRmT1_T2_T3_mmT4_T5_P12ihipStream_tbEUlRKiE_EESV_SZ_S10_mS11_S14_bEUlT_E_NS1_11comp_targetILNS1_3genE4ELNS1_11target_archE910ELNS1_3gpuE8ELNS1_3repE0EEENS1_30default_config_static_selectorELNS0_4arch9wavefront6targetE1EEEvSY_
; %bb.0:
	.section	.rodata,"a",@progbits
	.p2align	6, 0x0
	.amdhsa_kernel _ZN7rocprim17ROCPRIM_400000_NS6detail17trampoline_kernelINS0_14default_configENS1_27upper_bound_config_selectorIilEEZNS1_14transform_implILb0ES3_S5_N6thrust23THRUST_200600_302600_NS6detail15normal_iteratorINS8_7pointerIiNS8_11hip_rocprim12par_nosync_tENS8_11use_defaultESE_EEEENSA_INSB_IlSD_SE_SE_EEEEZNS1_13binary_searchIS3_S5_NSA_INS8_10device_ptrIiEEEESG_SI_NS1_21upper_bound_search_opENS9_16wrapped_functionINS8_6system6detail7generic6detail18binary_search_lessEbEEEE10hipError_tPvRmT1_T2_T3_mmT4_T5_P12ihipStream_tbEUlRKiE_EESV_SZ_S10_mS11_S14_bEUlT_E_NS1_11comp_targetILNS1_3genE4ELNS1_11target_archE910ELNS1_3gpuE8ELNS1_3repE0EEENS1_30default_config_static_selectorELNS0_4arch9wavefront6targetE1EEEvSY_
		.amdhsa_group_segment_fixed_size 0
		.amdhsa_private_segment_fixed_size 0
		.amdhsa_kernarg_size 56
		.amdhsa_user_sgpr_count 6
		.amdhsa_user_sgpr_private_segment_buffer 1
		.amdhsa_user_sgpr_dispatch_ptr 0
		.amdhsa_user_sgpr_queue_ptr 0
		.amdhsa_user_sgpr_kernarg_segment_ptr 1
		.amdhsa_user_sgpr_dispatch_id 0
		.amdhsa_user_sgpr_flat_scratch_init 0
		.amdhsa_user_sgpr_private_segment_size 0
		.amdhsa_uses_dynamic_stack 0
		.amdhsa_system_sgpr_private_segment_wavefront_offset 0
		.amdhsa_system_sgpr_workgroup_id_x 1
		.amdhsa_system_sgpr_workgroup_id_y 0
		.amdhsa_system_sgpr_workgroup_id_z 0
		.amdhsa_system_sgpr_workgroup_info 0
		.amdhsa_system_vgpr_workitem_id 0
		.amdhsa_next_free_vgpr 1
		.amdhsa_next_free_sgpr 0
		.amdhsa_reserve_vcc 0
		.amdhsa_reserve_flat_scratch 0
		.amdhsa_float_round_mode_32 0
		.amdhsa_float_round_mode_16_64 0
		.amdhsa_float_denorm_mode_32 3
		.amdhsa_float_denorm_mode_16_64 3
		.amdhsa_dx10_clamp 1
		.amdhsa_ieee_mode 1
		.amdhsa_fp16_overflow 0
		.amdhsa_exception_fp_ieee_invalid_op 0
		.amdhsa_exception_fp_denorm_src 0
		.amdhsa_exception_fp_ieee_div_zero 0
		.amdhsa_exception_fp_ieee_overflow 0
		.amdhsa_exception_fp_ieee_underflow 0
		.amdhsa_exception_fp_ieee_inexact 0
		.amdhsa_exception_int_div_zero 0
	.end_amdhsa_kernel
	.section	.text._ZN7rocprim17ROCPRIM_400000_NS6detail17trampoline_kernelINS0_14default_configENS1_27upper_bound_config_selectorIilEEZNS1_14transform_implILb0ES3_S5_N6thrust23THRUST_200600_302600_NS6detail15normal_iteratorINS8_7pointerIiNS8_11hip_rocprim12par_nosync_tENS8_11use_defaultESE_EEEENSA_INSB_IlSD_SE_SE_EEEEZNS1_13binary_searchIS3_S5_NSA_INS8_10device_ptrIiEEEESG_SI_NS1_21upper_bound_search_opENS9_16wrapped_functionINS8_6system6detail7generic6detail18binary_search_lessEbEEEE10hipError_tPvRmT1_T2_T3_mmT4_T5_P12ihipStream_tbEUlRKiE_EESV_SZ_S10_mS11_S14_bEUlT_E_NS1_11comp_targetILNS1_3genE4ELNS1_11target_archE910ELNS1_3gpuE8ELNS1_3repE0EEENS1_30default_config_static_selectorELNS0_4arch9wavefront6targetE1EEEvSY_,"axG",@progbits,_ZN7rocprim17ROCPRIM_400000_NS6detail17trampoline_kernelINS0_14default_configENS1_27upper_bound_config_selectorIilEEZNS1_14transform_implILb0ES3_S5_N6thrust23THRUST_200600_302600_NS6detail15normal_iteratorINS8_7pointerIiNS8_11hip_rocprim12par_nosync_tENS8_11use_defaultESE_EEEENSA_INSB_IlSD_SE_SE_EEEEZNS1_13binary_searchIS3_S5_NSA_INS8_10device_ptrIiEEEESG_SI_NS1_21upper_bound_search_opENS9_16wrapped_functionINS8_6system6detail7generic6detail18binary_search_lessEbEEEE10hipError_tPvRmT1_T2_T3_mmT4_T5_P12ihipStream_tbEUlRKiE_EESV_SZ_S10_mS11_S14_bEUlT_E_NS1_11comp_targetILNS1_3genE4ELNS1_11target_archE910ELNS1_3gpuE8ELNS1_3repE0EEENS1_30default_config_static_selectorELNS0_4arch9wavefront6targetE1EEEvSY_,comdat
.Lfunc_end574:
	.size	_ZN7rocprim17ROCPRIM_400000_NS6detail17trampoline_kernelINS0_14default_configENS1_27upper_bound_config_selectorIilEEZNS1_14transform_implILb0ES3_S5_N6thrust23THRUST_200600_302600_NS6detail15normal_iteratorINS8_7pointerIiNS8_11hip_rocprim12par_nosync_tENS8_11use_defaultESE_EEEENSA_INSB_IlSD_SE_SE_EEEEZNS1_13binary_searchIS3_S5_NSA_INS8_10device_ptrIiEEEESG_SI_NS1_21upper_bound_search_opENS9_16wrapped_functionINS8_6system6detail7generic6detail18binary_search_lessEbEEEE10hipError_tPvRmT1_T2_T3_mmT4_T5_P12ihipStream_tbEUlRKiE_EESV_SZ_S10_mS11_S14_bEUlT_E_NS1_11comp_targetILNS1_3genE4ELNS1_11target_archE910ELNS1_3gpuE8ELNS1_3repE0EEENS1_30default_config_static_selectorELNS0_4arch9wavefront6targetE1EEEvSY_, .Lfunc_end574-_ZN7rocprim17ROCPRIM_400000_NS6detail17trampoline_kernelINS0_14default_configENS1_27upper_bound_config_selectorIilEEZNS1_14transform_implILb0ES3_S5_N6thrust23THRUST_200600_302600_NS6detail15normal_iteratorINS8_7pointerIiNS8_11hip_rocprim12par_nosync_tENS8_11use_defaultESE_EEEENSA_INSB_IlSD_SE_SE_EEEEZNS1_13binary_searchIS3_S5_NSA_INS8_10device_ptrIiEEEESG_SI_NS1_21upper_bound_search_opENS9_16wrapped_functionINS8_6system6detail7generic6detail18binary_search_lessEbEEEE10hipError_tPvRmT1_T2_T3_mmT4_T5_P12ihipStream_tbEUlRKiE_EESV_SZ_S10_mS11_S14_bEUlT_E_NS1_11comp_targetILNS1_3genE4ELNS1_11target_archE910ELNS1_3gpuE8ELNS1_3repE0EEENS1_30default_config_static_selectorELNS0_4arch9wavefront6targetE1EEEvSY_
                                        ; -- End function
	.set _ZN7rocprim17ROCPRIM_400000_NS6detail17trampoline_kernelINS0_14default_configENS1_27upper_bound_config_selectorIilEEZNS1_14transform_implILb0ES3_S5_N6thrust23THRUST_200600_302600_NS6detail15normal_iteratorINS8_7pointerIiNS8_11hip_rocprim12par_nosync_tENS8_11use_defaultESE_EEEENSA_INSB_IlSD_SE_SE_EEEEZNS1_13binary_searchIS3_S5_NSA_INS8_10device_ptrIiEEEESG_SI_NS1_21upper_bound_search_opENS9_16wrapped_functionINS8_6system6detail7generic6detail18binary_search_lessEbEEEE10hipError_tPvRmT1_T2_T3_mmT4_T5_P12ihipStream_tbEUlRKiE_EESV_SZ_S10_mS11_S14_bEUlT_E_NS1_11comp_targetILNS1_3genE4ELNS1_11target_archE910ELNS1_3gpuE8ELNS1_3repE0EEENS1_30default_config_static_selectorELNS0_4arch9wavefront6targetE1EEEvSY_.num_vgpr, 0
	.set _ZN7rocprim17ROCPRIM_400000_NS6detail17trampoline_kernelINS0_14default_configENS1_27upper_bound_config_selectorIilEEZNS1_14transform_implILb0ES3_S5_N6thrust23THRUST_200600_302600_NS6detail15normal_iteratorINS8_7pointerIiNS8_11hip_rocprim12par_nosync_tENS8_11use_defaultESE_EEEENSA_INSB_IlSD_SE_SE_EEEEZNS1_13binary_searchIS3_S5_NSA_INS8_10device_ptrIiEEEESG_SI_NS1_21upper_bound_search_opENS9_16wrapped_functionINS8_6system6detail7generic6detail18binary_search_lessEbEEEE10hipError_tPvRmT1_T2_T3_mmT4_T5_P12ihipStream_tbEUlRKiE_EESV_SZ_S10_mS11_S14_bEUlT_E_NS1_11comp_targetILNS1_3genE4ELNS1_11target_archE910ELNS1_3gpuE8ELNS1_3repE0EEENS1_30default_config_static_selectorELNS0_4arch9wavefront6targetE1EEEvSY_.num_agpr, 0
	.set _ZN7rocprim17ROCPRIM_400000_NS6detail17trampoline_kernelINS0_14default_configENS1_27upper_bound_config_selectorIilEEZNS1_14transform_implILb0ES3_S5_N6thrust23THRUST_200600_302600_NS6detail15normal_iteratorINS8_7pointerIiNS8_11hip_rocprim12par_nosync_tENS8_11use_defaultESE_EEEENSA_INSB_IlSD_SE_SE_EEEEZNS1_13binary_searchIS3_S5_NSA_INS8_10device_ptrIiEEEESG_SI_NS1_21upper_bound_search_opENS9_16wrapped_functionINS8_6system6detail7generic6detail18binary_search_lessEbEEEE10hipError_tPvRmT1_T2_T3_mmT4_T5_P12ihipStream_tbEUlRKiE_EESV_SZ_S10_mS11_S14_bEUlT_E_NS1_11comp_targetILNS1_3genE4ELNS1_11target_archE910ELNS1_3gpuE8ELNS1_3repE0EEENS1_30default_config_static_selectorELNS0_4arch9wavefront6targetE1EEEvSY_.numbered_sgpr, 0
	.set _ZN7rocprim17ROCPRIM_400000_NS6detail17trampoline_kernelINS0_14default_configENS1_27upper_bound_config_selectorIilEEZNS1_14transform_implILb0ES3_S5_N6thrust23THRUST_200600_302600_NS6detail15normal_iteratorINS8_7pointerIiNS8_11hip_rocprim12par_nosync_tENS8_11use_defaultESE_EEEENSA_INSB_IlSD_SE_SE_EEEEZNS1_13binary_searchIS3_S5_NSA_INS8_10device_ptrIiEEEESG_SI_NS1_21upper_bound_search_opENS9_16wrapped_functionINS8_6system6detail7generic6detail18binary_search_lessEbEEEE10hipError_tPvRmT1_T2_T3_mmT4_T5_P12ihipStream_tbEUlRKiE_EESV_SZ_S10_mS11_S14_bEUlT_E_NS1_11comp_targetILNS1_3genE4ELNS1_11target_archE910ELNS1_3gpuE8ELNS1_3repE0EEENS1_30default_config_static_selectorELNS0_4arch9wavefront6targetE1EEEvSY_.num_named_barrier, 0
	.set _ZN7rocprim17ROCPRIM_400000_NS6detail17trampoline_kernelINS0_14default_configENS1_27upper_bound_config_selectorIilEEZNS1_14transform_implILb0ES3_S5_N6thrust23THRUST_200600_302600_NS6detail15normal_iteratorINS8_7pointerIiNS8_11hip_rocprim12par_nosync_tENS8_11use_defaultESE_EEEENSA_INSB_IlSD_SE_SE_EEEEZNS1_13binary_searchIS3_S5_NSA_INS8_10device_ptrIiEEEESG_SI_NS1_21upper_bound_search_opENS9_16wrapped_functionINS8_6system6detail7generic6detail18binary_search_lessEbEEEE10hipError_tPvRmT1_T2_T3_mmT4_T5_P12ihipStream_tbEUlRKiE_EESV_SZ_S10_mS11_S14_bEUlT_E_NS1_11comp_targetILNS1_3genE4ELNS1_11target_archE910ELNS1_3gpuE8ELNS1_3repE0EEENS1_30default_config_static_selectorELNS0_4arch9wavefront6targetE1EEEvSY_.private_seg_size, 0
	.set _ZN7rocprim17ROCPRIM_400000_NS6detail17trampoline_kernelINS0_14default_configENS1_27upper_bound_config_selectorIilEEZNS1_14transform_implILb0ES3_S5_N6thrust23THRUST_200600_302600_NS6detail15normal_iteratorINS8_7pointerIiNS8_11hip_rocprim12par_nosync_tENS8_11use_defaultESE_EEEENSA_INSB_IlSD_SE_SE_EEEEZNS1_13binary_searchIS3_S5_NSA_INS8_10device_ptrIiEEEESG_SI_NS1_21upper_bound_search_opENS9_16wrapped_functionINS8_6system6detail7generic6detail18binary_search_lessEbEEEE10hipError_tPvRmT1_T2_T3_mmT4_T5_P12ihipStream_tbEUlRKiE_EESV_SZ_S10_mS11_S14_bEUlT_E_NS1_11comp_targetILNS1_3genE4ELNS1_11target_archE910ELNS1_3gpuE8ELNS1_3repE0EEENS1_30default_config_static_selectorELNS0_4arch9wavefront6targetE1EEEvSY_.uses_vcc, 0
	.set _ZN7rocprim17ROCPRIM_400000_NS6detail17trampoline_kernelINS0_14default_configENS1_27upper_bound_config_selectorIilEEZNS1_14transform_implILb0ES3_S5_N6thrust23THRUST_200600_302600_NS6detail15normal_iteratorINS8_7pointerIiNS8_11hip_rocprim12par_nosync_tENS8_11use_defaultESE_EEEENSA_INSB_IlSD_SE_SE_EEEEZNS1_13binary_searchIS3_S5_NSA_INS8_10device_ptrIiEEEESG_SI_NS1_21upper_bound_search_opENS9_16wrapped_functionINS8_6system6detail7generic6detail18binary_search_lessEbEEEE10hipError_tPvRmT1_T2_T3_mmT4_T5_P12ihipStream_tbEUlRKiE_EESV_SZ_S10_mS11_S14_bEUlT_E_NS1_11comp_targetILNS1_3genE4ELNS1_11target_archE910ELNS1_3gpuE8ELNS1_3repE0EEENS1_30default_config_static_selectorELNS0_4arch9wavefront6targetE1EEEvSY_.uses_flat_scratch, 0
	.set _ZN7rocprim17ROCPRIM_400000_NS6detail17trampoline_kernelINS0_14default_configENS1_27upper_bound_config_selectorIilEEZNS1_14transform_implILb0ES3_S5_N6thrust23THRUST_200600_302600_NS6detail15normal_iteratorINS8_7pointerIiNS8_11hip_rocprim12par_nosync_tENS8_11use_defaultESE_EEEENSA_INSB_IlSD_SE_SE_EEEEZNS1_13binary_searchIS3_S5_NSA_INS8_10device_ptrIiEEEESG_SI_NS1_21upper_bound_search_opENS9_16wrapped_functionINS8_6system6detail7generic6detail18binary_search_lessEbEEEE10hipError_tPvRmT1_T2_T3_mmT4_T5_P12ihipStream_tbEUlRKiE_EESV_SZ_S10_mS11_S14_bEUlT_E_NS1_11comp_targetILNS1_3genE4ELNS1_11target_archE910ELNS1_3gpuE8ELNS1_3repE0EEENS1_30default_config_static_selectorELNS0_4arch9wavefront6targetE1EEEvSY_.has_dyn_sized_stack, 0
	.set _ZN7rocprim17ROCPRIM_400000_NS6detail17trampoline_kernelINS0_14default_configENS1_27upper_bound_config_selectorIilEEZNS1_14transform_implILb0ES3_S5_N6thrust23THRUST_200600_302600_NS6detail15normal_iteratorINS8_7pointerIiNS8_11hip_rocprim12par_nosync_tENS8_11use_defaultESE_EEEENSA_INSB_IlSD_SE_SE_EEEEZNS1_13binary_searchIS3_S5_NSA_INS8_10device_ptrIiEEEESG_SI_NS1_21upper_bound_search_opENS9_16wrapped_functionINS8_6system6detail7generic6detail18binary_search_lessEbEEEE10hipError_tPvRmT1_T2_T3_mmT4_T5_P12ihipStream_tbEUlRKiE_EESV_SZ_S10_mS11_S14_bEUlT_E_NS1_11comp_targetILNS1_3genE4ELNS1_11target_archE910ELNS1_3gpuE8ELNS1_3repE0EEENS1_30default_config_static_selectorELNS0_4arch9wavefront6targetE1EEEvSY_.has_recursion, 0
	.set _ZN7rocprim17ROCPRIM_400000_NS6detail17trampoline_kernelINS0_14default_configENS1_27upper_bound_config_selectorIilEEZNS1_14transform_implILb0ES3_S5_N6thrust23THRUST_200600_302600_NS6detail15normal_iteratorINS8_7pointerIiNS8_11hip_rocprim12par_nosync_tENS8_11use_defaultESE_EEEENSA_INSB_IlSD_SE_SE_EEEEZNS1_13binary_searchIS3_S5_NSA_INS8_10device_ptrIiEEEESG_SI_NS1_21upper_bound_search_opENS9_16wrapped_functionINS8_6system6detail7generic6detail18binary_search_lessEbEEEE10hipError_tPvRmT1_T2_T3_mmT4_T5_P12ihipStream_tbEUlRKiE_EESV_SZ_S10_mS11_S14_bEUlT_E_NS1_11comp_targetILNS1_3genE4ELNS1_11target_archE910ELNS1_3gpuE8ELNS1_3repE0EEENS1_30default_config_static_selectorELNS0_4arch9wavefront6targetE1EEEvSY_.has_indirect_call, 0
	.section	.AMDGPU.csdata,"",@progbits
; Kernel info:
; codeLenInByte = 0
; TotalNumSgprs: 4
; NumVgprs: 0
; ScratchSize: 0
; MemoryBound: 0
; FloatMode: 240
; IeeeMode: 1
; LDSByteSize: 0 bytes/workgroup (compile time only)
; SGPRBlocks: 0
; VGPRBlocks: 0
; NumSGPRsForWavesPerEU: 4
; NumVGPRsForWavesPerEU: 1
; Occupancy: 10
; WaveLimiterHint : 0
; COMPUTE_PGM_RSRC2:SCRATCH_EN: 0
; COMPUTE_PGM_RSRC2:USER_SGPR: 6
; COMPUTE_PGM_RSRC2:TRAP_HANDLER: 0
; COMPUTE_PGM_RSRC2:TGID_X_EN: 1
; COMPUTE_PGM_RSRC2:TGID_Y_EN: 0
; COMPUTE_PGM_RSRC2:TGID_Z_EN: 0
; COMPUTE_PGM_RSRC2:TIDIG_COMP_CNT: 0
	.section	.text._ZN7rocprim17ROCPRIM_400000_NS6detail17trampoline_kernelINS0_14default_configENS1_27upper_bound_config_selectorIilEEZNS1_14transform_implILb0ES3_S5_N6thrust23THRUST_200600_302600_NS6detail15normal_iteratorINS8_7pointerIiNS8_11hip_rocprim12par_nosync_tENS8_11use_defaultESE_EEEENSA_INSB_IlSD_SE_SE_EEEEZNS1_13binary_searchIS3_S5_NSA_INS8_10device_ptrIiEEEESG_SI_NS1_21upper_bound_search_opENS9_16wrapped_functionINS8_6system6detail7generic6detail18binary_search_lessEbEEEE10hipError_tPvRmT1_T2_T3_mmT4_T5_P12ihipStream_tbEUlRKiE_EESV_SZ_S10_mS11_S14_bEUlT_E_NS1_11comp_targetILNS1_3genE3ELNS1_11target_archE908ELNS1_3gpuE7ELNS1_3repE0EEENS1_30default_config_static_selectorELNS0_4arch9wavefront6targetE1EEEvSY_,"axG",@progbits,_ZN7rocprim17ROCPRIM_400000_NS6detail17trampoline_kernelINS0_14default_configENS1_27upper_bound_config_selectorIilEEZNS1_14transform_implILb0ES3_S5_N6thrust23THRUST_200600_302600_NS6detail15normal_iteratorINS8_7pointerIiNS8_11hip_rocprim12par_nosync_tENS8_11use_defaultESE_EEEENSA_INSB_IlSD_SE_SE_EEEEZNS1_13binary_searchIS3_S5_NSA_INS8_10device_ptrIiEEEESG_SI_NS1_21upper_bound_search_opENS9_16wrapped_functionINS8_6system6detail7generic6detail18binary_search_lessEbEEEE10hipError_tPvRmT1_T2_T3_mmT4_T5_P12ihipStream_tbEUlRKiE_EESV_SZ_S10_mS11_S14_bEUlT_E_NS1_11comp_targetILNS1_3genE3ELNS1_11target_archE908ELNS1_3gpuE7ELNS1_3repE0EEENS1_30default_config_static_selectorELNS0_4arch9wavefront6targetE1EEEvSY_,comdat
	.protected	_ZN7rocprim17ROCPRIM_400000_NS6detail17trampoline_kernelINS0_14default_configENS1_27upper_bound_config_selectorIilEEZNS1_14transform_implILb0ES3_S5_N6thrust23THRUST_200600_302600_NS6detail15normal_iteratorINS8_7pointerIiNS8_11hip_rocprim12par_nosync_tENS8_11use_defaultESE_EEEENSA_INSB_IlSD_SE_SE_EEEEZNS1_13binary_searchIS3_S5_NSA_INS8_10device_ptrIiEEEESG_SI_NS1_21upper_bound_search_opENS9_16wrapped_functionINS8_6system6detail7generic6detail18binary_search_lessEbEEEE10hipError_tPvRmT1_T2_T3_mmT4_T5_P12ihipStream_tbEUlRKiE_EESV_SZ_S10_mS11_S14_bEUlT_E_NS1_11comp_targetILNS1_3genE3ELNS1_11target_archE908ELNS1_3gpuE7ELNS1_3repE0EEENS1_30default_config_static_selectorELNS0_4arch9wavefront6targetE1EEEvSY_ ; -- Begin function _ZN7rocprim17ROCPRIM_400000_NS6detail17trampoline_kernelINS0_14default_configENS1_27upper_bound_config_selectorIilEEZNS1_14transform_implILb0ES3_S5_N6thrust23THRUST_200600_302600_NS6detail15normal_iteratorINS8_7pointerIiNS8_11hip_rocprim12par_nosync_tENS8_11use_defaultESE_EEEENSA_INSB_IlSD_SE_SE_EEEEZNS1_13binary_searchIS3_S5_NSA_INS8_10device_ptrIiEEEESG_SI_NS1_21upper_bound_search_opENS9_16wrapped_functionINS8_6system6detail7generic6detail18binary_search_lessEbEEEE10hipError_tPvRmT1_T2_T3_mmT4_T5_P12ihipStream_tbEUlRKiE_EESV_SZ_S10_mS11_S14_bEUlT_E_NS1_11comp_targetILNS1_3genE3ELNS1_11target_archE908ELNS1_3gpuE7ELNS1_3repE0EEENS1_30default_config_static_selectorELNS0_4arch9wavefront6targetE1EEEvSY_
	.globl	_ZN7rocprim17ROCPRIM_400000_NS6detail17trampoline_kernelINS0_14default_configENS1_27upper_bound_config_selectorIilEEZNS1_14transform_implILb0ES3_S5_N6thrust23THRUST_200600_302600_NS6detail15normal_iteratorINS8_7pointerIiNS8_11hip_rocprim12par_nosync_tENS8_11use_defaultESE_EEEENSA_INSB_IlSD_SE_SE_EEEEZNS1_13binary_searchIS3_S5_NSA_INS8_10device_ptrIiEEEESG_SI_NS1_21upper_bound_search_opENS9_16wrapped_functionINS8_6system6detail7generic6detail18binary_search_lessEbEEEE10hipError_tPvRmT1_T2_T3_mmT4_T5_P12ihipStream_tbEUlRKiE_EESV_SZ_S10_mS11_S14_bEUlT_E_NS1_11comp_targetILNS1_3genE3ELNS1_11target_archE908ELNS1_3gpuE7ELNS1_3repE0EEENS1_30default_config_static_selectorELNS0_4arch9wavefront6targetE1EEEvSY_
	.p2align	8
	.type	_ZN7rocprim17ROCPRIM_400000_NS6detail17trampoline_kernelINS0_14default_configENS1_27upper_bound_config_selectorIilEEZNS1_14transform_implILb0ES3_S5_N6thrust23THRUST_200600_302600_NS6detail15normal_iteratorINS8_7pointerIiNS8_11hip_rocprim12par_nosync_tENS8_11use_defaultESE_EEEENSA_INSB_IlSD_SE_SE_EEEEZNS1_13binary_searchIS3_S5_NSA_INS8_10device_ptrIiEEEESG_SI_NS1_21upper_bound_search_opENS9_16wrapped_functionINS8_6system6detail7generic6detail18binary_search_lessEbEEEE10hipError_tPvRmT1_T2_T3_mmT4_T5_P12ihipStream_tbEUlRKiE_EESV_SZ_S10_mS11_S14_bEUlT_E_NS1_11comp_targetILNS1_3genE3ELNS1_11target_archE908ELNS1_3gpuE7ELNS1_3repE0EEENS1_30default_config_static_selectorELNS0_4arch9wavefront6targetE1EEEvSY_,@function
_ZN7rocprim17ROCPRIM_400000_NS6detail17trampoline_kernelINS0_14default_configENS1_27upper_bound_config_selectorIilEEZNS1_14transform_implILb0ES3_S5_N6thrust23THRUST_200600_302600_NS6detail15normal_iteratorINS8_7pointerIiNS8_11hip_rocprim12par_nosync_tENS8_11use_defaultESE_EEEENSA_INSB_IlSD_SE_SE_EEEEZNS1_13binary_searchIS3_S5_NSA_INS8_10device_ptrIiEEEESG_SI_NS1_21upper_bound_search_opENS9_16wrapped_functionINS8_6system6detail7generic6detail18binary_search_lessEbEEEE10hipError_tPvRmT1_T2_T3_mmT4_T5_P12ihipStream_tbEUlRKiE_EESV_SZ_S10_mS11_S14_bEUlT_E_NS1_11comp_targetILNS1_3genE3ELNS1_11target_archE908ELNS1_3gpuE7ELNS1_3repE0EEENS1_30default_config_static_selectorELNS0_4arch9wavefront6targetE1EEEvSY_: ; @_ZN7rocprim17ROCPRIM_400000_NS6detail17trampoline_kernelINS0_14default_configENS1_27upper_bound_config_selectorIilEEZNS1_14transform_implILb0ES3_S5_N6thrust23THRUST_200600_302600_NS6detail15normal_iteratorINS8_7pointerIiNS8_11hip_rocprim12par_nosync_tENS8_11use_defaultESE_EEEENSA_INSB_IlSD_SE_SE_EEEEZNS1_13binary_searchIS3_S5_NSA_INS8_10device_ptrIiEEEESG_SI_NS1_21upper_bound_search_opENS9_16wrapped_functionINS8_6system6detail7generic6detail18binary_search_lessEbEEEE10hipError_tPvRmT1_T2_T3_mmT4_T5_P12ihipStream_tbEUlRKiE_EESV_SZ_S10_mS11_S14_bEUlT_E_NS1_11comp_targetILNS1_3genE3ELNS1_11target_archE908ELNS1_3gpuE7ELNS1_3repE0EEENS1_30default_config_static_selectorELNS0_4arch9wavefront6targetE1EEEvSY_
; %bb.0:
	.section	.rodata,"a",@progbits
	.p2align	6, 0x0
	.amdhsa_kernel _ZN7rocprim17ROCPRIM_400000_NS6detail17trampoline_kernelINS0_14default_configENS1_27upper_bound_config_selectorIilEEZNS1_14transform_implILb0ES3_S5_N6thrust23THRUST_200600_302600_NS6detail15normal_iteratorINS8_7pointerIiNS8_11hip_rocprim12par_nosync_tENS8_11use_defaultESE_EEEENSA_INSB_IlSD_SE_SE_EEEEZNS1_13binary_searchIS3_S5_NSA_INS8_10device_ptrIiEEEESG_SI_NS1_21upper_bound_search_opENS9_16wrapped_functionINS8_6system6detail7generic6detail18binary_search_lessEbEEEE10hipError_tPvRmT1_T2_T3_mmT4_T5_P12ihipStream_tbEUlRKiE_EESV_SZ_S10_mS11_S14_bEUlT_E_NS1_11comp_targetILNS1_3genE3ELNS1_11target_archE908ELNS1_3gpuE7ELNS1_3repE0EEENS1_30default_config_static_selectorELNS0_4arch9wavefront6targetE1EEEvSY_
		.amdhsa_group_segment_fixed_size 0
		.amdhsa_private_segment_fixed_size 0
		.amdhsa_kernarg_size 56
		.amdhsa_user_sgpr_count 6
		.amdhsa_user_sgpr_private_segment_buffer 1
		.amdhsa_user_sgpr_dispatch_ptr 0
		.amdhsa_user_sgpr_queue_ptr 0
		.amdhsa_user_sgpr_kernarg_segment_ptr 1
		.amdhsa_user_sgpr_dispatch_id 0
		.amdhsa_user_sgpr_flat_scratch_init 0
		.amdhsa_user_sgpr_private_segment_size 0
		.amdhsa_uses_dynamic_stack 0
		.amdhsa_system_sgpr_private_segment_wavefront_offset 0
		.amdhsa_system_sgpr_workgroup_id_x 1
		.amdhsa_system_sgpr_workgroup_id_y 0
		.amdhsa_system_sgpr_workgroup_id_z 0
		.amdhsa_system_sgpr_workgroup_info 0
		.amdhsa_system_vgpr_workitem_id 0
		.amdhsa_next_free_vgpr 1
		.amdhsa_next_free_sgpr 0
		.amdhsa_reserve_vcc 0
		.amdhsa_reserve_flat_scratch 0
		.amdhsa_float_round_mode_32 0
		.amdhsa_float_round_mode_16_64 0
		.amdhsa_float_denorm_mode_32 3
		.amdhsa_float_denorm_mode_16_64 3
		.amdhsa_dx10_clamp 1
		.amdhsa_ieee_mode 1
		.amdhsa_fp16_overflow 0
		.amdhsa_exception_fp_ieee_invalid_op 0
		.amdhsa_exception_fp_denorm_src 0
		.amdhsa_exception_fp_ieee_div_zero 0
		.amdhsa_exception_fp_ieee_overflow 0
		.amdhsa_exception_fp_ieee_underflow 0
		.amdhsa_exception_fp_ieee_inexact 0
		.amdhsa_exception_int_div_zero 0
	.end_amdhsa_kernel
	.section	.text._ZN7rocprim17ROCPRIM_400000_NS6detail17trampoline_kernelINS0_14default_configENS1_27upper_bound_config_selectorIilEEZNS1_14transform_implILb0ES3_S5_N6thrust23THRUST_200600_302600_NS6detail15normal_iteratorINS8_7pointerIiNS8_11hip_rocprim12par_nosync_tENS8_11use_defaultESE_EEEENSA_INSB_IlSD_SE_SE_EEEEZNS1_13binary_searchIS3_S5_NSA_INS8_10device_ptrIiEEEESG_SI_NS1_21upper_bound_search_opENS9_16wrapped_functionINS8_6system6detail7generic6detail18binary_search_lessEbEEEE10hipError_tPvRmT1_T2_T3_mmT4_T5_P12ihipStream_tbEUlRKiE_EESV_SZ_S10_mS11_S14_bEUlT_E_NS1_11comp_targetILNS1_3genE3ELNS1_11target_archE908ELNS1_3gpuE7ELNS1_3repE0EEENS1_30default_config_static_selectorELNS0_4arch9wavefront6targetE1EEEvSY_,"axG",@progbits,_ZN7rocprim17ROCPRIM_400000_NS6detail17trampoline_kernelINS0_14default_configENS1_27upper_bound_config_selectorIilEEZNS1_14transform_implILb0ES3_S5_N6thrust23THRUST_200600_302600_NS6detail15normal_iteratorINS8_7pointerIiNS8_11hip_rocprim12par_nosync_tENS8_11use_defaultESE_EEEENSA_INSB_IlSD_SE_SE_EEEEZNS1_13binary_searchIS3_S5_NSA_INS8_10device_ptrIiEEEESG_SI_NS1_21upper_bound_search_opENS9_16wrapped_functionINS8_6system6detail7generic6detail18binary_search_lessEbEEEE10hipError_tPvRmT1_T2_T3_mmT4_T5_P12ihipStream_tbEUlRKiE_EESV_SZ_S10_mS11_S14_bEUlT_E_NS1_11comp_targetILNS1_3genE3ELNS1_11target_archE908ELNS1_3gpuE7ELNS1_3repE0EEENS1_30default_config_static_selectorELNS0_4arch9wavefront6targetE1EEEvSY_,comdat
.Lfunc_end575:
	.size	_ZN7rocprim17ROCPRIM_400000_NS6detail17trampoline_kernelINS0_14default_configENS1_27upper_bound_config_selectorIilEEZNS1_14transform_implILb0ES3_S5_N6thrust23THRUST_200600_302600_NS6detail15normal_iteratorINS8_7pointerIiNS8_11hip_rocprim12par_nosync_tENS8_11use_defaultESE_EEEENSA_INSB_IlSD_SE_SE_EEEEZNS1_13binary_searchIS3_S5_NSA_INS8_10device_ptrIiEEEESG_SI_NS1_21upper_bound_search_opENS9_16wrapped_functionINS8_6system6detail7generic6detail18binary_search_lessEbEEEE10hipError_tPvRmT1_T2_T3_mmT4_T5_P12ihipStream_tbEUlRKiE_EESV_SZ_S10_mS11_S14_bEUlT_E_NS1_11comp_targetILNS1_3genE3ELNS1_11target_archE908ELNS1_3gpuE7ELNS1_3repE0EEENS1_30default_config_static_selectorELNS0_4arch9wavefront6targetE1EEEvSY_, .Lfunc_end575-_ZN7rocprim17ROCPRIM_400000_NS6detail17trampoline_kernelINS0_14default_configENS1_27upper_bound_config_selectorIilEEZNS1_14transform_implILb0ES3_S5_N6thrust23THRUST_200600_302600_NS6detail15normal_iteratorINS8_7pointerIiNS8_11hip_rocprim12par_nosync_tENS8_11use_defaultESE_EEEENSA_INSB_IlSD_SE_SE_EEEEZNS1_13binary_searchIS3_S5_NSA_INS8_10device_ptrIiEEEESG_SI_NS1_21upper_bound_search_opENS9_16wrapped_functionINS8_6system6detail7generic6detail18binary_search_lessEbEEEE10hipError_tPvRmT1_T2_T3_mmT4_T5_P12ihipStream_tbEUlRKiE_EESV_SZ_S10_mS11_S14_bEUlT_E_NS1_11comp_targetILNS1_3genE3ELNS1_11target_archE908ELNS1_3gpuE7ELNS1_3repE0EEENS1_30default_config_static_selectorELNS0_4arch9wavefront6targetE1EEEvSY_
                                        ; -- End function
	.set _ZN7rocprim17ROCPRIM_400000_NS6detail17trampoline_kernelINS0_14default_configENS1_27upper_bound_config_selectorIilEEZNS1_14transform_implILb0ES3_S5_N6thrust23THRUST_200600_302600_NS6detail15normal_iteratorINS8_7pointerIiNS8_11hip_rocprim12par_nosync_tENS8_11use_defaultESE_EEEENSA_INSB_IlSD_SE_SE_EEEEZNS1_13binary_searchIS3_S5_NSA_INS8_10device_ptrIiEEEESG_SI_NS1_21upper_bound_search_opENS9_16wrapped_functionINS8_6system6detail7generic6detail18binary_search_lessEbEEEE10hipError_tPvRmT1_T2_T3_mmT4_T5_P12ihipStream_tbEUlRKiE_EESV_SZ_S10_mS11_S14_bEUlT_E_NS1_11comp_targetILNS1_3genE3ELNS1_11target_archE908ELNS1_3gpuE7ELNS1_3repE0EEENS1_30default_config_static_selectorELNS0_4arch9wavefront6targetE1EEEvSY_.num_vgpr, 0
	.set _ZN7rocprim17ROCPRIM_400000_NS6detail17trampoline_kernelINS0_14default_configENS1_27upper_bound_config_selectorIilEEZNS1_14transform_implILb0ES3_S5_N6thrust23THRUST_200600_302600_NS6detail15normal_iteratorINS8_7pointerIiNS8_11hip_rocprim12par_nosync_tENS8_11use_defaultESE_EEEENSA_INSB_IlSD_SE_SE_EEEEZNS1_13binary_searchIS3_S5_NSA_INS8_10device_ptrIiEEEESG_SI_NS1_21upper_bound_search_opENS9_16wrapped_functionINS8_6system6detail7generic6detail18binary_search_lessEbEEEE10hipError_tPvRmT1_T2_T3_mmT4_T5_P12ihipStream_tbEUlRKiE_EESV_SZ_S10_mS11_S14_bEUlT_E_NS1_11comp_targetILNS1_3genE3ELNS1_11target_archE908ELNS1_3gpuE7ELNS1_3repE0EEENS1_30default_config_static_selectorELNS0_4arch9wavefront6targetE1EEEvSY_.num_agpr, 0
	.set _ZN7rocprim17ROCPRIM_400000_NS6detail17trampoline_kernelINS0_14default_configENS1_27upper_bound_config_selectorIilEEZNS1_14transform_implILb0ES3_S5_N6thrust23THRUST_200600_302600_NS6detail15normal_iteratorINS8_7pointerIiNS8_11hip_rocprim12par_nosync_tENS8_11use_defaultESE_EEEENSA_INSB_IlSD_SE_SE_EEEEZNS1_13binary_searchIS3_S5_NSA_INS8_10device_ptrIiEEEESG_SI_NS1_21upper_bound_search_opENS9_16wrapped_functionINS8_6system6detail7generic6detail18binary_search_lessEbEEEE10hipError_tPvRmT1_T2_T3_mmT4_T5_P12ihipStream_tbEUlRKiE_EESV_SZ_S10_mS11_S14_bEUlT_E_NS1_11comp_targetILNS1_3genE3ELNS1_11target_archE908ELNS1_3gpuE7ELNS1_3repE0EEENS1_30default_config_static_selectorELNS0_4arch9wavefront6targetE1EEEvSY_.numbered_sgpr, 0
	.set _ZN7rocprim17ROCPRIM_400000_NS6detail17trampoline_kernelINS0_14default_configENS1_27upper_bound_config_selectorIilEEZNS1_14transform_implILb0ES3_S5_N6thrust23THRUST_200600_302600_NS6detail15normal_iteratorINS8_7pointerIiNS8_11hip_rocprim12par_nosync_tENS8_11use_defaultESE_EEEENSA_INSB_IlSD_SE_SE_EEEEZNS1_13binary_searchIS3_S5_NSA_INS8_10device_ptrIiEEEESG_SI_NS1_21upper_bound_search_opENS9_16wrapped_functionINS8_6system6detail7generic6detail18binary_search_lessEbEEEE10hipError_tPvRmT1_T2_T3_mmT4_T5_P12ihipStream_tbEUlRKiE_EESV_SZ_S10_mS11_S14_bEUlT_E_NS1_11comp_targetILNS1_3genE3ELNS1_11target_archE908ELNS1_3gpuE7ELNS1_3repE0EEENS1_30default_config_static_selectorELNS0_4arch9wavefront6targetE1EEEvSY_.num_named_barrier, 0
	.set _ZN7rocprim17ROCPRIM_400000_NS6detail17trampoline_kernelINS0_14default_configENS1_27upper_bound_config_selectorIilEEZNS1_14transform_implILb0ES3_S5_N6thrust23THRUST_200600_302600_NS6detail15normal_iteratorINS8_7pointerIiNS8_11hip_rocprim12par_nosync_tENS8_11use_defaultESE_EEEENSA_INSB_IlSD_SE_SE_EEEEZNS1_13binary_searchIS3_S5_NSA_INS8_10device_ptrIiEEEESG_SI_NS1_21upper_bound_search_opENS9_16wrapped_functionINS8_6system6detail7generic6detail18binary_search_lessEbEEEE10hipError_tPvRmT1_T2_T3_mmT4_T5_P12ihipStream_tbEUlRKiE_EESV_SZ_S10_mS11_S14_bEUlT_E_NS1_11comp_targetILNS1_3genE3ELNS1_11target_archE908ELNS1_3gpuE7ELNS1_3repE0EEENS1_30default_config_static_selectorELNS0_4arch9wavefront6targetE1EEEvSY_.private_seg_size, 0
	.set _ZN7rocprim17ROCPRIM_400000_NS6detail17trampoline_kernelINS0_14default_configENS1_27upper_bound_config_selectorIilEEZNS1_14transform_implILb0ES3_S5_N6thrust23THRUST_200600_302600_NS6detail15normal_iteratorINS8_7pointerIiNS8_11hip_rocprim12par_nosync_tENS8_11use_defaultESE_EEEENSA_INSB_IlSD_SE_SE_EEEEZNS1_13binary_searchIS3_S5_NSA_INS8_10device_ptrIiEEEESG_SI_NS1_21upper_bound_search_opENS9_16wrapped_functionINS8_6system6detail7generic6detail18binary_search_lessEbEEEE10hipError_tPvRmT1_T2_T3_mmT4_T5_P12ihipStream_tbEUlRKiE_EESV_SZ_S10_mS11_S14_bEUlT_E_NS1_11comp_targetILNS1_3genE3ELNS1_11target_archE908ELNS1_3gpuE7ELNS1_3repE0EEENS1_30default_config_static_selectorELNS0_4arch9wavefront6targetE1EEEvSY_.uses_vcc, 0
	.set _ZN7rocprim17ROCPRIM_400000_NS6detail17trampoline_kernelINS0_14default_configENS1_27upper_bound_config_selectorIilEEZNS1_14transform_implILb0ES3_S5_N6thrust23THRUST_200600_302600_NS6detail15normal_iteratorINS8_7pointerIiNS8_11hip_rocprim12par_nosync_tENS8_11use_defaultESE_EEEENSA_INSB_IlSD_SE_SE_EEEEZNS1_13binary_searchIS3_S5_NSA_INS8_10device_ptrIiEEEESG_SI_NS1_21upper_bound_search_opENS9_16wrapped_functionINS8_6system6detail7generic6detail18binary_search_lessEbEEEE10hipError_tPvRmT1_T2_T3_mmT4_T5_P12ihipStream_tbEUlRKiE_EESV_SZ_S10_mS11_S14_bEUlT_E_NS1_11comp_targetILNS1_3genE3ELNS1_11target_archE908ELNS1_3gpuE7ELNS1_3repE0EEENS1_30default_config_static_selectorELNS0_4arch9wavefront6targetE1EEEvSY_.uses_flat_scratch, 0
	.set _ZN7rocprim17ROCPRIM_400000_NS6detail17trampoline_kernelINS0_14default_configENS1_27upper_bound_config_selectorIilEEZNS1_14transform_implILb0ES3_S5_N6thrust23THRUST_200600_302600_NS6detail15normal_iteratorINS8_7pointerIiNS8_11hip_rocprim12par_nosync_tENS8_11use_defaultESE_EEEENSA_INSB_IlSD_SE_SE_EEEEZNS1_13binary_searchIS3_S5_NSA_INS8_10device_ptrIiEEEESG_SI_NS1_21upper_bound_search_opENS9_16wrapped_functionINS8_6system6detail7generic6detail18binary_search_lessEbEEEE10hipError_tPvRmT1_T2_T3_mmT4_T5_P12ihipStream_tbEUlRKiE_EESV_SZ_S10_mS11_S14_bEUlT_E_NS1_11comp_targetILNS1_3genE3ELNS1_11target_archE908ELNS1_3gpuE7ELNS1_3repE0EEENS1_30default_config_static_selectorELNS0_4arch9wavefront6targetE1EEEvSY_.has_dyn_sized_stack, 0
	.set _ZN7rocprim17ROCPRIM_400000_NS6detail17trampoline_kernelINS0_14default_configENS1_27upper_bound_config_selectorIilEEZNS1_14transform_implILb0ES3_S5_N6thrust23THRUST_200600_302600_NS6detail15normal_iteratorINS8_7pointerIiNS8_11hip_rocprim12par_nosync_tENS8_11use_defaultESE_EEEENSA_INSB_IlSD_SE_SE_EEEEZNS1_13binary_searchIS3_S5_NSA_INS8_10device_ptrIiEEEESG_SI_NS1_21upper_bound_search_opENS9_16wrapped_functionINS8_6system6detail7generic6detail18binary_search_lessEbEEEE10hipError_tPvRmT1_T2_T3_mmT4_T5_P12ihipStream_tbEUlRKiE_EESV_SZ_S10_mS11_S14_bEUlT_E_NS1_11comp_targetILNS1_3genE3ELNS1_11target_archE908ELNS1_3gpuE7ELNS1_3repE0EEENS1_30default_config_static_selectorELNS0_4arch9wavefront6targetE1EEEvSY_.has_recursion, 0
	.set _ZN7rocprim17ROCPRIM_400000_NS6detail17trampoline_kernelINS0_14default_configENS1_27upper_bound_config_selectorIilEEZNS1_14transform_implILb0ES3_S5_N6thrust23THRUST_200600_302600_NS6detail15normal_iteratorINS8_7pointerIiNS8_11hip_rocprim12par_nosync_tENS8_11use_defaultESE_EEEENSA_INSB_IlSD_SE_SE_EEEEZNS1_13binary_searchIS3_S5_NSA_INS8_10device_ptrIiEEEESG_SI_NS1_21upper_bound_search_opENS9_16wrapped_functionINS8_6system6detail7generic6detail18binary_search_lessEbEEEE10hipError_tPvRmT1_T2_T3_mmT4_T5_P12ihipStream_tbEUlRKiE_EESV_SZ_S10_mS11_S14_bEUlT_E_NS1_11comp_targetILNS1_3genE3ELNS1_11target_archE908ELNS1_3gpuE7ELNS1_3repE0EEENS1_30default_config_static_selectorELNS0_4arch9wavefront6targetE1EEEvSY_.has_indirect_call, 0
	.section	.AMDGPU.csdata,"",@progbits
; Kernel info:
; codeLenInByte = 0
; TotalNumSgprs: 4
; NumVgprs: 0
; ScratchSize: 0
; MemoryBound: 0
; FloatMode: 240
; IeeeMode: 1
; LDSByteSize: 0 bytes/workgroup (compile time only)
; SGPRBlocks: 0
; VGPRBlocks: 0
; NumSGPRsForWavesPerEU: 4
; NumVGPRsForWavesPerEU: 1
; Occupancy: 10
; WaveLimiterHint : 0
; COMPUTE_PGM_RSRC2:SCRATCH_EN: 0
; COMPUTE_PGM_RSRC2:USER_SGPR: 6
; COMPUTE_PGM_RSRC2:TRAP_HANDLER: 0
; COMPUTE_PGM_RSRC2:TGID_X_EN: 1
; COMPUTE_PGM_RSRC2:TGID_Y_EN: 0
; COMPUTE_PGM_RSRC2:TGID_Z_EN: 0
; COMPUTE_PGM_RSRC2:TIDIG_COMP_CNT: 0
	.section	.text._ZN7rocprim17ROCPRIM_400000_NS6detail17trampoline_kernelINS0_14default_configENS1_27upper_bound_config_selectorIilEEZNS1_14transform_implILb0ES3_S5_N6thrust23THRUST_200600_302600_NS6detail15normal_iteratorINS8_7pointerIiNS8_11hip_rocprim12par_nosync_tENS8_11use_defaultESE_EEEENSA_INSB_IlSD_SE_SE_EEEEZNS1_13binary_searchIS3_S5_NSA_INS8_10device_ptrIiEEEESG_SI_NS1_21upper_bound_search_opENS9_16wrapped_functionINS8_6system6detail7generic6detail18binary_search_lessEbEEEE10hipError_tPvRmT1_T2_T3_mmT4_T5_P12ihipStream_tbEUlRKiE_EESV_SZ_S10_mS11_S14_bEUlT_E_NS1_11comp_targetILNS1_3genE2ELNS1_11target_archE906ELNS1_3gpuE6ELNS1_3repE0EEENS1_30default_config_static_selectorELNS0_4arch9wavefront6targetE1EEEvSY_,"axG",@progbits,_ZN7rocprim17ROCPRIM_400000_NS6detail17trampoline_kernelINS0_14default_configENS1_27upper_bound_config_selectorIilEEZNS1_14transform_implILb0ES3_S5_N6thrust23THRUST_200600_302600_NS6detail15normal_iteratorINS8_7pointerIiNS8_11hip_rocprim12par_nosync_tENS8_11use_defaultESE_EEEENSA_INSB_IlSD_SE_SE_EEEEZNS1_13binary_searchIS3_S5_NSA_INS8_10device_ptrIiEEEESG_SI_NS1_21upper_bound_search_opENS9_16wrapped_functionINS8_6system6detail7generic6detail18binary_search_lessEbEEEE10hipError_tPvRmT1_T2_T3_mmT4_T5_P12ihipStream_tbEUlRKiE_EESV_SZ_S10_mS11_S14_bEUlT_E_NS1_11comp_targetILNS1_3genE2ELNS1_11target_archE906ELNS1_3gpuE6ELNS1_3repE0EEENS1_30default_config_static_selectorELNS0_4arch9wavefront6targetE1EEEvSY_,comdat
	.protected	_ZN7rocprim17ROCPRIM_400000_NS6detail17trampoline_kernelINS0_14default_configENS1_27upper_bound_config_selectorIilEEZNS1_14transform_implILb0ES3_S5_N6thrust23THRUST_200600_302600_NS6detail15normal_iteratorINS8_7pointerIiNS8_11hip_rocprim12par_nosync_tENS8_11use_defaultESE_EEEENSA_INSB_IlSD_SE_SE_EEEEZNS1_13binary_searchIS3_S5_NSA_INS8_10device_ptrIiEEEESG_SI_NS1_21upper_bound_search_opENS9_16wrapped_functionINS8_6system6detail7generic6detail18binary_search_lessEbEEEE10hipError_tPvRmT1_T2_T3_mmT4_T5_P12ihipStream_tbEUlRKiE_EESV_SZ_S10_mS11_S14_bEUlT_E_NS1_11comp_targetILNS1_3genE2ELNS1_11target_archE906ELNS1_3gpuE6ELNS1_3repE0EEENS1_30default_config_static_selectorELNS0_4arch9wavefront6targetE1EEEvSY_ ; -- Begin function _ZN7rocprim17ROCPRIM_400000_NS6detail17trampoline_kernelINS0_14default_configENS1_27upper_bound_config_selectorIilEEZNS1_14transform_implILb0ES3_S5_N6thrust23THRUST_200600_302600_NS6detail15normal_iteratorINS8_7pointerIiNS8_11hip_rocprim12par_nosync_tENS8_11use_defaultESE_EEEENSA_INSB_IlSD_SE_SE_EEEEZNS1_13binary_searchIS3_S5_NSA_INS8_10device_ptrIiEEEESG_SI_NS1_21upper_bound_search_opENS9_16wrapped_functionINS8_6system6detail7generic6detail18binary_search_lessEbEEEE10hipError_tPvRmT1_T2_T3_mmT4_T5_P12ihipStream_tbEUlRKiE_EESV_SZ_S10_mS11_S14_bEUlT_E_NS1_11comp_targetILNS1_3genE2ELNS1_11target_archE906ELNS1_3gpuE6ELNS1_3repE0EEENS1_30default_config_static_selectorELNS0_4arch9wavefront6targetE1EEEvSY_
	.globl	_ZN7rocprim17ROCPRIM_400000_NS6detail17trampoline_kernelINS0_14default_configENS1_27upper_bound_config_selectorIilEEZNS1_14transform_implILb0ES3_S5_N6thrust23THRUST_200600_302600_NS6detail15normal_iteratorINS8_7pointerIiNS8_11hip_rocprim12par_nosync_tENS8_11use_defaultESE_EEEENSA_INSB_IlSD_SE_SE_EEEEZNS1_13binary_searchIS3_S5_NSA_INS8_10device_ptrIiEEEESG_SI_NS1_21upper_bound_search_opENS9_16wrapped_functionINS8_6system6detail7generic6detail18binary_search_lessEbEEEE10hipError_tPvRmT1_T2_T3_mmT4_T5_P12ihipStream_tbEUlRKiE_EESV_SZ_S10_mS11_S14_bEUlT_E_NS1_11comp_targetILNS1_3genE2ELNS1_11target_archE906ELNS1_3gpuE6ELNS1_3repE0EEENS1_30default_config_static_selectorELNS0_4arch9wavefront6targetE1EEEvSY_
	.p2align	8
	.type	_ZN7rocprim17ROCPRIM_400000_NS6detail17trampoline_kernelINS0_14default_configENS1_27upper_bound_config_selectorIilEEZNS1_14transform_implILb0ES3_S5_N6thrust23THRUST_200600_302600_NS6detail15normal_iteratorINS8_7pointerIiNS8_11hip_rocprim12par_nosync_tENS8_11use_defaultESE_EEEENSA_INSB_IlSD_SE_SE_EEEEZNS1_13binary_searchIS3_S5_NSA_INS8_10device_ptrIiEEEESG_SI_NS1_21upper_bound_search_opENS9_16wrapped_functionINS8_6system6detail7generic6detail18binary_search_lessEbEEEE10hipError_tPvRmT1_T2_T3_mmT4_T5_P12ihipStream_tbEUlRKiE_EESV_SZ_S10_mS11_S14_bEUlT_E_NS1_11comp_targetILNS1_3genE2ELNS1_11target_archE906ELNS1_3gpuE6ELNS1_3repE0EEENS1_30default_config_static_selectorELNS0_4arch9wavefront6targetE1EEEvSY_,@function
_ZN7rocprim17ROCPRIM_400000_NS6detail17trampoline_kernelINS0_14default_configENS1_27upper_bound_config_selectorIilEEZNS1_14transform_implILb0ES3_S5_N6thrust23THRUST_200600_302600_NS6detail15normal_iteratorINS8_7pointerIiNS8_11hip_rocprim12par_nosync_tENS8_11use_defaultESE_EEEENSA_INSB_IlSD_SE_SE_EEEEZNS1_13binary_searchIS3_S5_NSA_INS8_10device_ptrIiEEEESG_SI_NS1_21upper_bound_search_opENS9_16wrapped_functionINS8_6system6detail7generic6detail18binary_search_lessEbEEEE10hipError_tPvRmT1_T2_T3_mmT4_T5_P12ihipStream_tbEUlRKiE_EESV_SZ_S10_mS11_S14_bEUlT_E_NS1_11comp_targetILNS1_3genE2ELNS1_11target_archE906ELNS1_3gpuE6ELNS1_3repE0EEENS1_30default_config_static_selectorELNS0_4arch9wavefront6targetE1EEEvSY_: ; @_ZN7rocprim17ROCPRIM_400000_NS6detail17trampoline_kernelINS0_14default_configENS1_27upper_bound_config_selectorIilEEZNS1_14transform_implILb0ES3_S5_N6thrust23THRUST_200600_302600_NS6detail15normal_iteratorINS8_7pointerIiNS8_11hip_rocprim12par_nosync_tENS8_11use_defaultESE_EEEENSA_INSB_IlSD_SE_SE_EEEEZNS1_13binary_searchIS3_S5_NSA_INS8_10device_ptrIiEEEESG_SI_NS1_21upper_bound_search_opENS9_16wrapped_functionINS8_6system6detail7generic6detail18binary_search_lessEbEEEE10hipError_tPvRmT1_T2_T3_mmT4_T5_P12ihipStream_tbEUlRKiE_EESV_SZ_S10_mS11_S14_bEUlT_E_NS1_11comp_targetILNS1_3genE2ELNS1_11target_archE906ELNS1_3gpuE6ELNS1_3repE0EEENS1_30default_config_static_selectorELNS0_4arch9wavefront6targetE1EEEvSY_
; %bb.0:
	s_load_dwordx4 s[16:19], s[4:5], 0x0
	s_load_dwordx4 s[8:11], s[4:5], 0x18
	s_load_dwordx2 s[12:13], s[4:5], 0x28
	s_load_dword s15, s[4:5], 0x38
	s_waitcnt lgkmcnt(0)
	s_lshl_b64 s[0:1], s[18:19], 2
	s_add_u32 s2, s16, s0
	s_addc_u32 s3, s17, s1
	s_lshl_b64 s[0:1], s[18:19], 3
	s_add_u32 s7, s8, s0
	s_addc_u32 s14, s9, s1
	s_lshl_b32 s8, s6, 8
	s_add_i32 s15, s15, -1
	s_mov_b32 s9, 0
	s_cmp_lg_u32 s6, s15
	s_mov_b64 s[0:1], -1
	s_cbranch_scc0 .LBB576_7
; %bb.1:
	s_cmp_eq_u64 s[12:13], 0
	s_mov_b64 s[0:1], 0
	s_cbranch_scc1 .LBB576_5
; %bb.2:
	s_lshl_b64 s[16:17], s[8:9], 2
	s_add_u32 s6, s2, s16
	s_addc_u32 s15, s3, s17
	v_lshlrev_b32_e32 v1, 2, v0
	v_mov_b32_e32 v2, s15
	v_add_co_u32_e32 v1, vcc, s6, v1
	v_addc_co_u32_e32 v2, vcc, 0, v2, vcc
	flat_load_dword v5, v[1:2]
	v_mov_b32_e32 v1, 0
	v_mov_b32_e32 v3, s12
	;; [unrolled: 1-line block ×5, first 2 shown]
.LBB576_3:                              ; =>This Inner Loop Header: Depth=1
	v_sub_co_u32_e32 v7, vcc, v3, v1
	v_subb_co_u32_e32 v8, vcc, v4, v2, vcc
	v_lshrrev_b64 v[9:10], 1, v[7:8]
	v_lshrrev_b64 v[7:8], 6, v[7:8]
	v_add_co_u32_e32 v9, vcc, v9, v1
	v_addc_co_u32_e32 v10, vcc, v10, v2, vcc
	v_add_co_u32_e32 v7, vcc, v9, v7
	v_addc_co_u32_e32 v8, vcc, v10, v8, vcc
	v_lshlrev_b64 v[9:10], 2, v[7:8]
	v_add_co_u32_e32 v9, vcc, s10, v9
	v_addc_co_u32_e32 v10, vcc, v6, v10, vcc
	global_load_dword v9, v[9:10], off
	v_add_co_u32_e32 v10, vcc, 1, v7
	v_addc_co_u32_e32 v11, vcc, 0, v8, vcc
	s_waitcnt vmcnt(0) lgkmcnt(0)
	v_cmp_lt_i32_e32 vcc, v5, v9
	v_cndmask_b32_e32 v4, v4, v8, vcc
	v_cndmask_b32_e32 v3, v3, v7, vcc
	;; [unrolled: 1-line block ×4, first 2 shown]
	v_cmp_ge_u64_e32 vcc, v[1:2], v[3:4]
	s_or_b64 s[0:1], vcc, s[0:1]
	s_andn2_b64 exec, exec, s[0:1]
	s_cbranch_execnz .LBB576_3
; %bb.4:
	s_or_b64 exec, exec, s[0:1]
	s_branch .LBB576_6
.LBB576_5:
	v_mov_b32_e32 v1, 0
	v_mov_b32_e32 v2, 0
.LBB576_6:
	s_lshl_b64 s[0:1], s[8:9], 3
	s_add_u32 s0, s7, s0
	s_addc_u32 s1, s14, s1
	v_lshlrev_b32_e32 v3, 3, v0
	v_mov_b32_e32 v4, s1
	v_add_co_u32_e32 v3, vcc, s0, v3
	v_addc_co_u32_e32 v4, vcc, 0, v4, vcc
	s_mov_b64 s[0:1], 0
	flat_store_dwordx2 v[3:4], v[1:2]
.LBB576_7:
	s_and_b64 vcc, exec, s[0:1]
	s_cbranch_vccz .LBB576_16
; %bb.8:
	s_load_dword s0, s[4:5], 0x10
                                        ; implicit-def: $vgpr5
	s_waitcnt lgkmcnt(0)
	s_sub_i32 s4, s0, s8
	v_cmp_le_u32_e64 s[0:1], s4, v0
	v_cmp_gt_u32_e32 vcc, s4, v0
	s_and_saveexec_b64 s[4:5], vcc
	s_cbranch_execz .LBB576_10
; %bb.9:
	s_lshl_b64 s[16:17], s[8:9], 2
	s_add_u32 s2, s2, s16
	s_addc_u32 s3, s3, s17
	v_lshlrev_b32_e32 v1, 2, v0
	v_mov_b32_e32 v2, s3
	v_add_co_u32_e64 v1, s[2:3], s2, v1
	v_addc_co_u32_e64 v2, s[2:3], 0, v2, s[2:3]
	flat_load_dword v5, v[1:2]
.LBB576_10:
	s_or_b64 exec, exec, s[4:5]
	s_cmp_lg_u64 s[12:13], 0
	s_cselect_b64 s[4:5], -1, 0
	s_xor_b64 s[0:1], s[0:1], -1
	v_mov_b32_e32 v1, 0
	s_mov_b64 s[2:3], 0
	v_mov_b32_e32 v2, 0
	s_and_b64 s[0:1], s[0:1], s[4:5]
	s_and_saveexec_b64 s[4:5], s[0:1]
	s_cbranch_execz .LBB576_14
; %bb.11:
	v_mov_b32_e32 v1, 0
	v_mov_b32_e32 v3, s12
	v_mov_b32_e32 v2, 0
	v_mov_b32_e32 v4, s13
	v_mov_b32_e32 v6, s11
.LBB576_12:                             ; =>This Inner Loop Header: Depth=1
	v_sub_co_u32_e64 v7, s[0:1], v3, v1
	v_subb_co_u32_e64 v8, s[0:1], v4, v2, s[0:1]
	v_lshrrev_b64 v[9:10], 1, v[7:8]
	v_lshrrev_b64 v[7:8], 6, v[7:8]
	v_add_co_u32_e64 v9, s[0:1], v9, v1
	v_addc_co_u32_e64 v10, s[0:1], v10, v2, s[0:1]
	v_add_co_u32_e64 v7, s[0:1], v9, v7
	v_addc_co_u32_e64 v8, s[0:1], v10, v8, s[0:1]
	v_lshlrev_b64 v[9:10], 2, v[7:8]
	v_add_co_u32_e64 v9, s[0:1], s10, v9
	v_addc_co_u32_e64 v10, s[0:1], v6, v10, s[0:1]
	global_load_dword v9, v[9:10], off
	v_add_co_u32_e64 v10, s[0:1], 1, v7
	v_addc_co_u32_e64 v11, s[0:1], 0, v8, s[0:1]
	s_waitcnt vmcnt(0) lgkmcnt(0)
	v_cmp_lt_i32_e64 s[0:1], v5, v9
	v_cndmask_b32_e64 v4, v4, v8, s[0:1]
	v_cndmask_b32_e64 v3, v3, v7, s[0:1]
	;; [unrolled: 1-line block ×4, first 2 shown]
	v_cmp_ge_u64_e64 s[0:1], v[1:2], v[3:4]
	s_or_b64 s[2:3], s[0:1], s[2:3]
	s_andn2_b64 exec, exec, s[2:3]
	s_cbranch_execnz .LBB576_12
; %bb.13:
	s_or_b64 exec, exec, s[2:3]
.LBB576_14:
	s_or_b64 exec, exec, s[4:5]
	s_and_saveexec_b64 s[0:1], vcc
	s_cbranch_execz .LBB576_16
; %bb.15:
	s_lshl_b64 s[0:1], s[8:9], 3
	s_add_u32 s0, s7, s0
	s_addc_u32 s1, s14, s1
	v_lshlrev_b32_e32 v0, 3, v0
	v_mov_b32_e32 v4, s1
	v_add_co_u32_e32 v3, vcc, s0, v0
	v_addc_co_u32_e32 v4, vcc, 0, v4, vcc
	flat_store_dwordx2 v[3:4], v[1:2]
.LBB576_16:
	s_endpgm
	.section	.rodata,"a",@progbits
	.p2align	6, 0x0
	.amdhsa_kernel _ZN7rocprim17ROCPRIM_400000_NS6detail17trampoline_kernelINS0_14default_configENS1_27upper_bound_config_selectorIilEEZNS1_14transform_implILb0ES3_S5_N6thrust23THRUST_200600_302600_NS6detail15normal_iteratorINS8_7pointerIiNS8_11hip_rocprim12par_nosync_tENS8_11use_defaultESE_EEEENSA_INSB_IlSD_SE_SE_EEEEZNS1_13binary_searchIS3_S5_NSA_INS8_10device_ptrIiEEEESG_SI_NS1_21upper_bound_search_opENS9_16wrapped_functionINS8_6system6detail7generic6detail18binary_search_lessEbEEEE10hipError_tPvRmT1_T2_T3_mmT4_T5_P12ihipStream_tbEUlRKiE_EESV_SZ_S10_mS11_S14_bEUlT_E_NS1_11comp_targetILNS1_3genE2ELNS1_11target_archE906ELNS1_3gpuE6ELNS1_3repE0EEENS1_30default_config_static_selectorELNS0_4arch9wavefront6targetE1EEEvSY_
		.amdhsa_group_segment_fixed_size 0
		.amdhsa_private_segment_fixed_size 0
		.amdhsa_kernarg_size 312
		.amdhsa_user_sgpr_count 6
		.amdhsa_user_sgpr_private_segment_buffer 1
		.amdhsa_user_sgpr_dispatch_ptr 0
		.amdhsa_user_sgpr_queue_ptr 0
		.amdhsa_user_sgpr_kernarg_segment_ptr 1
		.amdhsa_user_sgpr_dispatch_id 0
		.amdhsa_user_sgpr_flat_scratch_init 0
		.amdhsa_user_sgpr_private_segment_size 0
		.amdhsa_uses_dynamic_stack 0
		.amdhsa_system_sgpr_private_segment_wavefront_offset 0
		.amdhsa_system_sgpr_workgroup_id_x 1
		.amdhsa_system_sgpr_workgroup_id_y 0
		.amdhsa_system_sgpr_workgroup_id_z 0
		.amdhsa_system_sgpr_workgroup_info 0
		.amdhsa_system_vgpr_workitem_id 0
		.amdhsa_next_free_vgpr 12
		.amdhsa_next_free_sgpr 20
		.amdhsa_reserve_vcc 1
		.amdhsa_reserve_flat_scratch 0
		.amdhsa_float_round_mode_32 0
		.amdhsa_float_round_mode_16_64 0
		.amdhsa_float_denorm_mode_32 3
		.amdhsa_float_denorm_mode_16_64 3
		.amdhsa_dx10_clamp 1
		.amdhsa_ieee_mode 1
		.amdhsa_fp16_overflow 0
		.amdhsa_exception_fp_ieee_invalid_op 0
		.amdhsa_exception_fp_denorm_src 0
		.amdhsa_exception_fp_ieee_div_zero 0
		.amdhsa_exception_fp_ieee_overflow 0
		.amdhsa_exception_fp_ieee_underflow 0
		.amdhsa_exception_fp_ieee_inexact 0
		.amdhsa_exception_int_div_zero 0
	.end_amdhsa_kernel
	.section	.text._ZN7rocprim17ROCPRIM_400000_NS6detail17trampoline_kernelINS0_14default_configENS1_27upper_bound_config_selectorIilEEZNS1_14transform_implILb0ES3_S5_N6thrust23THRUST_200600_302600_NS6detail15normal_iteratorINS8_7pointerIiNS8_11hip_rocprim12par_nosync_tENS8_11use_defaultESE_EEEENSA_INSB_IlSD_SE_SE_EEEEZNS1_13binary_searchIS3_S5_NSA_INS8_10device_ptrIiEEEESG_SI_NS1_21upper_bound_search_opENS9_16wrapped_functionINS8_6system6detail7generic6detail18binary_search_lessEbEEEE10hipError_tPvRmT1_T2_T3_mmT4_T5_P12ihipStream_tbEUlRKiE_EESV_SZ_S10_mS11_S14_bEUlT_E_NS1_11comp_targetILNS1_3genE2ELNS1_11target_archE906ELNS1_3gpuE6ELNS1_3repE0EEENS1_30default_config_static_selectorELNS0_4arch9wavefront6targetE1EEEvSY_,"axG",@progbits,_ZN7rocprim17ROCPRIM_400000_NS6detail17trampoline_kernelINS0_14default_configENS1_27upper_bound_config_selectorIilEEZNS1_14transform_implILb0ES3_S5_N6thrust23THRUST_200600_302600_NS6detail15normal_iteratorINS8_7pointerIiNS8_11hip_rocprim12par_nosync_tENS8_11use_defaultESE_EEEENSA_INSB_IlSD_SE_SE_EEEEZNS1_13binary_searchIS3_S5_NSA_INS8_10device_ptrIiEEEESG_SI_NS1_21upper_bound_search_opENS9_16wrapped_functionINS8_6system6detail7generic6detail18binary_search_lessEbEEEE10hipError_tPvRmT1_T2_T3_mmT4_T5_P12ihipStream_tbEUlRKiE_EESV_SZ_S10_mS11_S14_bEUlT_E_NS1_11comp_targetILNS1_3genE2ELNS1_11target_archE906ELNS1_3gpuE6ELNS1_3repE0EEENS1_30default_config_static_selectorELNS0_4arch9wavefront6targetE1EEEvSY_,comdat
.Lfunc_end576:
	.size	_ZN7rocprim17ROCPRIM_400000_NS6detail17trampoline_kernelINS0_14default_configENS1_27upper_bound_config_selectorIilEEZNS1_14transform_implILb0ES3_S5_N6thrust23THRUST_200600_302600_NS6detail15normal_iteratorINS8_7pointerIiNS8_11hip_rocprim12par_nosync_tENS8_11use_defaultESE_EEEENSA_INSB_IlSD_SE_SE_EEEEZNS1_13binary_searchIS3_S5_NSA_INS8_10device_ptrIiEEEESG_SI_NS1_21upper_bound_search_opENS9_16wrapped_functionINS8_6system6detail7generic6detail18binary_search_lessEbEEEE10hipError_tPvRmT1_T2_T3_mmT4_T5_P12ihipStream_tbEUlRKiE_EESV_SZ_S10_mS11_S14_bEUlT_E_NS1_11comp_targetILNS1_3genE2ELNS1_11target_archE906ELNS1_3gpuE6ELNS1_3repE0EEENS1_30default_config_static_selectorELNS0_4arch9wavefront6targetE1EEEvSY_, .Lfunc_end576-_ZN7rocprim17ROCPRIM_400000_NS6detail17trampoline_kernelINS0_14default_configENS1_27upper_bound_config_selectorIilEEZNS1_14transform_implILb0ES3_S5_N6thrust23THRUST_200600_302600_NS6detail15normal_iteratorINS8_7pointerIiNS8_11hip_rocprim12par_nosync_tENS8_11use_defaultESE_EEEENSA_INSB_IlSD_SE_SE_EEEEZNS1_13binary_searchIS3_S5_NSA_INS8_10device_ptrIiEEEESG_SI_NS1_21upper_bound_search_opENS9_16wrapped_functionINS8_6system6detail7generic6detail18binary_search_lessEbEEEE10hipError_tPvRmT1_T2_T3_mmT4_T5_P12ihipStream_tbEUlRKiE_EESV_SZ_S10_mS11_S14_bEUlT_E_NS1_11comp_targetILNS1_3genE2ELNS1_11target_archE906ELNS1_3gpuE6ELNS1_3repE0EEENS1_30default_config_static_selectorELNS0_4arch9wavefront6targetE1EEEvSY_
                                        ; -- End function
	.set _ZN7rocprim17ROCPRIM_400000_NS6detail17trampoline_kernelINS0_14default_configENS1_27upper_bound_config_selectorIilEEZNS1_14transform_implILb0ES3_S5_N6thrust23THRUST_200600_302600_NS6detail15normal_iteratorINS8_7pointerIiNS8_11hip_rocprim12par_nosync_tENS8_11use_defaultESE_EEEENSA_INSB_IlSD_SE_SE_EEEEZNS1_13binary_searchIS3_S5_NSA_INS8_10device_ptrIiEEEESG_SI_NS1_21upper_bound_search_opENS9_16wrapped_functionINS8_6system6detail7generic6detail18binary_search_lessEbEEEE10hipError_tPvRmT1_T2_T3_mmT4_T5_P12ihipStream_tbEUlRKiE_EESV_SZ_S10_mS11_S14_bEUlT_E_NS1_11comp_targetILNS1_3genE2ELNS1_11target_archE906ELNS1_3gpuE6ELNS1_3repE0EEENS1_30default_config_static_selectorELNS0_4arch9wavefront6targetE1EEEvSY_.num_vgpr, 12
	.set _ZN7rocprim17ROCPRIM_400000_NS6detail17trampoline_kernelINS0_14default_configENS1_27upper_bound_config_selectorIilEEZNS1_14transform_implILb0ES3_S5_N6thrust23THRUST_200600_302600_NS6detail15normal_iteratorINS8_7pointerIiNS8_11hip_rocprim12par_nosync_tENS8_11use_defaultESE_EEEENSA_INSB_IlSD_SE_SE_EEEEZNS1_13binary_searchIS3_S5_NSA_INS8_10device_ptrIiEEEESG_SI_NS1_21upper_bound_search_opENS9_16wrapped_functionINS8_6system6detail7generic6detail18binary_search_lessEbEEEE10hipError_tPvRmT1_T2_T3_mmT4_T5_P12ihipStream_tbEUlRKiE_EESV_SZ_S10_mS11_S14_bEUlT_E_NS1_11comp_targetILNS1_3genE2ELNS1_11target_archE906ELNS1_3gpuE6ELNS1_3repE0EEENS1_30default_config_static_selectorELNS0_4arch9wavefront6targetE1EEEvSY_.num_agpr, 0
	.set _ZN7rocprim17ROCPRIM_400000_NS6detail17trampoline_kernelINS0_14default_configENS1_27upper_bound_config_selectorIilEEZNS1_14transform_implILb0ES3_S5_N6thrust23THRUST_200600_302600_NS6detail15normal_iteratorINS8_7pointerIiNS8_11hip_rocprim12par_nosync_tENS8_11use_defaultESE_EEEENSA_INSB_IlSD_SE_SE_EEEEZNS1_13binary_searchIS3_S5_NSA_INS8_10device_ptrIiEEEESG_SI_NS1_21upper_bound_search_opENS9_16wrapped_functionINS8_6system6detail7generic6detail18binary_search_lessEbEEEE10hipError_tPvRmT1_T2_T3_mmT4_T5_P12ihipStream_tbEUlRKiE_EESV_SZ_S10_mS11_S14_bEUlT_E_NS1_11comp_targetILNS1_3genE2ELNS1_11target_archE906ELNS1_3gpuE6ELNS1_3repE0EEENS1_30default_config_static_selectorELNS0_4arch9wavefront6targetE1EEEvSY_.numbered_sgpr, 20
	.set _ZN7rocprim17ROCPRIM_400000_NS6detail17trampoline_kernelINS0_14default_configENS1_27upper_bound_config_selectorIilEEZNS1_14transform_implILb0ES3_S5_N6thrust23THRUST_200600_302600_NS6detail15normal_iteratorINS8_7pointerIiNS8_11hip_rocprim12par_nosync_tENS8_11use_defaultESE_EEEENSA_INSB_IlSD_SE_SE_EEEEZNS1_13binary_searchIS3_S5_NSA_INS8_10device_ptrIiEEEESG_SI_NS1_21upper_bound_search_opENS9_16wrapped_functionINS8_6system6detail7generic6detail18binary_search_lessEbEEEE10hipError_tPvRmT1_T2_T3_mmT4_T5_P12ihipStream_tbEUlRKiE_EESV_SZ_S10_mS11_S14_bEUlT_E_NS1_11comp_targetILNS1_3genE2ELNS1_11target_archE906ELNS1_3gpuE6ELNS1_3repE0EEENS1_30default_config_static_selectorELNS0_4arch9wavefront6targetE1EEEvSY_.num_named_barrier, 0
	.set _ZN7rocprim17ROCPRIM_400000_NS6detail17trampoline_kernelINS0_14default_configENS1_27upper_bound_config_selectorIilEEZNS1_14transform_implILb0ES3_S5_N6thrust23THRUST_200600_302600_NS6detail15normal_iteratorINS8_7pointerIiNS8_11hip_rocprim12par_nosync_tENS8_11use_defaultESE_EEEENSA_INSB_IlSD_SE_SE_EEEEZNS1_13binary_searchIS3_S5_NSA_INS8_10device_ptrIiEEEESG_SI_NS1_21upper_bound_search_opENS9_16wrapped_functionINS8_6system6detail7generic6detail18binary_search_lessEbEEEE10hipError_tPvRmT1_T2_T3_mmT4_T5_P12ihipStream_tbEUlRKiE_EESV_SZ_S10_mS11_S14_bEUlT_E_NS1_11comp_targetILNS1_3genE2ELNS1_11target_archE906ELNS1_3gpuE6ELNS1_3repE0EEENS1_30default_config_static_selectorELNS0_4arch9wavefront6targetE1EEEvSY_.private_seg_size, 0
	.set _ZN7rocprim17ROCPRIM_400000_NS6detail17trampoline_kernelINS0_14default_configENS1_27upper_bound_config_selectorIilEEZNS1_14transform_implILb0ES3_S5_N6thrust23THRUST_200600_302600_NS6detail15normal_iteratorINS8_7pointerIiNS8_11hip_rocprim12par_nosync_tENS8_11use_defaultESE_EEEENSA_INSB_IlSD_SE_SE_EEEEZNS1_13binary_searchIS3_S5_NSA_INS8_10device_ptrIiEEEESG_SI_NS1_21upper_bound_search_opENS9_16wrapped_functionINS8_6system6detail7generic6detail18binary_search_lessEbEEEE10hipError_tPvRmT1_T2_T3_mmT4_T5_P12ihipStream_tbEUlRKiE_EESV_SZ_S10_mS11_S14_bEUlT_E_NS1_11comp_targetILNS1_3genE2ELNS1_11target_archE906ELNS1_3gpuE6ELNS1_3repE0EEENS1_30default_config_static_selectorELNS0_4arch9wavefront6targetE1EEEvSY_.uses_vcc, 1
	.set _ZN7rocprim17ROCPRIM_400000_NS6detail17trampoline_kernelINS0_14default_configENS1_27upper_bound_config_selectorIilEEZNS1_14transform_implILb0ES3_S5_N6thrust23THRUST_200600_302600_NS6detail15normal_iteratorINS8_7pointerIiNS8_11hip_rocprim12par_nosync_tENS8_11use_defaultESE_EEEENSA_INSB_IlSD_SE_SE_EEEEZNS1_13binary_searchIS3_S5_NSA_INS8_10device_ptrIiEEEESG_SI_NS1_21upper_bound_search_opENS9_16wrapped_functionINS8_6system6detail7generic6detail18binary_search_lessEbEEEE10hipError_tPvRmT1_T2_T3_mmT4_T5_P12ihipStream_tbEUlRKiE_EESV_SZ_S10_mS11_S14_bEUlT_E_NS1_11comp_targetILNS1_3genE2ELNS1_11target_archE906ELNS1_3gpuE6ELNS1_3repE0EEENS1_30default_config_static_selectorELNS0_4arch9wavefront6targetE1EEEvSY_.uses_flat_scratch, 0
	.set _ZN7rocprim17ROCPRIM_400000_NS6detail17trampoline_kernelINS0_14default_configENS1_27upper_bound_config_selectorIilEEZNS1_14transform_implILb0ES3_S5_N6thrust23THRUST_200600_302600_NS6detail15normal_iteratorINS8_7pointerIiNS8_11hip_rocprim12par_nosync_tENS8_11use_defaultESE_EEEENSA_INSB_IlSD_SE_SE_EEEEZNS1_13binary_searchIS3_S5_NSA_INS8_10device_ptrIiEEEESG_SI_NS1_21upper_bound_search_opENS9_16wrapped_functionINS8_6system6detail7generic6detail18binary_search_lessEbEEEE10hipError_tPvRmT1_T2_T3_mmT4_T5_P12ihipStream_tbEUlRKiE_EESV_SZ_S10_mS11_S14_bEUlT_E_NS1_11comp_targetILNS1_3genE2ELNS1_11target_archE906ELNS1_3gpuE6ELNS1_3repE0EEENS1_30default_config_static_selectorELNS0_4arch9wavefront6targetE1EEEvSY_.has_dyn_sized_stack, 0
	.set _ZN7rocprim17ROCPRIM_400000_NS6detail17trampoline_kernelINS0_14default_configENS1_27upper_bound_config_selectorIilEEZNS1_14transform_implILb0ES3_S5_N6thrust23THRUST_200600_302600_NS6detail15normal_iteratorINS8_7pointerIiNS8_11hip_rocprim12par_nosync_tENS8_11use_defaultESE_EEEENSA_INSB_IlSD_SE_SE_EEEEZNS1_13binary_searchIS3_S5_NSA_INS8_10device_ptrIiEEEESG_SI_NS1_21upper_bound_search_opENS9_16wrapped_functionINS8_6system6detail7generic6detail18binary_search_lessEbEEEE10hipError_tPvRmT1_T2_T3_mmT4_T5_P12ihipStream_tbEUlRKiE_EESV_SZ_S10_mS11_S14_bEUlT_E_NS1_11comp_targetILNS1_3genE2ELNS1_11target_archE906ELNS1_3gpuE6ELNS1_3repE0EEENS1_30default_config_static_selectorELNS0_4arch9wavefront6targetE1EEEvSY_.has_recursion, 0
	.set _ZN7rocprim17ROCPRIM_400000_NS6detail17trampoline_kernelINS0_14default_configENS1_27upper_bound_config_selectorIilEEZNS1_14transform_implILb0ES3_S5_N6thrust23THRUST_200600_302600_NS6detail15normal_iteratorINS8_7pointerIiNS8_11hip_rocprim12par_nosync_tENS8_11use_defaultESE_EEEENSA_INSB_IlSD_SE_SE_EEEEZNS1_13binary_searchIS3_S5_NSA_INS8_10device_ptrIiEEEESG_SI_NS1_21upper_bound_search_opENS9_16wrapped_functionINS8_6system6detail7generic6detail18binary_search_lessEbEEEE10hipError_tPvRmT1_T2_T3_mmT4_T5_P12ihipStream_tbEUlRKiE_EESV_SZ_S10_mS11_S14_bEUlT_E_NS1_11comp_targetILNS1_3genE2ELNS1_11target_archE906ELNS1_3gpuE6ELNS1_3repE0EEENS1_30default_config_static_selectorELNS0_4arch9wavefront6targetE1EEEvSY_.has_indirect_call, 0
	.section	.AMDGPU.csdata,"",@progbits
; Kernel info:
; codeLenInByte = 700
; TotalNumSgprs: 24
; NumVgprs: 12
; ScratchSize: 0
; MemoryBound: 0
; FloatMode: 240
; IeeeMode: 1
; LDSByteSize: 0 bytes/workgroup (compile time only)
; SGPRBlocks: 2
; VGPRBlocks: 2
; NumSGPRsForWavesPerEU: 24
; NumVGPRsForWavesPerEU: 12
; Occupancy: 10
; WaveLimiterHint : 0
; COMPUTE_PGM_RSRC2:SCRATCH_EN: 0
; COMPUTE_PGM_RSRC2:USER_SGPR: 6
; COMPUTE_PGM_RSRC2:TRAP_HANDLER: 0
; COMPUTE_PGM_RSRC2:TGID_X_EN: 1
; COMPUTE_PGM_RSRC2:TGID_Y_EN: 0
; COMPUTE_PGM_RSRC2:TGID_Z_EN: 0
; COMPUTE_PGM_RSRC2:TIDIG_COMP_CNT: 0
	.section	.text._ZN7rocprim17ROCPRIM_400000_NS6detail17trampoline_kernelINS0_14default_configENS1_27upper_bound_config_selectorIilEEZNS1_14transform_implILb0ES3_S5_N6thrust23THRUST_200600_302600_NS6detail15normal_iteratorINS8_7pointerIiNS8_11hip_rocprim12par_nosync_tENS8_11use_defaultESE_EEEENSA_INSB_IlSD_SE_SE_EEEEZNS1_13binary_searchIS3_S5_NSA_INS8_10device_ptrIiEEEESG_SI_NS1_21upper_bound_search_opENS9_16wrapped_functionINS8_6system6detail7generic6detail18binary_search_lessEbEEEE10hipError_tPvRmT1_T2_T3_mmT4_T5_P12ihipStream_tbEUlRKiE_EESV_SZ_S10_mS11_S14_bEUlT_E_NS1_11comp_targetILNS1_3genE10ELNS1_11target_archE1201ELNS1_3gpuE5ELNS1_3repE0EEENS1_30default_config_static_selectorELNS0_4arch9wavefront6targetE1EEEvSY_,"axG",@progbits,_ZN7rocprim17ROCPRIM_400000_NS6detail17trampoline_kernelINS0_14default_configENS1_27upper_bound_config_selectorIilEEZNS1_14transform_implILb0ES3_S5_N6thrust23THRUST_200600_302600_NS6detail15normal_iteratorINS8_7pointerIiNS8_11hip_rocprim12par_nosync_tENS8_11use_defaultESE_EEEENSA_INSB_IlSD_SE_SE_EEEEZNS1_13binary_searchIS3_S5_NSA_INS8_10device_ptrIiEEEESG_SI_NS1_21upper_bound_search_opENS9_16wrapped_functionINS8_6system6detail7generic6detail18binary_search_lessEbEEEE10hipError_tPvRmT1_T2_T3_mmT4_T5_P12ihipStream_tbEUlRKiE_EESV_SZ_S10_mS11_S14_bEUlT_E_NS1_11comp_targetILNS1_3genE10ELNS1_11target_archE1201ELNS1_3gpuE5ELNS1_3repE0EEENS1_30default_config_static_selectorELNS0_4arch9wavefront6targetE1EEEvSY_,comdat
	.protected	_ZN7rocprim17ROCPRIM_400000_NS6detail17trampoline_kernelINS0_14default_configENS1_27upper_bound_config_selectorIilEEZNS1_14transform_implILb0ES3_S5_N6thrust23THRUST_200600_302600_NS6detail15normal_iteratorINS8_7pointerIiNS8_11hip_rocprim12par_nosync_tENS8_11use_defaultESE_EEEENSA_INSB_IlSD_SE_SE_EEEEZNS1_13binary_searchIS3_S5_NSA_INS8_10device_ptrIiEEEESG_SI_NS1_21upper_bound_search_opENS9_16wrapped_functionINS8_6system6detail7generic6detail18binary_search_lessEbEEEE10hipError_tPvRmT1_T2_T3_mmT4_T5_P12ihipStream_tbEUlRKiE_EESV_SZ_S10_mS11_S14_bEUlT_E_NS1_11comp_targetILNS1_3genE10ELNS1_11target_archE1201ELNS1_3gpuE5ELNS1_3repE0EEENS1_30default_config_static_selectorELNS0_4arch9wavefront6targetE1EEEvSY_ ; -- Begin function _ZN7rocprim17ROCPRIM_400000_NS6detail17trampoline_kernelINS0_14default_configENS1_27upper_bound_config_selectorIilEEZNS1_14transform_implILb0ES3_S5_N6thrust23THRUST_200600_302600_NS6detail15normal_iteratorINS8_7pointerIiNS8_11hip_rocprim12par_nosync_tENS8_11use_defaultESE_EEEENSA_INSB_IlSD_SE_SE_EEEEZNS1_13binary_searchIS3_S5_NSA_INS8_10device_ptrIiEEEESG_SI_NS1_21upper_bound_search_opENS9_16wrapped_functionINS8_6system6detail7generic6detail18binary_search_lessEbEEEE10hipError_tPvRmT1_T2_T3_mmT4_T5_P12ihipStream_tbEUlRKiE_EESV_SZ_S10_mS11_S14_bEUlT_E_NS1_11comp_targetILNS1_3genE10ELNS1_11target_archE1201ELNS1_3gpuE5ELNS1_3repE0EEENS1_30default_config_static_selectorELNS0_4arch9wavefront6targetE1EEEvSY_
	.globl	_ZN7rocprim17ROCPRIM_400000_NS6detail17trampoline_kernelINS0_14default_configENS1_27upper_bound_config_selectorIilEEZNS1_14transform_implILb0ES3_S5_N6thrust23THRUST_200600_302600_NS6detail15normal_iteratorINS8_7pointerIiNS8_11hip_rocprim12par_nosync_tENS8_11use_defaultESE_EEEENSA_INSB_IlSD_SE_SE_EEEEZNS1_13binary_searchIS3_S5_NSA_INS8_10device_ptrIiEEEESG_SI_NS1_21upper_bound_search_opENS9_16wrapped_functionINS8_6system6detail7generic6detail18binary_search_lessEbEEEE10hipError_tPvRmT1_T2_T3_mmT4_T5_P12ihipStream_tbEUlRKiE_EESV_SZ_S10_mS11_S14_bEUlT_E_NS1_11comp_targetILNS1_3genE10ELNS1_11target_archE1201ELNS1_3gpuE5ELNS1_3repE0EEENS1_30default_config_static_selectorELNS0_4arch9wavefront6targetE1EEEvSY_
	.p2align	8
	.type	_ZN7rocprim17ROCPRIM_400000_NS6detail17trampoline_kernelINS0_14default_configENS1_27upper_bound_config_selectorIilEEZNS1_14transform_implILb0ES3_S5_N6thrust23THRUST_200600_302600_NS6detail15normal_iteratorINS8_7pointerIiNS8_11hip_rocprim12par_nosync_tENS8_11use_defaultESE_EEEENSA_INSB_IlSD_SE_SE_EEEEZNS1_13binary_searchIS3_S5_NSA_INS8_10device_ptrIiEEEESG_SI_NS1_21upper_bound_search_opENS9_16wrapped_functionINS8_6system6detail7generic6detail18binary_search_lessEbEEEE10hipError_tPvRmT1_T2_T3_mmT4_T5_P12ihipStream_tbEUlRKiE_EESV_SZ_S10_mS11_S14_bEUlT_E_NS1_11comp_targetILNS1_3genE10ELNS1_11target_archE1201ELNS1_3gpuE5ELNS1_3repE0EEENS1_30default_config_static_selectorELNS0_4arch9wavefront6targetE1EEEvSY_,@function
_ZN7rocprim17ROCPRIM_400000_NS6detail17trampoline_kernelINS0_14default_configENS1_27upper_bound_config_selectorIilEEZNS1_14transform_implILb0ES3_S5_N6thrust23THRUST_200600_302600_NS6detail15normal_iteratorINS8_7pointerIiNS8_11hip_rocprim12par_nosync_tENS8_11use_defaultESE_EEEENSA_INSB_IlSD_SE_SE_EEEEZNS1_13binary_searchIS3_S5_NSA_INS8_10device_ptrIiEEEESG_SI_NS1_21upper_bound_search_opENS9_16wrapped_functionINS8_6system6detail7generic6detail18binary_search_lessEbEEEE10hipError_tPvRmT1_T2_T3_mmT4_T5_P12ihipStream_tbEUlRKiE_EESV_SZ_S10_mS11_S14_bEUlT_E_NS1_11comp_targetILNS1_3genE10ELNS1_11target_archE1201ELNS1_3gpuE5ELNS1_3repE0EEENS1_30default_config_static_selectorELNS0_4arch9wavefront6targetE1EEEvSY_: ; @_ZN7rocprim17ROCPRIM_400000_NS6detail17trampoline_kernelINS0_14default_configENS1_27upper_bound_config_selectorIilEEZNS1_14transform_implILb0ES3_S5_N6thrust23THRUST_200600_302600_NS6detail15normal_iteratorINS8_7pointerIiNS8_11hip_rocprim12par_nosync_tENS8_11use_defaultESE_EEEENSA_INSB_IlSD_SE_SE_EEEEZNS1_13binary_searchIS3_S5_NSA_INS8_10device_ptrIiEEEESG_SI_NS1_21upper_bound_search_opENS9_16wrapped_functionINS8_6system6detail7generic6detail18binary_search_lessEbEEEE10hipError_tPvRmT1_T2_T3_mmT4_T5_P12ihipStream_tbEUlRKiE_EESV_SZ_S10_mS11_S14_bEUlT_E_NS1_11comp_targetILNS1_3genE10ELNS1_11target_archE1201ELNS1_3gpuE5ELNS1_3repE0EEENS1_30default_config_static_selectorELNS0_4arch9wavefront6targetE1EEEvSY_
; %bb.0:
	.section	.rodata,"a",@progbits
	.p2align	6, 0x0
	.amdhsa_kernel _ZN7rocprim17ROCPRIM_400000_NS6detail17trampoline_kernelINS0_14default_configENS1_27upper_bound_config_selectorIilEEZNS1_14transform_implILb0ES3_S5_N6thrust23THRUST_200600_302600_NS6detail15normal_iteratorINS8_7pointerIiNS8_11hip_rocprim12par_nosync_tENS8_11use_defaultESE_EEEENSA_INSB_IlSD_SE_SE_EEEEZNS1_13binary_searchIS3_S5_NSA_INS8_10device_ptrIiEEEESG_SI_NS1_21upper_bound_search_opENS9_16wrapped_functionINS8_6system6detail7generic6detail18binary_search_lessEbEEEE10hipError_tPvRmT1_T2_T3_mmT4_T5_P12ihipStream_tbEUlRKiE_EESV_SZ_S10_mS11_S14_bEUlT_E_NS1_11comp_targetILNS1_3genE10ELNS1_11target_archE1201ELNS1_3gpuE5ELNS1_3repE0EEENS1_30default_config_static_selectorELNS0_4arch9wavefront6targetE1EEEvSY_
		.amdhsa_group_segment_fixed_size 0
		.amdhsa_private_segment_fixed_size 0
		.amdhsa_kernarg_size 56
		.amdhsa_user_sgpr_count 6
		.amdhsa_user_sgpr_private_segment_buffer 1
		.amdhsa_user_sgpr_dispatch_ptr 0
		.amdhsa_user_sgpr_queue_ptr 0
		.amdhsa_user_sgpr_kernarg_segment_ptr 1
		.amdhsa_user_sgpr_dispatch_id 0
		.amdhsa_user_sgpr_flat_scratch_init 0
		.amdhsa_user_sgpr_private_segment_size 0
		.amdhsa_uses_dynamic_stack 0
		.amdhsa_system_sgpr_private_segment_wavefront_offset 0
		.amdhsa_system_sgpr_workgroup_id_x 1
		.amdhsa_system_sgpr_workgroup_id_y 0
		.amdhsa_system_sgpr_workgroup_id_z 0
		.amdhsa_system_sgpr_workgroup_info 0
		.amdhsa_system_vgpr_workitem_id 0
		.amdhsa_next_free_vgpr 1
		.amdhsa_next_free_sgpr 0
		.amdhsa_reserve_vcc 0
		.amdhsa_reserve_flat_scratch 0
		.amdhsa_float_round_mode_32 0
		.amdhsa_float_round_mode_16_64 0
		.amdhsa_float_denorm_mode_32 3
		.amdhsa_float_denorm_mode_16_64 3
		.amdhsa_dx10_clamp 1
		.amdhsa_ieee_mode 1
		.amdhsa_fp16_overflow 0
		.amdhsa_exception_fp_ieee_invalid_op 0
		.amdhsa_exception_fp_denorm_src 0
		.amdhsa_exception_fp_ieee_div_zero 0
		.amdhsa_exception_fp_ieee_overflow 0
		.amdhsa_exception_fp_ieee_underflow 0
		.amdhsa_exception_fp_ieee_inexact 0
		.amdhsa_exception_int_div_zero 0
	.end_amdhsa_kernel
	.section	.text._ZN7rocprim17ROCPRIM_400000_NS6detail17trampoline_kernelINS0_14default_configENS1_27upper_bound_config_selectorIilEEZNS1_14transform_implILb0ES3_S5_N6thrust23THRUST_200600_302600_NS6detail15normal_iteratorINS8_7pointerIiNS8_11hip_rocprim12par_nosync_tENS8_11use_defaultESE_EEEENSA_INSB_IlSD_SE_SE_EEEEZNS1_13binary_searchIS3_S5_NSA_INS8_10device_ptrIiEEEESG_SI_NS1_21upper_bound_search_opENS9_16wrapped_functionINS8_6system6detail7generic6detail18binary_search_lessEbEEEE10hipError_tPvRmT1_T2_T3_mmT4_T5_P12ihipStream_tbEUlRKiE_EESV_SZ_S10_mS11_S14_bEUlT_E_NS1_11comp_targetILNS1_3genE10ELNS1_11target_archE1201ELNS1_3gpuE5ELNS1_3repE0EEENS1_30default_config_static_selectorELNS0_4arch9wavefront6targetE1EEEvSY_,"axG",@progbits,_ZN7rocprim17ROCPRIM_400000_NS6detail17trampoline_kernelINS0_14default_configENS1_27upper_bound_config_selectorIilEEZNS1_14transform_implILb0ES3_S5_N6thrust23THRUST_200600_302600_NS6detail15normal_iteratorINS8_7pointerIiNS8_11hip_rocprim12par_nosync_tENS8_11use_defaultESE_EEEENSA_INSB_IlSD_SE_SE_EEEEZNS1_13binary_searchIS3_S5_NSA_INS8_10device_ptrIiEEEESG_SI_NS1_21upper_bound_search_opENS9_16wrapped_functionINS8_6system6detail7generic6detail18binary_search_lessEbEEEE10hipError_tPvRmT1_T2_T3_mmT4_T5_P12ihipStream_tbEUlRKiE_EESV_SZ_S10_mS11_S14_bEUlT_E_NS1_11comp_targetILNS1_3genE10ELNS1_11target_archE1201ELNS1_3gpuE5ELNS1_3repE0EEENS1_30default_config_static_selectorELNS0_4arch9wavefront6targetE1EEEvSY_,comdat
.Lfunc_end577:
	.size	_ZN7rocprim17ROCPRIM_400000_NS6detail17trampoline_kernelINS0_14default_configENS1_27upper_bound_config_selectorIilEEZNS1_14transform_implILb0ES3_S5_N6thrust23THRUST_200600_302600_NS6detail15normal_iteratorINS8_7pointerIiNS8_11hip_rocprim12par_nosync_tENS8_11use_defaultESE_EEEENSA_INSB_IlSD_SE_SE_EEEEZNS1_13binary_searchIS3_S5_NSA_INS8_10device_ptrIiEEEESG_SI_NS1_21upper_bound_search_opENS9_16wrapped_functionINS8_6system6detail7generic6detail18binary_search_lessEbEEEE10hipError_tPvRmT1_T2_T3_mmT4_T5_P12ihipStream_tbEUlRKiE_EESV_SZ_S10_mS11_S14_bEUlT_E_NS1_11comp_targetILNS1_3genE10ELNS1_11target_archE1201ELNS1_3gpuE5ELNS1_3repE0EEENS1_30default_config_static_selectorELNS0_4arch9wavefront6targetE1EEEvSY_, .Lfunc_end577-_ZN7rocprim17ROCPRIM_400000_NS6detail17trampoline_kernelINS0_14default_configENS1_27upper_bound_config_selectorIilEEZNS1_14transform_implILb0ES3_S5_N6thrust23THRUST_200600_302600_NS6detail15normal_iteratorINS8_7pointerIiNS8_11hip_rocprim12par_nosync_tENS8_11use_defaultESE_EEEENSA_INSB_IlSD_SE_SE_EEEEZNS1_13binary_searchIS3_S5_NSA_INS8_10device_ptrIiEEEESG_SI_NS1_21upper_bound_search_opENS9_16wrapped_functionINS8_6system6detail7generic6detail18binary_search_lessEbEEEE10hipError_tPvRmT1_T2_T3_mmT4_T5_P12ihipStream_tbEUlRKiE_EESV_SZ_S10_mS11_S14_bEUlT_E_NS1_11comp_targetILNS1_3genE10ELNS1_11target_archE1201ELNS1_3gpuE5ELNS1_3repE0EEENS1_30default_config_static_selectorELNS0_4arch9wavefront6targetE1EEEvSY_
                                        ; -- End function
	.set _ZN7rocprim17ROCPRIM_400000_NS6detail17trampoline_kernelINS0_14default_configENS1_27upper_bound_config_selectorIilEEZNS1_14transform_implILb0ES3_S5_N6thrust23THRUST_200600_302600_NS6detail15normal_iteratorINS8_7pointerIiNS8_11hip_rocprim12par_nosync_tENS8_11use_defaultESE_EEEENSA_INSB_IlSD_SE_SE_EEEEZNS1_13binary_searchIS3_S5_NSA_INS8_10device_ptrIiEEEESG_SI_NS1_21upper_bound_search_opENS9_16wrapped_functionINS8_6system6detail7generic6detail18binary_search_lessEbEEEE10hipError_tPvRmT1_T2_T3_mmT4_T5_P12ihipStream_tbEUlRKiE_EESV_SZ_S10_mS11_S14_bEUlT_E_NS1_11comp_targetILNS1_3genE10ELNS1_11target_archE1201ELNS1_3gpuE5ELNS1_3repE0EEENS1_30default_config_static_selectorELNS0_4arch9wavefront6targetE1EEEvSY_.num_vgpr, 0
	.set _ZN7rocprim17ROCPRIM_400000_NS6detail17trampoline_kernelINS0_14default_configENS1_27upper_bound_config_selectorIilEEZNS1_14transform_implILb0ES3_S5_N6thrust23THRUST_200600_302600_NS6detail15normal_iteratorINS8_7pointerIiNS8_11hip_rocprim12par_nosync_tENS8_11use_defaultESE_EEEENSA_INSB_IlSD_SE_SE_EEEEZNS1_13binary_searchIS3_S5_NSA_INS8_10device_ptrIiEEEESG_SI_NS1_21upper_bound_search_opENS9_16wrapped_functionINS8_6system6detail7generic6detail18binary_search_lessEbEEEE10hipError_tPvRmT1_T2_T3_mmT4_T5_P12ihipStream_tbEUlRKiE_EESV_SZ_S10_mS11_S14_bEUlT_E_NS1_11comp_targetILNS1_3genE10ELNS1_11target_archE1201ELNS1_3gpuE5ELNS1_3repE0EEENS1_30default_config_static_selectorELNS0_4arch9wavefront6targetE1EEEvSY_.num_agpr, 0
	.set _ZN7rocprim17ROCPRIM_400000_NS6detail17trampoline_kernelINS0_14default_configENS1_27upper_bound_config_selectorIilEEZNS1_14transform_implILb0ES3_S5_N6thrust23THRUST_200600_302600_NS6detail15normal_iteratorINS8_7pointerIiNS8_11hip_rocprim12par_nosync_tENS8_11use_defaultESE_EEEENSA_INSB_IlSD_SE_SE_EEEEZNS1_13binary_searchIS3_S5_NSA_INS8_10device_ptrIiEEEESG_SI_NS1_21upper_bound_search_opENS9_16wrapped_functionINS8_6system6detail7generic6detail18binary_search_lessEbEEEE10hipError_tPvRmT1_T2_T3_mmT4_T5_P12ihipStream_tbEUlRKiE_EESV_SZ_S10_mS11_S14_bEUlT_E_NS1_11comp_targetILNS1_3genE10ELNS1_11target_archE1201ELNS1_3gpuE5ELNS1_3repE0EEENS1_30default_config_static_selectorELNS0_4arch9wavefront6targetE1EEEvSY_.numbered_sgpr, 0
	.set _ZN7rocprim17ROCPRIM_400000_NS6detail17trampoline_kernelINS0_14default_configENS1_27upper_bound_config_selectorIilEEZNS1_14transform_implILb0ES3_S5_N6thrust23THRUST_200600_302600_NS6detail15normal_iteratorINS8_7pointerIiNS8_11hip_rocprim12par_nosync_tENS8_11use_defaultESE_EEEENSA_INSB_IlSD_SE_SE_EEEEZNS1_13binary_searchIS3_S5_NSA_INS8_10device_ptrIiEEEESG_SI_NS1_21upper_bound_search_opENS9_16wrapped_functionINS8_6system6detail7generic6detail18binary_search_lessEbEEEE10hipError_tPvRmT1_T2_T3_mmT4_T5_P12ihipStream_tbEUlRKiE_EESV_SZ_S10_mS11_S14_bEUlT_E_NS1_11comp_targetILNS1_3genE10ELNS1_11target_archE1201ELNS1_3gpuE5ELNS1_3repE0EEENS1_30default_config_static_selectorELNS0_4arch9wavefront6targetE1EEEvSY_.num_named_barrier, 0
	.set _ZN7rocprim17ROCPRIM_400000_NS6detail17trampoline_kernelINS0_14default_configENS1_27upper_bound_config_selectorIilEEZNS1_14transform_implILb0ES3_S5_N6thrust23THRUST_200600_302600_NS6detail15normal_iteratorINS8_7pointerIiNS8_11hip_rocprim12par_nosync_tENS8_11use_defaultESE_EEEENSA_INSB_IlSD_SE_SE_EEEEZNS1_13binary_searchIS3_S5_NSA_INS8_10device_ptrIiEEEESG_SI_NS1_21upper_bound_search_opENS9_16wrapped_functionINS8_6system6detail7generic6detail18binary_search_lessEbEEEE10hipError_tPvRmT1_T2_T3_mmT4_T5_P12ihipStream_tbEUlRKiE_EESV_SZ_S10_mS11_S14_bEUlT_E_NS1_11comp_targetILNS1_3genE10ELNS1_11target_archE1201ELNS1_3gpuE5ELNS1_3repE0EEENS1_30default_config_static_selectorELNS0_4arch9wavefront6targetE1EEEvSY_.private_seg_size, 0
	.set _ZN7rocprim17ROCPRIM_400000_NS6detail17trampoline_kernelINS0_14default_configENS1_27upper_bound_config_selectorIilEEZNS1_14transform_implILb0ES3_S5_N6thrust23THRUST_200600_302600_NS6detail15normal_iteratorINS8_7pointerIiNS8_11hip_rocprim12par_nosync_tENS8_11use_defaultESE_EEEENSA_INSB_IlSD_SE_SE_EEEEZNS1_13binary_searchIS3_S5_NSA_INS8_10device_ptrIiEEEESG_SI_NS1_21upper_bound_search_opENS9_16wrapped_functionINS8_6system6detail7generic6detail18binary_search_lessEbEEEE10hipError_tPvRmT1_T2_T3_mmT4_T5_P12ihipStream_tbEUlRKiE_EESV_SZ_S10_mS11_S14_bEUlT_E_NS1_11comp_targetILNS1_3genE10ELNS1_11target_archE1201ELNS1_3gpuE5ELNS1_3repE0EEENS1_30default_config_static_selectorELNS0_4arch9wavefront6targetE1EEEvSY_.uses_vcc, 0
	.set _ZN7rocprim17ROCPRIM_400000_NS6detail17trampoline_kernelINS0_14default_configENS1_27upper_bound_config_selectorIilEEZNS1_14transform_implILb0ES3_S5_N6thrust23THRUST_200600_302600_NS6detail15normal_iteratorINS8_7pointerIiNS8_11hip_rocprim12par_nosync_tENS8_11use_defaultESE_EEEENSA_INSB_IlSD_SE_SE_EEEEZNS1_13binary_searchIS3_S5_NSA_INS8_10device_ptrIiEEEESG_SI_NS1_21upper_bound_search_opENS9_16wrapped_functionINS8_6system6detail7generic6detail18binary_search_lessEbEEEE10hipError_tPvRmT1_T2_T3_mmT4_T5_P12ihipStream_tbEUlRKiE_EESV_SZ_S10_mS11_S14_bEUlT_E_NS1_11comp_targetILNS1_3genE10ELNS1_11target_archE1201ELNS1_3gpuE5ELNS1_3repE0EEENS1_30default_config_static_selectorELNS0_4arch9wavefront6targetE1EEEvSY_.uses_flat_scratch, 0
	.set _ZN7rocprim17ROCPRIM_400000_NS6detail17trampoline_kernelINS0_14default_configENS1_27upper_bound_config_selectorIilEEZNS1_14transform_implILb0ES3_S5_N6thrust23THRUST_200600_302600_NS6detail15normal_iteratorINS8_7pointerIiNS8_11hip_rocprim12par_nosync_tENS8_11use_defaultESE_EEEENSA_INSB_IlSD_SE_SE_EEEEZNS1_13binary_searchIS3_S5_NSA_INS8_10device_ptrIiEEEESG_SI_NS1_21upper_bound_search_opENS9_16wrapped_functionINS8_6system6detail7generic6detail18binary_search_lessEbEEEE10hipError_tPvRmT1_T2_T3_mmT4_T5_P12ihipStream_tbEUlRKiE_EESV_SZ_S10_mS11_S14_bEUlT_E_NS1_11comp_targetILNS1_3genE10ELNS1_11target_archE1201ELNS1_3gpuE5ELNS1_3repE0EEENS1_30default_config_static_selectorELNS0_4arch9wavefront6targetE1EEEvSY_.has_dyn_sized_stack, 0
	.set _ZN7rocprim17ROCPRIM_400000_NS6detail17trampoline_kernelINS0_14default_configENS1_27upper_bound_config_selectorIilEEZNS1_14transform_implILb0ES3_S5_N6thrust23THRUST_200600_302600_NS6detail15normal_iteratorINS8_7pointerIiNS8_11hip_rocprim12par_nosync_tENS8_11use_defaultESE_EEEENSA_INSB_IlSD_SE_SE_EEEEZNS1_13binary_searchIS3_S5_NSA_INS8_10device_ptrIiEEEESG_SI_NS1_21upper_bound_search_opENS9_16wrapped_functionINS8_6system6detail7generic6detail18binary_search_lessEbEEEE10hipError_tPvRmT1_T2_T3_mmT4_T5_P12ihipStream_tbEUlRKiE_EESV_SZ_S10_mS11_S14_bEUlT_E_NS1_11comp_targetILNS1_3genE10ELNS1_11target_archE1201ELNS1_3gpuE5ELNS1_3repE0EEENS1_30default_config_static_selectorELNS0_4arch9wavefront6targetE1EEEvSY_.has_recursion, 0
	.set _ZN7rocprim17ROCPRIM_400000_NS6detail17trampoline_kernelINS0_14default_configENS1_27upper_bound_config_selectorIilEEZNS1_14transform_implILb0ES3_S5_N6thrust23THRUST_200600_302600_NS6detail15normal_iteratorINS8_7pointerIiNS8_11hip_rocprim12par_nosync_tENS8_11use_defaultESE_EEEENSA_INSB_IlSD_SE_SE_EEEEZNS1_13binary_searchIS3_S5_NSA_INS8_10device_ptrIiEEEESG_SI_NS1_21upper_bound_search_opENS9_16wrapped_functionINS8_6system6detail7generic6detail18binary_search_lessEbEEEE10hipError_tPvRmT1_T2_T3_mmT4_T5_P12ihipStream_tbEUlRKiE_EESV_SZ_S10_mS11_S14_bEUlT_E_NS1_11comp_targetILNS1_3genE10ELNS1_11target_archE1201ELNS1_3gpuE5ELNS1_3repE0EEENS1_30default_config_static_selectorELNS0_4arch9wavefront6targetE1EEEvSY_.has_indirect_call, 0
	.section	.AMDGPU.csdata,"",@progbits
; Kernel info:
; codeLenInByte = 0
; TotalNumSgprs: 4
; NumVgprs: 0
; ScratchSize: 0
; MemoryBound: 0
; FloatMode: 240
; IeeeMode: 1
; LDSByteSize: 0 bytes/workgroup (compile time only)
; SGPRBlocks: 0
; VGPRBlocks: 0
; NumSGPRsForWavesPerEU: 4
; NumVGPRsForWavesPerEU: 1
; Occupancy: 10
; WaveLimiterHint : 0
; COMPUTE_PGM_RSRC2:SCRATCH_EN: 0
; COMPUTE_PGM_RSRC2:USER_SGPR: 6
; COMPUTE_PGM_RSRC2:TRAP_HANDLER: 0
; COMPUTE_PGM_RSRC2:TGID_X_EN: 1
; COMPUTE_PGM_RSRC2:TGID_Y_EN: 0
; COMPUTE_PGM_RSRC2:TGID_Z_EN: 0
; COMPUTE_PGM_RSRC2:TIDIG_COMP_CNT: 0
	.section	.text._ZN7rocprim17ROCPRIM_400000_NS6detail17trampoline_kernelINS0_14default_configENS1_27upper_bound_config_selectorIilEEZNS1_14transform_implILb0ES3_S5_N6thrust23THRUST_200600_302600_NS6detail15normal_iteratorINS8_7pointerIiNS8_11hip_rocprim12par_nosync_tENS8_11use_defaultESE_EEEENSA_INSB_IlSD_SE_SE_EEEEZNS1_13binary_searchIS3_S5_NSA_INS8_10device_ptrIiEEEESG_SI_NS1_21upper_bound_search_opENS9_16wrapped_functionINS8_6system6detail7generic6detail18binary_search_lessEbEEEE10hipError_tPvRmT1_T2_T3_mmT4_T5_P12ihipStream_tbEUlRKiE_EESV_SZ_S10_mS11_S14_bEUlT_E_NS1_11comp_targetILNS1_3genE10ELNS1_11target_archE1200ELNS1_3gpuE4ELNS1_3repE0EEENS1_30default_config_static_selectorELNS0_4arch9wavefront6targetE1EEEvSY_,"axG",@progbits,_ZN7rocprim17ROCPRIM_400000_NS6detail17trampoline_kernelINS0_14default_configENS1_27upper_bound_config_selectorIilEEZNS1_14transform_implILb0ES3_S5_N6thrust23THRUST_200600_302600_NS6detail15normal_iteratorINS8_7pointerIiNS8_11hip_rocprim12par_nosync_tENS8_11use_defaultESE_EEEENSA_INSB_IlSD_SE_SE_EEEEZNS1_13binary_searchIS3_S5_NSA_INS8_10device_ptrIiEEEESG_SI_NS1_21upper_bound_search_opENS9_16wrapped_functionINS8_6system6detail7generic6detail18binary_search_lessEbEEEE10hipError_tPvRmT1_T2_T3_mmT4_T5_P12ihipStream_tbEUlRKiE_EESV_SZ_S10_mS11_S14_bEUlT_E_NS1_11comp_targetILNS1_3genE10ELNS1_11target_archE1200ELNS1_3gpuE4ELNS1_3repE0EEENS1_30default_config_static_selectorELNS0_4arch9wavefront6targetE1EEEvSY_,comdat
	.protected	_ZN7rocprim17ROCPRIM_400000_NS6detail17trampoline_kernelINS0_14default_configENS1_27upper_bound_config_selectorIilEEZNS1_14transform_implILb0ES3_S5_N6thrust23THRUST_200600_302600_NS6detail15normal_iteratorINS8_7pointerIiNS8_11hip_rocprim12par_nosync_tENS8_11use_defaultESE_EEEENSA_INSB_IlSD_SE_SE_EEEEZNS1_13binary_searchIS3_S5_NSA_INS8_10device_ptrIiEEEESG_SI_NS1_21upper_bound_search_opENS9_16wrapped_functionINS8_6system6detail7generic6detail18binary_search_lessEbEEEE10hipError_tPvRmT1_T2_T3_mmT4_T5_P12ihipStream_tbEUlRKiE_EESV_SZ_S10_mS11_S14_bEUlT_E_NS1_11comp_targetILNS1_3genE10ELNS1_11target_archE1200ELNS1_3gpuE4ELNS1_3repE0EEENS1_30default_config_static_selectorELNS0_4arch9wavefront6targetE1EEEvSY_ ; -- Begin function _ZN7rocprim17ROCPRIM_400000_NS6detail17trampoline_kernelINS0_14default_configENS1_27upper_bound_config_selectorIilEEZNS1_14transform_implILb0ES3_S5_N6thrust23THRUST_200600_302600_NS6detail15normal_iteratorINS8_7pointerIiNS8_11hip_rocprim12par_nosync_tENS8_11use_defaultESE_EEEENSA_INSB_IlSD_SE_SE_EEEEZNS1_13binary_searchIS3_S5_NSA_INS8_10device_ptrIiEEEESG_SI_NS1_21upper_bound_search_opENS9_16wrapped_functionINS8_6system6detail7generic6detail18binary_search_lessEbEEEE10hipError_tPvRmT1_T2_T3_mmT4_T5_P12ihipStream_tbEUlRKiE_EESV_SZ_S10_mS11_S14_bEUlT_E_NS1_11comp_targetILNS1_3genE10ELNS1_11target_archE1200ELNS1_3gpuE4ELNS1_3repE0EEENS1_30default_config_static_selectorELNS0_4arch9wavefront6targetE1EEEvSY_
	.globl	_ZN7rocprim17ROCPRIM_400000_NS6detail17trampoline_kernelINS0_14default_configENS1_27upper_bound_config_selectorIilEEZNS1_14transform_implILb0ES3_S5_N6thrust23THRUST_200600_302600_NS6detail15normal_iteratorINS8_7pointerIiNS8_11hip_rocprim12par_nosync_tENS8_11use_defaultESE_EEEENSA_INSB_IlSD_SE_SE_EEEEZNS1_13binary_searchIS3_S5_NSA_INS8_10device_ptrIiEEEESG_SI_NS1_21upper_bound_search_opENS9_16wrapped_functionINS8_6system6detail7generic6detail18binary_search_lessEbEEEE10hipError_tPvRmT1_T2_T3_mmT4_T5_P12ihipStream_tbEUlRKiE_EESV_SZ_S10_mS11_S14_bEUlT_E_NS1_11comp_targetILNS1_3genE10ELNS1_11target_archE1200ELNS1_3gpuE4ELNS1_3repE0EEENS1_30default_config_static_selectorELNS0_4arch9wavefront6targetE1EEEvSY_
	.p2align	8
	.type	_ZN7rocprim17ROCPRIM_400000_NS6detail17trampoline_kernelINS0_14default_configENS1_27upper_bound_config_selectorIilEEZNS1_14transform_implILb0ES3_S5_N6thrust23THRUST_200600_302600_NS6detail15normal_iteratorINS8_7pointerIiNS8_11hip_rocprim12par_nosync_tENS8_11use_defaultESE_EEEENSA_INSB_IlSD_SE_SE_EEEEZNS1_13binary_searchIS3_S5_NSA_INS8_10device_ptrIiEEEESG_SI_NS1_21upper_bound_search_opENS9_16wrapped_functionINS8_6system6detail7generic6detail18binary_search_lessEbEEEE10hipError_tPvRmT1_T2_T3_mmT4_T5_P12ihipStream_tbEUlRKiE_EESV_SZ_S10_mS11_S14_bEUlT_E_NS1_11comp_targetILNS1_3genE10ELNS1_11target_archE1200ELNS1_3gpuE4ELNS1_3repE0EEENS1_30default_config_static_selectorELNS0_4arch9wavefront6targetE1EEEvSY_,@function
_ZN7rocprim17ROCPRIM_400000_NS6detail17trampoline_kernelINS0_14default_configENS1_27upper_bound_config_selectorIilEEZNS1_14transform_implILb0ES3_S5_N6thrust23THRUST_200600_302600_NS6detail15normal_iteratorINS8_7pointerIiNS8_11hip_rocprim12par_nosync_tENS8_11use_defaultESE_EEEENSA_INSB_IlSD_SE_SE_EEEEZNS1_13binary_searchIS3_S5_NSA_INS8_10device_ptrIiEEEESG_SI_NS1_21upper_bound_search_opENS9_16wrapped_functionINS8_6system6detail7generic6detail18binary_search_lessEbEEEE10hipError_tPvRmT1_T2_T3_mmT4_T5_P12ihipStream_tbEUlRKiE_EESV_SZ_S10_mS11_S14_bEUlT_E_NS1_11comp_targetILNS1_3genE10ELNS1_11target_archE1200ELNS1_3gpuE4ELNS1_3repE0EEENS1_30default_config_static_selectorELNS0_4arch9wavefront6targetE1EEEvSY_: ; @_ZN7rocprim17ROCPRIM_400000_NS6detail17trampoline_kernelINS0_14default_configENS1_27upper_bound_config_selectorIilEEZNS1_14transform_implILb0ES3_S5_N6thrust23THRUST_200600_302600_NS6detail15normal_iteratorINS8_7pointerIiNS8_11hip_rocprim12par_nosync_tENS8_11use_defaultESE_EEEENSA_INSB_IlSD_SE_SE_EEEEZNS1_13binary_searchIS3_S5_NSA_INS8_10device_ptrIiEEEESG_SI_NS1_21upper_bound_search_opENS9_16wrapped_functionINS8_6system6detail7generic6detail18binary_search_lessEbEEEE10hipError_tPvRmT1_T2_T3_mmT4_T5_P12ihipStream_tbEUlRKiE_EESV_SZ_S10_mS11_S14_bEUlT_E_NS1_11comp_targetILNS1_3genE10ELNS1_11target_archE1200ELNS1_3gpuE4ELNS1_3repE0EEENS1_30default_config_static_selectorELNS0_4arch9wavefront6targetE1EEEvSY_
; %bb.0:
	.section	.rodata,"a",@progbits
	.p2align	6, 0x0
	.amdhsa_kernel _ZN7rocprim17ROCPRIM_400000_NS6detail17trampoline_kernelINS0_14default_configENS1_27upper_bound_config_selectorIilEEZNS1_14transform_implILb0ES3_S5_N6thrust23THRUST_200600_302600_NS6detail15normal_iteratorINS8_7pointerIiNS8_11hip_rocprim12par_nosync_tENS8_11use_defaultESE_EEEENSA_INSB_IlSD_SE_SE_EEEEZNS1_13binary_searchIS3_S5_NSA_INS8_10device_ptrIiEEEESG_SI_NS1_21upper_bound_search_opENS9_16wrapped_functionINS8_6system6detail7generic6detail18binary_search_lessEbEEEE10hipError_tPvRmT1_T2_T3_mmT4_T5_P12ihipStream_tbEUlRKiE_EESV_SZ_S10_mS11_S14_bEUlT_E_NS1_11comp_targetILNS1_3genE10ELNS1_11target_archE1200ELNS1_3gpuE4ELNS1_3repE0EEENS1_30default_config_static_selectorELNS0_4arch9wavefront6targetE1EEEvSY_
		.amdhsa_group_segment_fixed_size 0
		.amdhsa_private_segment_fixed_size 0
		.amdhsa_kernarg_size 56
		.amdhsa_user_sgpr_count 6
		.amdhsa_user_sgpr_private_segment_buffer 1
		.amdhsa_user_sgpr_dispatch_ptr 0
		.amdhsa_user_sgpr_queue_ptr 0
		.amdhsa_user_sgpr_kernarg_segment_ptr 1
		.amdhsa_user_sgpr_dispatch_id 0
		.amdhsa_user_sgpr_flat_scratch_init 0
		.amdhsa_user_sgpr_private_segment_size 0
		.amdhsa_uses_dynamic_stack 0
		.amdhsa_system_sgpr_private_segment_wavefront_offset 0
		.amdhsa_system_sgpr_workgroup_id_x 1
		.amdhsa_system_sgpr_workgroup_id_y 0
		.amdhsa_system_sgpr_workgroup_id_z 0
		.amdhsa_system_sgpr_workgroup_info 0
		.amdhsa_system_vgpr_workitem_id 0
		.amdhsa_next_free_vgpr 1
		.amdhsa_next_free_sgpr 0
		.amdhsa_reserve_vcc 0
		.amdhsa_reserve_flat_scratch 0
		.amdhsa_float_round_mode_32 0
		.amdhsa_float_round_mode_16_64 0
		.amdhsa_float_denorm_mode_32 3
		.amdhsa_float_denorm_mode_16_64 3
		.amdhsa_dx10_clamp 1
		.amdhsa_ieee_mode 1
		.amdhsa_fp16_overflow 0
		.amdhsa_exception_fp_ieee_invalid_op 0
		.amdhsa_exception_fp_denorm_src 0
		.amdhsa_exception_fp_ieee_div_zero 0
		.amdhsa_exception_fp_ieee_overflow 0
		.amdhsa_exception_fp_ieee_underflow 0
		.amdhsa_exception_fp_ieee_inexact 0
		.amdhsa_exception_int_div_zero 0
	.end_amdhsa_kernel
	.section	.text._ZN7rocprim17ROCPRIM_400000_NS6detail17trampoline_kernelINS0_14default_configENS1_27upper_bound_config_selectorIilEEZNS1_14transform_implILb0ES3_S5_N6thrust23THRUST_200600_302600_NS6detail15normal_iteratorINS8_7pointerIiNS8_11hip_rocprim12par_nosync_tENS8_11use_defaultESE_EEEENSA_INSB_IlSD_SE_SE_EEEEZNS1_13binary_searchIS3_S5_NSA_INS8_10device_ptrIiEEEESG_SI_NS1_21upper_bound_search_opENS9_16wrapped_functionINS8_6system6detail7generic6detail18binary_search_lessEbEEEE10hipError_tPvRmT1_T2_T3_mmT4_T5_P12ihipStream_tbEUlRKiE_EESV_SZ_S10_mS11_S14_bEUlT_E_NS1_11comp_targetILNS1_3genE10ELNS1_11target_archE1200ELNS1_3gpuE4ELNS1_3repE0EEENS1_30default_config_static_selectorELNS0_4arch9wavefront6targetE1EEEvSY_,"axG",@progbits,_ZN7rocprim17ROCPRIM_400000_NS6detail17trampoline_kernelINS0_14default_configENS1_27upper_bound_config_selectorIilEEZNS1_14transform_implILb0ES3_S5_N6thrust23THRUST_200600_302600_NS6detail15normal_iteratorINS8_7pointerIiNS8_11hip_rocprim12par_nosync_tENS8_11use_defaultESE_EEEENSA_INSB_IlSD_SE_SE_EEEEZNS1_13binary_searchIS3_S5_NSA_INS8_10device_ptrIiEEEESG_SI_NS1_21upper_bound_search_opENS9_16wrapped_functionINS8_6system6detail7generic6detail18binary_search_lessEbEEEE10hipError_tPvRmT1_T2_T3_mmT4_T5_P12ihipStream_tbEUlRKiE_EESV_SZ_S10_mS11_S14_bEUlT_E_NS1_11comp_targetILNS1_3genE10ELNS1_11target_archE1200ELNS1_3gpuE4ELNS1_3repE0EEENS1_30default_config_static_selectorELNS0_4arch9wavefront6targetE1EEEvSY_,comdat
.Lfunc_end578:
	.size	_ZN7rocprim17ROCPRIM_400000_NS6detail17trampoline_kernelINS0_14default_configENS1_27upper_bound_config_selectorIilEEZNS1_14transform_implILb0ES3_S5_N6thrust23THRUST_200600_302600_NS6detail15normal_iteratorINS8_7pointerIiNS8_11hip_rocprim12par_nosync_tENS8_11use_defaultESE_EEEENSA_INSB_IlSD_SE_SE_EEEEZNS1_13binary_searchIS3_S5_NSA_INS8_10device_ptrIiEEEESG_SI_NS1_21upper_bound_search_opENS9_16wrapped_functionINS8_6system6detail7generic6detail18binary_search_lessEbEEEE10hipError_tPvRmT1_T2_T3_mmT4_T5_P12ihipStream_tbEUlRKiE_EESV_SZ_S10_mS11_S14_bEUlT_E_NS1_11comp_targetILNS1_3genE10ELNS1_11target_archE1200ELNS1_3gpuE4ELNS1_3repE0EEENS1_30default_config_static_selectorELNS0_4arch9wavefront6targetE1EEEvSY_, .Lfunc_end578-_ZN7rocprim17ROCPRIM_400000_NS6detail17trampoline_kernelINS0_14default_configENS1_27upper_bound_config_selectorIilEEZNS1_14transform_implILb0ES3_S5_N6thrust23THRUST_200600_302600_NS6detail15normal_iteratorINS8_7pointerIiNS8_11hip_rocprim12par_nosync_tENS8_11use_defaultESE_EEEENSA_INSB_IlSD_SE_SE_EEEEZNS1_13binary_searchIS3_S5_NSA_INS8_10device_ptrIiEEEESG_SI_NS1_21upper_bound_search_opENS9_16wrapped_functionINS8_6system6detail7generic6detail18binary_search_lessEbEEEE10hipError_tPvRmT1_T2_T3_mmT4_T5_P12ihipStream_tbEUlRKiE_EESV_SZ_S10_mS11_S14_bEUlT_E_NS1_11comp_targetILNS1_3genE10ELNS1_11target_archE1200ELNS1_3gpuE4ELNS1_3repE0EEENS1_30default_config_static_selectorELNS0_4arch9wavefront6targetE1EEEvSY_
                                        ; -- End function
	.set _ZN7rocprim17ROCPRIM_400000_NS6detail17trampoline_kernelINS0_14default_configENS1_27upper_bound_config_selectorIilEEZNS1_14transform_implILb0ES3_S5_N6thrust23THRUST_200600_302600_NS6detail15normal_iteratorINS8_7pointerIiNS8_11hip_rocprim12par_nosync_tENS8_11use_defaultESE_EEEENSA_INSB_IlSD_SE_SE_EEEEZNS1_13binary_searchIS3_S5_NSA_INS8_10device_ptrIiEEEESG_SI_NS1_21upper_bound_search_opENS9_16wrapped_functionINS8_6system6detail7generic6detail18binary_search_lessEbEEEE10hipError_tPvRmT1_T2_T3_mmT4_T5_P12ihipStream_tbEUlRKiE_EESV_SZ_S10_mS11_S14_bEUlT_E_NS1_11comp_targetILNS1_3genE10ELNS1_11target_archE1200ELNS1_3gpuE4ELNS1_3repE0EEENS1_30default_config_static_selectorELNS0_4arch9wavefront6targetE1EEEvSY_.num_vgpr, 0
	.set _ZN7rocprim17ROCPRIM_400000_NS6detail17trampoline_kernelINS0_14default_configENS1_27upper_bound_config_selectorIilEEZNS1_14transform_implILb0ES3_S5_N6thrust23THRUST_200600_302600_NS6detail15normal_iteratorINS8_7pointerIiNS8_11hip_rocprim12par_nosync_tENS8_11use_defaultESE_EEEENSA_INSB_IlSD_SE_SE_EEEEZNS1_13binary_searchIS3_S5_NSA_INS8_10device_ptrIiEEEESG_SI_NS1_21upper_bound_search_opENS9_16wrapped_functionINS8_6system6detail7generic6detail18binary_search_lessEbEEEE10hipError_tPvRmT1_T2_T3_mmT4_T5_P12ihipStream_tbEUlRKiE_EESV_SZ_S10_mS11_S14_bEUlT_E_NS1_11comp_targetILNS1_3genE10ELNS1_11target_archE1200ELNS1_3gpuE4ELNS1_3repE0EEENS1_30default_config_static_selectorELNS0_4arch9wavefront6targetE1EEEvSY_.num_agpr, 0
	.set _ZN7rocprim17ROCPRIM_400000_NS6detail17trampoline_kernelINS0_14default_configENS1_27upper_bound_config_selectorIilEEZNS1_14transform_implILb0ES3_S5_N6thrust23THRUST_200600_302600_NS6detail15normal_iteratorINS8_7pointerIiNS8_11hip_rocprim12par_nosync_tENS8_11use_defaultESE_EEEENSA_INSB_IlSD_SE_SE_EEEEZNS1_13binary_searchIS3_S5_NSA_INS8_10device_ptrIiEEEESG_SI_NS1_21upper_bound_search_opENS9_16wrapped_functionINS8_6system6detail7generic6detail18binary_search_lessEbEEEE10hipError_tPvRmT1_T2_T3_mmT4_T5_P12ihipStream_tbEUlRKiE_EESV_SZ_S10_mS11_S14_bEUlT_E_NS1_11comp_targetILNS1_3genE10ELNS1_11target_archE1200ELNS1_3gpuE4ELNS1_3repE0EEENS1_30default_config_static_selectorELNS0_4arch9wavefront6targetE1EEEvSY_.numbered_sgpr, 0
	.set _ZN7rocprim17ROCPRIM_400000_NS6detail17trampoline_kernelINS0_14default_configENS1_27upper_bound_config_selectorIilEEZNS1_14transform_implILb0ES3_S5_N6thrust23THRUST_200600_302600_NS6detail15normal_iteratorINS8_7pointerIiNS8_11hip_rocprim12par_nosync_tENS8_11use_defaultESE_EEEENSA_INSB_IlSD_SE_SE_EEEEZNS1_13binary_searchIS3_S5_NSA_INS8_10device_ptrIiEEEESG_SI_NS1_21upper_bound_search_opENS9_16wrapped_functionINS8_6system6detail7generic6detail18binary_search_lessEbEEEE10hipError_tPvRmT1_T2_T3_mmT4_T5_P12ihipStream_tbEUlRKiE_EESV_SZ_S10_mS11_S14_bEUlT_E_NS1_11comp_targetILNS1_3genE10ELNS1_11target_archE1200ELNS1_3gpuE4ELNS1_3repE0EEENS1_30default_config_static_selectorELNS0_4arch9wavefront6targetE1EEEvSY_.num_named_barrier, 0
	.set _ZN7rocprim17ROCPRIM_400000_NS6detail17trampoline_kernelINS0_14default_configENS1_27upper_bound_config_selectorIilEEZNS1_14transform_implILb0ES3_S5_N6thrust23THRUST_200600_302600_NS6detail15normal_iteratorINS8_7pointerIiNS8_11hip_rocprim12par_nosync_tENS8_11use_defaultESE_EEEENSA_INSB_IlSD_SE_SE_EEEEZNS1_13binary_searchIS3_S5_NSA_INS8_10device_ptrIiEEEESG_SI_NS1_21upper_bound_search_opENS9_16wrapped_functionINS8_6system6detail7generic6detail18binary_search_lessEbEEEE10hipError_tPvRmT1_T2_T3_mmT4_T5_P12ihipStream_tbEUlRKiE_EESV_SZ_S10_mS11_S14_bEUlT_E_NS1_11comp_targetILNS1_3genE10ELNS1_11target_archE1200ELNS1_3gpuE4ELNS1_3repE0EEENS1_30default_config_static_selectorELNS0_4arch9wavefront6targetE1EEEvSY_.private_seg_size, 0
	.set _ZN7rocprim17ROCPRIM_400000_NS6detail17trampoline_kernelINS0_14default_configENS1_27upper_bound_config_selectorIilEEZNS1_14transform_implILb0ES3_S5_N6thrust23THRUST_200600_302600_NS6detail15normal_iteratorINS8_7pointerIiNS8_11hip_rocprim12par_nosync_tENS8_11use_defaultESE_EEEENSA_INSB_IlSD_SE_SE_EEEEZNS1_13binary_searchIS3_S5_NSA_INS8_10device_ptrIiEEEESG_SI_NS1_21upper_bound_search_opENS9_16wrapped_functionINS8_6system6detail7generic6detail18binary_search_lessEbEEEE10hipError_tPvRmT1_T2_T3_mmT4_T5_P12ihipStream_tbEUlRKiE_EESV_SZ_S10_mS11_S14_bEUlT_E_NS1_11comp_targetILNS1_3genE10ELNS1_11target_archE1200ELNS1_3gpuE4ELNS1_3repE0EEENS1_30default_config_static_selectorELNS0_4arch9wavefront6targetE1EEEvSY_.uses_vcc, 0
	.set _ZN7rocprim17ROCPRIM_400000_NS6detail17trampoline_kernelINS0_14default_configENS1_27upper_bound_config_selectorIilEEZNS1_14transform_implILb0ES3_S5_N6thrust23THRUST_200600_302600_NS6detail15normal_iteratorINS8_7pointerIiNS8_11hip_rocprim12par_nosync_tENS8_11use_defaultESE_EEEENSA_INSB_IlSD_SE_SE_EEEEZNS1_13binary_searchIS3_S5_NSA_INS8_10device_ptrIiEEEESG_SI_NS1_21upper_bound_search_opENS9_16wrapped_functionINS8_6system6detail7generic6detail18binary_search_lessEbEEEE10hipError_tPvRmT1_T2_T3_mmT4_T5_P12ihipStream_tbEUlRKiE_EESV_SZ_S10_mS11_S14_bEUlT_E_NS1_11comp_targetILNS1_3genE10ELNS1_11target_archE1200ELNS1_3gpuE4ELNS1_3repE0EEENS1_30default_config_static_selectorELNS0_4arch9wavefront6targetE1EEEvSY_.uses_flat_scratch, 0
	.set _ZN7rocprim17ROCPRIM_400000_NS6detail17trampoline_kernelINS0_14default_configENS1_27upper_bound_config_selectorIilEEZNS1_14transform_implILb0ES3_S5_N6thrust23THRUST_200600_302600_NS6detail15normal_iteratorINS8_7pointerIiNS8_11hip_rocprim12par_nosync_tENS8_11use_defaultESE_EEEENSA_INSB_IlSD_SE_SE_EEEEZNS1_13binary_searchIS3_S5_NSA_INS8_10device_ptrIiEEEESG_SI_NS1_21upper_bound_search_opENS9_16wrapped_functionINS8_6system6detail7generic6detail18binary_search_lessEbEEEE10hipError_tPvRmT1_T2_T3_mmT4_T5_P12ihipStream_tbEUlRKiE_EESV_SZ_S10_mS11_S14_bEUlT_E_NS1_11comp_targetILNS1_3genE10ELNS1_11target_archE1200ELNS1_3gpuE4ELNS1_3repE0EEENS1_30default_config_static_selectorELNS0_4arch9wavefront6targetE1EEEvSY_.has_dyn_sized_stack, 0
	.set _ZN7rocprim17ROCPRIM_400000_NS6detail17trampoline_kernelINS0_14default_configENS1_27upper_bound_config_selectorIilEEZNS1_14transform_implILb0ES3_S5_N6thrust23THRUST_200600_302600_NS6detail15normal_iteratorINS8_7pointerIiNS8_11hip_rocprim12par_nosync_tENS8_11use_defaultESE_EEEENSA_INSB_IlSD_SE_SE_EEEEZNS1_13binary_searchIS3_S5_NSA_INS8_10device_ptrIiEEEESG_SI_NS1_21upper_bound_search_opENS9_16wrapped_functionINS8_6system6detail7generic6detail18binary_search_lessEbEEEE10hipError_tPvRmT1_T2_T3_mmT4_T5_P12ihipStream_tbEUlRKiE_EESV_SZ_S10_mS11_S14_bEUlT_E_NS1_11comp_targetILNS1_3genE10ELNS1_11target_archE1200ELNS1_3gpuE4ELNS1_3repE0EEENS1_30default_config_static_selectorELNS0_4arch9wavefront6targetE1EEEvSY_.has_recursion, 0
	.set _ZN7rocprim17ROCPRIM_400000_NS6detail17trampoline_kernelINS0_14default_configENS1_27upper_bound_config_selectorIilEEZNS1_14transform_implILb0ES3_S5_N6thrust23THRUST_200600_302600_NS6detail15normal_iteratorINS8_7pointerIiNS8_11hip_rocprim12par_nosync_tENS8_11use_defaultESE_EEEENSA_INSB_IlSD_SE_SE_EEEEZNS1_13binary_searchIS3_S5_NSA_INS8_10device_ptrIiEEEESG_SI_NS1_21upper_bound_search_opENS9_16wrapped_functionINS8_6system6detail7generic6detail18binary_search_lessEbEEEE10hipError_tPvRmT1_T2_T3_mmT4_T5_P12ihipStream_tbEUlRKiE_EESV_SZ_S10_mS11_S14_bEUlT_E_NS1_11comp_targetILNS1_3genE10ELNS1_11target_archE1200ELNS1_3gpuE4ELNS1_3repE0EEENS1_30default_config_static_selectorELNS0_4arch9wavefront6targetE1EEEvSY_.has_indirect_call, 0
	.section	.AMDGPU.csdata,"",@progbits
; Kernel info:
; codeLenInByte = 0
; TotalNumSgprs: 4
; NumVgprs: 0
; ScratchSize: 0
; MemoryBound: 0
; FloatMode: 240
; IeeeMode: 1
; LDSByteSize: 0 bytes/workgroup (compile time only)
; SGPRBlocks: 0
; VGPRBlocks: 0
; NumSGPRsForWavesPerEU: 4
; NumVGPRsForWavesPerEU: 1
; Occupancy: 10
; WaveLimiterHint : 0
; COMPUTE_PGM_RSRC2:SCRATCH_EN: 0
; COMPUTE_PGM_RSRC2:USER_SGPR: 6
; COMPUTE_PGM_RSRC2:TRAP_HANDLER: 0
; COMPUTE_PGM_RSRC2:TGID_X_EN: 1
; COMPUTE_PGM_RSRC2:TGID_Y_EN: 0
; COMPUTE_PGM_RSRC2:TGID_Z_EN: 0
; COMPUTE_PGM_RSRC2:TIDIG_COMP_CNT: 0
	.section	.text._ZN7rocprim17ROCPRIM_400000_NS6detail17trampoline_kernelINS0_14default_configENS1_27upper_bound_config_selectorIilEEZNS1_14transform_implILb0ES3_S5_N6thrust23THRUST_200600_302600_NS6detail15normal_iteratorINS8_7pointerIiNS8_11hip_rocprim12par_nosync_tENS8_11use_defaultESE_EEEENSA_INSB_IlSD_SE_SE_EEEEZNS1_13binary_searchIS3_S5_NSA_INS8_10device_ptrIiEEEESG_SI_NS1_21upper_bound_search_opENS9_16wrapped_functionINS8_6system6detail7generic6detail18binary_search_lessEbEEEE10hipError_tPvRmT1_T2_T3_mmT4_T5_P12ihipStream_tbEUlRKiE_EESV_SZ_S10_mS11_S14_bEUlT_E_NS1_11comp_targetILNS1_3genE9ELNS1_11target_archE1100ELNS1_3gpuE3ELNS1_3repE0EEENS1_30default_config_static_selectorELNS0_4arch9wavefront6targetE1EEEvSY_,"axG",@progbits,_ZN7rocprim17ROCPRIM_400000_NS6detail17trampoline_kernelINS0_14default_configENS1_27upper_bound_config_selectorIilEEZNS1_14transform_implILb0ES3_S5_N6thrust23THRUST_200600_302600_NS6detail15normal_iteratorINS8_7pointerIiNS8_11hip_rocprim12par_nosync_tENS8_11use_defaultESE_EEEENSA_INSB_IlSD_SE_SE_EEEEZNS1_13binary_searchIS3_S5_NSA_INS8_10device_ptrIiEEEESG_SI_NS1_21upper_bound_search_opENS9_16wrapped_functionINS8_6system6detail7generic6detail18binary_search_lessEbEEEE10hipError_tPvRmT1_T2_T3_mmT4_T5_P12ihipStream_tbEUlRKiE_EESV_SZ_S10_mS11_S14_bEUlT_E_NS1_11comp_targetILNS1_3genE9ELNS1_11target_archE1100ELNS1_3gpuE3ELNS1_3repE0EEENS1_30default_config_static_selectorELNS0_4arch9wavefront6targetE1EEEvSY_,comdat
	.protected	_ZN7rocprim17ROCPRIM_400000_NS6detail17trampoline_kernelINS0_14default_configENS1_27upper_bound_config_selectorIilEEZNS1_14transform_implILb0ES3_S5_N6thrust23THRUST_200600_302600_NS6detail15normal_iteratorINS8_7pointerIiNS8_11hip_rocprim12par_nosync_tENS8_11use_defaultESE_EEEENSA_INSB_IlSD_SE_SE_EEEEZNS1_13binary_searchIS3_S5_NSA_INS8_10device_ptrIiEEEESG_SI_NS1_21upper_bound_search_opENS9_16wrapped_functionINS8_6system6detail7generic6detail18binary_search_lessEbEEEE10hipError_tPvRmT1_T2_T3_mmT4_T5_P12ihipStream_tbEUlRKiE_EESV_SZ_S10_mS11_S14_bEUlT_E_NS1_11comp_targetILNS1_3genE9ELNS1_11target_archE1100ELNS1_3gpuE3ELNS1_3repE0EEENS1_30default_config_static_selectorELNS0_4arch9wavefront6targetE1EEEvSY_ ; -- Begin function _ZN7rocprim17ROCPRIM_400000_NS6detail17trampoline_kernelINS0_14default_configENS1_27upper_bound_config_selectorIilEEZNS1_14transform_implILb0ES3_S5_N6thrust23THRUST_200600_302600_NS6detail15normal_iteratorINS8_7pointerIiNS8_11hip_rocprim12par_nosync_tENS8_11use_defaultESE_EEEENSA_INSB_IlSD_SE_SE_EEEEZNS1_13binary_searchIS3_S5_NSA_INS8_10device_ptrIiEEEESG_SI_NS1_21upper_bound_search_opENS9_16wrapped_functionINS8_6system6detail7generic6detail18binary_search_lessEbEEEE10hipError_tPvRmT1_T2_T3_mmT4_T5_P12ihipStream_tbEUlRKiE_EESV_SZ_S10_mS11_S14_bEUlT_E_NS1_11comp_targetILNS1_3genE9ELNS1_11target_archE1100ELNS1_3gpuE3ELNS1_3repE0EEENS1_30default_config_static_selectorELNS0_4arch9wavefront6targetE1EEEvSY_
	.globl	_ZN7rocprim17ROCPRIM_400000_NS6detail17trampoline_kernelINS0_14default_configENS1_27upper_bound_config_selectorIilEEZNS1_14transform_implILb0ES3_S5_N6thrust23THRUST_200600_302600_NS6detail15normal_iteratorINS8_7pointerIiNS8_11hip_rocprim12par_nosync_tENS8_11use_defaultESE_EEEENSA_INSB_IlSD_SE_SE_EEEEZNS1_13binary_searchIS3_S5_NSA_INS8_10device_ptrIiEEEESG_SI_NS1_21upper_bound_search_opENS9_16wrapped_functionINS8_6system6detail7generic6detail18binary_search_lessEbEEEE10hipError_tPvRmT1_T2_T3_mmT4_T5_P12ihipStream_tbEUlRKiE_EESV_SZ_S10_mS11_S14_bEUlT_E_NS1_11comp_targetILNS1_3genE9ELNS1_11target_archE1100ELNS1_3gpuE3ELNS1_3repE0EEENS1_30default_config_static_selectorELNS0_4arch9wavefront6targetE1EEEvSY_
	.p2align	8
	.type	_ZN7rocprim17ROCPRIM_400000_NS6detail17trampoline_kernelINS0_14default_configENS1_27upper_bound_config_selectorIilEEZNS1_14transform_implILb0ES3_S5_N6thrust23THRUST_200600_302600_NS6detail15normal_iteratorINS8_7pointerIiNS8_11hip_rocprim12par_nosync_tENS8_11use_defaultESE_EEEENSA_INSB_IlSD_SE_SE_EEEEZNS1_13binary_searchIS3_S5_NSA_INS8_10device_ptrIiEEEESG_SI_NS1_21upper_bound_search_opENS9_16wrapped_functionINS8_6system6detail7generic6detail18binary_search_lessEbEEEE10hipError_tPvRmT1_T2_T3_mmT4_T5_P12ihipStream_tbEUlRKiE_EESV_SZ_S10_mS11_S14_bEUlT_E_NS1_11comp_targetILNS1_3genE9ELNS1_11target_archE1100ELNS1_3gpuE3ELNS1_3repE0EEENS1_30default_config_static_selectorELNS0_4arch9wavefront6targetE1EEEvSY_,@function
_ZN7rocprim17ROCPRIM_400000_NS6detail17trampoline_kernelINS0_14default_configENS1_27upper_bound_config_selectorIilEEZNS1_14transform_implILb0ES3_S5_N6thrust23THRUST_200600_302600_NS6detail15normal_iteratorINS8_7pointerIiNS8_11hip_rocprim12par_nosync_tENS8_11use_defaultESE_EEEENSA_INSB_IlSD_SE_SE_EEEEZNS1_13binary_searchIS3_S5_NSA_INS8_10device_ptrIiEEEESG_SI_NS1_21upper_bound_search_opENS9_16wrapped_functionINS8_6system6detail7generic6detail18binary_search_lessEbEEEE10hipError_tPvRmT1_T2_T3_mmT4_T5_P12ihipStream_tbEUlRKiE_EESV_SZ_S10_mS11_S14_bEUlT_E_NS1_11comp_targetILNS1_3genE9ELNS1_11target_archE1100ELNS1_3gpuE3ELNS1_3repE0EEENS1_30default_config_static_selectorELNS0_4arch9wavefront6targetE1EEEvSY_: ; @_ZN7rocprim17ROCPRIM_400000_NS6detail17trampoline_kernelINS0_14default_configENS1_27upper_bound_config_selectorIilEEZNS1_14transform_implILb0ES3_S5_N6thrust23THRUST_200600_302600_NS6detail15normal_iteratorINS8_7pointerIiNS8_11hip_rocprim12par_nosync_tENS8_11use_defaultESE_EEEENSA_INSB_IlSD_SE_SE_EEEEZNS1_13binary_searchIS3_S5_NSA_INS8_10device_ptrIiEEEESG_SI_NS1_21upper_bound_search_opENS9_16wrapped_functionINS8_6system6detail7generic6detail18binary_search_lessEbEEEE10hipError_tPvRmT1_T2_T3_mmT4_T5_P12ihipStream_tbEUlRKiE_EESV_SZ_S10_mS11_S14_bEUlT_E_NS1_11comp_targetILNS1_3genE9ELNS1_11target_archE1100ELNS1_3gpuE3ELNS1_3repE0EEENS1_30default_config_static_selectorELNS0_4arch9wavefront6targetE1EEEvSY_
; %bb.0:
	.section	.rodata,"a",@progbits
	.p2align	6, 0x0
	.amdhsa_kernel _ZN7rocprim17ROCPRIM_400000_NS6detail17trampoline_kernelINS0_14default_configENS1_27upper_bound_config_selectorIilEEZNS1_14transform_implILb0ES3_S5_N6thrust23THRUST_200600_302600_NS6detail15normal_iteratorINS8_7pointerIiNS8_11hip_rocprim12par_nosync_tENS8_11use_defaultESE_EEEENSA_INSB_IlSD_SE_SE_EEEEZNS1_13binary_searchIS3_S5_NSA_INS8_10device_ptrIiEEEESG_SI_NS1_21upper_bound_search_opENS9_16wrapped_functionINS8_6system6detail7generic6detail18binary_search_lessEbEEEE10hipError_tPvRmT1_T2_T3_mmT4_T5_P12ihipStream_tbEUlRKiE_EESV_SZ_S10_mS11_S14_bEUlT_E_NS1_11comp_targetILNS1_3genE9ELNS1_11target_archE1100ELNS1_3gpuE3ELNS1_3repE0EEENS1_30default_config_static_selectorELNS0_4arch9wavefront6targetE1EEEvSY_
		.amdhsa_group_segment_fixed_size 0
		.amdhsa_private_segment_fixed_size 0
		.amdhsa_kernarg_size 56
		.amdhsa_user_sgpr_count 6
		.amdhsa_user_sgpr_private_segment_buffer 1
		.amdhsa_user_sgpr_dispatch_ptr 0
		.amdhsa_user_sgpr_queue_ptr 0
		.amdhsa_user_sgpr_kernarg_segment_ptr 1
		.amdhsa_user_sgpr_dispatch_id 0
		.amdhsa_user_sgpr_flat_scratch_init 0
		.amdhsa_user_sgpr_private_segment_size 0
		.amdhsa_uses_dynamic_stack 0
		.amdhsa_system_sgpr_private_segment_wavefront_offset 0
		.amdhsa_system_sgpr_workgroup_id_x 1
		.amdhsa_system_sgpr_workgroup_id_y 0
		.amdhsa_system_sgpr_workgroup_id_z 0
		.amdhsa_system_sgpr_workgroup_info 0
		.amdhsa_system_vgpr_workitem_id 0
		.amdhsa_next_free_vgpr 1
		.amdhsa_next_free_sgpr 0
		.amdhsa_reserve_vcc 0
		.amdhsa_reserve_flat_scratch 0
		.amdhsa_float_round_mode_32 0
		.amdhsa_float_round_mode_16_64 0
		.amdhsa_float_denorm_mode_32 3
		.amdhsa_float_denorm_mode_16_64 3
		.amdhsa_dx10_clamp 1
		.amdhsa_ieee_mode 1
		.amdhsa_fp16_overflow 0
		.amdhsa_exception_fp_ieee_invalid_op 0
		.amdhsa_exception_fp_denorm_src 0
		.amdhsa_exception_fp_ieee_div_zero 0
		.amdhsa_exception_fp_ieee_overflow 0
		.amdhsa_exception_fp_ieee_underflow 0
		.amdhsa_exception_fp_ieee_inexact 0
		.amdhsa_exception_int_div_zero 0
	.end_amdhsa_kernel
	.section	.text._ZN7rocprim17ROCPRIM_400000_NS6detail17trampoline_kernelINS0_14default_configENS1_27upper_bound_config_selectorIilEEZNS1_14transform_implILb0ES3_S5_N6thrust23THRUST_200600_302600_NS6detail15normal_iteratorINS8_7pointerIiNS8_11hip_rocprim12par_nosync_tENS8_11use_defaultESE_EEEENSA_INSB_IlSD_SE_SE_EEEEZNS1_13binary_searchIS3_S5_NSA_INS8_10device_ptrIiEEEESG_SI_NS1_21upper_bound_search_opENS9_16wrapped_functionINS8_6system6detail7generic6detail18binary_search_lessEbEEEE10hipError_tPvRmT1_T2_T3_mmT4_T5_P12ihipStream_tbEUlRKiE_EESV_SZ_S10_mS11_S14_bEUlT_E_NS1_11comp_targetILNS1_3genE9ELNS1_11target_archE1100ELNS1_3gpuE3ELNS1_3repE0EEENS1_30default_config_static_selectorELNS0_4arch9wavefront6targetE1EEEvSY_,"axG",@progbits,_ZN7rocprim17ROCPRIM_400000_NS6detail17trampoline_kernelINS0_14default_configENS1_27upper_bound_config_selectorIilEEZNS1_14transform_implILb0ES3_S5_N6thrust23THRUST_200600_302600_NS6detail15normal_iteratorINS8_7pointerIiNS8_11hip_rocprim12par_nosync_tENS8_11use_defaultESE_EEEENSA_INSB_IlSD_SE_SE_EEEEZNS1_13binary_searchIS3_S5_NSA_INS8_10device_ptrIiEEEESG_SI_NS1_21upper_bound_search_opENS9_16wrapped_functionINS8_6system6detail7generic6detail18binary_search_lessEbEEEE10hipError_tPvRmT1_T2_T3_mmT4_T5_P12ihipStream_tbEUlRKiE_EESV_SZ_S10_mS11_S14_bEUlT_E_NS1_11comp_targetILNS1_3genE9ELNS1_11target_archE1100ELNS1_3gpuE3ELNS1_3repE0EEENS1_30default_config_static_selectorELNS0_4arch9wavefront6targetE1EEEvSY_,comdat
.Lfunc_end579:
	.size	_ZN7rocprim17ROCPRIM_400000_NS6detail17trampoline_kernelINS0_14default_configENS1_27upper_bound_config_selectorIilEEZNS1_14transform_implILb0ES3_S5_N6thrust23THRUST_200600_302600_NS6detail15normal_iteratorINS8_7pointerIiNS8_11hip_rocprim12par_nosync_tENS8_11use_defaultESE_EEEENSA_INSB_IlSD_SE_SE_EEEEZNS1_13binary_searchIS3_S5_NSA_INS8_10device_ptrIiEEEESG_SI_NS1_21upper_bound_search_opENS9_16wrapped_functionINS8_6system6detail7generic6detail18binary_search_lessEbEEEE10hipError_tPvRmT1_T2_T3_mmT4_T5_P12ihipStream_tbEUlRKiE_EESV_SZ_S10_mS11_S14_bEUlT_E_NS1_11comp_targetILNS1_3genE9ELNS1_11target_archE1100ELNS1_3gpuE3ELNS1_3repE0EEENS1_30default_config_static_selectorELNS0_4arch9wavefront6targetE1EEEvSY_, .Lfunc_end579-_ZN7rocprim17ROCPRIM_400000_NS6detail17trampoline_kernelINS0_14default_configENS1_27upper_bound_config_selectorIilEEZNS1_14transform_implILb0ES3_S5_N6thrust23THRUST_200600_302600_NS6detail15normal_iteratorINS8_7pointerIiNS8_11hip_rocprim12par_nosync_tENS8_11use_defaultESE_EEEENSA_INSB_IlSD_SE_SE_EEEEZNS1_13binary_searchIS3_S5_NSA_INS8_10device_ptrIiEEEESG_SI_NS1_21upper_bound_search_opENS9_16wrapped_functionINS8_6system6detail7generic6detail18binary_search_lessEbEEEE10hipError_tPvRmT1_T2_T3_mmT4_T5_P12ihipStream_tbEUlRKiE_EESV_SZ_S10_mS11_S14_bEUlT_E_NS1_11comp_targetILNS1_3genE9ELNS1_11target_archE1100ELNS1_3gpuE3ELNS1_3repE0EEENS1_30default_config_static_selectorELNS0_4arch9wavefront6targetE1EEEvSY_
                                        ; -- End function
	.set _ZN7rocprim17ROCPRIM_400000_NS6detail17trampoline_kernelINS0_14default_configENS1_27upper_bound_config_selectorIilEEZNS1_14transform_implILb0ES3_S5_N6thrust23THRUST_200600_302600_NS6detail15normal_iteratorINS8_7pointerIiNS8_11hip_rocprim12par_nosync_tENS8_11use_defaultESE_EEEENSA_INSB_IlSD_SE_SE_EEEEZNS1_13binary_searchIS3_S5_NSA_INS8_10device_ptrIiEEEESG_SI_NS1_21upper_bound_search_opENS9_16wrapped_functionINS8_6system6detail7generic6detail18binary_search_lessEbEEEE10hipError_tPvRmT1_T2_T3_mmT4_T5_P12ihipStream_tbEUlRKiE_EESV_SZ_S10_mS11_S14_bEUlT_E_NS1_11comp_targetILNS1_3genE9ELNS1_11target_archE1100ELNS1_3gpuE3ELNS1_3repE0EEENS1_30default_config_static_selectorELNS0_4arch9wavefront6targetE1EEEvSY_.num_vgpr, 0
	.set _ZN7rocprim17ROCPRIM_400000_NS6detail17trampoline_kernelINS0_14default_configENS1_27upper_bound_config_selectorIilEEZNS1_14transform_implILb0ES3_S5_N6thrust23THRUST_200600_302600_NS6detail15normal_iteratorINS8_7pointerIiNS8_11hip_rocprim12par_nosync_tENS8_11use_defaultESE_EEEENSA_INSB_IlSD_SE_SE_EEEEZNS1_13binary_searchIS3_S5_NSA_INS8_10device_ptrIiEEEESG_SI_NS1_21upper_bound_search_opENS9_16wrapped_functionINS8_6system6detail7generic6detail18binary_search_lessEbEEEE10hipError_tPvRmT1_T2_T3_mmT4_T5_P12ihipStream_tbEUlRKiE_EESV_SZ_S10_mS11_S14_bEUlT_E_NS1_11comp_targetILNS1_3genE9ELNS1_11target_archE1100ELNS1_3gpuE3ELNS1_3repE0EEENS1_30default_config_static_selectorELNS0_4arch9wavefront6targetE1EEEvSY_.num_agpr, 0
	.set _ZN7rocprim17ROCPRIM_400000_NS6detail17trampoline_kernelINS0_14default_configENS1_27upper_bound_config_selectorIilEEZNS1_14transform_implILb0ES3_S5_N6thrust23THRUST_200600_302600_NS6detail15normal_iteratorINS8_7pointerIiNS8_11hip_rocprim12par_nosync_tENS8_11use_defaultESE_EEEENSA_INSB_IlSD_SE_SE_EEEEZNS1_13binary_searchIS3_S5_NSA_INS8_10device_ptrIiEEEESG_SI_NS1_21upper_bound_search_opENS9_16wrapped_functionINS8_6system6detail7generic6detail18binary_search_lessEbEEEE10hipError_tPvRmT1_T2_T3_mmT4_T5_P12ihipStream_tbEUlRKiE_EESV_SZ_S10_mS11_S14_bEUlT_E_NS1_11comp_targetILNS1_3genE9ELNS1_11target_archE1100ELNS1_3gpuE3ELNS1_3repE0EEENS1_30default_config_static_selectorELNS0_4arch9wavefront6targetE1EEEvSY_.numbered_sgpr, 0
	.set _ZN7rocprim17ROCPRIM_400000_NS6detail17trampoline_kernelINS0_14default_configENS1_27upper_bound_config_selectorIilEEZNS1_14transform_implILb0ES3_S5_N6thrust23THRUST_200600_302600_NS6detail15normal_iteratorINS8_7pointerIiNS8_11hip_rocprim12par_nosync_tENS8_11use_defaultESE_EEEENSA_INSB_IlSD_SE_SE_EEEEZNS1_13binary_searchIS3_S5_NSA_INS8_10device_ptrIiEEEESG_SI_NS1_21upper_bound_search_opENS9_16wrapped_functionINS8_6system6detail7generic6detail18binary_search_lessEbEEEE10hipError_tPvRmT1_T2_T3_mmT4_T5_P12ihipStream_tbEUlRKiE_EESV_SZ_S10_mS11_S14_bEUlT_E_NS1_11comp_targetILNS1_3genE9ELNS1_11target_archE1100ELNS1_3gpuE3ELNS1_3repE0EEENS1_30default_config_static_selectorELNS0_4arch9wavefront6targetE1EEEvSY_.num_named_barrier, 0
	.set _ZN7rocprim17ROCPRIM_400000_NS6detail17trampoline_kernelINS0_14default_configENS1_27upper_bound_config_selectorIilEEZNS1_14transform_implILb0ES3_S5_N6thrust23THRUST_200600_302600_NS6detail15normal_iteratorINS8_7pointerIiNS8_11hip_rocprim12par_nosync_tENS8_11use_defaultESE_EEEENSA_INSB_IlSD_SE_SE_EEEEZNS1_13binary_searchIS3_S5_NSA_INS8_10device_ptrIiEEEESG_SI_NS1_21upper_bound_search_opENS9_16wrapped_functionINS8_6system6detail7generic6detail18binary_search_lessEbEEEE10hipError_tPvRmT1_T2_T3_mmT4_T5_P12ihipStream_tbEUlRKiE_EESV_SZ_S10_mS11_S14_bEUlT_E_NS1_11comp_targetILNS1_3genE9ELNS1_11target_archE1100ELNS1_3gpuE3ELNS1_3repE0EEENS1_30default_config_static_selectorELNS0_4arch9wavefront6targetE1EEEvSY_.private_seg_size, 0
	.set _ZN7rocprim17ROCPRIM_400000_NS6detail17trampoline_kernelINS0_14default_configENS1_27upper_bound_config_selectorIilEEZNS1_14transform_implILb0ES3_S5_N6thrust23THRUST_200600_302600_NS6detail15normal_iteratorINS8_7pointerIiNS8_11hip_rocprim12par_nosync_tENS8_11use_defaultESE_EEEENSA_INSB_IlSD_SE_SE_EEEEZNS1_13binary_searchIS3_S5_NSA_INS8_10device_ptrIiEEEESG_SI_NS1_21upper_bound_search_opENS9_16wrapped_functionINS8_6system6detail7generic6detail18binary_search_lessEbEEEE10hipError_tPvRmT1_T2_T3_mmT4_T5_P12ihipStream_tbEUlRKiE_EESV_SZ_S10_mS11_S14_bEUlT_E_NS1_11comp_targetILNS1_3genE9ELNS1_11target_archE1100ELNS1_3gpuE3ELNS1_3repE0EEENS1_30default_config_static_selectorELNS0_4arch9wavefront6targetE1EEEvSY_.uses_vcc, 0
	.set _ZN7rocprim17ROCPRIM_400000_NS6detail17trampoline_kernelINS0_14default_configENS1_27upper_bound_config_selectorIilEEZNS1_14transform_implILb0ES3_S5_N6thrust23THRUST_200600_302600_NS6detail15normal_iteratorINS8_7pointerIiNS8_11hip_rocprim12par_nosync_tENS8_11use_defaultESE_EEEENSA_INSB_IlSD_SE_SE_EEEEZNS1_13binary_searchIS3_S5_NSA_INS8_10device_ptrIiEEEESG_SI_NS1_21upper_bound_search_opENS9_16wrapped_functionINS8_6system6detail7generic6detail18binary_search_lessEbEEEE10hipError_tPvRmT1_T2_T3_mmT4_T5_P12ihipStream_tbEUlRKiE_EESV_SZ_S10_mS11_S14_bEUlT_E_NS1_11comp_targetILNS1_3genE9ELNS1_11target_archE1100ELNS1_3gpuE3ELNS1_3repE0EEENS1_30default_config_static_selectorELNS0_4arch9wavefront6targetE1EEEvSY_.uses_flat_scratch, 0
	.set _ZN7rocprim17ROCPRIM_400000_NS6detail17trampoline_kernelINS0_14default_configENS1_27upper_bound_config_selectorIilEEZNS1_14transform_implILb0ES3_S5_N6thrust23THRUST_200600_302600_NS6detail15normal_iteratorINS8_7pointerIiNS8_11hip_rocprim12par_nosync_tENS8_11use_defaultESE_EEEENSA_INSB_IlSD_SE_SE_EEEEZNS1_13binary_searchIS3_S5_NSA_INS8_10device_ptrIiEEEESG_SI_NS1_21upper_bound_search_opENS9_16wrapped_functionINS8_6system6detail7generic6detail18binary_search_lessEbEEEE10hipError_tPvRmT1_T2_T3_mmT4_T5_P12ihipStream_tbEUlRKiE_EESV_SZ_S10_mS11_S14_bEUlT_E_NS1_11comp_targetILNS1_3genE9ELNS1_11target_archE1100ELNS1_3gpuE3ELNS1_3repE0EEENS1_30default_config_static_selectorELNS0_4arch9wavefront6targetE1EEEvSY_.has_dyn_sized_stack, 0
	.set _ZN7rocprim17ROCPRIM_400000_NS6detail17trampoline_kernelINS0_14default_configENS1_27upper_bound_config_selectorIilEEZNS1_14transform_implILb0ES3_S5_N6thrust23THRUST_200600_302600_NS6detail15normal_iteratorINS8_7pointerIiNS8_11hip_rocprim12par_nosync_tENS8_11use_defaultESE_EEEENSA_INSB_IlSD_SE_SE_EEEEZNS1_13binary_searchIS3_S5_NSA_INS8_10device_ptrIiEEEESG_SI_NS1_21upper_bound_search_opENS9_16wrapped_functionINS8_6system6detail7generic6detail18binary_search_lessEbEEEE10hipError_tPvRmT1_T2_T3_mmT4_T5_P12ihipStream_tbEUlRKiE_EESV_SZ_S10_mS11_S14_bEUlT_E_NS1_11comp_targetILNS1_3genE9ELNS1_11target_archE1100ELNS1_3gpuE3ELNS1_3repE0EEENS1_30default_config_static_selectorELNS0_4arch9wavefront6targetE1EEEvSY_.has_recursion, 0
	.set _ZN7rocprim17ROCPRIM_400000_NS6detail17trampoline_kernelINS0_14default_configENS1_27upper_bound_config_selectorIilEEZNS1_14transform_implILb0ES3_S5_N6thrust23THRUST_200600_302600_NS6detail15normal_iteratorINS8_7pointerIiNS8_11hip_rocprim12par_nosync_tENS8_11use_defaultESE_EEEENSA_INSB_IlSD_SE_SE_EEEEZNS1_13binary_searchIS3_S5_NSA_INS8_10device_ptrIiEEEESG_SI_NS1_21upper_bound_search_opENS9_16wrapped_functionINS8_6system6detail7generic6detail18binary_search_lessEbEEEE10hipError_tPvRmT1_T2_T3_mmT4_T5_P12ihipStream_tbEUlRKiE_EESV_SZ_S10_mS11_S14_bEUlT_E_NS1_11comp_targetILNS1_3genE9ELNS1_11target_archE1100ELNS1_3gpuE3ELNS1_3repE0EEENS1_30default_config_static_selectorELNS0_4arch9wavefront6targetE1EEEvSY_.has_indirect_call, 0
	.section	.AMDGPU.csdata,"",@progbits
; Kernel info:
; codeLenInByte = 0
; TotalNumSgprs: 4
; NumVgprs: 0
; ScratchSize: 0
; MemoryBound: 0
; FloatMode: 240
; IeeeMode: 1
; LDSByteSize: 0 bytes/workgroup (compile time only)
; SGPRBlocks: 0
; VGPRBlocks: 0
; NumSGPRsForWavesPerEU: 4
; NumVGPRsForWavesPerEU: 1
; Occupancy: 10
; WaveLimiterHint : 0
; COMPUTE_PGM_RSRC2:SCRATCH_EN: 0
; COMPUTE_PGM_RSRC2:USER_SGPR: 6
; COMPUTE_PGM_RSRC2:TRAP_HANDLER: 0
; COMPUTE_PGM_RSRC2:TGID_X_EN: 1
; COMPUTE_PGM_RSRC2:TGID_Y_EN: 0
; COMPUTE_PGM_RSRC2:TGID_Z_EN: 0
; COMPUTE_PGM_RSRC2:TIDIG_COMP_CNT: 0
	.section	.text._ZN7rocprim17ROCPRIM_400000_NS6detail17trampoline_kernelINS0_14default_configENS1_27upper_bound_config_selectorIilEEZNS1_14transform_implILb0ES3_S5_N6thrust23THRUST_200600_302600_NS6detail15normal_iteratorINS8_7pointerIiNS8_11hip_rocprim12par_nosync_tENS8_11use_defaultESE_EEEENSA_INSB_IlSD_SE_SE_EEEEZNS1_13binary_searchIS3_S5_NSA_INS8_10device_ptrIiEEEESG_SI_NS1_21upper_bound_search_opENS9_16wrapped_functionINS8_6system6detail7generic6detail18binary_search_lessEbEEEE10hipError_tPvRmT1_T2_T3_mmT4_T5_P12ihipStream_tbEUlRKiE_EESV_SZ_S10_mS11_S14_bEUlT_E_NS1_11comp_targetILNS1_3genE8ELNS1_11target_archE1030ELNS1_3gpuE2ELNS1_3repE0EEENS1_30default_config_static_selectorELNS0_4arch9wavefront6targetE1EEEvSY_,"axG",@progbits,_ZN7rocprim17ROCPRIM_400000_NS6detail17trampoline_kernelINS0_14default_configENS1_27upper_bound_config_selectorIilEEZNS1_14transform_implILb0ES3_S5_N6thrust23THRUST_200600_302600_NS6detail15normal_iteratorINS8_7pointerIiNS8_11hip_rocprim12par_nosync_tENS8_11use_defaultESE_EEEENSA_INSB_IlSD_SE_SE_EEEEZNS1_13binary_searchIS3_S5_NSA_INS8_10device_ptrIiEEEESG_SI_NS1_21upper_bound_search_opENS9_16wrapped_functionINS8_6system6detail7generic6detail18binary_search_lessEbEEEE10hipError_tPvRmT1_T2_T3_mmT4_T5_P12ihipStream_tbEUlRKiE_EESV_SZ_S10_mS11_S14_bEUlT_E_NS1_11comp_targetILNS1_3genE8ELNS1_11target_archE1030ELNS1_3gpuE2ELNS1_3repE0EEENS1_30default_config_static_selectorELNS0_4arch9wavefront6targetE1EEEvSY_,comdat
	.protected	_ZN7rocprim17ROCPRIM_400000_NS6detail17trampoline_kernelINS0_14default_configENS1_27upper_bound_config_selectorIilEEZNS1_14transform_implILb0ES3_S5_N6thrust23THRUST_200600_302600_NS6detail15normal_iteratorINS8_7pointerIiNS8_11hip_rocprim12par_nosync_tENS8_11use_defaultESE_EEEENSA_INSB_IlSD_SE_SE_EEEEZNS1_13binary_searchIS3_S5_NSA_INS8_10device_ptrIiEEEESG_SI_NS1_21upper_bound_search_opENS9_16wrapped_functionINS8_6system6detail7generic6detail18binary_search_lessEbEEEE10hipError_tPvRmT1_T2_T3_mmT4_T5_P12ihipStream_tbEUlRKiE_EESV_SZ_S10_mS11_S14_bEUlT_E_NS1_11comp_targetILNS1_3genE8ELNS1_11target_archE1030ELNS1_3gpuE2ELNS1_3repE0EEENS1_30default_config_static_selectorELNS0_4arch9wavefront6targetE1EEEvSY_ ; -- Begin function _ZN7rocprim17ROCPRIM_400000_NS6detail17trampoline_kernelINS0_14default_configENS1_27upper_bound_config_selectorIilEEZNS1_14transform_implILb0ES3_S5_N6thrust23THRUST_200600_302600_NS6detail15normal_iteratorINS8_7pointerIiNS8_11hip_rocprim12par_nosync_tENS8_11use_defaultESE_EEEENSA_INSB_IlSD_SE_SE_EEEEZNS1_13binary_searchIS3_S5_NSA_INS8_10device_ptrIiEEEESG_SI_NS1_21upper_bound_search_opENS9_16wrapped_functionINS8_6system6detail7generic6detail18binary_search_lessEbEEEE10hipError_tPvRmT1_T2_T3_mmT4_T5_P12ihipStream_tbEUlRKiE_EESV_SZ_S10_mS11_S14_bEUlT_E_NS1_11comp_targetILNS1_3genE8ELNS1_11target_archE1030ELNS1_3gpuE2ELNS1_3repE0EEENS1_30default_config_static_selectorELNS0_4arch9wavefront6targetE1EEEvSY_
	.globl	_ZN7rocprim17ROCPRIM_400000_NS6detail17trampoline_kernelINS0_14default_configENS1_27upper_bound_config_selectorIilEEZNS1_14transform_implILb0ES3_S5_N6thrust23THRUST_200600_302600_NS6detail15normal_iteratorINS8_7pointerIiNS8_11hip_rocprim12par_nosync_tENS8_11use_defaultESE_EEEENSA_INSB_IlSD_SE_SE_EEEEZNS1_13binary_searchIS3_S5_NSA_INS8_10device_ptrIiEEEESG_SI_NS1_21upper_bound_search_opENS9_16wrapped_functionINS8_6system6detail7generic6detail18binary_search_lessEbEEEE10hipError_tPvRmT1_T2_T3_mmT4_T5_P12ihipStream_tbEUlRKiE_EESV_SZ_S10_mS11_S14_bEUlT_E_NS1_11comp_targetILNS1_3genE8ELNS1_11target_archE1030ELNS1_3gpuE2ELNS1_3repE0EEENS1_30default_config_static_selectorELNS0_4arch9wavefront6targetE1EEEvSY_
	.p2align	8
	.type	_ZN7rocprim17ROCPRIM_400000_NS6detail17trampoline_kernelINS0_14default_configENS1_27upper_bound_config_selectorIilEEZNS1_14transform_implILb0ES3_S5_N6thrust23THRUST_200600_302600_NS6detail15normal_iteratorINS8_7pointerIiNS8_11hip_rocprim12par_nosync_tENS8_11use_defaultESE_EEEENSA_INSB_IlSD_SE_SE_EEEEZNS1_13binary_searchIS3_S5_NSA_INS8_10device_ptrIiEEEESG_SI_NS1_21upper_bound_search_opENS9_16wrapped_functionINS8_6system6detail7generic6detail18binary_search_lessEbEEEE10hipError_tPvRmT1_T2_T3_mmT4_T5_P12ihipStream_tbEUlRKiE_EESV_SZ_S10_mS11_S14_bEUlT_E_NS1_11comp_targetILNS1_3genE8ELNS1_11target_archE1030ELNS1_3gpuE2ELNS1_3repE0EEENS1_30default_config_static_selectorELNS0_4arch9wavefront6targetE1EEEvSY_,@function
_ZN7rocprim17ROCPRIM_400000_NS6detail17trampoline_kernelINS0_14default_configENS1_27upper_bound_config_selectorIilEEZNS1_14transform_implILb0ES3_S5_N6thrust23THRUST_200600_302600_NS6detail15normal_iteratorINS8_7pointerIiNS8_11hip_rocprim12par_nosync_tENS8_11use_defaultESE_EEEENSA_INSB_IlSD_SE_SE_EEEEZNS1_13binary_searchIS3_S5_NSA_INS8_10device_ptrIiEEEESG_SI_NS1_21upper_bound_search_opENS9_16wrapped_functionINS8_6system6detail7generic6detail18binary_search_lessEbEEEE10hipError_tPvRmT1_T2_T3_mmT4_T5_P12ihipStream_tbEUlRKiE_EESV_SZ_S10_mS11_S14_bEUlT_E_NS1_11comp_targetILNS1_3genE8ELNS1_11target_archE1030ELNS1_3gpuE2ELNS1_3repE0EEENS1_30default_config_static_selectorELNS0_4arch9wavefront6targetE1EEEvSY_: ; @_ZN7rocprim17ROCPRIM_400000_NS6detail17trampoline_kernelINS0_14default_configENS1_27upper_bound_config_selectorIilEEZNS1_14transform_implILb0ES3_S5_N6thrust23THRUST_200600_302600_NS6detail15normal_iteratorINS8_7pointerIiNS8_11hip_rocprim12par_nosync_tENS8_11use_defaultESE_EEEENSA_INSB_IlSD_SE_SE_EEEEZNS1_13binary_searchIS3_S5_NSA_INS8_10device_ptrIiEEEESG_SI_NS1_21upper_bound_search_opENS9_16wrapped_functionINS8_6system6detail7generic6detail18binary_search_lessEbEEEE10hipError_tPvRmT1_T2_T3_mmT4_T5_P12ihipStream_tbEUlRKiE_EESV_SZ_S10_mS11_S14_bEUlT_E_NS1_11comp_targetILNS1_3genE8ELNS1_11target_archE1030ELNS1_3gpuE2ELNS1_3repE0EEENS1_30default_config_static_selectorELNS0_4arch9wavefront6targetE1EEEvSY_
; %bb.0:
	.section	.rodata,"a",@progbits
	.p2align	6, 0x0
	.amdhsa_kernel _ZN7rocprim17ROCPRIM_400000_NS6detail17trampoline_kernelINS0_14default_configENS1_27upper_bound_config_selectorIilEEZNS1_14transform_implILb0ES3_S5_N6thrust23THRUST_200600_302600_NS6detail15normal_iteratorINS8_7pointerIiNS8_11hip_rocprim12par_nosync_tENS8_11use_defaultESE_EEEENSA_INSB_IlSD_SE_SE_EEEEZNS1_13binary_searchIS3_S5_NSA_INS8_10device_ptrIiEEEESG_SI_NS1_21upper_bound_search_opENS9_16wrapped_functionINS8_6system6detail7generic6detail18binary_search_lessEbEEEE10hipError_tPvRmT1_T2_T3_mmT4_T5_P12ihipStream_tbEUlRKiE_EESV_SZ_S10_mS11_S14_bEUlT_E_NS1_11comp_targetILNS1_3genE8ELNS1_11target_archE1030ELNS1_3gpuE2ELNS1_3repE0EEENS1_30default_config_static_selectorELNS0_4arch9wavefront6targetE1EEEvSY_
		.amdhsa_group_segment_fixed_size 0
		.amdhsa_private_segment_fixed_size 0
		.amdhsa_kernarg_size 56
		.amdhsa_user_sgpr_count 6
		.amdhsa_user_sgpr_private_segment_buffer 1
		.amdhsa_user_sgpr_dispatch_ptr 0
		.amdhsa_user_sgpr_queue_ptr 0
		.amdhsa_user_sgpr_kernarg_segment_ptr 1
		.amdhsa_user_sgpr_dispatch_id 0
		.amdhsa_user_sgpr_flat_scratch_init 0
		.amdhsa_user_sgpr_private_segment_size 0
		.amdhsa_uses_dynamic_stack 0
		.amdhsa_system_sgpr_private_segment_wavefront_offset 0
		.amdhsa_system_sgpr_workgroup_id_x 1
		.amdhsa_system_sgpr_workgroup_id_y 0
		.amdhsa_system_sgpr_workgroup_id_z 0
		.amdhsa_system_sgpr_workgroup_info 0
		.amdhsa_system_vgpr_workitem_id 0
		.amdhsa_next_free_vgpr 1
		.amdhsa_next_free_sgpr 0
		.amdhsa_reserve_vcc 0
		.amdhsa_reserve_flat_scratch 0
		.amdhsa_float_round_mode_32 0
		.amdhsa_float_round_mode_16_64 0
		.amdhsa_float_denorm_mode_32 3
		.amdhsa_float_denorm_mode_16_64 3
		.amdhsa_dx10_clamp 1
		.amdhsa_ieee_mode 1
		.amdhsa_fp16_overflow 0
		.amdhsa_exception_fp_ieee_invalid_op 0
		.amdhsa_exception_fp_denorm_src 0
		.amdhsa_exception_fp_ieee_div_zero 0
		.amdhsa_exception_fp_ieee_overflow 0
		.amdhsa_exception_fp_ieee_underflow 0
		.amdhsa_exception_fp_ieee_inexact 0
		.amdhsa_exception_int_div_zero 0
	.end_amdhsa_kernel
	.section	.text._ZN7rocprim17ROCPRIM_400000_NS6detail17trampoline_kernelINS0_14default_configENS1_27upper_bound_config_selectorIilEEZNS1_14transform_implILb0ES3_S5_N6thrust23THRUST_200600_302600_NS6detail15normal_iteratorINS8_7pointerIiNS8_11hip_rocprim12par_nosync_tENS8_11use_defaultESE_EEEENSA_INSB_IlSD_SE_SE_EEEEZNS1_13binary_searchIS3_S5_NSA_INS8_10device_ptrIiEEEESG_SI_NS1_21upper_bound_search_opENS9_16wrapped_functionINS8_6system6detail7generic6detail18binary_search_lessEbEEEE10hipError_tPvRmT1_T2_T3_mmT4_T5_P12ihipStream_tbEUlRKiE_EESV_SZ_S10_mS11_S14_bEUlT_E_NS1_11comp_targetILNS1_3genE8ELNS1_11target_archE1030ELNS1_3gpuE2ELNS1_3repE0EEENS1_30default_config_static_selectorELNS0_4arch9wavefront6targetE1EEEvSY_,"axG",@progbits,_ZN7rocprim17ROCPRIM_400000_NS6detail17trampoline_kernelINS0_14default_configENS1_27upper_bound_config_selectorIilEEZNS1_14transform_implILb0ES3_S5_N6thrust23THRUST_200600_302600_NS6detail15normal_iteratorINS8_7pointerIiNS8_11hip_rocprim12par_nosync_tENS8_11use_defaultESE_EEEENSA_INSB_IlSD_SE_SE_EEEEZNS1_13binary_searchIS3_S5_NSA_INS8_10device_ptrIiEEEESG_SI_NS1_21upper_bound_search_opENS9_16wrapped_functionINS8_6system6detail7generic6detail18binary_search_lessEbEEEE10hipError_tPvRmT1_T2_T3_mmT4_T5_P12ihipStream_tbEUlRKiE_EESV_SZ_S10_mS11_S14_bEUlT_E_NS1_11comp_targetILNS1_3genE8ELNS1_11target_archE1030ELNS1_3gpuE2ELNS1_3repE0EEENS1_30default_config_static_selectorELNS0_4arch9wavefront6targetE1EEEvSY_,comdat
.Lfunc_end580:
	.size	_ZN7rocprim17ROCPRIM_400000_NS6detail17trampoline_kernelINS0_14default_configENS1_27upper_bound_config_selectorIilEEZNS1_14transform_implILb0ES3_S5_N6thrust23THRUST_200600_302600_NS6detail15normal_iteratorINS8_7pointerIiNS8_11hip_rocprim12par_nosync_tENS8_11use_defaultESE_EEEENSA_INSB_IlSD_SE_SE_EEEEZNS1_13binary_searchIS3_S5_NSA_INS8_10device_ptrIiEEEESG_SI_NS1_21upper_bound_search_opENS9_16wrapped_functionINS8_6system6detail7generic6detail18binary_search_lessEbEEEE10hipError_tPvRmT1_T2_T3_mmT4_T5_P12ihipStream_tbEUlRKiE_EESV_SZ_S10_mS11_S14_bEUlT_E_NS1_11comp_targetILNS1_3genE8ELNS1_11target_archE1030ELNS1_3gpuE2ELNS1_3repE0EEENS1_30default_config_static_selectorELNS0_4arch9wavefront6targetE1EEEvSY_, .Lfunc_end580-_ZN7rocprim17ROCPRIM_400000_NS6detail17trampoline_kernelINS0_14default_configENS1_27upper_bound_config_selectorIilEEZNS1_14transform_implILb0ES3_S5_N6thrust23THRUST_200600_302600_NS6detail15normal_iteratorINS8_7pointerIiNS8_11hip_rocprim12par_nosync_tENS8_11use_defaultESE_EEEENSA_INSB_IlSD_SE_SE_EEEEZNS1_13binary_searchIS3_S5_NSA_INS8_10device_ptrIiEEEESG_SI_NS1_21upper_bound_search_opENS9_16wrapped_functionINS8_6system6detail7generic6detail18binary_search_lessEbEEEE10hipError_tPvRmT1_T2_T3_mmT4_T5_P12ihipStream_tbEUlRKiE_EESV_SZ_S10_mS11_S14_bEUlT_E_NS1_11comp_targetILNS1_3genE8ELNS1_11target_archE1030ELNS1_3gpuE2ELNS1_3repE0EEENS1_30default_config_static_selectorELNS0_4arch9wavefront6targetE1EEEvSY_
                                        ; -- End function
	.set _ZN7rocprim17ROCPRIM_400000_NS6detail17trampoline_kernelINS0_14default_configENS1_27upper_bound_config_selectorIilEEZNS1_14transform_implILb0ES3_S5_N6thrust23THRUST_200600_302600_NS6detail15normal_iteratorINS8_7pointerIiNS8_11hip_rocprim12par_nosync_tENS8_11use_defaultESE_EEEENSA_INSB_IlSD_SE_SE_EEEEZNS1_13binary_searchIS3_S5_NSA_INS8_10device_ptrIiEEEESG_SI_NS1_21upper_bound_search_opENS9_16wrapped_functionINS8_6system6detail7generic6detail18binary_search_lessEbEEEE10hipError_tPvRmT1_T2_T3_mmT4_T5_P12ihipStream_tbEUlRKiE_EESV_SZ_S10_mS11_S14_bEUlT_E_NS1_11comp_targetILNS1_3genE8ELNS1_11target_archE1030ELNS1_3gpuE2ELNS1_3repE0EEENS1_30default_config_static_selectorELNS0_4arch9wavefront6targetE1EEEvSY_.num_vgpr, 0
	.set _ZN7rocprim17ROCPRIM_400000_NS6detail17trampoline_kernelINS0_14default_configENS1_27upper_bound_config_selectorIilEEZNS1_14transform_implILb0ES3_S5_N6thrust23THRUST_200600_302600_NS6detail15normal_iteratorINS8_7pointerIiNS8_11hip_rocprim12par_nosync_tENS8_11use_defaultESE_EEEENSA_INSB_IlSD_SE_SE_EEEEZNS1_13binary_searchIS3_S5_NSA_INS8_10device_ptrIiEEEESG_SI_NS1_21upper_bound_search_opENS9_16wrapped_functionINS8_6system6detail7generic6detail18binary_search_lessEbEEEE10hipError_tPvRmT1_T2_T3_mmT4_T5_P12ihipStream_tbEUlRKiE_EESV_SZ_S10_mS11_S14_bEUlT_E_NS1_11comp_targetILNS1_3genE8ELNS1_11target_archE1030ELNS1_3gpuE2ELNS1_3repE0EEENS1_30default_config_static_selectorELNS0_4arch9wavefront6targetE1EEEvSY_.num_agpr, 0
	.set _ZN7rocprim17ROCPRIM_400000_NS6detail17trampoline_kernelINS0_14default_configENS1_27upper_bound_config_selectorIilEEZNS1_14transform_implILb0ES3_S5_N6thrust23THRUST_200600_302600_NS6detail15normal_iteratorINS8_7pointerIiNS8_11hip_rocprim12par_nosync_tENS8_11use_defaultESE_EEEENSA_INSB_IlSD_SE_SE_EEEEZNS1_13binary_searchIS3_S5_NSA_INS8_10device_ptrIiEEEESG_SI_NS1_21upper_bound_search_opENS9_16wrapped_functionINS8_6system6detail7generic6detail18binary_search_lessEbEEEE10hipError_tPvRmT1_T2_T3_mmT4_T5_P12ihipStream_tbEUlRKiE_EESV_SZ_S10_mS11_S14_bEUlT_E_NS1_11comp_targetILNS1_3genE8ELNS1_11target_archE1030ELNS1_3gpuE2ELNS1_3repE0EEENS1_30default_config_static_selectorELNS0_4arch9wavefront6targetE1EEEvSY_.numbered_sgpr, 0
	.set _ZN7rocprim17ROCPRIM_400000_NS6detail17trampoline_kernelINS0_14default_configENS1_27upper_bound_config_selectorIilEEZNS1_14transform_implILb0ES3_S5_N6thrust23THRUST_200600_302600_NS6detail15normal_iteratorINS8_7pointerIiNS8_11hip_rocprim12par_nosync_tENS8_11use_defaultESE_EEEENSA_INSB_IlSD_SE_SE_EEEEZNS1_13binary_searchIS3_S5_NSA_INS8_10device_ptrIiEEEESG_SI_NS1_21upper_bound_search_opENS9_16wrapped_functionINS8_6system6detail7generic6detail18binary_search_lessEbEEEE10hipError_tPvRmT1_T2_T3_mmT4_T5_P12ihipStream_tbEUlRKiE_EESV_SZ_S10_mS11_S14_bEUlT_E_NS1_11comp_targetILNS1_3genE8ELNS1_11target_archE1030ELNS1_3gpuE2ELNS1_3repE0EEENS1_30default_config_static_selectorELNS0_4arch9wavefront6targetE1EEEvSY_.num_named_barrier, 0
	.set _ZN7rocprim17ROCPRIM_400000_NS6detail17trampoline_kernelINS0_14default_configENS1_27upper_bound_config_selectorIilEEZNS1_14transform_implILb0ES3_S5_N6thrust23THRUST_200600_302600_NS6detail15normal_iteratorINS8_7pointerIiNS8_11hip_rocprim12par_nosync_tENS8_11use_defaultESE_EEEENSA_INSB_IlSD_SE_SE_EEEEZNS1_13binary_searchIS3_S5_NSA_INS8_10device_ptrIiEEEESG_SI_NS1_21upper_bound_search_opENS9_16wrapped_functionINS8_6system6detail7generic6detail18binary_search_lessEbEEEE10hipError_tPvRmT1_T2_T3_mmT4_T5_P12ihipStream_tbEUlRKiE_EESV_SZ_S10_mS11_S14_bEUlT_E_NS1_11comp_targetILNS1_3genE8ELNS1_11target_archE1030ELNS1_3gpuE2ELNS1_3repE0EEENS1_30default_config_static_selectorELNS0_4arch9wavefront6targetE1EEEvSY_.private_seg_size, 0
	.set _ZN7rocprim17ROCPRIM_400000_NS6detail17trampoline_kernelINS0_14default_configENS1_27upper_bound_config_selectorIilEEZNS1_14transform_implILb0ES3_S5_N6thrust23THRUST_200600_302600_NS6detail15normal_iteratorINS8_7pointerIiNS8_11hip_rocprim12par_nosync_tENS8_11use_defaultESE_EEEENSA_INSB_IlSD_SE_SE_EEEEZNS1_13binary_searchIS3_S5_NSA_INS8_10device_ptrIiEEEESG_SI_NS1_21upper_bound_search_opENS9_16wrapped_functionINS8_6system6detail7generic6detail18binary_search_lessEbEEEE10hipError_tPvRmT1_T2_T3_mmT4_T5_P12ihipStream_tbEUlRKiE_EESV_SZ_S10_mS11_S14_bEUlT_E_NS1_11comp_targetILNS1_3genE8ELNS1_11target_archE1030ELNS1_3gpuE2ELNS1_3repE0EEENS1_30default_config_static_selectorELNS0_4arch9wavefront6targetE1EEEvSY_.uses_vcc, 0
	.set _ZN7rocprim17ROCPRIM_400000_NS6detail17trampoline_kernelINS0_14default_configENS1_27upper_bound_config_selectorIilEEZNS1_14transform_implILb0ES3_S5_N6thrust23THRUST_200600_302600_NS6detail15normal_iteratorINS8_7pointerIiNS8_11hip_rocprim12par_nosync_tENS8_11use_defaultESE_EEEENSA_INSB_IlSD_SE_SE_EEEEZNS1_13binary_searchIS3_S5_NSA_INS8_10device_ptrIiEEEESG_SI_NS1_21upper_bound_search_opENS9_16wrapped_functionINS8_6system6detail7generic6detail18binary_search_lessEbEEEE10hipError_tPvRmT1_T2_T3_mmT4_T5_P12ihipStream_tbEUlRKiE_EESV_SZ_S10_mS11_S14_bEUlT_E_NS1_11comp_targetILNS1_3genE8ELNS1_11target_archE1030ELNS1_3gpuE2ELNS1_3repE0EEENS1_30default_config_static_selectorELNS0_4arch9wavefront6targetE1EEEvSY_.uses_flat_scratch, 0
	.set _ZN7rocprim17ROCPRIM_400000_NS6detail17trampoline_kernelINS0_14default_configENS1_27upper_bound_config_selectorIilEEZNS1_14transform_implILb0ES3_S5_N6thrust23THRUST_200600_302600_NS6detail15normal_iteratorINS8_7pointerIiNS8_11hip_rocprim12par_nosync_tENS8_11use_defaultESE_EEEENSA_INSB_IlSD_SE_SE_EEEEZNS1_13binary_searchIS3_S5_NSA_INS8_10device_ptrIiEEEESG_SI_NS1_21upper_bound_search_opENS9_16wrapped_functionINS8_6system6detail7generic6detail18binary_search_lessEbEEEE10hipError_tPvRmT1_T2_T3_mmT4_T5_P12ihipStream_tbEUlRKiE_EESV_SZ_S10_mS11_S14_bEUlT_E_NS1_11comp_targetILNS1_3genE8ELNS1_11target_archE1030ELNS1_3gpuE2ELNS1_3repE0EEENS1_30default_config_static_selectorELNS0_4arch9wavefront6targetE1EEEvSY_.has_dyn_sized_stack, 0
	.set _ZN7rocprim17ROCPRIM_400000_NS6detail17trampoline_kernelINS0_14default_configENS1_27upper_bound_config_selectorIilEEZNS1_14transform_implILb0ES3_S5_N6thrust23THRUST_200600_302600_NS6detail15normal_iteratorINS8_7pointerIiNS8_11hip_rocprim12par_nosync_tENS8_11use_defaultESE_EEEENSA_INSB_IlSD_SE_SE_EEEEZNS1_13binary_searchIS3_S5_NSA_INS8_10device_ptrIiEEEESG_SI_NS1_21upper_bound_search_opENS9_16wrapped_functionINS8_6system6detail7generic6detail18binary_search_lessEbEEEE10hipError_tPvRmT1_T2_T3_mmT4_T5_P12ihipStream_tbEUlRKiE_EESV_SZ_S10_mS11_S14_bEUlT_E_NS1_11comp_targetILNS1_3genE8ELNS1_11target_archE1030ELNS1_3gpuE2ELNS1_3repE0EEENS1_30default_config_static_selectorELNS0_4arch9wavefront6targetE1EEEvSY_.has_recursion, 0
	.set _ZN7rocprim17ROCPRIM_400000_NS6detail17trampoline_kernelINS0_14default_configENS1_27upper_bound_config_selectorIilEEZNS1_14transform_implILb0ES3_S5_N6thrust23THRUST_200600_302600_NS6detail15normal_iteratorINS8_7pointerIiNS8_11hip_rocprim12par_nosync_tENS8_11use_defaultESE_EEEENSA_INSB_IlSD_SE_SE_EEEEZNS1_13binary_searchIS3_S5_NSA_INS8_10device_ptrIiEEEESG_SI_NS1_21upper_bound_search_opENS9_16wrapped_functionINS8_6system6detail7generic6detail18binary_search_lessEbEEEE10hipError_tPvRmT1_T2_T3_mmT4_T5_P12ihipStream_tbEUlRKiE_EESV_SZ_S10_mS11_S14_bEUlT_E_NS1_11comp_targetILNS1_3genE8ELNS1_11target_archE1030ELNS1_3gpuE2ELNS1_3repE0EEENS1_30default_config_static_selectorELNS0_4arch9wavefront6targetE1EEEvSY_.has_indirect_call, 0
	.section	.AMDGPU.csdata,"",@progbits
; Kernel info:
; codeLenInByte = 0
; TotalNumSgprs: 4
; NumVgprs: 0
; ScratchSize: 0
; MemoryBound: 0
; FloatMode: 240
; IeeeMode: 1
; LDSByteSize: 0 bytes/workgroup (compile time only)
; SGPRBlocks: 0
; VGPRBlocks: 0
; NumSGPRsForWavesPerEU: 4
; NumVGPRsForWavesPerEU: 1
; Occupancy: 10
; WaveLimiterHint : 0
; COMPUTE_PGM_RSRC2:SCRATCH_EN: 0
; COMPUTE_PGM_RSRC2:USER_SGPR: 6
; COMPUTE_PGM_RSRC2:TRAP_HANDLER: 0
; COMPUTE_PGM_RSRC2:TGID_X_EN: 1
; COMPUTE_PGM_RSRC2:TGID_Y_EN: 0
; COMPUTE_PGM_RSRC2:TGID_Z_EN: 0
; COMPUTE_PGM_RSRC2:TIDIG_COMP_CNT: 0
	.section	.text._ZN7rocprim17ROCPRIM_400000_NS6detail17trampoline_kernelINS0_14default_configENS1_27upper_bound_config_selectorIilEEZNS1_14transform_implILb0ES3_S5_N6thrust23THRUST_200600_302600_NS6detail15normal_iteratorINS8_7pointerIiNS8_11hip_rocprim5par_tENS8_11use_defaultESE_EEEENSA_INSB_IlSD_SE_SE_EEEEZNS1_13binary_searchIS3_S5_NSA_INS8_10device_ptrIiEEEESG_SI_NS1_21upper_bound_search_opENS9_16wrapped_functionINS8_6system6detail7generic6detail18binary_search_lessEbEEEE10hipError_tPvRmT1_T2_T3_mmT4_T5_P12ihipStream_tbEUlRKiE_EESV_SZ_S10_mS11_S14_bEUlT_E_NS1_11comp_targetILNS1_3genE0ELNS1_11target_archE4294967295ELNS1_3gpuE0ELNS1_3repE0EEENS1_30default_config_static_selectorELNS0_4arch9wavefront6targetE1EEEvSY_,"axG",@progbits,_ZN7rocprim17ROCPRIM_400000_NS6detail17trampoline_kernelINS0_14default_configENS1_27upper_bound_config_selectorIilEEZNS1_14transform_implILb0ES3_S5_N6thrust23THRUST_200600_302600_NS6detail15normal_iteratorINS8_7pointerIiNS8_11hip_rocprim5par_tENS8_11use_defaultESE_EEEENSA_INSB_IlSD_SE_SE_EEEEZNS1_13binary_searchIS3_S5_NSA_INS8_10device_ptrIiEEEESG_SI_NS1_21upper_bound_search_opENS9_16wrapped_functionINS8_6system6detail7generic6detail18binary_search_lessEbEEEE10hipError_tPvRmT1_T2_T3_mmT4_T5_P12ihipStream_tbEUlRKiE_EESV_SZ_S10_mS11_S14_bEUlT_E_NS1_11comp_targetILNS1_3genE0ELNS1_11target_archE4294967295ELNS1_3gpuE0ELNS1_3repE0EEENS1_30default_config_static_selectorELNS0_4arch9wavefront6targetE1EEEvSY_,comdat
	.protected	_ZN7rocprim17ROCPRIM_400000_NS6detail17trampoline_kernelINS0_14default_configENS1_27upper_bound_config_selectorIilEEZNS1_14transform_implILb0ES3_S5_N6thrust23THRUST_200600_302600_NS6detail15normal_iteratorINS8_7pointerIiNS8_11hip_rocprim5par_tENS8_11use_defaultESE_EEEENSA_INSB_IlSD_SE_SE_EEEEZNS1_13binary_searchIS3_S5_NSA_INS8_10device_ptrIiEEEESG_SI_NS1_21upper_bound_search_opENS9_16wrapped_functionINS8_6system6detail7generic6detail18binary_search_lessEbEEEE10hipError_tPvRmT1_T2_T3_mmT4_T5_P12ihipStream_tbEUlRKiE_EESV_SZ_S10_mS11_S14_bEUlT_E_NS1_11comp_targetILNS1_3genE0ELNS1_11target_archE4294967295ELNS1_3gpuE0ELNS1_3repE0EEENS1_30default_config_static_selectorELNS0_4arch9wavefront6targetE1EEEvSY_ ; -- Begin function _ZN7rocprim17ROCPRIM_400000_NS6detail17trampoline_kernelINS0_14default_configENS1_27upper_bound_config_selectorIilEEZNS1_14transform_implILb0ES3_S5_N6thrust23THRUST_200600_302600_NS6detail15normal_iteratorINS8_7pointerIiNS8_11hip_rocprim5par_tENS8_11use_defaultESE_EEEENSA_INSB_IlSD_SE_SE_EEEEZNS1_13binary_searchIS3_S5_NSA_INS8_10device_ptrIiEEEESG_SI_NS1_21upper_bound_search_opENS9_16wrapped_functionINS8_6system6detail7generic6detail18binary_search_lessEbEEEE10hipError_tPvRmT1_T2_T3_mmT4_T5_P12ihipStream_tbEUlRKiE_EESV_SZ_S10_mS11_S14_bEUlT_E_NS1_11comp_targetILNS1_3genE0ELNS1_11target_archE4294967295ELNS1_3gpuE0ELNS1_3repE0EEENS1_30default_config_static_selectorELNS0_4arch9wavefront6targetE1EEEvSY_
	.globl	_ZN7rocprim17ROCPRIM_400000_NS6detail17trampoline_kernelINS0_14default_configENS1_27upper_bound_config_selectorIilEEZNS1_14transform_implILb0ES3_S5_N6thrust23THRUST_200600_302600_NS6detail15normal_iteratorINS8_7pointerIiNS8_11hip_rocprim5par_tENS8_11use_defaultESE_EEEENSA_INSB_IlSD_SE_SE_EEEEZNS1_13binary_searchIS3_S5_NSA_INS8_10device_ptrIiEEEESG_SI_NS1_21upper_bound_search_opENS9_16wrapped_functionINS8_6system6detail7generic6detail18binary_search_lessEbEEEE10hipError_tPvRmT1_T2_T3_mmT4_T5_P12ihipStream_tbEUlRKiE_EESV_SZ_S10_mS11_S14_bEUlT_E_NS1_11comp_targetILNS1_3genE0ELNS1_11target_archE4294967295ELNS1_3gpuE0ELNS1_3repE0EEENS1_30default_config_static_selectorELNS0_4arch9wavefront6targetE1EEEvSY_
	.p2align	8
	.type	_ZN7rocprim17ROCPRIM_400000_NS6detail17trampoline_kernelINS0_14default_configENS1_27upper_bound_config_selectorIilEEZNS1_14transform_implILb0ES3_S5_N6thrust23THRUST_200600_302600_NS6detail15normal_iteratorINS8_7pointerIiNS8_11hip_rocprim5par_tENS8_11use_defaultESE_EEEENSA_INSB_IlSD_SE_SE_EEEEZNS1_13binary_searchIS3_S5_NSA_INS8_10device_ptrIiEEEESG_SI_NS1_21upper_bound_search_opENS9_16wrapped_functionINS8_6system6detail7generic6detail18binary_search_lessEbEEEE10hipError_tPvRmT1_T2_T3_mmT4_T5_P12ihipStream_tbEUlRKiE_EESV_SZ_S10_mS11_S14_bEUlT_E_NS1_11comp_targetILNS1_3genE0ELNS1_11target_archE4294967295ELNS1_3gpuE0ELNS1_3repE0EEENS1_30default_config_static_selectorELNS0_4arch9wavefront6targetE1EEEvSY_,@function
_ZN7rocprim17ROCPRIM_400000_NS6detail17trampoline_kernelINS0_14default_configENS1_27upper_bound_config_selectorIilEEZNS1_14transform_implILb0ES3_S5_N6thrust23THRUST_200600_302600_NS6detail15normal_iteratorINS8_7pointerIiNS8_11hip_rocprim5par_tENS8_11use_defaultESE_EEEENSA_INSB_IlSD_SE_SE_EEEEZNS1_13binary_searchIS3_S5_NSA_INS8_10device_ptrIiEEEESG_SI_NS1_21upper_bound_search_opENS9_16wrapped_functionINS8_6system6detail7generic6detail18binary_search_lessEbEEEE10hipError_tPvRmT1_T2_T3_mmT4_T5_P12ihipStream_tbEUlRKiE_EESV_SZ_S10_mS11_S14_bEUlT_E_NS1_11comp_targetILNS1_3genE0ELNS1_11target_archE4294967295ELNS1_3gpuE0ELNS1_3repE0EEENS1_30default_config_static_selectorELNS0_4arch9wavefront6targetE1EEEvSY_: ; @_ZN7rocprim17ROCPRIM_400000_NS6detail17trampoline_kernelINS0_14default_configENS1_27upper_bound_config_selectorIilEEZNS1_14transform_implILb0ES3_S5_N6thrust23THRUST_200600_302600_NS6detail15normal_iteratorINS8_7pointerIiNS8_11hip_rocprim5par_tENS8_11use_defaultESE_EEEENSA_INSB_IlSD_SE_SE_EEEEZNS1_13binary_searchIS3_S5_NSA_INS8_10device_ptrIiEEEESG_SI_NS1_21upper_bound_search_opENS9_16wrapped_functionINS8_6system6detail7generic6detail18binary_search_lessEbEEEE10hipError_tPvRmT1_T2_T3_mmT4_T5_P12ihipStream_tbEUlRKiE_EESV_SZ_S10_mS11_S14_bEUlT_E_NS1_11comp_targetILNS1_3genE0ELNS1_11target_archE4294967295ELNS1_3gpuE0ELNS1_3repE0EEENS1_30default_config_static_selectorELNS0_4arch9wavefront6targetE1EEEvSY_
; %bb.0:
	.section	.rodata,"a",@progbits
	.p2align	6, 0x0
	.amdhsa_kernel _ZN7rocprim17ROCPRIM_400000_NS6detail17trampoline_kernelINS0_14default_configENS1_27upper_bound_config_selectorIilEEZNS1_14transform_implILb0ES3_S5_N6thrust23THRUST_200600_302600_NS6detail15normal_iteratorINS8_7pointerIiNS8_11hip_rocprim5par_tENS8_11use_defaultESE_EEEENSA_INSB_IlSD_SE_SE_EEEEZNS1_13binary_searchIS3_S5_NSA_INS8_10device_ptrIiEEEESG_SI_NS1_21upper_bound_search_opENS9_16wrapped_functionINS8_6system6detail7generic6detail18binary_search_lessEbEEEE10hipError_tPvRmT1_T2_T3_mmT4_T5_P12ihipStream_tbEUlRKiE_EESV_SZ_S10_mS11_S14_bEUlT_E_NS1_11comp_targetILNS1_3genE0ELNS1_11target_archE4294967295ELNS1_3gpuE0ELNS1_3repE0EEENS1_30default_config_static_selectorELNS0_4arch9wavefront6targetE1EEEvSY_
		.amdhsa_group_segment_fixed_size 0
		.amdhsa_private_segment_fixed_size 0
		.amdhsa_kernarg_size 56
		.amdhsa_user_sgpr_count 6
		.amdhsa_user_sgpr_private_segment_buffer 1
		.amdhsa_user_sgpr_dispatch_ptr 0
		.amdhsa_user_sgpr_queue_ptr 0
		.amdhsa_user_sgpr_kernarg_segment_ptr 1
		.amdhsa_user_sgpr_dispatch_id 0
		.amdhsa_user_sgpr_flat_scratch_init 0
		.amdhsa_user_sgpr_private_segment_size 0
		.amdhsa_uses_dynamic_stack 0
		.amdhsa_system_sgpr_private_segment_wavefront_offset 0
		.amdhsa_system_sgpr_workgroup_id_x 1
		.amdhsa_system_sgpr_workgroup_id_y 0
		.amdhsa_system_sgpr_workgroup_id_z 0
		.amdhsa_system_sgpr_workgroup_info 0
		.amdhsa_system_vgpr_workitem_id 0
		.amdhsa_next_free_vgpr 1
		.amdhsa_next_free_sgpr 0
		.amdhsa_reserve_vcc 0
		.amdhsa_reserve_flat_scratch 0
		.amdhsa_float_round_mode_32 0
		.amdhsa_float_round_mode_16_64 0
		.amdhsa_float_denorm_mode_32 3
		.amdhsa_float_denorm_mode_16_64 3
		.amdhsa_dx10_clamp 1
		.amdhsa_ieee_mode 1
		.amdhsa_fp16_overflow 0
		.amdhsa_exception_fp_ieee_invalid_op 0
		.amdhsa_exception_fp_denorm_src 0
		.amdhsa_exception_fp_ieee_div_zero 0
		.amdhsa_exception_fp_ieee_overflow 0
		.amdhsa_exception_fp_ieee_underflow 0
		.amdhsa_exception_fp_ieee_inexact 0
		.amdhsa_exception_int_div_zero 0
	.end_amdhsa_kernel
	.section	.text._ZN7rocprim17ROCPRIM_400000_NS6detail17trampoline_kernelINS0_14default_configENS1_27upper_bound_config_selectorIilEEZNS1_14transform_implILb0ES3_S5_N6thrust23THRUST_200600_302600_NS6detail15normal_iteratorINS8_7pointerIiNS8_11hip_rocprim5par_tENS8_11use_defaultESE_EEEENSA_INSB_IlSD_SE_SE_EEEEZNS1_13binary_searchIS3_S5_NSA_INS8_10device_ptrIiEEEESG_SI_NS1_21upper_bound_search_opENS9_16wrapped_functionINS8_6system6detail7generic6detail18binary_search_lessEbEEEE10hipError_tPvRmT1_T2_T3_mmT4_T5_P12ihipStream_tbEUlRKiE_EESV_SZ_S10_mS11_S14_bEUlT_E_NS1_11comp_targetILNS1_3genE0ELNS1_11target_archE4294967295ELNS1_3gpuE0ELNS1_3repE0EEENS1_30default_config_static_selectorELNS0_4arch9wavefront6targetE1EEEvSY_,"axG",@progbits,_ZN7rocprim17ROCPRIM_400000_NS6detail17trampoline_kernelINS0_14default_configENS1_27upper_bound_config_selectorIilEEZNS1_14transform_implILb0ES3_S5_N6thrust23THRUST_200600_302600_NS6detail15normal_iteratorINS8_7pointerIiNS8_11hip_rocprim5par_tENS8_11use_defaultESE_EEEENSA_INSB_IlSD_SE_SE_EEEEZNS1_13binary_searchIS3_S5_NSA_INS8_10device_ptrIiEEEESG_SI_NS1_21upper_bound_search_opENS9_16wrapped_functionINS8_6system6detail7generic6detail18binary_search_lessEbEEEE10hipError_tPvRmT1_T2_T3_mmT4_T5_P12ihipStream_tbEUlRKiE_EESV_SZ_S10_mS11_S14_bEUlT_E_NS1_11comp_targetILNS1_3genE0ELNS1_11target_archE4294967295ELNS1_3gpuE0ELNS1_3repE0EEENS1_30default_config_static_selectorELNS0_4arch9wavefront6targetE1EEEvSY_,comdat
.Lfunc_end581:
	.size	_ZN7rocprim17ROCPRIM_400000_NS6detail17trampoline_kernelINS0_14default_configENS1_27upper_bound_config_selectorIilEEZNS1_14transform_implILb0ES3_S5_N6thrust23THRUST_200600_302600_NS6detail15normal_iteratorINS8_7pointerIiNS8_11hip_rocprim5par_tENS8_11use_defaultESE_EEEENSA_INSB_IlSD_SE_SE_EEEEZNS1_13binary_searchIS3_S5_NSA_INS8_10device_ptrIiEEEESG_SI_NS1_21upper_bound_search_opENS9_16wrapped_functionINS8_6system6detail7generic6detail18binary_search_lessEbEEEE10hipError_tPvRmT1_T2_T3_mmT4_T5_P12ihipStream_tbEUlRKiE_EESV_SZ_S10_mS11_S14_bEUlT_E_NS1_11comp_targetILNS1_3genE0ELNS1_11target_archE4294967295ELNS1_3gpuE0ELNS1_3repE0EEENS1_30default_config_static_selectorELNS0_4arch9wavefront6targetE1EEEvSY_, .Lfunc_end581-_ZN7rocprim17ROCPRIM_400000_NS6detail17trampoline_kernelINS0_14default_configENS1_27upper_bound_config_selectorIilEEZNS1_14transform_implILb0ES3_S5_N6thrust23THRUST_200600_302600_NS6detail15normal_iteratorINS8_7pointerIiNS8_11hip_rocprim5par_tENS8_11use_defaultESE_EEEENSA_INSB_IlSD_SE_SE_EEEEZNS1_13binary_searchIS3_S5_NSA_INS8_10device_ptrIiEEEESG_SI_NS1_21upper_bound_search_opENS9_16wrapped_functionINS8_6system6detail7generic6detail18binary_search_lessEbEEEE10hipError_tPvRmT1_T2_T3_mmT4_T5_P12ihipStream_tbEUlRKiE_EESV_SZ_S10_mS11_S14_bEUlT_E_NS1_11comp_targetILNS1_3genE0ELNS1_11target_archE4294967295ELNS1_3gpuE0ELNS1_3repE0EEENS1_30default_config_static_selectorELNS0_4arch9wavefront6targetE1EEEvSY_
                                        ; -- End function
	.set _ZN7rocprim17ROCPRIM_400000_NS6detail17trampoline_kernelINS0_14default_configENS1_27upper_bound_config_selectorIilEEZNS1_14transform_implILb0ES3_S5_N6thrust23THRUST_200600_302600_NS6detail15normal_iteratorINS8_7pointerIiNS8_11hip_rocprim5par_tENS8_11use_defaultESE_EEEENSA_INSB_IlSD_SE_SE_EEEEZNS1_13binary_searchIS3_S5_NSA_INS8_10device_ptrIiEEEESG_SI_NS1_21upper_bound_search_opENS9_16wrapped_functionINS8_6system6detail7generic6detail18binary_search_lessEbEEEE10hipError_tPvRmT1_T2_T3_mmT4_T5_P12ihipStream_tbEUlRKiE_EESV_SZ_S10_mS11_S14_bEUlT_E_NS1_11comp_targetILNS1_3genE0ELNS1_11target_archE4294967295ELNS1_3gpuE0ELNS1_3repE0EEENS1_30default_config_static_selectorELNS0_4arch9wavefront6targetE1EEEvSY_.num_vgpr, 0
	.set _ZN7rocprim17ROCPRIM_400000_NS6detail17trampoline_kernelINS0_14default_configENS1_27upper_bound_config_selectorIilEEZNS1_14transform_implILb0ES3_S5_N6thrust23THRUST_200600_302600_NS6detail15normal_iteratorINS8_7pointerIiNS8_11hip_rocprim5par_tENS8_11use_defaultESE_EEEENSA_INSB_IlSD_SE_SE_EEEEZNS1_13binary_searchIS3_S5_NSA_INS8_10device_ptrIiEEEESG_SI_NS1_21upper_bound_search_opENS9_16wrapped_functionINS8_6system6detail7generic6detail18binary_search_lessEbEEEE10hipError_tPvRmT1_T2_T3_mmT4_T5_P12ihipStream_tbEUlRKiE_EESV_SZ_S10_mS11_S14_bEUlT_E_NS1_11comp_targetILNS1_3genE0ELNS1_11target_archE4294967295ELNS1_3gpuE0ELNS1_3repE0EEENS1_30default_config_static_selectorELNS0_4arch9wavefront6targetE1EEEvSY_.num_agpr, 0
	.set _ZN7rocprim17ROCPRIM_400000_NS6detail17trampoline_kernelINS0_14default_configENS1_27upper_bound_config_selectorIilEEZNS1_14transform_implILb0ES3_S5_N6thrust23THRUST_200600_302600_NS6detail15normal_iteratorINS8_7pointerIiNS8_11hip_rocprim5par_tENS8_11use_defaultESE_EEEENSA_INSB_IlSD_SE_SE_EEEEZNS1_13binary_searchIS3_S5_NSA_INS8_10device_ptrIiEEEESG_SI_NS1_21upper_bound_search_opENS9_16wrapped_functionINS8_6system6detail7generic6detail18binary_search_lessEbEEEE10hipError_tPvRmT1_T2_T3_mmT4_T5_P12ihipStream_tbEUlRKiE_EESV_SZ_S10_mS11_S14_bEUlT_E_NS1_11comp_targetILNS1_3genE0ELNS1_11target_archE4294967295ELNS1_3gpuE0ELNS1_3repE0EEENS1_30default_config_static_selectorELNS0_4arch9wavefront6targetE1EEEvSY_.numbered_sgpr, 0
	.set _ZN7rocprim17ROCPRIM_400000_NS6detail17trampoline_kernelINS0_14default_configENS1_27upper_bound_config_selectorIilEEZNS1_14transform_implILb0ES3_S5_N6thrust23THRUST_200600_302600_NS6detail15normal_iteratorINS8_7pointerIiNS8_11hip_rocprim5par_tENS8_11use_defaultESE_EEEENSA_INSB_IlSD_SE_SE_EEEEZNS1_13binary_searchIS3_S5_NSA_INS8_10device_ptrIiEEEESG_SI_NS1_21upper_bound_search_opENS9_16wrapped_functionINS8_6system6detail7generic6detail18binary_search_lessEbEEEE10hipError_tPvRmT1_T2_T3_mmT4_T5_P12ihipStream_tbEUlRKiE_EESV_SZ_S10_mS11_S14_bEUlT_E_NS1_11comp_targetILNS1_3genE0ELNS1_11target_archE4294967295ELNS1_3gpuE0ELNS1_3repE0EEENS1_30default_config_static_selectorELNS0_4arch9wavefront6targetE1EEEvSY_.num_named_barrier, 0
	.set _ZN7rocprim17ROCPRIM_400000_NS6detail17trampoline_kernelINS0_14default_configENS1_27upper_bound_config_selectorIilEEZNS1_14transform_implILb0ES3_S5_N6thrust23THRUST_200600_302600_NS6detail15normal_iteratorINS8_7pointerIiNS8_11hip_rocprim5par_tENS8_11use_defaultESE_EEEENSA_INSB_IlSD_SE_SE_EEEEZNS1_13binary_searchIS3_S5_NSA_INS8_10device_ptrIiEEEESG_SI_NS1_21upper_bound_search_opENS9_16wrapped_functionINS8_6system6detail7generic6detail18binary_search_lessEbEEEE10hipError_tPvRmT1_T2_T3_mmT4_T5_P12ihipStream_tbEUlRKiE_EESV_SZ_S10_mS11_S14_bEUlT_E_NS1_11comp_targetILNS1_3genE0ELNS1_11target_archE4294967295ELNS1_3gpuE0ELNS1_3repE0EEENS1_30default_config_static_selectorELNS0_4arch9wavefront6targetE1EEEvSY_.private_seg_size, 0
	.set _ZN7rocprim17ROCPRIM_400000_NS6detail17trampoline_kernelINS0_14default_configENS1_27upper_bound_config_selectorIilEEZNS1_14transform_implILb0ES3_S5_N6thrust23THRUST_200600_302600_NS6detail15normal_iteratorINS8_7pointerIiNS8_11hip_rocprim5par_tENS8_11use_defaultESE_EEEENSA_INSB_IlSD_SE_SE_EEEEZNS1_13binary_searchIS3_S5_NSA_INS8_10device_ptrIiEEEESG_SI_NS1_21upper_bound_search_opENS9_16wrapped_functionINS8_6system6detail7generic6detail18binary_search_lessEbEEEE10hipError_tPvRmT1_T2_T3_mmT4_T5_P12ihipStream_tbEUlRKiE_EESV_SZ_S10_mS11_S14_bEUlT_E_NS1_11comp_targetILNS1_3genE0ELNS1_11target_archE4294967295ELNS1_3gpuE0ELNS1_3repE0EEENS1_30default_config_static_selectorELNS0_4arch9wavefront6targetE1EEEvSY_.uses_vcc, 0
	.set _ZN7rocprim17ROCPRIM_400000_NS6detail17trampoline_kernelINS0_14default_configENS1_27upper_bound_config_selectorIilEEZNS1_14transform_implILb0ES3_S5_N6thrust23THRUST_200600_302600_NS6detail15normal_iteratorINS8_7pointerIiNS8_11hip_rocprim5par_tENS8_11use_defaultESE_EEEENSA_INSB_IlSD_SE_SE_EEEEZNS1_13binary_searchIS3_S5_NSA_INS8_10device_ptrIiEEEESG_SI_NS1_21upper_bound_search_opENS9_16wrapped_functionINS8_6system6detail7generic6detail18binary_search_lessEbEEEE10hipError_tPvRmT1_T2_T3_mmT4_T5_P12ihipStream_tbEUlRKiE_EESV_SZ_S10_mS11_S14_bEUlT_E_NS1_11comp_targetILNS1_3genE0ELNS1_11target_archE4294967295ELNS1_3gpuE0ELNS1_3repE0EEENS1_30default_config_static_selectorELNS0_4arch9wavefront6targetE1EEEvSY_.uses_flat_scratch, 0
	.set _ZN7rocprim17ROCPRIM_400000_NS6detail17trampoline_kernelINS0_14default_configENS1_27upper_bound_config_selectorIilEEZNS1_14transform_implILb0ES3_S5_N6thrust23THRUST_200600_302600_NS6detail15normal_iteratorINS8_7pointerIiNS8_11hip_rocprim5par_tENS8_11use_defaultESE_EEEENSA_INSB_IlSD_SE_SE_EEEEZNS1_13binary_searchIS3_S5_NSA_INS8_10device_ptrIiEEEESG_SI_NS1_21upper_bound_search_opENS9_16wrapped_functionINS8_6system6detail7generic6detail18binary_search_lessEbEEEE10hipError_tPvRmT1_T2_T3_mmT4_T5_P12ihipStream_tbEUlRKiE_EESV_SZ_S10_mS11_S14_bEUlT_E_NS1_11comp_targetILNS1_3genE0ELNS1_11target_archE4294967295ELNS1_3gpuE0ELNS1_3repE0EEENS1_30default_config_static_selectorELNS0_4arch9wavefront6targetE1EEEvSY_.has_dyn_sized_stack, 0
	.set _ZN7rocprim17ROCPRIM_400000_NS6detail17trampoline_kernelINS0_14default_configENS1_27upper_bound_config_selectorIilEEZNS1_14transform_implILb0ES3_S5_N6thrust23THRUST_200600_302600_NS6detail15normal_iteratorINS8_7pointerIiNS8_11hip_rocprim5par_tENS8_11use_defaultESE_EEEENSA_INSB_IlSD_SE_SE_EEEEZNS1_13binary_searchIS3_S5_NSA_INS8_10device_ptrIiEEEESG_SI_NS1_21upper_bound_search_opENS9_16wrapped_functionINS8_6system6detail7generic6detail18binary_search_lessEbEEEE10hipError_tPvRmT1_T2_T3_mmT4_T5_P12ihipStream_tbEUlRKiE_EESV_SZ_S10_mS11_S14_bEUlT_E_NS1_11comp_targetILNS1_3genE0ELNS1_11target_archE4294967295ELNS1_3gpuE0ELNS1_3repE0EEENS1_30default_config_static_selectorELNS0_4arch9wavefront6targetE1EEEvSY_.has_recursion, 0
	.set _ZN7rocprim17ROCPRIM_400000_NS6detail17trampoline_kernelINS0_14default_configENS1_27upper_bound_config_selectorIilEEZNS1_14transform_implILb0ES3_S5_N6thrust23THRUST_200600_302600_NS6detail15normal_iteratorINS8_7pointerIiNS8_11hip_rocprim5par_tENS8_11use_defaultESE_EEEENSA_INSB_IlSD_SE_SE_EEEEZNS1_13binary_searchIS3_S5_NSA_INS8_10device_ptrIiEEEESG_SI_NS1_21upper_bound_search_opENS9_16wrapped_functionINS8_6system6detail7generic6detail18binary_search_lessEbEEEE10hipError_tPvRmT1_T2_T3_mmT4_T5_P12ihipStream_tbEUlRKiE_EESV_SZ_S10_mS11_S14_bEUlT_E_NS1_11comp_targetILNS1_3genE0ELNS1_11target_archE4294967295ELNS1_3gpuE0ELNS1_3repE0EEENS1_30default_config_static_selectorELNS0_4arch9wavefront6targetE1EEEvSY_.has_indirect_call, 0
	.section	.AMDGPU.csdata,"",@progbits
; Kernel info:
; codeLenInByte = 0
; TotalNumSgprs: 4
; NumVgprs: 0
; ScratchSize: 0
; MemoryBound: 0
; FloatMode: 240
; IeeeMode: 1
; LDSByteSize: 0 bytes/workgroup (compile time only)
; SGPRBlocks: 0
; VGPRBlocks: 0
; NumSGPRsForWavesPerEU: 4
; NumVGPRsForWavesPerEU: 1
; Occupancy: 10
; WaveLimiterHint : 0
; COMPUTE_PGM_RSRC2:SCRATCH_EN: 0
; COMPUTE_PGM_RSRC2:USER_SGPR: 6
; COMPUTE_PGM_RSRC2:TRAP_HANDLER: 0
; COMPUTE_PGM_RSRC2:TGID_X_EN: 1
; COMPUTE_PGM_RSRC2:TGID_Y_EN: 0
; COMPUTE_PGM_RSRC2:TGID_Z_EN: 0
; COMPUTE_PGM_RSRC2:TIDIG_COMP_CNT: 0
	.section	.text._ZN7rocprim17ROCPRIM_400000_NS6detail17trampoline_kernelINS0_14default_configENS1_27upper_bound_config_selectorIilEEZNS1_14transform_implILb0ES3_S5_N6thrust23THRUST_200600_302600_NS6detail15normal_iteratorINS8_7pointerIiNS8_11hip_rocprim5par_tENS8_11use_defaultESE_EEEENSA_INSB_IlSD_SE_SE_EEEEZNS1_13binary_searchIS3_S5_NSA_INS8_10device_ptrIiEEEESG_SI_NS1_21upper_bound_search_opENS9_16wrapped_functionINS8_6system6detail7generic6detail18binary_search_lessEbEEEE10hipError_tPvRmT1_T2_T3_mmT4_T5_P12ihipStream_tbEUlRKiE_EESV_SZ_S10_mS11_S14_bEUlT_E_NS1_11comp_targetILNS1_3genE5ELNS1_11target_archE942ELNS1_3gpuE9ELNS1_3repE0EEENS1_30default_config_static_selectorELNS0_4arch9wavefront6targetE1EEEvSY_,"axG",@progbits,_ZN7rocprim17ROCPRIM_400000_NS6detail17trampoline_kernelINS0_14default_configENS1_27upper_bound_config_selectorIilEEZNS1_14transform_implILb0ES3_S5_N6thrust23THRUST_200600_302600_NS6detail15normal_iteratorINS8_7pointerIiNS8_11hip_rocprim5par_tENS8_11use_defaultESE_EEEENSA_INSB_IlSD_SE_SE_EEEEZNS1_13binary_searchIS3_S5_NSA_INS8_10device_ptrIiEEEESG_SI_NS1_21upper_bound_search_opENS9_16wrapped_functionINS8_6system6detail7generic6detail18binary_search_lessEbEEEE10hipError_tPvRmT1_T2_T3_mmT4_T5_P12ihipStream_tbEUlRKiE_EESV_SZ_S10_mS11_S14_bEUlT_E_NS1_11comp_targetILNS1_3genE5ELNS1_11target_archE942ELNS1_3gpuE9ELNS1_3repE0EEENS1_30default_config_static_selectorELNS0_4arch9wavefront6targetE1EEEvSY_,comdat
	.protected	_ZN7rocprim17ROCPRIM_400000_NS6detail17trampoline_kernelINS0_14default_configENS1_27upper_bound_config_selectorIilEEZNS1_14transform_implILb0ES3_S5_N6thrust23THRUST_200600_302600_NS6detail15normal_iteratorINS8_7pointerIiNS8_11hip_rocprim5par_tENS8_11use_defaultESE_EEEENSA_INSB_IlSD_SE_SE_EEEEZNS1_13binary_searchIS3_S5_NSA_INS8_10device_ptrIiEEEESG_SI_NS1_21upper_bound_search_opENS9_16wrapped_functionINS8_6system6detail7generic6detail18binary_search_lessEbEEEE10hipError_tPvRmT1_T2_T3_mmT4_T5_P12ihipStream_tbEUlRKiE_EESV_SZ_S10_mS11_S14_bEUlT_E_NS1_11comp_targetILNS1_3genE5ELNS1_11target_archE942ELNS1_3gpuE9ELNS1_3repE0EEENS1_30default_config_static_selectorELNS0_4arch9wavefront6targetE1EEEvSY_ ; -- Begin function _ZN7rocprim17ROCPRIM_400000_NS6detail17trampoline_kernelINS0_14default_configENS1_27upper_bound_config_selectorIilEEZNS1_14transform_implILb0ES3_S5_N6thrust23THRUST_200600_302600_NS6detail15normal_iteratorINS8_7pointerIiNS8_11hip_rocprim5par_tENS8_11use_defaultESE_EEEENSA_INSB_IlSD_SE_SE_EEEEZNS1_13binary_searchIS3_S5_NSA_INS8_10device_ptrIiEEEESG_SI_NS1_21upper_bound_search_opENS9_16wrapped_functionINS8_6system6detail7generic6detail18binary_search_lessEbEEEE10hipError_tPvRmT1_T2_T3_mmT4_T5_P12ihipStream_tbEUlRKiE_EESV_SZ_S10_mS11_S14_bEUlT_E_NS1_11comp_targetILNS1_3genE5ELNS1_11target_archE942ELNS1_3gpuE9ELNS1_3repE0EEENS1_30default_config_static_selectorELNS0_4arch9wavefront6targetE1EEEvSY_
	.globl	_ZN7rocprim17ROCPRIM_400000_NS6detail17trampoline_kernelINS0_14default_configENS1_27upper_bound_config_selectorIilEEZNS1_14transform_implILb0ES3_S5_N6thrust23THRUST_200600_302600_NS6detail15normal_iteratorINS8_7pointerIiNS8_11hip_rocprim5par_tENS8_11use_defaultESE_EEEENSA_INSB_IlSD_SE_SE_EEEEZNS1_13binary_searchIS3_S5_NSA_INS8_10device_ptrIiEEEESG_SI_NS1_21upper_bound_search_opENS9_16wrapped_functionINS8_6system6detail7generic6detail18binary_search_lessEbEEEE10hipError_tPvRmT1_T2_T3_mmT4_T5_P12ihipStream_tbEUlRKiE_EESV_SZ_S10_mS11_S14_bEUlT_E_NS1_11comp_targetILNS1_3genE5ELNS1_11target_archE942ELNS1_3gpuE9ELNS1_3repE0EEENS1_30default_config_static_selectorELNS0_4arch9wavefront6targetE1EEEvSY_
	.p2align	8
	.type	_ZN7rocprim17ROCPRIM_400000_NS6detail17trampoline_kernelINS0_14default_configENS1_27upper_bound_config_selectorIilEEZNS1_14transform_implILb0ES3_S5_N6thrust23THRUST_200600_302600_NS6detail15normal_iteratorINS8_7pointerIiNS8_11hip_rocprim5par_tENS8_11use_defaultESE_EEEENSA_INSB_IlSD_SE_SE_EEEEZNS1_13binary_searchIS3_S5_NSA_INS8_10device_ptrIiEEEESG_SI_NS1_21upper_bound_search_opENS9_16wrapped_functionINS8_6system6detail7generic6detail18binary_search_lessEbEEEE10hipError_tPvRmT1_T2_T3_mmT4_T5_P12ihipStream_tbEUlRKiE_EESV_SZ_S10_mS11_S14_bEUlT_E_NS1_11comp_targetILNS1_3genE5ELNS1_11target_archE942ELNS1_3gpuE9ELNS1_3repE0EEENS1_30default_config_static_selectorELNS0_4arch9wavefront6targetE1EEEvSY_,@function
_ZN7rocprim17ROCPRIM_400000_NS6detail17trampoline_kernelINS0_14default_configENS1_27upper_bound_config_selectorIilEEZNS1_14transform_implILb0ES3_S5_N6thrust23THRUST_200600_302600_NS6detail15normal_iteratorINS8_7pointerIiNS8_11hip_rocprim5par_tENS8_11use_defaultESE_EEEENSA_INSB_IlSD_SE_SE_EEEEZNS1_13binary_searchIS3_S5_NSA_INS8_10device_ptrIiEEEESG_SI_NS1_21upper_bound_search_opENS9_16wrapped_functionINS8_6system6detail7generic6detail18binary_search_lessEbEEEE10hipError_tPvRmT1_T2_T3_mmT4_T5_P12ihipStream_tbEUlRKiE_EESV_SZ_S10_mS11_S14_bEUlT_E_NS1_11comp_targetILNS1_3genE5ELNS1_11target_archE942ELNS1_3gpuE9ELNS1_3repE0EEENS1_30default_config_static_selectorELNS0_4arch9wavefront6targetE1EEEvSY_: ; @_ZN7rocprim17ROCPRIM_400000_NS6detail17trampoline_kernelINS0_14default_configENS1_27upper_bound_config_selectorIilEEZNS1_14transform_implILb0ES3_S5_N6thrust23THRUST_200600_302600_NS6detail15normal_iteratorINS8_7pointerIiNS8_11hip_rocprim5par_tENS8_11use_defaultESE_EEEENSA_INSB_IlSD_SE_SE_EEEEZNS1_13binary_searchIS3_S5_NSA_INS8_10device_ptrIiEEEESG_SI_NS1_21upper_bound_search_opENS9_16wrapped_functionINS8_6system6detail7generic6detail18binary_search_lessEbEEEE10hipError_tPvRmT1_T2_T3_mmT4_T5_P12ihipStream_tbEUlRKiE_EESV_SZ_S10_mS11_S14_bEUlT_E_NS1_11comp_targetILNS1_3genE5ELNS1_11target_archE942ELNS1_3gpuE9ELNS1_3repE0EEENS1_30default_config_static_selectorELNS0_4arch9wavefront6targetE1EEEvSY_
; %bb.0:
	.section	.rodata,"a",@progbits
	.p2align	6, 0x0
	.amdhsa_kernel _ZN7rocprim17ROCPRIM_400000_NS6detail17trampoline_kernelINS0_14default_configENS1_27upper_bound_config_selectorIilEEZNS1_14transform_implILb0ES3_S5_N6thrust23THRUST_200600_302600_NS6detail15normal_iteratorINS8_7pointerIiNS8_11hip_rocprim5par_tENS8_11use_defaultESE_EEEENSA_INSB_IlSD_SE_SE_EEEEZNS1_13binary_searchIS3_S5_NSA_INS8_10device_ptrIiEEEESG_SI_NS1_21upper_bound_search_opENS9_16wrapped_functionINS8_6system6detail7generic6detail18binary_search_lessEbEEEE10hipError_tPvRmT1_T2_T3_mmT4_T5_P12ihipStream_tbEUlRKiE_EESV_SZ_S10_mS11_S14_bEUlT_E_NS1_11comp_targetILNS1_3genE5ELNS1_11target_archE942ELNS1_3gpuE9ELNS1_3repE0EEENS1_30default_config_static_selectorELNS0_4arch9wavefront6targetE1EEEvSY_
		.amdhsa_group_segment_fixed_size 0
		.amdhsa_private_segment_fixed_size 0
		.amdhsa_kernarg_size 56
		.amdhsa_user_sgpr_count 6
		.amdhsa_user_sgpr_private_segment_buffer 1
		.amdhsa_user_sgpr_dispatch_ptr 0
		.amdhsa_user_sgpr_queue_ptr 0
		.amdhsa_user_sgpr_kernarg_segment_ptr 1
		.amdhsa_user_sgpr_dispatch_id 0
		.amdhsa_user_sgpr_flat_scratch_init 0
		.amdhsa_user_sgpr_private_segment_size 0
		.amdhsa_uses_dynamic_stack 0
		.amdhsa_system_sgpr_private_segment_wavefront_offset 0
		.amdhsa_system_sgpr_workgroup_id_x 1
		.amdhsa_system_sgpr_workgroup_id_y 0
		.amdhsa_system_sgpr_workgroup_id_z 0
		.amdhsa_system_sgpr_workgroup_info 0
		.amdhsa_system_vgpr_workitem_id 0
		.amdhsa_next_free_vgpr 1
		.amdhsa_next_free_sgpr 0
		.amdhsa_reserve_vcc 0
		.amdhsa_reserve_flat_scratch 0
		.amdhsa_float_round_mode_32 0
		.amdhsa_float_round_mode_16_64 0
		.amdhsa_float_denorm_mode_32 3
		.amdhsa_float_denorm_mode_16_64 3
		.amdhsa_dx10_clamp 1
		.amdhsa_ieee_mode 1
		.amdhsa_fp16_overflow 0
		.amdhsa_exception_fp_ieee_invalid_op 0
		.amdhsa_exception_fp_denorm_src 0
		.amdhsa_exception_fp_ieee_div_zero 0
		.amdhsa_exception_fp_ieee_overflow 0
		.amdhsa_exception_fp_ieee_underflow 0
		.amdhsa_exception_fp_ieee_inexact 0
		.amdhsa_exception_int_div_zero 0
	.end_amdhsa_kernel
	.section	.text._ZN7rocprim17ROCPRIM_400000_NS6detail17trampoline_kernelINS0_14default_configENS1_27upper_bound_config_selectorIilEEZNS1_14transform_implILb0ES3_S5_N6thrust23THRUST_200600_302600_NS6detail15normal_iteratorINS8_7pointerIiNS8_11hip_rocprim5par_tENS8_11use_defaultESE_EEEENSA_INSB_IlSD_SE_SE_EEEEZNS1_13binary_searchIS3_S5_NSA_INS8_10device_ptrIiEEEESG_SI_NS1_21upper_bound_search_opENS9_16wrapped_functionINS8_6system6detail7generic6detail18binary_search_lessEbEEEE10hipError_tPvRmT1_T2_T3_mmT4_T5_P12ihipStream_tbEUlRKiE_EESV_SZ_S10_mS11_S14_bEUlT_E_NS1_11comp_targetILNS1_3genE5ELNS1_11target_archE942ELNS1_3gpuE9ELNS1_3repE0EEENS1_30default_config_static_selectorELNS0_4arch9wavefront6targetE1EEEvSY_,"axG",@progbits,_ZN7rocprim17ROCPRIM_400000_NS6detail17trampoline_kernelINS0_14default_configENS1_27upper_bound_config_selectorIilEEZNS1_14transform_implILb0ES3_S5_N6thrust23THRUST_200600_302600_NS6detail15normal_iteratorINS8_7pointerIiNS8_11hip_rocprim5par_tENS8_11use_defaultESE_EEEENSA_INSB_IlSD_SE_SE_EEEEZNS1_13binary_searchIS3_S5_NSA_INS8_10device_ptrIiEEEESG_SI_NS1_21upper_bound_search_opENS9_16wrapped_functionINS8_6system6detail7generic6detail18binary_search_lessEbEEEE10hipError_tPvRmT1_T2_T3_mmT4_T5_P12ihipStream_tbEUlRKiE_EESV_SZ_S10_mS11_S14_bEUlT_E_NS1_11comp_targetILNS1_3genE5ELNS1_11target_archE942ELNS1_3gpuE9ELNS1_3repE0EEENS1_30default_config_static_selectorELNS0_4arch9wavefront6targetE1EEEvSY_,comdat
.Lfunc_end582:
	.size	_ZN7rocprim17ROCPRIM_400000_NS6detail17trampoline_kernelINS0_14default_configENS1_27upper_bound_config_selectorIilEEZNS1_14transform_implILb0ES3_S5_N6thrust23THRUST_200600_302600_NS6detail15normal_iteratorINS8_7pointerIiNS8_11hip_rocprim5par_tENS8_11use_defaultESE_EEEENSA_INSB_IlSD_SE_SE_EEEEZNS1_13binary_searchIS3_S5_NSA_INS8_10device_ptrIiEEEESG_SI_NS1_21upper_bound_search_opENS9_16wrapped_functionINS8_6system6detail7generic6detail18binary_search_lessEbEEEE10hipError_tPvRmT1_T2_T3_mmT4_T5_P12ihipStream_tbEUlRKiE_EESV_SZ_S10_mS11_S14_bEUlT_E_NS1_11comp_targetILNS1_3genE5ELNS1_11target_archE942ELNS1_3gpuE9ELNS1_3repE0EEENS1_30default_config_static_selectorELNS0_4arch9wavefront6targetE1EEEvSY_, .Lfunc_end582-_ZN7rocprim17ROCPRIM_400000_NS6detail17trampoline_kernelINS0_14default_configENS1_27upper_bound_config_selectorIilEEZNS1_14transform_implILb0ES3_S5_N6thrust23THRUST_200600_302600_NS6detail15normal_iteratorINS8_7pointerIiNS8_11hip_rocprim5par_tENS8_11use_defaultESE_EEEENSA_INSB_IlSD_SE_SE_EEEEZNS1_13binary_searchIS3_S5_NSA_INS8_10device_ptrIiEEEESG_SI_NS1_21upper_bound_search_opENS9_16wrapped_functionINS8_6system6detail7generic6detail18binary_search_lessEbEEEE10hipError_tPvRmT1_T2_T3_mmT4_T5_P12ihipStream_tbEUlRKiE_EESV_SZ_S10_mS11_S14_bEUlT_E_NS1_11comp_targetILNS1_3genE5ELNS1_11target_archE942ELNS1_3gpuE9ELNS1_3repE0EEENS1_30default_config_static_selectorELNS0_4arch9wavefront6targetE1EEEvSY_
                                        ; -- End function
	.set _ZN7rocprim17ROCPRIM_400000_NS6detail17trampoline_kernelINS0_14default_configENS1_27upper_bound_config_selectorIilEEZNS1_14transform_implILb0ES3_S5_N6thrust23THRUST_200600_302600_NS6detail15normal_iteratorINS8_7pointerIiNS8_11hip_rocprim5par_tENS8_11use_defaultESE_EEEENSA_INSB_IlSD_SE_SE_EEEEZNS1_13binary_searchIS3_S5_NSA_INS8_10device_ptrIiEEEESG_SI_NS1_21upper_bound_search_opENS9_16wrapped_functionINS8_6system6detail7generic6detail18binary_search_lessEbEEEE10hipError_tPvRmT1_T2_T3_mmT4_T5_P12ihipStream_tbEUlRKiE_EESV_SZ_S10_mS11_S14_bEUlT_E_NS1_11comp_targetILNS1_3genE5ELNS1_11target_archE942ELNS1_3gpuE9ELNS1_3repE0EEENS1_30default_config_static_selectorELNS0_4arch9wavefront6targetE1EEEvSY_.num_vgpr, 0
	.set _ZN7rocprim17ROCPRIM_400000_NS6detail17trampoline_kernelINS0_14default_configENS1_27upper_bound_config_selectorIilEEZNS1_14transform_implILb0ES3_S5_N6thrust23THRUST_200600_302600_NS6detail15normal_iteratorINS8_7pointerIiNS8_11hip_rocprim5par_tENS8_11use_defaultESE_EEEENSA_INSB_IlSD_SE_SE_EEEEZNS1_13binary_searchIS3_S5_NSA_INS8_10device_ptrIiEEEESG_SI_NS1_21upper_bound_search_opENS9_16wrapped_functionINS8_6system6detail7generic6detail18binary_search_lessEbEEEE10hipError_tPvRmT1_T2_T3_mmT4_T5_P12ihipStream_tbEUlRKiE_EESV_SZ_S10_mS11_S14_bEUlT_E_NS1_11comp_targetILNS1_3genE5ELNS1_11target_archE942ELNS1_3gpuE9ELNS1_3repE0EEENS1_30default_config_static_selectorELNS0_4arch9wavefront6targetE1EEEvSY_.num_agpr, 0
	.set _ZN7rocprim17ROCPRIM_400000_NS6detail17trampoline_kernelINS0_14default_configENS1_27upper_bound_config_selectorIilEEZNS1_14transform_implILb0ES3_S5_N6thrust23THRUST_200600_302600_NS6detail15normal_iteratorINS8_7pointerIiNS8_11hip_rocprim5par_tENS8_11use_defaultESE_EEEENSA_INSB_IlSD_SE_SE_EEEEZNS1_13binary_searchIS3_S5_NSA_INS8_10device_ptrIiEEEESG_SI_NS1_21upper_bound_search_opENS9_16wrapped_functionINS8_6system6detail7generic6detail18binary_search_lessEbEEEE10hipError_tPvRmT1_T2_T3_mmT4_T5_P12ihipStream_tbEUlRKiE_EESV_SZ_S10_mS11_S14_bEUlT_E_NS1_11comp_targetILNS1_3genE5ELNS1_11target_archE942ELNS1_3gpuE9ELNS1_3repE0EEENS1_30default_config_static_selectorELNS0_4arch9wavefront6targetE1EEEvSY_.numbered_sgpr, 0
	.set _ZN7rocprim17ROCPRIM_400000_NS6detail17trampoline_kernelINS0_14default_configENS1_27upper_bound_config_selectorIilEEZNS1_14transform_implILb0ES3_S5_N6thrust23THRUST_200600_302600_NS6detail15normal_iteratorINS8_7pointerIiNS8_11hip_rocprim5par_tENS8_11use_defaultESE_EEEENSA_INSB_IlSD_SE_SE_EEEEZNS1_13binary_searchIS3_S5_NSA_INS8_10device_ptrIiEEEESG_SI_NS1_21upper_bound_search_opENS9_16wrapped_functionINS8_6system6detail7generic6detail18binary_search_lessEbEEEE10hipError_tPvRmT1_T2_T3_mmT4_T5_P12ihipStream_tbEUlRKiE_EESV_SZ_S10_mS11_S14_bEUlT_E_NS1_11comp_targetILNS1_3genE5ELNS1_11target_archE942ELNS1_3gpuE9ELNS1_3repE0EEENS1_30default_config_static_selectorELNS0_4arch9wavefront6targetE1EEEvSY_.num_named_barrier, 0
	.set _ZN7rocprim17ROCPRIM_400000_NS6detail17trampoline_kernelINS0_14default_configENS1_27upper_bound_config_selectorIilEEZNS1_14transform_implILb0ES3_S5_N6thrust23THRUST_200600_302600_NS6detail15normal_iteratorINS8_7pointerIiNS8_11hip_rocprim5par_tENS8_11use_defaultESE_EEEENSA_INSB_IlSD_SE_SE_EEEEZNS1_13binary_searchIS3_S5_NSA_INS8_10device_ptrIiEEEESG_SI_NS1_21upper_bound_search_opENS9_16wrapped_functionINS8_6system6detail7generic6detail18binary_search_lessEbEEEE10hipError_tPvRmT1_T2_T3_mmT4_T5_P12ihipStream_tbEUlRKiE_EESV_SZ_S10_mS11_S14_bEUlT_E_NS1_11comp_targetILNS1_3genE5ELNS1_11target_archE942ELNS1_3gpuE9ELNS1_3repE0EEENS1_30default_config_static_selectorELNS0_4arch9wavefront6targetE1EEEvSY_.private_seg_size, 0
	.set _ZN7rocprim17ROCPRIM_400000_NS6detail17trampoline_kernelINS0_14default_configENS1_27upper_bound_config_selectorIilEEZNS1_14transform_implILb0ES3_S5_N6thrust23THRUST_200600_302600_NS6detail15normal_iteratorINS8_7pointerIiNS8_11hip_rocprim5par_tENS8_11use_defaultESE_EEEENSA_INSB_IlSD_SE_SE_EEEEZNS1_13binary_searchIS3_S5_NSA_INS8_10device_ptrIiEEEESG_SI_NS1_21upper_bound_search_opENS9_16wrapped_functionINS8_6system6detail7generic6detail18binary_search_lessEbEEEE10hipError_tPvRmT1_T2_T3_mmT4_T5_P12ihipStream_tbEUlRKiE_EESV_SZ_S10_mS11_S14_bEUlT_E_NS1_11comp_targetILNS1_3genE5ELNS1_11target_archE942ELNS1_3gpuE9ELNS1_3repE0EEENS1_30default_config_static_selectorELNS0_4arch9wavefront6targetE1EEEvSY_.uses_vcc, 0
	.set _ZN7rocprim17ROCPRIM_400000_NS6detail17trampoline_kernelINS0_14default_configENS1_27upper_bound_config_selectorIilEEZNS1_14transform_implILb0ES3_S5_N6thrust23THRUST_200600_302600_NS6detail15normal_iteratorINS8_7pointerIiNS8_11hip_rocprim5par_tENS8_11use_defaultESE_EEEENSA_INSB_IlSD_SE_SE_EEEEZNS1_13binary_searchIS3_S5_NSA_INS8_10device_ptrIiEEEESG_SI_NS1_21upper_bound_search_opENS9_16wrapped_functionINS8_6system6detail7generic6detail18binary_search_lessEbEEEE10hipError_tPvRmT1_T2_T3_mmT4_T5_P12ihipStream_tbEUlRKiE_EESV_SZ_S10_mS11_S14_bEUlT_E_NS1_11comp_targetILNS1_3genE5ELNS1_11target_archE942ELNS1_3gpuE9ELNS1_3repE0EEENS1_30default_config_static_selectorELNS0_4arch9wavefront6targetE1EEEvSY_.uses_flat_scratch, 0
	.set _ZN7rocprim17ROCPRIM_400000_NS6detail17trampoline_kernelINS0_14default_configENS1_27upper_bound_config_selectorIilEEZNS1_14transform_implILb0ES3_S5_N6thrust23THRUST_200600_302600_NS6detail15normal_iteratorINS8_7pointerIiNS8_11hip_rocprim5par_tENS8_11use_defaultESE_EEEENSA_INSB_IlSD_SE_SE_EEEEZNS1_13binary_searchIS3_S5_NSA_INS8_10device_ptrIiEEEESG_SI_NS1_21upper_bound_search_opENS9_16wrapped_functionINS8_6system6detail7generic6detail18binary_search_lessEbEEEE10hipError_tPvRmT1_T2_T3_mmT4_T5_P12ihipStream_tbEUlRKiE_EESV_SZ_S10_mS11_S14_bEUlT_E_NS1_11comp_targetILNS1_3genE5ELNS1_11target_archE942ELNS1_3gpuE9ELNS1_3repE0EEENS1_30default_config_static_selectorELNS0_4arch9wavefront6targetE1EEEvSY_.has_dyn_sized_stack, 0
	.set _ZN7rocprim17ROCPRIM_400000_NS6detail17trampoline_kernelINS0_14default_configENS1_27upper_bound_config_selectorIilEEZNS1_14transform_implILb0ES3_S5_N6thrust23THRUST_200600_302600_NS6detail15normal_iteratorINS8_7pointerIiNS8_11hip_rocprim5par_tENS8_11use_defaultESE_EEEENSA_INSB_IlSD_SE_SE_EEEEZNS1_13binary_searchIS3_S5_NSA_INS8_10device_ptrIiEEEESG_SI_NS1_21upper_bound_search_opENS9_16wrapped_functionINS8_6system6detail7generic6detail18binary_search_lessEbEEEE10hipError_tPvRmT1_T2_T3_mmT4_T5_P12ihipStream_tbEUlRKiE_EESV_SZ_S10_mS11_S14_bEUlT_E_NS1_11comp_targetILNS1_3genE5ELNS1_11target_archE942ELNS1_3gpuE9ELNS1_3repE0EEENS1_30default_config_static_selectorELNS0_4arch9wavefront6targetE1EEEvSY_.has_recursion, 0
	.set _ZN7rocprim17ROCPRIM_400000_NS6detail17trampoline_kernelINS0_14default_configENS1_27upper_bound_config_selectorIilEEZNS1_14transform_implILb0ES3_S5_N6thrust23THRUST_200600_302600_NS6detail15normal_iteratorINS8_7pointerIiNS8_11hip_rocprim5par_tENS8_11use_defaultESE_EEEENSA_INSB_IlSD_SE_SE_EEEEZNS1_13binary_searchIS3_S5_NSA_INS8_10device_ptrIiEEEESG_SI_NS1_21upper_bound_search_opENS9_16wrapped_functionINS8_6system6detail7generic6detail18binary_search_lessEbEEEE10hipError_tPvRmT1_T2_T3_mmT4_T5_P12ihipStream_tbEUlRKiE_EESV_SZ_S10_mS11_S14_bEUlT_E_NS1_11comp_targetILNS1_3genE5ELNS1_11target_archE942ELNS1_3gpuE9ELNS1_3repE0EEENS1_30default_config_static_selectorELNS0_4arch9wavefront6targetE1EEEvSY_.has_indirect_call, 0
	.section	.AMDGPU.csdata,"",@progbits
; Kernel info:
; codeLenInByte = 0
; TotalNumSgprs: 4
; NumVgprs: 0
; ScratchSize: 0
; MemoryBound: 0
; FloatMode: 240
; IeeeMode: 1
; LDSByteSize: 0 bytes/workgroup (compile time only)
; SGPRBlocks: 0
; VGPRBlocks: 0
; NumSGPRsForWavesPerEU: 4
; NumVGPRsForWavesPerEU: 1
; Occupancy: 10
; WaveLimiterHint : 0
; COMPUTE_PGM_RSRC2:SCRATCH_EN: 0
; COMPUTE_PGM_RSRC2:USER_SGPR: 6
; COMPUTE_PGM_RSRC2:TRAP_HANDLER: 0
; COMPUTE_PGM_RSRC2:TGID_X_EN: 1
; COMPUTE_PGM_RSRC2:TGID_Y_EN: 0
; COMPUTE_PGM_RSRC2:TGID_Z_EN: 0
; COMPUTE_PGM_RSRC2:TIDIG_COMP_CNT: 0
	.section	.text._ZN7rocprim17ROCPRIM_400000_NS6detail17trampoline_kernelINS0_14default_configENS1_27upper_bound_config_selectorIilEEZNS1_14transform_implILb0ES3_S5_N6thrust23THRUST_200600_302600_NS6detail15normal_iteratorINS8_7pointerIiNS8_11hip_rocprim5par_tENS8_11use_defaultESE_EEEENSA_INSB_IlSD_SE_SE_EEEEZNS1_13binary_searchIS3_S5_NSA_INS8_10device_ptrIiEEEESG_SI_NS1_21upper_bound_search_opENS9_16wrapped_functionINS8_6system6detail7generic6detail18binary_search_lessEbEEEE10hipError_tPvRmT1_T2_T3_mmT4_T5_P12ihipStream_tbEUlRKiE_EESV_SZ_S10_mS11_S14_bEUlT_E_NS1_11comp_targetILNS1_3genE4ELNS1_11target_archE910ELNS1_3gpuE8ELNS1_3repE0EEENS1_30default_config_static_selectorELNS0_4arch9wavefront6targetE1EEEvSY_,"axG",@progbits,_ZN7rocprim17ROCPRIM_400000_NS6detail17trampoline_kernelINS0_14default_configENS1_27upper_bound_config_selectorIilEEZNS1_14transform_implILb0ES3_S5_N6thrust23THRUST_200600_302600_NS6detail15normal_iteratorINS8_7pointerIiNS8_11hip_rocprim5par_tENS8_11use_defaultESE_EEEENSA_INSB_IlSD_SE_SE_EEEEZNS1_13binary_searchIS3_S5_NSA_INS8_10device_ptrIiEEEESG_SI_NS1_21upper_bound_search_opENS9_16wrapped_functionINS8_6system6detail7generic6detail18binary_search_lessEbEEEE10hipError_tPvRmT1_T2_T3_mmT4_T5_P12ihipStream_tbEUlRKiE_EESV_SZ_S10_mS11_S14_bEUlT_E_NS1_11comp_targetILNS1_3genE4ELNS1_11target_archE910ELNS1_3gpuE8ELNS1_3repE0EEENS1_30default_config_static_selectorELNS0_4arch9wavefront6targetE1EEEvSY_,comdat
	.protected	_ZN7rocprim17ROCPRIM_400000_NS6detail17trampoline_kernelINS0_14default_configENS1_27upper_bound_config_selectorIilEEZNS1_14transform_implILb0ES3_S5_N6thrust23THRUST_200600_302600_NS6detail15normal_iteratorINS8_7pointerIiNS8_11hip_rocprim5par_tENS8_11use_defaultESE_EEEENSA_INSB_IlSD_SE_SE_EEEEZNS1_13binary_searchIS3_S5_NSA_INS8_10device_ptrIiEEEESG_SI_NS1_21upper_bound_search_opENS9_16wrapped_functionINS8_6system6detail7generic6detail18binary_search_lessEbEEEE10hipError_tPvRmT1_T2_T3_mmT4_T5_P12ihipStream_tbEUlRKiE_EESV_SZ_S10_mS11_S14_bEUlT_E_NS1_11comp_targetILNS1_3genE4ELNS1_11target_archE910ELNS1_3gpuE8ELNS1_3repE0EEENS1_30default_config_static_selectorELNS0_4arch9wavefront6targetE1EEEvSY_ ; -- Begin function _ZN7rocprim17ROCPRIM_400000_NS6detail17trampoline_kernelINS0_14default_configENS1_27upper_bound_config_selectorIilEEZNS1_14transform_implILb0ES3_S5_N6thrust23THRUST_200600_302600_NS6detail15normal_iteratorINS8_7pointerIiNS8_11hip_rocprim5par_tENS8_11use_defaultESE_EEEENSA_INSB_IlSD_SE_SE_EEEEZNS1_13binary_searchIS3_S5_NSA_INS8_10device_ptrIiEEEESG_SI_NS1_21upper_bound_search_opENS9_16wrapped_functionINS8_6system6detail7generic6detail18binary_search_lessEbEEEE10hipError_tPvRmT1_T2_T3_mmT4_T5_P12ihipStream_tbEUlRKiE_EESV_SZ_S10_mS11_S14_bEUlT_E_NS1_11comp_targetILNS1_3genE4ELNS1_11target_archE910ELNS1_3gpuE8ELNS1_3repE0EEENS1_30default_config_static_selectorELNS0_4arch9wavefront6targetE1EEEvSY_
	.globl	_ZN7rocprim17ROCPRIM_400000_NS6detail17trampoline_kernelINS0_14default_configENS1_27upper_bound_config_selectorIilEEZNS1_14transform_implILb0ES3_S5_N6thrust23THRUST_200600_302600_NS6detail15normal_iteratorINS8_7pointerIiNS8_11hip_rocprim5par_tENS8_11use_defaultESE_EEEENSA_INSB_IlSD_SE_SE_EEEEZNS1_13binary_searchIS3_S5_NSA_INS8_10device_ptrIiEEEESG_SI_NS1_21upper_bound_search_opENS9_16wrapped_functionINS8_6system6detail7generic6detail18binary_search_lessEbEEEE10hipError_tPvRmT1_T2_T3_mmT4_T5_P12ihipStream_tbEUlRKiE_EESV_SZ_S10_mS11_S14_bEUlT_E_NS1_11comp_targetILNS1_3genE4ELNS1_11target_archE910ELNS1_3gpuE8ELNS1_3repE0EEENS1_30default_config_static_selectorELNS0_4arch9wavefront6targetE1EEEvSY_
	.p2align	8
	.type	_ZN7rocprim17ROCPRIM_400000_NS6detail17trampoline_kernelINS0_14default_configENS1_27upper_bound_config_selectorIilEEZNS1_14transform_implILb0ES3_S5_N6thrust23THRUST_200600_302600_NS6detail15normal_iteratorINS8_7pointerIiNS8_11hip_rocprim5par_tENS8_11use_defaultESE_EEEENSA_INSB_IlSD_SE_SE_EEEEZNS1_13binary_searchIS3_S5_NSA_INS8_10device_ptrIiEEEESG_SI_NS1_21upper_bound_search_opENS9_16wrapped_functionINS8_6system6detail7generic6detail18binary_search_lessEbEEEE10hipError_tPvRmT1_T2_T3_mmT4_T5_P12ihipStream_tbEUlRKiE_EESV_SZ_S10_mS11_S14_bEUlT_E_NS1_11comp_targetILNS1_3genE4ELNS1_11target_archE910ELNS1_3gpuE8ELNS1_3repE0EEENS1_30default_config_static_selectorELNS0_4arch9wavefront6targetE1EEEvSY_,@function
_ZN7rocprim17ROCPRIM_400000_NS6detail17trampoline_kernelINS0_14default_configENS1_27upper_bound_config_selectorIilEEZNS1_14transform_implILb0ES3_S5_N6thrust23THRUST_200600_302600_NS6detail15normal_iteratorINS8_7pointerIiNS8_11hip_rocprim5par_tENS8_11use_defaultESE_EEEENSA_INSB_IlSD_SE_SE_EEEEZNS1_13binary_searchIS3_S5_NSA_INS8_10device_ptrIiEEEESG_SI_NS1_21upper_bound_search_opENS9_16wrapped_functionINS8_6system6detail7generic6detail18binary_search_lessEbEEEE10hipError_tPvRmT1_T2_T3_mmT4_T5_P12ihipStream_tbEUlRKiE_EESV_SZ_S10_mS11_S14_bEUlT_E_NS1_11comp_targetILNS1_3genE4ELNS1_11target_archE910ELNS1_3gpuE8ELNS1_3repE0EEENS1_30default_config_static_selectorELNS0_4arch9wavefront6targetE1EEEvSY_: ; @_ZN7rocprim17ROCPRIM_400000_NS6detail17trampoline_kernelINS0_14default_configENS1_27upper_bound_config_selectorIilEEZNS1_14transform_implILb0ES3_S5_N6thrust23THRUST_200600_302600_NS6detail15normal_iteratorINS8_7pointerIiNS8_11hip_rocprim5par_tENS8_11use_defaultESE_EEEENSA_INSB_IlSD_SE_SE_EEEEZNS1_13binary_searchIS3_S5_NSA_INS8_10device_ptrIiEEEESG_SI_NS1_21upper_bound_search_opENS9_16wrapped_functionINS8_6system6detail7generic6detail18binary_search_lessEbEEEE10hipError_tPvRmT1_T2_T3_mmT4_T5_P12ihipStream_tbEUlRKiE_EESV_SZ_S10_mS11_S14_bEUlT_E_NS1_11comp_targetILNS1_3genE4ELNS1_11target_archE910ELNS1_3gpuE8ELNS1_3repE0EEENS1_30default_config_static_selectorELNS0_4arch9wavefront6targetE1EEEvSY_
; %bb.0:
	.section	.rodata,"a",@progbits
	.p2align	6, 0x0
	.amdhsa_kernel _ZN7rocprim17ROCPRIM_400000_NS6detail17trampoline_kernelINS0_14default_configENS1_27upper_bound_config_selectorIilEEZNS1_14transform_implILb0ES3_S5_N6thrust23THRUST_200600_302600_NS6detail15normal_iteratorINS8_7pointerIiNS8_11hip_rocprim5par_tENS8_11use_defaultESE_EEEENSA_INSB_IlSD_SE_SE_EEEEZNS1_13binary_searchIS3_S5_NSA_INS8_10device_ptrIiEEEESG_SI_NS1_21upper_bound_search_opENS9_16wrapped_functionINS8_6system6detail7generic6detail18binary_search_lessEbEEEE10hipError_tPvRmT1_T2_T3_mmT4_T5_P12ihipStream_tbEUlRKiE_EESV_SZ_S10_mS11_S14_bEUlT_E_NS1_11comp_targetILNS1_3genE4ELNS1_11target_archE910ELNS1_3gpuE8ELNS1_3repE0EEENS1_30default_config_static_selectorELNS0_4arch9wavefront6targetE1EEEvSY_
		.amdhsa_group_segment_fixed_size 0
		.amdhsa_private_segment_fixed_size 0
		.amdhsa_kernarg_size 56
		.amdhsa_user_sgpr_count 6
		.amdhsa_user_sgpr_private_segment_buffer 1
		.amdhsa_user_sgpr_dispatch_ptr 0
		.amdhsa_user_sgpr_queue_ptr 0
		.amdhsa_user_sgpr_kernarg_segment_ptr 1
		.amdhsa_user_sgpr_dispatch_id 0
		.amdhsa_user_sgpr_flat_scratch_init 0
		.amdhsa_user_sgpr_private_segment_size 0
		.amdhsa_uses_dynamic_stack 0
		.amdhsa_system_sgpr_private_segment_wavefront_offset 0
		.amdhsa_system_sgpr_workgroup_id_x 1
		.amdhsa_system_sgpr_workgroup_id_y 0
		.amdhsa_system_sgpr_workgroup_id_z 0
		.amdhsa_system_sgpr_workgroup_info 0
		.amdhsa_system_vgpr_workitem_id 0
		.amdhsa_next_free_vgpr 1
		.amdhsa_next_free_sgpr 0
		.amdhsa_reserve_vcc 0
		.amdhsa_reserve_flat_scratch 0
		.amdhsa_float_round_mode_32 0
		.amdhsa_float_round_mode_16_64 0
		.amdhsa_float_denorm_mode_32 3
		.amdhsa_float_denorm_mode_16_64 3
		.amdhsa_dx10_clamp 1
		.amdhsa_ieee_mode 1
		.amdhsa_fp16_overflow 0
		.amdhsa_exception_fp_ieee_invalid_op 0
		.amdhsa_exception_fp_denorm_src 0
		.amdhsa_exception_fp_ieee_div_zero 0
		.amdhsa_exception_fp_ieee_overflow 0
		.amdhsa_exception_fp_ieee_underflow 0
		.amdhsa_exception_fp_ieee_inexact 0
		.amdhsa_exception_int_div_zero 0
	.end_amdhsa_kernel
	.section	.text._ZN7rocprim17ROCPRIM_400000_NS6detail17trampoline_kernelINS0_14default_configENS1_27upper_bound_config_selectorIilEEZNS1_14transform_implILb0ES3_S5_N6thrust23THRUST_200600_302600_NS6detail15normal_iteratorINS8_7pointerIiNS8_11hip_rocprim5par_tENS8_11use_defaultESE_EEEENSA_INSB_IlSD_SE_SE_EEEEZNS1_13binary_searchIS3_S5_NSA_INS8_10device_ptrIiEEEESG_SI_NS1_21upper_bound_search_opENS9_16wrapped_functionINS8_6system6detail7generic6detail18binary_search_lessEbEEEE10hipError_tPvRmT1_T2_T3_mmT4_T5_P12ihipStream_tbEUlRKiE_EESV_SZ_S10_mS11_S14_bEUlT_E_NS1_11comp_targetILNS1_3genE4ELNS1_11target_archE910ELNS1_3gpuE8ELNS1_3repE0EEENS1_30default_config_static_selectorELNS0_4arch9wavefront6targetE1EEEvSY_,"axG",@progbits,_ZN7rocprim17ROCPRIM_400000_NS6detail17trampoline_kernelINS0_14default_configENS1_27upper_bound_config_selectorIilEEZNS1_14transform_implILb0ES3_S5_N6thrust23THRUST_200600_302600_NS6detail15normal_iteratorINS8_7pointerIiNS8_11hip_rocprim5par_tENS8_11use_defaultESE_EEEENSA_INSB_IlSD_SE_SE_EEEEZNS1_13binary_searchIS3_S5_NSA_INS8_10device_ptrIiEEEESG_SI_NS1_21upper_bound_search_opENS9_16wrapped_functionINS8_6system6detail7generic6detail18binary_search_lessEbEEEE10hipError_tPvRmT1_T2_T3_mmT4_T5_P12ihipStream_tbEUlRKiE_EESV_SZ_S10_mS11_S14_bEUlT_E_NS1_11comp_targetILNS1_3genE4ELNS1_11target_archE910ELNS1_3gpuE8ELNS1_3repE0EEENS1_30default_config_static_selectorELNS0_4arch9wavefront6targetE1EEEvSY_,comdat
.Lfunc_end583:
	.size	_ZN7rocprim17ROCPRIM_400000_NS6detail17trampoline_kernelINS0_14default_configENS1_27upper_bound_config_selectorIilEEZNS1_14transform_implILb0ES3_S5_N6thrust23THRUST_200600_302600_NS6detail15normal_iteratorINS8_7pointerIiNS8_11hip_rocprim5par_tENS8_11use_defaultESE_EEEENSA_INSB_IlSD_SE_SE_EEEEZNS1_13binary_searchIS3_S5_NSA_INS8_10device_ptrIiEEEESG_SI_NS1_21upper_bound_search_opENS9_16wrapped_functionINS8_6system6detail7generic6detail18binary_search_lessEbEEEE10hipError_tPvRmT1_T2_T3_mmT4_T5_P12ihipStream_tbEUlRKiE_EESV_SZ_S10_mS11_S14_bEUlT_E_NS1_11comp_targetILNS1_3genE4ELNS1_11target_archE910ELNS1_3gpuE8ELNS1_3repE0EEENS1_30default_config_static_selectorELNS0_4arch9wavefront6targetE1EEEvSY_, .Lfunc_end583-_ZN7rocprim17ROCPRIM_400000_NS6detail17trampoline_kernelINS0_14default_configENS1_27upper_bound_config_selectorIilEEZNS1_14transform_implILb0ES3_S5_N6thrust23THRUST_200600_302600_NS6detail15normal_iteratorINS8_7pointerIiNS8_11hip_rocprim5par_tENS8_11use_defaultESE_EEEENSA_INSB_IlSD_SE_SE_EEEEZNS1_13binary_searchIS3_S5_NSA_INS8_10device_ptrIiEEEESG_SI_NS1_21upper_bound_search_opENS9_16wrapped_functionINS8_6system6detail7generic6detail18binary_search_lessEbEEEE10hipError_tPvRmT1_T2_T3_mmT4_T5_P12ihipStream_tbEUlRKiE_EESV_SZ_S10_mS11_S14_bEUlT_E_NS1_11comp_targetILNS1_3genE4ELNS1_11target_archE910ELNS1_3gpuE8ELNS1_3repE0EEENS1_30default_config_static_selectorELNS0_4arch9wavefront6targetE1EEEvSY_
                                        ; -- End function
	.set _ZN7rocprim17ROCPRIM_400000_NS6detail17trampoline_kernelINS0_14default_configENS1_27upper_bound_config_selectorIilEEZNS1_14transform_implILb0ES3_S5_N6thrust23THRUST_200600_302600_NS6detail15normal_iteratorINS8_7pointerIiNS8_11hip_rocprim5par_tENS8_11use_defaultESE_EEEENSA_INSB_IlSD_SE_SE_EEEEZNS1_13binary_searchIS3_S5_NSA_INS8_10device_ptrIiEEEESG_SI_NS1_21upper_bound_search_opENS9_16wrapped_functionINS8_6system6detail7generic6detail18binary_search_lessEbEEEE10hipError_tPvRmT1_T2_T3_mmT4_T5_P12ihipStream_tbEUlRKiE_EESV_SZ_S10_mS11_S14_bEUlT_E_NS1_11comp_targetILNS1_3genE4ELNS1_11target_archE910ELNS1_3gpuE8ELNS1_3repE0EEENS1_30default_config_static_selectorELNS0_4arch9wavefront6targetE1EEEvSY_.num_vgpr, 0
	.set _ZN7rocprim17ROCPRIM_400000_NS6detail17trampoline_kernelINS0_14default_configENS1_27upper_bound_config_selectorIilEEZNS1_14transform_implILb0ES3_S5_N6thrust23THRUST_200600_302600_NS6detail15normal_iteratorINS8_7pointerIiNS8_11hip_rocprim5par_tENS8_11use_defaultESE_EEEENSA_INSB_IlSD_SE_SE_EEEEZNS1_13binary_searchIS3_S5_NSA_INS8_10device_ptrIiEEEESG_SI_NS1_21upper_bound_search_opENS9_16wrapped_functionINS8_6system6detail7generic6detail18binary_search_lessEbEEEE10hipError_tPvRmT1_T2_T3_mmT4_T5_P12ihipStream_tbEUlRKiE_EESV_SZ_S10_mS11_S14_bEUlT_E_NS1_11comp_targetILNS1_3genE4ELNS1_11target_archE910ELNS1_3gpuE8ELNS1_3repE0EEENS1_30default_config_static_selectorELNS0_4arch9wavefront6targetE1EEEvSY_.num_agpr, 0
	.set _ZN7rocprim17ROCPRIM_400000_NS6detail17trampoline_kernelINS0_14default_configENS1_27upper_bound_config_selectorIilEEZNS1_14transform_implILb0ES3_S5_N6thrust23THRUST_200600_302600_NS6detail15normal_iteratorINS8_7pointerIiNS8_11hip_rocprim5par_tENS8_11use_defaultESE_EEEENSA_INSB_IlSD_SE_SE_EEEEZNS1_13binary_searchIS3_S5_NSA_INS8_10device_ptrIiEEEESG_SI_NS1_21upper_bound_search_opENS9_16wrapped_functionINS8_6system6detail7generic6detail18binary_search_lessEbEEEE10hipError_tPvRmT1_T2_T3_mmT4_T5_P12ihipStream_tbEUlRKiE_EESV_SZ_S10_mS11_S14_bEUlT_E_NS1_11comp_targetILNS1_3genE4ELNS1_11target_archE910ELNS1_3gpuE8ELNS1_3repE0EEENS1_30default_config_static_selectorELNS0_4arch9wavefront6targetE1EEEvSY_.numbered_sgpr, 0
	.set _ZN7rocprim17ROCPRIM_400000_NS6detail17trampoline_kernelINS0_14default_configENS1_27upper_bound_config_selectorIilEEZNS1_14transform_implILb0ES3_S5_N6thrust23THRUST_200600_302600_NS6detail15normal_iteratorINS8_7pointerIiNS8_11hip_rocprim5par_tENS8_11use_defaultESE_EEEENSA_INSB_IlSD_SE_SE_EEEEZNS1_13binary_searchIS3_S5_NSA_INS8_10device_ptrIiEEEESG_SI_NS1_21upper_bound_search_opENS9_16wrapped_functionINS8_6system6detail7generic6detail18binary_search_lessEbEEEE10hipError_tPvRmT1_T2_T3_mmT4_T5_P12ihipStream_tbEUlRKiE_EESV_SZ_S10_mS11_S14_bEUlT_E_NS1_11comp_targetILNS1_3genE4ELNS1_11target_archE910ELNS1_3gpuE8ELNS1_3repE0EEENS1_30default_config_static_selectorELNS0_4arch9wavefront6targetE1EEEvSY_.num_named_barrier, 0
	.set _ZN7rocprim17ROCPRIM_400000_NS6detail17trampoline_kernelINS0_14default_configENS1_27upper_bound_config_selectorIilEEZNS1_14transform_implILb0ES3_S5_N6thrust23THRUST_200600_302600_NS6detail15normal_iteratorINS8_7pointerIiNS8_11hip_rocprim5par_tENS8_11use_defaultESE_EEEENSA_INSB_IlSD_SE_SE_EEEEZNS1_13binary_searchIS3_S5_NSA_INS8_10device_ptrIiEEEESG_SI_NS1_21upper_bound_search_opENS9_16wrapped_functionINS8_6system6detail7generic6detail18binary_search_lessEbEEEE10hipError_tPvRmT1_T2_T3_mmT4_T5_P12ihipStream_tbEUlRKiE_EESV_SZ_S10_mS11_S14_bEUlT_E_NS1_11comp_targetILNS1_3genE4ELNS1_11target_archE910ELNS1_3gpuE8ELNS1_3repE0EEENS1_30default_config_static_selectorELNS0_4arch9wavefront6targetE1EEEvSY_.private_seg_size, 0
	.set _ZN7rocprim17ROCPRIM_400000_NS6detail17trampoline_kernelINS0_14default_configENS1_27upper_bound_config_selectorIilEEZNS1_14transform_implILb0ES3_S5_N6thrust23THRUST_200600_302600_NS6detail15normal_iteratorINS8_7pointerIiNS8_11hip_rocprim5par_tENS8_11use_defaultESE_EEEENSA_INSB_IlSD_SE_SE_EEEEZNS1_13binary_searchIS3_S5_NSA_INS8_10device_ptrIiEEEESG_SI_NS1_21upper_bound_search_opENS9_16wrapped_functionINS8_6system6detail7generic6detail18binary_search_lessEbEEEE10hipError_tPvRmT1_T2_T3_mmT4_T5_P12ihipStream_tbEUlRKiE_EESV_SZ_S10_mS11_S14_bEUlT_E_NS1_11comp_targetILNS1_3genE4ELNS1_11target_archE910ELNS1_3gpuE8ELNS1_3repE0EEENS1_30default_config_static_selectorELNS0_4arch9wavefront6targetE1EEEvSY_.uses_vcc, 0
	.set _ZN7rocprim17ROCPRIM_400000_NS6detail17trampoline_kernelINS0_14default_configENS1_27upper_bound_config_selectorIilEEZNS1_14transform_implILb0ES3_S5_N6thrust23THRUST_200600_302600_NS6detail15normal_iteratorINS8_7pointerIiNS8_11hip_rocprim5par_tENS8_11use_defaultESE_EEEENSA_INSB_IlSD_SE_SE_EEEEZNS1_13binary_searchIS3_S5_NSA_INS8_10device_ptrIiEEEESG_SI_NS1_21upper_bound_search_opENS9_16wrapped_functionINS8_6system6detail7generic6detail18binary_search_lessEbEEEE10hipError_tPvRmT1_T2_T3_mmT4_T5_P12ihipStream_tbEUlRKiE_EESV_SZ_S10_mS11_S14_bEUlT_E_NS1_11comp_targetILNS1_3genE4ELNS1_11target_archE910ELNS1_3gpuE8ELNS1_3repE0EEENS1_30default_config_static_selectorELNS0_4arch9wavefront6targetE1EEEvSY_.uses_flat_scratch, 0
	.set _ZN7rocprim17ROCPRIM_400000_NS6detail17trampoline_kernelINS0_14default_configENS1_27upper_bound_config_selectorIilEEZNS1_14transform_implILb0ES3_S5_N6thrust23THRUST_200600_302600_NS6detail15normal_iteratorINS8_7pointerIiNS8_11hip_rocprim5par_tENS8_11use_defaultESE_EEEENSA_INSB_IlSD_SE_SE_EEEEZNS1_13binary_searchIS3_S5_NSA_INS8_10device_ptrIiEEEESG_SI_NS1_21upper_bound_search_opENS9_16wrapped_functionINS8_6system6detail7generic6detail18binary_search_lessEbEEEE10hipError_tPvRmT1_T2_T3_mmT4_T5_P12ihipStream_tbEUlRKiE_EESV_SZ_S10_mS11_S14_bEUlT_E_NS1_11comp_targetILNS1_3genE4ELNS1_11target_archE910ELNS1_3gpuE8ELNS1_3repE0EEENS1_30default_config_static_selectorELNS0_4arch9wavefront6targetE1EEEvSY_.has_dyn_sized_stack, 0
	.set _ZN7rocprim17ROCPRIM_400000_NS6detail17trampoline_kernelINS0_14default_configENS1_27upper_bound_config_selectorIilEEZNS1_14transform_implILb0ES3_S5_N6thrust23THRUST_200600_302600_NS6detail15normal_iteratorINS8_7pointerIiNS8_11hip_rocprim5par_tENS8_11use_defaultESE_EEEENSA_INSB_IlSD_SE_SE_EEEEZNS1_13binary_searchIS3_S5_NSA_INS8_10device_ptrIiEEEESG_SI_NS1_21upper_bound_search_opENS9_16wrapped_functionINS8_6system6detail7generic6detail18binary_search_lessEbEEEE10hipError_tPvRmT1_T2_T3_mmT4_T5_P12ihipStream_tbEUlRKiE_EESV_SZ_S10_mS11_S14_bEUlT_E_NS1_11comp_targetILNS1_3genE4ELNS1_11target_archE910ELNS1_3gpuE8ELNS1_3repE0EEENS1_30default_config_static_selectorELNS0_4arch9wavefront6targetE1EEEvSY_.has_recursion, 0
	.set _ZN7rocprim17ROCPRIM_400000_NS6detail17trampoline_kernelINS0_14default_configENS1_27upper_bound_config_selectorIilEEZNS1_14transform_implILb0ES3_S5_N6thrust23THRUST_200600_302600_NS6detail15normal_iteratorINS8_7pointerIiNS8_11hip_rocprim5par_tENS8_11use_defaultESE_EEEENSA_INSB_IlSD_SE_SE_EEEEZNS1_13binary_searchIS3_S5_NSA_INS8_10device_ptrIiEEEESG_SI_NS1_21upper_bound_search_opENS9_16wrapped_functionINS8_6system6detail7generic6detail18binary_search_lessEbEEEE10hipError_tPvRmT1_T2_T3_mmT4_T5_P12ihipStream_tbEUlRKiE_EESV_SZ_S10_mS11_S14_bEUlT_E_NS1_11comp_targetILNS1_3genE4ELNS1_11target_archE910ELNS1_3gpuE8ELNS1_3repE0EEENS1_30default_config_static_selectorELNS0_4arch9wavefront6targetE1EEEvSY_.has_indirect_call, 0
	.section	.AMDGPU.csdata,"",@progbits
; Kernel info:
; codeLenInByte = 0
; TotalNumSgprs: 4
; NumVgprs: 0
; ScratchSize: 0
; MemoryBound: 0
; FloatMode: 240
; IeeeMode: 1
; LDSByteSize: 0 bytes/workgroup (compile time only)
; SGPRBlocks: 0
; VGPRBlocks: 0
; NumSGPRsForWavesPerEU: 4
; NumVGPRsForWavesPerEU: 1
; Occupancy: 10
; WaveLimiterHint : 0
; COMPUTE_PGM_RSRC2:SCRATCH_EN: 0
; COMPUTE_PGM_RSRC2:USER_SGPR: 6
; COMPUTE_PGM_RSRC2:TRAP_HANDLER: 0
; COMPUTE_PGM_RSRC2:TGID_X_EN: 1
; COMPUTE_PGM_RSRC2:TGID_Y_EN: 0
; COMPUTE_PGM_RSRC2:TGID_Z_EN: 0
; COMPUTE_PGM_RSRC2:TIDIG_COMP_CNT: 0
	.section	.text._ZN7rocprim17ROCPRIM_400000_NS6detail17trampoline_kernelINS0_14default_configENS1_27upper_bound_config_selectorIilEEZNS1_14transform_implILb0ES3_S5_N6thrust23THRUST_200600_302600_NS6detail15normal_iteratorINS8_7pointerIiNS8_11hip_rocprim5par_tENS8_11use_defaultESE_EEEENSA_INSB_IlSD_SE_SE_EEEEZNS1_13binary_searchIS3_S5_NSA_INS8_10device_ptrIiEEEESG_SI_NS1_21upper_bound_search_opENS9_16wrapped_functionINS8_6system6detail7generic6detail18binary_search_lessEbEEEE10hipError_tPvRmT1_T2_T3_mmT4_T5_P12ihipStream_tbEUlRKiE_EESV_SZ_S10_mS11_S14_bEUlT_E_NS1_11comp_targetILNS1_3genE3ELNS1_11target_archE908ELNS1_3gpuE7ELNS1_3repE0EEENS1_30default_config_static_selectorELNS0_4arch9wavefront6targetE1EEEvSY_,"axG",@progbits,_ZN7rocprim17ROCPRIM_400000_NS6detail17trampoline_kernelINS0_14default_configENS1_27upper_bound_config_selectorIilEEZNS1_14transform_implILb0ES3_S5_N6thrust23THRUST_200600_302600_NS6detail15normal_iteratorINS8_7pointerIiNS8_11hip_rocprim5par_tENS8_11use_defaultESE_EEEENSA_INSB_IlSD_SE_SE_EEEEZNS1_13binary_searchIS3_S5_NSA_INS8_10device_ptrIiEEEESG_SI_NS1_21upper_bound_search_opENS9_16wrapped_functionINS8_6system6detail7generic6detail18binary_search_lessEbEEEE10hipError_tPvRmT1_T2_T3_mmT4_T5_P12ihipStream_tbEUlRKiE_EESV_SZ_S10_mS11_S14_bEUlT_E_NS1_11comp_targetILNS1_3genE3ELNS1_11target_archE908ELNS1_3gpuE7ELNS1_3repE0EEENS1_30default_config_static_selectorELNS0_4arch9wavefront6targetE1EEEvSY_,comdat
	.protected	_ZN7rocprim17ROCPRIM_400000_NS6detail17trampoline_kernelINS0_14default_configENS1_27upper_bound_config_selectorIilEEZNS1_14transform_implILb0ES3_S5_N6thrust23THRUST_200600_302600_NS6detail15normal_iteratorINS8_7pointerIiNS8_11hip_rocprim5par_tENS8_11use_defaultESE_EEEENSA_INSB_IlSD_SE_SE_EEEEZNS1_13binary_searchIS3_S5_NSA_INS8_10device_ptrIiEEEESG_SI_NS1_21upper_bound_search_opENS9_16wrapped_functionINS8_6system6detail7generic6detail18binary_search_lessEbEEEE10hipError_tPvRmT1_T2_T3_mmT4_T5_P12ihipStream_tbEUlRKiE_EESV_SZ_S10_mS11_S14_bEUlT_E_NS1_11comp_targetILNS1_3genE3ELNS1_11target_archE908ELNS1_3gpuE7ELNS1_3repE0EEENS1_30default_config_static_selectorELNS0_4arch9wavefront6targetE1EEEvSY_ ; -- Begin function _ZN7rocprim17ROCPRIM_400000_NS6detail17trampoline_kernelINS0_14default_configENS1_27upper_bound_config_selectorIilEEZNS1_14transform_implILb0ES3_S5_N6thrust23THRUST_200600_302600_NS6detail15normal_iteratorINS8_7pointerIiNS8_11hip_rocprim5par_tENS8_11use_defaultESE_EEEENSA_INSB_IlSD_SE_SE_EEEEZNS1_13binary_searchIS3_S5_NSA_INS8_10device_ptrIiEEEESG_SI_NS1_21upper_bound_search_opENS9_16wrapped_functionINS8_6system6detail7generic6detail18binary_search_lessEbEEEE10hipError_tPvRmT1_T2_T3_mmT4_T5_P12ihipStream_tbEUlRKiE_EESV_SZ_S10_mS11_S14_bEUlT_E_NS1_11comp_targetILNS1_3genE3ELNS1_11target_archE908ELNS1_3gpuE7ELNS1_3repE0EEENS1_30default_config_static_selectorELNS0_4arch9wavefront6targetE1EEEvSY_
	.globl	_ZN7rocprim17ROCPRIM_400000_NS6detail17trampoline_kernelINS0_14default_configENS1_27upper_bound_config_selectorIilEEZNS1_14transform_implILb0ES3_S5_N6thrust23THRUST_200600_302600_NS6detail15normal_iteratorINS8_7pointerIiNS8_11hip_rocprim5par_tENS8_11use_defaultESE_EEEENSA_INSB_IlSD_SE_SE_EEEEZNS1_13binary_searchIS3_S5_NSA_INS8_10device_ptrIiEEEESG_SI_NS1_21upper_bound_search_opENS9_16wrapped_functionINS8_6system6detail7generic6detail18binary_search_lessEbEEEE10hipError_tPvRmT1_T2_T3_mmT4_T5_P12ihipStream_tbEUlRKiE_EESV_SZ_S10_mS11_S14_bEUlT_E_NS1_11comp_targetILNS1_3genE3ELNS1_11target_archE908ELNS1_3gpuE7ELNS1_3repE0EEENS1_30default_config_static_selectorELNS0_4arch9wavefront6targetE1EEEvSY_
	.p2align	8
	.type	_ZN7rocprim17ROCPRIM_400000_NS6detail17trampoline_kernelINS0_14default_configENS1_27upper_bound_config_selectorIilEEZNS1_14transform_implILb0ES3_S5_N6thrust23THRUST_200600_302600_NS6detail15normal_iteratorINS8_7pointerIiNS8_11hip_rocprim5par_tENS8_11use_defaultESE_EEEENSA_INSB_IlSD_SE_SE_EEEEZNS1_13binary_searchIS3_S5_NSA_INS8_10device_ptrIiEEEESG_SI_NS1_21upper_bound_search_opENS9_16wrapped_functionINS8_6system6detail7generic6detail18binary_search_lessEbEEEE10hipError_tPvRmT1_T2_T3_mmT4_T5_P12ihipStream_tbEUlRKiE_EESV_SZ_S10_mS11_S14_bEUlT_E_NS1_11comp_targetILNS1_3genE3ELNS1_11target_archE908ELNS1_3gpuE7ELNS1_3repE0EEENS1_30default_config_static_selectorELNS0_4arch9wavefront6targetE1EEEvSY_,@function
_ZN7rocprim17ROCPRIM_400000_NS6detail17trampoline_kernelINS0_14default_configENS1_27upper_bound_config_selectorIilEEZNS1_14transform_implILb0ES3_S5_N6thrust23THRUST_200600_302600_NS6detail15normal_iteratorINS8_7pointerIiNS8_11hip_rocprim5par_tENS8_11use_defaultESE_EEEENSA_INSB_IlSD_SE_SE_EEEEZNS1_13binary_searchIS3_S5_NSA_INS8_10device_ptrIiEEEESG_SI_NS1_21upper_bound_search_opENS9_16wrapped_functionINS8_6system6detail7generic6detail18binary_search_lessEbEEEE10hipError_tPvRmT1_T2_T3_mmT4_T5_P12ihipStream_tbEUlRKiE_EESV_SZ_S10_mS11_S14_bEUlT_E_NS1_11comp_targetILNS1_3genE3ELNS1_11target_archE908ELNS1_3gpuE7ELNS1_3repE0EEENS1_30default_config_static_selectorELNS0_4arch9wavefront6targetE1EEEvSY_: ; @_ZN7rocprim17ROCPRIM_400000_NS6detail17trampoline_kernelINS0_14default_configENS1_27upper_bound_config_selectorIilEEZNS1_14transform_implILb0ES3_S5_N6thrust23THRUST_200600_302600_NS6detail15normal_iteratorINS8_7pointerIiNS8_11hip_rocprim5par_tENS8_11use_defaultESE_EEEENSA_INSB_IlSD_SE_SE_EEEEZNS1_13binary_searchIS3_S5_NSA_INS8_10device_ptrIiEEEESG_SI_NS1_21upper_bound_search_opENS9_16wrapped_functionINS8_6system6detail7generic6detail18binary_search_lessEbEEEE10hipError_tPvRmT1_T2_T3_mmT4_T5_P12ihipStream_tbEUlRKiE_EESV_SZ_S10_mS11_S14_bEUlT_E_NS1_11comp_targetILNS1_3genE3ELNS1_11target_archE908ELNS1_3gpuE7ELNS1_3repE0EEENS1_30default_config_static_selectorELNS0_4arch9wavefront6targetE1EEEvSY_
; %bb.0:
	.section	.rodata,"a",@progbits
	.p2align	6, 0x0
	.amdhsa_kernel _ZN7rocprim17ROCPRIM_400000_NS6detail17trampoline_kernelINS0_14default_configENS1_27upper_bound_config_selectorIilEEZNS1_14transform_implILb0ES3_S5_N6thrust23THRUST_200600_302600_NS6detail15normal_iteratorINS8_7pointerIiNS8_11hip_rocprim5par_tENS8_11use_defaultESE_EEEENSA_INSB_IlSD_SE_SE_EEEEZNS1_13binary_searchIS3_S5_NSA_INS8_10device_ptrIiEEEESG_SI_NS1_21upper_bound_search_opENS9_16wrapped_functionINS8_6system6detail7generic6detail18binary_search_lessEbEEEE10hipError_tPvRmT1_T2_T3_mmT4_T5_P12ihipStream_tbEUlRKiE_EESV_SZ_S10_mS11_S14_bEUlT_E_NS1_11comp_targetILNS1_3genE3ELNS1_11target_archE908ELNS1_3gpuE7ELNS1_3repE0EEENS1_30default_config_static_selectorELNS0_4arch9wavefront6targetE1EEEvSY_
		.amdhsa_group_segment_fixed_size 0
		.amdhsa_private_segment_fixed_size 0
		.amdhsa_kernarg_size 56
		.amdhsa_user_sgpr_count 6
		.amdhsa_user_sgpr_private_segment_buffer 1
		.amdhsa_user_sgpr_dispatch_ptr 0
		.amdhsa_user_sgpr_queue_ptr 0
		.amdhsa_user_sgpr_kernarg_segment_ptr 1
		.amdhsa_user_sgpr_dispatch_id 0
		.amdhsa_user_sgpr_flat_scratch_init 0
		.amdhsa_user_sgpr_private_segment_size 0
		.amdhsa_uses_dynamic_stack 0
		.amdhsa_system_sgpr_private_segment_wavefront_offset 0
		.amdhsa_system_sgpr_workgroup_id_x 1
		.amdhsa_system_sgpr_workgroup_id_y 0
		.amdhsa_system_sgpr_workgroup_id_z 0
		.amdhsa_system_sgpr_workgroup_info 0
		.amdhsa_system_vgpr_workitem_id 0
		.amdhsa_next_free_vgpr 1
		.amdhsa_next_free_sgpr 0
		.amdhsa_reserve_vcc 0
		.amdhsa_reserve_flat_scratch 0
		.amdhsa_float_round_mode_32 0
		.amdhsa_float_round_mode_16_64 0
		.amdhsa_float_denorm_mode_32 3
		.amdhsa_float_denorm_mode_16_64 3
		.amdhsa_dx10_clamp 1
		.amdhsa_ieee_mode 1
		.amdhsa_fp16_overflow 0
		.amdhsa_exception_fp_ieee_invalid_op 0
		.amdhsa_exception_fp_denorm_src 0
		.amdhsa_exception_fp_ieee_div_zero 0
		.amdhsa_exception_fp_ieee_overflow 0
		.amdhsa_exception_fp_ieee_underflow 0
		.amdhsa_exception_fp_ieee_inexact 0
		.amdhsa_exception_int_div_zero 0
	.end_amdhsa_kernel
	.section	.text._ZN7rocprim17ROCPRIM_400000_NS6detail17trampoline_kernelINS0_14default_configENS1_27upper_bound_config_selectorIilEEZNS1_14transform_implILb0ES3_S5_N6thrust23THRUST_200600_302600_NS6detail15normal_iteratorINS8_7pointerIiNS8_11hip_rocprim5par_tENS8_11use_defaultESE_EEEENSA_INSB_IlSD_SE_SE_EEEEZNS1_13binary_searchIS3_S5_NSA_INS8_10device_ptrIiEEEESG_SI_NS1_21upper_bound_search_opENS9_16wrapped_functionINS8_6system6detail7generic6detail18binary_search_lessEbEEEE10hipError_tPvRmT1_T2_T3_mmT4_T5_P12ihipStream_tbEUlRKiE_EESV_SZ_S10_mS11_S14_bEUlT_E_NS1_11comp_targetILNS1_3genE3ELNS1_11target_archE908ELNS1_3gpuE7ELNS1_3repE0EEENS1_30default_config_static_selectorELNS0_4arch9wavefront6targetE1EEEvSY_,"axG",@progbits,_ZN7rocprim17ROCPRIM_400000_NS6detail17trampoline_kernelINS0_14default_configENS1_27upper_bound_config_selectorIilEEZNS1_14transform_implILb0ES3_S5_N6thrust23THRUST_200600_302600_NS6detail15normal_iteratorINS8_7pointerIiNS8_11hip_rocprim5par_tENS8_11use_defaultESE_EEEENSA_INSB_IlSD_SE_SE_EEEEZNS1_13binary_searchIS3_S5_NSA_INS8_10device_ptrIiEEEESG_SI_NS1_21upper_bound_search_opENS9_16wrapped_functionINS8_6system6detail7generic6detail18binary_search_lessEbEEEE10hipError_tPvRmT1_T2_T3_mmT4_T5_P12ihipStream_tbEUlRKiE_EESV_SZ_S10_mS11_S14_bEUlT_E_NS1_11comp_targetILNS1_3genE3ELNS1_11target_archE908ELNS1_3gpuE7ELNS1_3repE0EEENS1_30default_config_static_selectorELNS0_4arch9wavefront6targetE1EEEvSY_,comdat
.Lfunc_end584:
	.size	_ZN7rocprim17ROCPRIM_400000_NS6detail17trampoline_kernelINS0_14default_configENS1_27upper_bound_config_selectorIilEEZNS1_14transform_implILb0ES3_S5_N6thrust23THRUST_200600_302600_NS6detail15normal_iteratorINS8_7pointerIiNS8_11hip_rocprim5par_tENS8_11use_defaultESE_EEEENSA_INSB_IlSD_SE_SE_EEEEZNS1_13binary_searchIS3_S5_NSA_INS8_10device_ptrIiEEEESG_SI_NS1_21upper_bound_search_opENS9_16wrapped_functionINS8_6system6detail7generic6detail18binary_search_lessEbEEEE10hipError_tPvRmT1_T2_T3_mmT4_T5_P12ihipStream_tbEUlRKiE_EESV_SZ_S10_mS11_S14_bEUlT_E_NS1_11comp_targetILNS1_3genE3ELNS1_11target_archE908ELNS1_3gpuE7ELNS1_3repE0EEENS1_30default_config_static_selectorELNS0_4arch9wavefront6targetE1EEEvSY_, .Lfunc_end584-_ZN7rocprim17ROCPRIM_400000_NS6detail17trampoline_kernelINS0_14default_configENS1_27upper_bound_config_selectorIilEEZNS1_14transform_implILb0ES3_S5_N6thrust23THRUST_200600_302600_NS6detail15normal_iteratorINS8_7pointerIiNS8_11hip_rocprim5par_tENS8_11use_defaultESE_EEEENSA_INSB_IlSD_SE_SE_EEEEZNS1_13binary_searchIS3_S5_NSA_INS8_10device_ptrIiEEEESG_SI_NS1_21upper_bound_search_opENS9_16wrapped_functionINS8_6system6detail7generic6detail18binary_search_lessEbEEEE10hipError_tPvRmT1_T2_T3_mmT4_T5_P12ihipStream_tbEUlRKiE_EESV_SZ_S10_mS11_S14_bEUlT_E_NS1_11comp_targetILNS1_3genE3ELNS1_11target_archE908ELNS1_3gpuE7ELNS1_3repE0EEENS1_30default_config_static_selectorELNS0_4arch9wavefront6targetE1EEEvSY_
                                        ; -- End function
	.set _ZN7rocprim17ROCPRIM_400000_NS6detail17trampoline_kernelINS0_14default_configENS1_27upper_bound_config_selectorIilEEZNS1_14transform_implILb0ES3_S5_N6thrust23THRUST_200600_302600_NS6detail15normal_iteratorINS8_7pointerIiNS8_11hip_rocprim5par_tENS8_11use_defaultESE_EEEENSA_INSB_IlSD_SE_SE_EEEEZNS1_13binary_searchIS3_S5_NSA_INS8_10device_ptrIiEEEESG_SI_NS1_21upper_bound_search_opENS9_16wrapped_functionINS8_6system6detail7generic6detail18binary_search_lessEbEEEE10hipError_tPvRmT1_T2_T3_mmT4_T5_P12ihipStream_tbEUlRKiE_EESV_SZ_S10_mS11_S14_bEUlT_E_NS1_11comp_targetILNS1_3genE3ELNS1_11target_archE908ELNS1_3gpuE7ELNS1_3repE0EEENS1_30default_config_static_selectorELNS0_4arch9wavefront6targetE1EEEvSY_.num_vgpr, 0
	.set _ZN7rocprim17ROCPRIM_400000_NS6detail17trampoline_kernelINS0_14default_configENS1_27upper_bound_config_selectorIilEEZNS1_14transform_implILb0ES3_S5_N6thrust23THRUST_200600_302600_NS6detail15normal_iteratorINS8_7pointerIiNS8_11hip_rocprim5par_tENS8_11use_defaultESE_EEEENSA_INSB_IlSD_SE_SE_EEEEZNS1_13binary_searchIS3_S5_NSA_INS8_10device_ptrIiEEEESG_SI_NS1_21upper_bound_search_opENS9_16wrapped_functionINS8_6system6detail7generic6detail18binary_search_lessEbEEEE10hipError_tPvRmT1_T2_T3_mmT4_T5_P12ihipStream_tbEUlRKiE_EESV_SZ_S10_mS11_S14_bEUlT_E_NS1_11comp_targetILNS1_3genE3ELNS1_11target_archE908ELNS1_3gpuE7ELNS1_3repE0EEENS1_30default_config_static_selectorELNS0_4arch9wavefront6targetE1EEEvSY_.num_agpr, 0
	.set _ZN7rocprim17ROCPRIM_400000_NS6detail17trampoline_kernelINS0_14default_configENS1_27upper_bound_config_selectorIilEEZNS1_14transform_implILb0ES3_S5_N6thrust23THRUST_200600_302600_NS6detail15normal_iteratorINS8_7pointerIiNS8_11hip_rocprim5par_tENS8_11use_defaultESE_EEEENSA_INSB_IlSD_SE_SE_EEEEZNS1_13binary_searchIS3_S5_NSA_INS8_10device_ptrIiEEEESG_SI_NS1_21upper_bound_search_opENS9_16wrapped_functionINS8_6system6detail7generic6detail18binary_search_lessEbEEEE10hipError_tPvRmT1_T2_T3_mmT4_T5_P12ihipStream_tbEUlRKiE_EESV_SZ_S10_mS11_S14_bEUlT_E_NS1_11comp_targetILNS1_3genE3ELNS1_11target_archE908ELNS1_3gpuE7ELNS1_3repE0EEENS1_30default_config_static_selectorELNS0_4arch9wavefront6targetE1EEEvSY_.numbered_sgpr, 0
	.set _ZN7rocprim17ROCPRIM_400000_NS6detail17trampoline_kernelINS0_14default_configENS1_27upper_bound_config_selectorIilEEZNS1_14transform_implILb0ES3_S5_N6thrust23THRUST_200600_302600_NS6detail15normal_iteratorINS8_7pointerIiNS8_11hip_rocprim5par_tENS8_11use_defaultESE_EEEENSA_INSB_IlSD_SE_SE_EEEEZNS1_13binary_searchIS3_S5_NSA_INS8_10device_ptrIiEEEESG_SI_NS1_21upper_bound_search_opENS9_16wrapped_functionINS8_6system6detail7generic6detail18binary_search_lessEbEEEE10hipError_tPvRmT1_T2_T3_mmT4_T5_P12ihipStream_tbEUlRKiE_EESV_SZ_S10_mS11_S14_bEUlT_E_NS1_11comp_targetILNS1_3genE3ELNS1_11target_archE908ELNS1_3gpuE7ELNS1_3repE0EEENS1_30default_config_static_selectorELNS0_4arch9wavefront6targetE1EEEvSY_.num_named_barrier, 0
	.set _ZN7rocprim17ROCPRIM_400000_NS6detail17trampoline_kernelINS0_14default_configENS1_27upper_bound_config_selectorIilEEZNS1_14transform_implILb0ES3_S5_N6thrust23THRUST_200600_302600_NS6detail15normal_iteratorINS8_7pointerIiNS8_11hip_rocprim5par_tENS8_11use_defaultESE_EEEENSA_INSB_IlSD_SE_SE_EEEEZNS1_13binary_searchIS3_S5_NSA_INS8_10device_ptrIiEEEESG_SI_NS1_21upper_bound_search_opENS9_16wrapped_functionINS8_6system6detail7generic6detail18binary_search_lessEbEEEE10hipError_tPvRmT1_T2_T3_mmT4_T5_P12ihipStream_tbEUlRKiE_EESV_SZ_S10_mS11_S14_bEUlT_E_NS1_11comp_targetILNS1_3genE3ELNS1_11target_archE908ELNS1_3gpuE7ELNS1_3repE0EEENS1_30default_config_static_selectorELNS0_4arch9wavefront6targetE1EEEvSY_.private_seg_size, 0
	.set _ZN7rocprim17ROCPRIM_400000_NS6detail17trampoline_kernelINS0_14default_configENS1_27upper_bound_config_selectorIilEEZNS1_14transform_implILb0ES3_S5_N6thrust23THRUST_200600_302600_NS6detail15normal_iteratorINS8_7pointerIiNS8_11hip_rocprim5par_tENS8_11use_defaultESE_EEEENSA_INSB_IlSD_SE_SE_EEEEZNS1_13binary_searchIS3_S5_NSA_INS8_10device_ptrIiEEEESG_SI_NS1_21upper_bound_search_opENS9_16wrapped_functionINS8_6system6detail7generic6detail18binary_search_lessEbEEEE10hipError_tPvRmT1_T2_T3_mmT4_T5_P12ihipStream_tbEUlRKiE_EESV_SZ_S10_mS11_S14_bEUlT_E_NS1_11comp_targetILNS1_3genE3ELNS1_11target_archE908ELNS1_3gpuE7ELNS1_3repE0EEENS1_30default_config_static_selectorELNS0_4arch9wavefront6targetE1EEEvSY_.uses_vcc, 0
	.set _ZN7rocprim17ROCPRIM_400000_NS6detail17trampoline_kernelINS0_14default_configENS1_27upper_bound_config_selectorIilEEZNS1_14transform_implILb0ES3_S5_N6thrust23THRUST_200600_302600_NS6detail15normal_iteratorINS8_7pointerIiNS8_11hip_rocprim5par_tENS8_11use_defaultESE_EEEENSA_INSB_IlSD_SE_SE_EEEEZNS1_13binary_searchIS3_S5_NSA_INS8_10device_ptrIiEEEESG_SI_NS1_21upper_bound_search_opENS9_16wrapped_functionINS8_6system6detail7generic6detail18binary_search_lessEbEEEE10hipError_tPvRmT1_T2_T3_mmT4_T5_P12ihipStream_tbEUlRKiE_EESV_SZ_S10_mS11_S14_bEUlT_E_NS1_11comp_targetILNS1_3genE3ELNS1_11target_archE908ELNS1_3gpuE7ELNS1_3repE0EEENS1_30default_config_static_selectorELNS0_4arch9wavefront6targetE1EEEvSY_.uses_flat_scratch, 0
	.set _ZN7rocprim17ROCPRIM_400000_NS6detail17trampoline_kernelINS0_14default_configENS1_27upper_bound_config_selectorIilEEZNS1_14transform_implILb0ES3_S5_N6thrust23THRUST_200600_302600_NS6detail15normal_iteratorINS8_7pointerIiNS8_11hip_rocprim5par_tENS8_11use_defaultESE_EEEENSA_INSB_IlSD_SE_SE_EEEEZNS1_13binary_searchIS3_S5_NSA_INS8_10device_ptrIiEEEESG_SI_NS1_21upper_bound_search_opENS9_16wrapped_functionINS8_6system6detail7generic6detail18binary_search_lessEbEEEE10hipError_tPvRmT1_T2_T3_mmT4_T5_P12ihipStream_tbEUlRKiE_EESV_SZ_S10_mS11_S14_bEUlT_E_NS1_11comp_targetILNS1_3genE3ELNS1_11target_archE908ELNS1_3gpuE7ELNS1_3repE0EEENS1_30default_config_static_selectorELNS0_4arch9wavefront6targetE1EEEvSY_.has_dyn_sized_stack, 0
	.set _ZN7rocprim17ROCPRIM_400000_NS6detail17trampoline_kernelINS0_14default_configENS1_27upper_bound_config_selectorIilEEZNS1_14transform_implILb0ES3_S5_N6thrust23THRUST_200600_302600_NS6detail15normal_iteratorINS8_7pointerIiNS8_11hip_rocprim5par_tENS8_11use_defaultESE_EEEENSA_INSB_IlSD_SE_SE_EEEEZNS1_13binary_searchIS3_S5_NSA_INS8_10device_ptrIiEEEESG_SI_NS1_21upper_bound_search_opENS9_16wrapped_functionINS8_6system6detail7generic6detail18binary_search_lessEbEEEE10hipError_tPvRmT1_T2_T3_mmT4_T5_P12ihipStream_tbEUlRKiE_EESV_SZ_S10_mS11_S14_bEUlT_E_NS1_11comp_targetILNS1_3genE3ELNS1_11target_archE908ELNS1_3gpuE7ELNS1_3repE0EEENS1_30default_config_static_selectorELNS0_4arch9wavefront6targetE1EEEvSY_.has_recursion, 0
	.set _ZN7rocprim17ROCPRIM_400000_NS6detail17trampoline_kernelINS0_14default_configENS1_27upper_bound_config_selectorIilEEZNS1_14transform_implILb0ES3_S5_N6thrust23THRUST_200600_302600_NS6detail15normal_iteratorINS8_7pointerIiNS8_11hip_rocprim5par_tENS8_11use_defaultESE_EEEENSA_INSB_IlSD_SE_SE_EEEEZNS1_13binary_searchIS3_S5_NSA_INS8_10device_ptrIiEEEESG_SI_NS1_21upper_bound_search_opENS9_16wrapped_functionINS8_6system6detail7generic6detail18binary_search_lessEbEEEE10hipError_tPvRmT1_T2_T3_mmT4_T5_P12ihipStream_tbEUlRKiE_EESV_SZ_S10_mS11_S14_bEUlT_E_NS1_11comp_targetILNS1_3genE3ELNS1_11target_archE908ELNS1_3gpuE7ELNS1_3repE0EEENS1_30default_config_static_selectorELNS0_4arch9wavefront6targetE1EEEvSY_.has_indirect_call, 0
	.section	.AMDGPU.csdata,"",@progbits
; Kernel info:
; codeLenInByte = 0
; TotalNumSgprs: 4
; NumVgprs: 0
; ScratchSize: 0
; MemoryBound: 0
; FloatMode: 240
; IeeeMode: 1
; LDSByteSize: 0 bytes/workgroup (compile time only)
; SGPRBlocks: 0
; VGPRBlocks: 0
; NumSGPRsForWavesPerEU: 4
; NumVGPRsForWavesPerEU: 1
; Occupancy: 10
; WaveLimiterHint : 0
; COMPUTE_PGM_RSRC2:SCRATCH_EN: 0
; COMPUTE_PGM_RSRC2:USER_SGPR: 6
; COMPUTE_PGM_RSRC2:TRAP_HANDLER: 0
; COMPUTE_PGM_RSRC2:TGID_X_EN: 1
; COMPUTE_PGM_RSRC2:TGID_Y_EN: 0
; COMPUTE_PGM_RSRC2:TGID_Z_EN: 0
; COMPUTE_PGM_RSRC2:TIDIG_COMP_CNT: 0
	.section	.text._ZN7rocprim17ROCPRIM_400000_NS6detail17trampoline_kernelINS0_14default_configENS1_27upper_bound_config_selectorIilEEZNS1_14transform_implILb0ES3_S5_N6thrust23THRUST_200600_302600_NS6detail15normal_iteratorINS8_7pointerIiNS8_11hip_rocprim5par_tENS8_11use_defaultESE_EEEENSA_INSB_IlSD_SE_SE_EEEEZNS1_13binary_searchIS3_S5_NSA_INS8_10device_ptrIiEEEESG_SI_NS1_21upper_bound_search_opENS9_16wrapped_functionINS8_6system6detail7generic6detail18binary_search_lessEbEEEE10hipError_tPvRmT1_T2_T3_mmT4_T5_P12ihipStream_tbEUlRKiE_EESV_SZ_S10_mS11_S14_bEUlT_E_NS1_11comp_targetILNS1_3genE2ELNS1_11target_archE906ELNS1_3gpuE6ELNS1_3repE0EEENS1_30default_config_static_selectorELNS0_4arch9wavefront6targetE1EEEvSY_,"axG",@progbits,_ZN7rocprim17ROCPRIM_400000_NS6detail17trampoline_kernelINS0_14default_configENS1_27upper_bound_config_selectorIilEEZNS1_14transform_implILb0ES3_S5_N6thrust23THRUST_200600_302600_NS6detail15normal_iteratorINS8_7pointerIiNS8_11hip_rocprim5par_tENS8_11use_defaultESE_EEEENSA_INSB_IlSD_SE_SE_EEEEZNS1_13binary_searchIS3_S5_NSA_INS8_10device_ptrIiEEEESG_SI_NS1_21upper_bound_search_opENS9_16wrapped_functionINS8_6system6detail7generic6detail18binary_search_lessEbEEEE10hipError_tPvRmT1_T2_T3_mmT4_T5_P12ihipStream_tbEUlRKiE_EESV_SZ_S10_mS11_S14_bEUlT_E_NS1_11comp_targetILNS1_3genE2ELNS1_11target_archE906ELNS1_3gpuE6ELNS1_3repE0EEENS1_30default_config_static_selectorELNS0_4arch9wavefront6targetE1EEEvSY_,comdat
	.protected	_ZN7rocprim17ROCPRIM_400000_NS6detail17trampoline_kernelINS0_14default_configENS1_27upper_bound_config_selectorIilEEZNS1_14transform_implILb0ES3_S5_N6thrust23THRUST_200600_302600_NS6detail15normal_iteratorINS8_7pointerIiNS8_11hip_rocprim5par_tENS8_11use_defaultESE_EEEENSA_INSB_IlSD_SE_SE_EEEEZNS1_13binary_searchIS3_S5_NSA_INS8_10device_ptrIiEEEESG_SI_NS1_21upper_bound_search_opENS9_16wrapped_functionINS8_6system6detail7generic6detail18binary_search_lessEbEEEE10hipError_tPvRmT1_T2_T3_mmT4_T5_P12ihipStream_tbEUlRKiE_EESV_SZ_S10_mS11_S14_bEUlT_E_NS1_11comp_targetILNS1_3genE2ELNS1_11target_archE906ELNS1_3gpuE6ELNS1_3repE0EEENS1_30default_config_static_selectorELNS0_4arch9wavefront6targetE1EEEvSY_ ; -- Begin function _ZN7rocprim17ROCPRIM_400000_NS6detail17trampoline_kernelINS0_14default_configENS1_27upper_bound_config_selectorIilEEZNS1_14transform_implILb0ES3_S5_N6thrust23THRUST_200600_302600_NS6detail15normal_iteratorINS8_7pointerIiNS8_11hip_rocprim5par_tENS8_11use_defaultESE_EEEENSA_INSB_IlSD_SE_SE_EEEEZNS1_13binary_searchIS3_S5_NSA_INS8_10device_ptrIiEEEESG_SI_NS1_21upper_bound_search_opENS9_16wrapped_functionINS8_6system6detail7generic6detail18binary_search_lessEbEEEE10hipError_tPvRmT1_T2_T3_mmT4_T5_P12ihipStream_tbEUlRKiE_EESV_SZ_S10_mS11_S14_bEUlT_E_NS1_11comp_targetILNS1_3genE2ELNS1_11target_archE906ELNS1_3gpuE6ELNS1_3repE0EEENS1_30default_config_static_selectorELNS0_4arch9wavefront6targetE1EEEvSY_
	.globl	_ZN7rocprim17ROCPRIM_400000_NS6detail17trampoline_kernelINS0_14default_configENS1_27upper_bound_config_selectorIilEEZNS1_14transform_implILb0ES3_S5_N6thrust23THRUST_200600_302600_NS6detail15normal_iteratorINS8_7pointerIiNS8_11hip_rocprim5par_tENS8_11use_defaultESE_EEEENSA_INSB_IlSD_SE_SE_EEEEZNS1_13binary_searchIS3_S5_NSA_INS8_10device_ptrIiEEEESG_SI_NS1_21upper_bound_search_opENS9_16wrapped_functionINS8_6system6detail7generic6detail18binary_search_lessEbEEEE10hipError_tPvRmT1_T2_T3_mmT4_T5_P12ihipStream_tbEUlRKiE_EESV_SZ_S10_mS11_S14_bEUlT_E_NS1_11comp_targetILNS1_3genE2ELNS1_11target_archE906ELNS1_3gpuE6ELNS1_3repE0EEENS1_30default_config_static_selectorELNS0_4arch9wavefront6targetE1EEEvSY_
	.p2align	8
	.type	_ZN7rocprim17ROCPRIM_400000_NS6detail17trampoline_kernelINS0_14default_configENS1_27upper_bound_config_selectorIilEEZNS1_14transform_implILb0ES3_S5_N6thrust23THRUST_200600_302600_NS6detail15normal_iteratorINS8_7pointerIiNS8_11hip_rocprim5par_tENS8_11use_defaultESE_EEEENSA_INSB_IlSD_SE_SE_EEEEZNS1_13binary_searchIS3_S5_NSA_INS8_10device_ptrIiEEEESG_SI_NS1_21upper_bound_search_opENS9_16wrapped_functionINS8_6system6detail7generic6detail18binary_search_lessEbEEEE10hipError_tPvRmT1_T2_T3_mmT4_T5_P12ihipStream_tbEUlRKiE_EESV_SZ_S10_mS11_S14_bEUlT_E_NS1_11comp_targetILNS1_3genE2ELNS1_11target_archE906ELNS1_3gpuE6ELNS1_3repE0EEENS1_30default_config_static_selectorELNS0_4arch9wavefront6targetE1EEEvSY_,@function
_ZN7rocprim17ROCPRIM_400000_NS6detail17trampoline_kernelINS0_14default_configENS1_27upper_bound_config_selectorIilEEZNS1_14transform_implILb0ES3_S5_N6thrust23THRUST_200600_302600_NS6detail15normal_iteratorINS8_7pointerIiNS8_11hip_rocprim5par_tENS8_11use_defaultESE_EEEENSA_INSB_IlSD_SE_SE_EEEEZNS1_13binary_searchIS3_S5_NSA_INS8_10device_ptrIiEEEESG_SI_NS1_21upper_bound_search_opENS9_16wrapped_functionINS8_6system6detail7generic6detail18binary_search_lessEbEEEE10hipError_tPvRmT1_T2_T3_mmT4_T5_P12ihipStream_tbEUlRKiE_EESV_SZ_S10_mS11_S14_bEUlT_E_NS1_11comp_targetILNS1_3genE2ELNS1_11target_archE906ELNS1_3gpuE6ELNS1_3repE0EEENS1_30default_config_static_selectorELNS0_4arch9wavefront6targetE1EEEvSY_: ; @_ZN7rocprim17ROCPRIM_400000_NS6detail17trampoline_kernelINS0_14default_configENS1_27upper_bound_config_selectorIilEEZNS1_14transform_implILb0ES3_S5_N6thrust23THRUST_200600_302600_NS6detail15normal_iteratorINS8_7pointerIiNS8_11hip_rocprim5par_tENS8_11use_defaultESE_EEEENSA_INSB_IlSD_SE_SE_EEEEZNS1_13binary_searchIS3_S5_NSA_INS8_10device_ptrIiEEEESG_SI_NS1_21upper_bound_search_opENS9_16wrapped_functionINS8_6system6detail7generic6detail18binary_search_lessEbEEEE10hipError_tPvRmT1_T2_T3_mmT4_T5_P12ihipStream_tbEUlRKiE_EESV_SZ_S10_mS11_S14_bEUlT_E_NS1_11comp_targetILNS1_3genE2ELNS1_11target_archE906ELNS1_3gpuE6ELNS1_3repE0EEENS1_30default_config_static_selectorELNS0_4arch9wavefront6targetE1EEEvSY_
; %bb.0:
	s_load_dwordx4 s[16:19], s[4:5], 0x0
	s_load_dwordx4 s[8:11], s[4:5], 0x18
	s_load_dwordx2 s[12:13], s[4:5], 0x28
	s_load_dword s15, s[4:5], 0x38
	s_waitcnt lgkmcnt(0)
	s_lshl_b64 s[0:1], s[18:19], 2
	s_add_u32 s2, s16, s0
	s_addc_u32 s3, s17, s1
	s_lshl_b64 s[0:1], s[18:19], 3
	s_add_u32 s7, s8, s0
	s_addc_u32 s14, s9, s1
	s_lshl_b32 s8, s6, 8
	s_add_i32 s15, s15, -1
	s_mov_b32 s9, 0
	s_cmp_lg_u32 s6, s15
	s_mov_b64 s[0:1], -1
	s_cbranch_scc0 .LBB585_7
; %bb.1:
	s_cmp_eq_u64 s[12:13], 0
	s_mov_b64 s[0:1], 0
	s_cbranch_scc1 .LBB585_5
; %bb.2:
	s_lshl_b64 s[16:17], s[8:9], 2
	s_add_u32 s6, s2, s16
	s_addc_u32 s15, s3, s17
	v_lshlrev_b32_e32 v1, 2, v0
	v_mov_b32_e32 v2, s15
	v_add_co_u32_e32 v1, vcc, s6, v1
	v_addc_co_u32_e32 v2, vcc, 0, v2, vcc
	flat_load_dword v5, v[1:2]
	v_mov_b32_e32 v1, 0
	v_mov_b32_e32 v3, s12
	;; [unrolled: 1-line block ×5, first 2 shown]
.LBB585_3:                              ; =>This Inner Loop Header: Depth=1
	v_sub_co_u32_e32 v7, vcc, v3, v1
	v_subb_co_u32_e32 v8, vcc, v4, v2, vcc
	v_lshrrev_b64 v[9:10], 1, v[7:8]
	v_lshrrev_b64 v[7:8], 6, v[7:8]
	v_add_co_u32_e32 v9, vcc, v9, v1
	v_addc_co_u32_e32 v10, vcc, v10, v2, vcc
	v_add_co_u32_e32 v7, vcc, v9, v7
	v_addc_co_u32_e32 v8, vcc, v10, v8, vcc
	v_lshlrev_b64 v[9:10], 2, v[7:8]
	v_add_co_u32_e32 v9, vcc, s10, v9
	v_addc_co_u32_e32 v10, vcc, v6, v10, vcc
	global_load_dword v9, v[9:10], off
	v_add_co_u32_e32 v10, vcc, 1, v7
	v_addc_co_u32_e32 v11, vcc, 0, v8, vcc
	s_waitcnt vmcnt(0) lgkmcnt(0)
	v_cmp_lt_i32_e32 vcc, v5, v9
	v_cndmask_b32_e32 v4, v4, v8, vcc
	v_cndmask_b32_e32 v3, v3, v7, vcc
	;; [unrolled: 1-line block ×4, first 2 shown]
	v_cmp_ge_u64_e32 vcc, v[1:2], v[3:4]
	s_or_b64 s[0:1], vcc, s[0:1]
	s_andn2_b64 exec, exec, s[0:1]
	s_cbranch_execnz .LBB585_3
; %bb.4:
	s_or_b64 exec, exec, s[0:1]
	s_branch .LBB585_6
.LBB585_5:
	v_mov_b32_e32 v1, 0
	v_mov_b32_e32 v2, 0
.LBB585_6:
	s_lshl_b64 s[0:1], s[8:9], 3
	s_add_u32 s0, s7, s0
	s_addc_u32 s1, s14, s1
	v_lshlrev_b32_e32 v3, 3, v0
	v_mov_b32_e32 v4, s1
	v_add_co_u32_e32 v3, vcc, s0, v3
	v_addc_co_u32_e32 v4, vcc, 0, v4, vcc
	s_mov_b64 s[0:1], 0
	flat_store_dwordx2 v[3:4], v[1:2]
.LBB585_7:
	s_and_b64 vcc, exec, s[0:1]
	s_cbranch_vccz .LBB585_16
; %bb.8:
	s_load_dword s0, s[4:5], 0x10
                                        ; implicit-def: $vgpr5
	s_waitcnt lgkmcnt(0)
	s_sub_i32 s4, s0, s8
	v_cmp_le_u32_e64 s[0:1], s4, v0
	v_cmp_gt_u32_e32 vcc, s4, v0
	s_and_saveexec_b64 s[4:5], vcc
	s_cbranch_execz .LBB585_10
; %bb.9:
	s_lshl_b64 s[16:17], s[8:9], 2
	s_add_u32 s2, s2, s16
	s_addc_u32 s3, s3, s17
	v_lshlrev_b32_e32 v1, 2, v0
	v_mov_b32_e32 v2, s3
	v_add_co_u32_e64 v1, s[2:3], s2, v1
	v_addc_co_u32_e64 v2, s[2:3], 0, v2, s[2:3]
	flat_load_dword v5, v[1:2]
.LBB585_10:
	s_or_b64 exec, exec, s[4:5]
	s_cmp_lg_u64 s[12:13], 0
	s_cselect_b64 s[4:5], -1, 0
	s_xor_b64 s[0:1], s[0:1], -1
	v_mov_b32_e32 v1, 0
	s_mov_b64 s[2:3], 0
	v_mov_b32_e32 v2, 0
	s_and_b64 s[0:1], s[0:1], s[4:5]
	s_and_saveexec_b64 s[4:5], s[0:1]
	s_cbranch_execz .LBB585_14
; %bb.11:
	v_mov_b32_e32 v1, 0
	v_mov_b32_e32 v3, s12
	;; [unrolled: 1-line block ×5, first 2 shown]
.LBB585_12:                             ; =>This Inner Loop Header: Depth=1
	v_sub_co_u32_e64 v7, s[0:1], v3, v1
	v_subb_co_u32_e64 v8, s[0:1], v4, v2, s[0:1]
	v_lshrrev_b64 v[9:10], 1, v[7:8]
	v_lshrrev_b64 v[7:8], 6, v[7:8]
	v_add_co_u32_e64 v9, s[0:1], v9, v1
	v_addc_co_u32_e64 v10, s[0:1], v10, v2, s[0:1]
	v_add_co_u32_e64 v7, s[0:1], v9, v7
	v_addc_co_u32_e64 v8, s[0:1], v10, v8, s[0:1]
	v_lshlrev_b64 v[9:10], 2, v[7:8]
	v_add_co_u32_e64 v9, s[0:1], s10, v9
	v_addc_co_u32_e64 v10, s[0:1], v6, v10, s[0:1]
	global_load_dword v9, v[9:10], off
	v_add_co_u32_e64 v10, s[0:1], 1, v7
	v_addc_co_u32_e64 v11, s[0:1], 0, v8, s[0:1]
	s_waitcnt vmcnt(0) lgkmcnt(0)
	v_cmp_lt_i32_e64 s[0:1], v5, v9
	v_cndmask_b32_e64 v4, v4, v8, s[0:1]
	v_cndmask_b32_e64 v3, v3, v7, s[0:1]
	;; [unrolled: 1-line block ×4, first 2 shown]
	v_cmp_ge_u64_e64 s[0:1], v[1:2], v[3:4]
	s_or_b64 s[2:3], s[0:1], s[2:3]
	s_andn2_b64 exec, exec, s[2:3]
	s_cbranch_execnz .LBB585_12
; %bb.13:
	s_or_b64 exec, exec, s[2:3]
.LBB585_14:
	s_or_b64 exec, exec, s[4:5]
	s_and_saveexec_b64 s[0:1], vcc
	s_cbranch_execz .LBB585_16
; %bb.15:
	s_lshl_b64 s[0:1], s[8:9], 3
	s_add_u32 s0, s7, s0
	s_addc_u32 s1, s14, s1
	v_lshlrev_b32_e32 v0, 3, v0
	v_mov_b32_e32 v4, s1
	v_add_co_u32_e32 v3, vcc, s0, v0
	v_addc_co_u32_e32 v4, vcc, 0, v4, vcc
	flat_store_dwordx2 v[3:4], v[1:2]
.LBB585_16:
	s_endpgm
	.section	.rodata,"a",@progbits
	.p2align	6, 0x0
	.amdhsa_kernel _ZN7rocprim17ROCPRIM_400000_NS6detail17trampoline_kernelINS0_14default_configENS1_27upper_bound_config_selectorIilEEZNS1_14transform_implILb0ES3_S5_N6thrust23THRUST_200600_302600_NS6detail15normal_iteratorINS8_7pointerIiNS8_11hip_rocprim5par_tENS8_11use_defaultESE_EEEENSA_INSB_IlSD_SE_SE_EEEEZNS1_13binary_searchIS3_S5_NSA_INS8_10device_ptrIiEEEESG_SI_NS1_21upper_bound_search_opENS9_16wrapped_functionINS8_6system6detail7generic6detail18binary_search_lessEbEEEE10hipError_tPvRmT1_T2_T3_mmT4_T5_P12ihipStream_tbEUlRKiE_EESV_SZ_S10_mS11_S14_bEUlT_E_NS1_11comp_targetILNS1_3genE2ELNS1_11target_archE906ELNS1_3gpuE6ELNS1_3repE0EEENS1_30default_config_static_selectorELNS0_4arch9wavefront6targetE1EEEvSY_
		.amdhsa_group_segment_fixed_size 0
		.amdhsa_private_segment_fixed_size 0
		.amdhsa_kernarg_size 312
		.amdhsa_user_sgpr_count 6
		.amdhsa_user_sgpr_private_segment_buffer 1
		.amdhsa_user_sgpr_dispatch_ptr 0
		.amdhsa_user_sgpr_queue_ptr 0
		.amdhsa_user_sgpr_kernarg_segment_ptr 1
		.amdhsa_user_sgpr_dispatch_id 0
		.amdhsa_user_sgpr_flat_scratch_init 0
		.amdhsa_user_sgpr_private_segment_size 0
		.amdhsa_uses_dynamic_stack 0
		.amdhsa_system_sgpr_private_segment_wavefront_offset 0
		.amdhsa_system_sgpr_workgroup_id_x 1
		.amdhsa_system_sgpr_workgroup_id_y 0
		.amdhsa_system_sgpr_workgroup_id_z 0
		.amdhsa_system_sgpr_workgroup_info 0
		.amdhsa_system_vgpr_workitem_id 0
		.amdhsa_next_free_vgpr 12
		.amdhsa_next_free_sgpr 20
		.amdhsa_reserve_vcc 1
		.amdhsa_reserve_flat_scratch 0
		.amdhsa_float_round_mode_32 0
		.amdhsa_float_round_mode_16_64 0
		.amdhsa_float_denorm_mode_32 3
		.amdhsa_float_denorm_mode_16_64 3
		.amdhsa_dx10_clamp 1
		.amdhsa_ieee_mode 1
		.amdhsa_fp16_overflow 0
		.amdhsa_exception_fp_ieee_invalid_op 0
		.amdhsa_exception_fp_denorm_src 0
		.amdhsa_exception_fp_ieee_div_zero 0
		.amdhsa_exception_fp_ieee_overflow 0
		.amdhsa_exception_fp_ieee_underflow 0
		.amdhsa_exception_fp_ieee_inexact 0
		.amdhsa_exception_int_div_zero 0
	.end_amdhsa_kernel
	.section	.text._ZN7rocprim17ROCPRIM_400000_NS6detail17trampoline_kernelINS0_14default_configENS1_27upper_bound_config_selectorIilEEZNS1_14transform_implILb0ES3_S5_N6thrust23THRUST_200600_302600_NS6detail15normal_iteratorINS8_7pointerIiNS8_11hip_rocprim5par_tENS8_11use_defaultESE_EEEENSA_INSB_IlSD_SE_SE_EEEEZNS1_13binary_searchIS3_S5_NSA_INS8_10device_ptrIiEEEESG_SI_NS1_21upper_bound_search_opENS9_16wrapped_functionINS8_6system6detail7generic6detail18binary_search_lessEbEEEE10hipError_tPvRmT1_T2_T3_mmT4_T5_P12ihipStream_tbEUlRKiE_EESV_SZ_S10_mS11_S14_bEUlT_E_NS1_11comp_targetILNS1_3genE2ELNS1_11target_archE906ELNS1_3gpuE6ELNS1_3repE0EEENS1_30default_config_static_selectorELNS0_4arch9wavefront6targetE1EEEvSY_,"axG",@progbits,_ZN7rocprim17ROCPRIM_400000_NS6detail17trampoline_kernelINS0_14default_configENS1_27upper_bound_config_selectorIilEEZNS1_14transform_implILb0ES3_S5_N6thrust23THRUST_200600_302600_NS6detail15normal_iteratorINS8_7pointerIiNS8_11hip_rocprim5par_tENS8_11use_defaultESE_EEEENSA_INSB_IlSD_SE_SE_EEEEZNS1_13binary_searchIS3_S5_NSA_INS8_10device_ptrIiEEEESG_SI_NS1_21upper_bound_search_opENS9_16wrapped_functionINS8_6system6detail7generic6detail18binary_search_lessEbEEEE10hipError_tPvRmT1_T2_T3_mmT4_T5_P12ihipStream_tbEUlRKiE_EESV_SZ_S10_mS11_S14_bEUlT_E_NS1_11comp_targetILNS1_3genE2ELNS1_11target_archE906ELNS1_3gpuE6ELNS1_3repE0EEENS1_30default_config_static_selectorELNS0_4arch9wavefront6targetE1EEEvSY_,comdat
.Lfunc_end585:
	.size	_ZN7rocprim17ROCPRIM_400000_NS6detail17trampoline_kernelINS0_14default_configENS1_27upper_bound_config_selectorIilEEZNS1_14transform_implILb0ES3_S5_N6thrust23THRUST_200600_302600_NS6detail15normal_iteratorINS8_7pointerIiNS8_11hip_rocprim5par_tENS8_11use_defaultESE_EEEENSA_INSB_IlSD_SE_SE_EEEEZNS1_13binary_searchIS3_S5_NSA_INS8_10device_ptrIiEEEESG_SI_NS1_21upper_bound_search_opENS9_16wrapped_functionINS8_6system6detail7generic6detail18binary_search_lessEbEEEE10hipError_tPvRmT1_T2_T3_mmT4_T5_P12ihipStream_tbEUlRKiE_EESV_SZ_S10_mS11_S14_bEUlT_E_NS1_11comp_targetILNS1_3genE2ELNS1_11target_archE906ELNS1_3gpuE6ELNS1_3repE0EEENS1_30default_config_static_selectorELNS0_4arch9wavefront6targetE1EEEvSY_, .Lfunc_end585-_ZN7rocprim17ROCPRIM_400000_NS6detail17trampoline_kernelINS0_14default_configENS1_27upper_bound_config_selectorIilEEZNS1_14transform_implILb0ES3_S5_N6thrust23THRUST_200600_302600_NS6detail15normal_iteratorINS8_7pointerIiNS8_11hip_rocprim5par_tENS8_11use_defaultESE_EEEENSA_INSB_IlSD_SE_SE_EEEEZNS1_13binary_searchIS3_S5_NSA_INS8_10device_ptrIiEEEESG_SI_NS1_21upper_bound_search_opENS9_16wrapped_functionINS8_6system6detail7generic6detail18binary_search_lessEbEEEE10hipError_tPvRmT1_T2_T3_mmT4_T5_P12ihipStream_tbEUlRKiE_EESV_SZ_S10_mS11_S14_bEUlT_E_NS1_11comp_targetILNS1_3genE2ELNS1_11target_archE906ELNS1_3gpuE6ELNS1_3repE0EEENS1_30default_config_static_selectorELNS0_4arch9wavefront6targetE1EEEvSY_
                                        ; -- End function
	.set _ZN7rocprim17ROCPRIM_400000_NS6detail17trampoline_kernelINS0_14default_configENS1_27upper_bound_config_selectorIilEEZNS1_14transform_implILb0ES3_S5_N6thrust23THRUST_200600_302600_NS6detail15normal_iteratorINS8_7pointerIiNS8_11hip_rocprim5par_tENS8_11use_defaultESE_EEEENSA_INSB_IlSD_SE_SE_EEEEZNS1_13binary_searchIS3_S5_NSA_INS8_10device_ptrIiEEEESG_SI_NS1_21upper_bound_search_opENS9_16wrapped_functionINS8_6system6detail7generic6detail18binary_search_lessEbEEEE10hipError_tPvRmT1_T2_T3_mmT4_T5_P12ihipStream_tbEUlRKiE_EESV_SZ_S10_mS11_S14_bEUlT_E_NS1_11comp_targetILNS1_3genE2ELNS1_11target_archE906ELNS1_3gpuE6ELNS1_3repE0EEENS1_30default_config_static_selectorELNS0_4arch9wavefront6targetE1EEEvSY_.num_vgpr, 12
	.set _ZN7rocprim17ROCPRIM_400000_NS6detail17trampoline_kernelINS0_14default_configENS1_27upper_bound_config_selectorIilEEZNS1_14transform_implILb0ES3_S5_N6thrust23THRUST_200600_302600_NS6detail15normal_iteratorINS8_7pointerIiNS8_11hip_rocprim5par_tENS8_11use_defaultESE_EEEENSA_INSB_IlSD_SE_SE_EEEEZNS1_13binary_searchIS3_S5_NSA_INS8_10device_ptrIiEEEESG_SI_NS1_21upper_bound_search_opENS9_16wrapped_functionINS8_6system6detail7generic6detail18binary_search_lessEbEEEE10hipError_tPvRmT1_T2_T3_mmT4_T5_P12ihipStream_tbEUlRKiE_EESV_SZ_S10_mS11_S14_bEUlT_E_NS1_11comp_targetILNS1_3genE2ELNS1_11target_archE906ELNS1_3gpuE6ELNS1_3repE0EEENS1_30default_config_static_selectorELNS0_4arch9wavefront6targetE1EEEvSY_.num_agpr, 0
	.set _ZN7rocprim17ROCPRIM_400000_NS6detail17trampoline_kernelINS0_14default_configENS1_27upper_bound_config_selectorIilEEZNS1_14transform_implILb0ES3_S5_N6thrust23THRUST_200600_302600_NS6detail15normal_iteratorINS8_7pointerIiNS8_11hip_rocprim5par_tENS8_11use_defaultESE_EEEENSA_INSB_IlSD_SE_SE_EEEEZNS1_13binary_searchIS3_S5_NSA_INS8_10device_ptrIiEEEESG_SI_NS1_21upper_bound_search_opENS9_16wrapped_functionINS8_6system6detail7generic6detail18binary_search_lessEbEEEE10hipError_tPvRmT1_T2_T3_mmT4_T5_P12ihipStream_tbEUlRKiE_EESV_SZ_S10_mS11_S14_bEUlT_E_NS1_11comp_targetILNS1_3genE2ELNS1_11target_archE906ELNS1_3gpuE6ELNS1_3repE0EEENS1_30default_config_static_selectorELNS0_4arch9wavefront6targetE1EEEvSY_.numbered_sgpr, 20
	.set _ZN7rocprim17ROCPRIM_400000_NS6detail17trampoline_kernelINS0_14default_configENS1_27upper_bound_config_selectorIilEEZNS1_14transform_implILb0ES3_S5_N6thrust23THRUST_200600_302600_NS6detail15normal_iteratorINS8_7pointerIiNS8_11hip_rocprim5par_tENS8_11use_defaultESE_EEEENSA_INSB_IlSD_SE_SE_EEEEZNS1_13binary_searchIS3_S5_NSA_INS8_10device_ptrIiEEEESG_SI_NS1_21upper_bound_search_opENS9_16wrapped_functionINS8_6system6detail7generic6detail18binary_search_lessEbEEEE10hipError_tPvRmT1_T2_T3_mmT4_T5_P12ihipStream_tbEUlRKiE_EESV_SZ_S10_mS11_S14_bEUlT_E_NS1_11comp_targetILNS1_3genE2ELNS1_11target_archE906ELNS1_3gpuE6ELNS1_3repE0EEENS1_30default_config_static_selectorELNS0_4arch9wavefront6targetE1EEEvSY_.num_named_barrier, 0
	.set _ZN7rocprim17ROCPRIM_400000_NS6detail17trampoline_kernelINS0_14default_configENS1_27upper_bound_config_selectorIilEEZNS1_14transform_implILb0ES3_S5_N6thrust23THRUST_200600_302600_NS6detail15normal_iteratorINS8_7pointerIiNS8_11hip_rocprim5par_tENS8_11use_defaultESE_EEEENSA_INSB_IlSD_SE_SE_EEEEZNS1_13binary_searchIS3_S5_NSA_INS8_10device_ptrIiEEEESG_SI_NS1_21upper_bound_search_opENS9_16wrapped_functionINS8_6system6detail7generic6detail18binary_search_lessEbEEEE10hipError_tPvRmT1_T2_T3_mmT4_T5_P12ihipStream_tbEUlRKiE_EESV_SZ_S10_mS11_S14_bEUlT_E_NS1_11comp_targetILNS1_3genE2ELNS1_11target_archE906ELNS1_3gpuE6ELNS1_3repE0EEENS1_30default_config_static_selectorELNS0_4arch9wavefront6targetE1EEEvSY_.private_seg_size, 0
	.set _ZN7rocprim17ROCPRIM_400000_NS6detail17trampoline_kernelINS0_14default_configENS1_27upper_bound_config_selectorIilEEZNS1_14transform_implILb0ES3_S5_N6thrust23THRUST_200600_302600_NS6detail15normal_iteratorINS8_7pointerIiNS8_11hip_rocprim5par_tENS8_11use_defaultESE_EEEENSA_INSB_IlSD_SE_SE_EEEEZNS1_13binary_searchIS3_S5_NSA_INS8_10device_ptrIiEEEESG_SI_NS1_21upper_bound_search_opENS9_16wrapped_functionINS8_6system6detail7generic6detail18binary_search_lessEbEEEE10hipError_tPvRmT1_T2_T3_mmT4_T5_P12ihipStream_tbEUlRKiE_EESV_SZ_S10_mS11_S14_bEUlT_E_NS1_11comp_targetILNS1_3genE2ELNS1_11target_archE906ELNS1_3gpuE6ELNS1_3repE0EEENS1_30default_config_static_selectorELNS0_4arch9wavefront6targetE1EEEvSY_.uses_vcc, 1
	.set _ZN7rocprim17ROCPRIM_400000_NS6detail17trampoline_kernelINS0_14default_configENS1_27upper_bound_config_selectorIilEEZNS1_14transform_implILb0ES3_S5_N6thrust23THRUST_200600_302600_NS6detail15normal_iteratorINS8_7pointerIiNS8_11hip_rocprim5par_tENS8_11use_defaultESE_EEEENSA_INSB_IlSD_SE_SE_EEEEZNS1_13binary_searchIS3_S5_NSA_INS8_10device_ptrIiEEEESG_SI_NS1_21upper_bound_search_opENS9_16wrapped_functionINS8_6system6detail7generic6detail18binary_search_lessEbEEEE10hipError_tPvRmT1_T2_T3_mmT4_T5_P12ihipStream_tbEUlRKiE_EESV_SZ_S10_mS11_S14_bEUlT_E_NS1_11comp_targetILNS1_3genE2ELNS1_11target_archE906ELNS1_3gpuE6ELNS1_3repE0EEENS1_30default_config_static_selectorELNS0_4arch9wavefront6targetE1EEEvSY_.uses_flat_scratch, 0
	.set _ZN7rocprim17ROCPRIM_400000_NS6detail17trampoline_kernelINS0_14default_configENS1_27upper_bound_config_selectorIilEEZNS1_14transform_implILb0ES3_S5_N6thrust23THRUST_200600_302600_NS6detail15normal_iteratorINS8_7pointerIiNS8_11hip_rocprim5par_tENS8_11use_defaultESE_EEEENSA_INSB_IlSD_SE_SE_EEEEZNS1_13binary_searchIS3_S5_NSA_INS8_10device_ptrIiEEEESG_SI_NS1_21upper_bound_search_opENS9_16wrapped_functionINS8_6system6detail7generic6detail18binary_search_lessEbEEEE10hipError_tPvRmT1_T2_T3_mmT4_T5_P12ihipStream_tbEUlRKiE_EESV_SZ_S10_mS11_S14_bEUlT_E_NS1_11comp_targetILNS1_3genE2ELNS1_11target_archE906ELNS1_3gpuE6ELNS1_3repE0EEENS1_30default_config_static_selectorELNS0_4arch9wavefront6targetE1EEEvSY_.has_dyn_sized_stack, 0
	.set _ZN7rocprim17ROCPRIM_400000_NS6detail17trampoline_kernelINS0_14default_configENS1_27upper_bound_config_selectorIilEEZNS1_14transform_implILb0ES3_S5_N6thrust23THRUST_200600_302600_NS6detail15normal_iteratorINS8_7pointerIiNS8_11hip_rocprim5par_tENS8_11use_defaultESE_EEEENSA_INSB_IlSD_SE_SE_EEEEZNS1_13binary_searchIS3_S5_NSA_INS8_10device_ptrIiEEEESG_SI_NS1_21upper_bound_search_opENS9_16wrapped_functionINS8_6system6detail7generic6detail18binary_search_lessEbEEEE10hipError_tPvRmT1_T2_T3_mmT4_T5_P12ihipStream_tbEUlRKiE_EESV_SZ_S10_mS11_S14_bEUlT_E_NS1_11comp_targetILNS1_3genE2ELNS1_11target_archE906ELNS1_3gpuE6ELNS1_3repE0EEENS1_30default_config_static_selectorELNS0_4arch9wavefront6targetE1EEEvSY_.has_recursion, 0
	.set _ZN7rocprim17ROCPRIM_400000_NS6detail17trampoline_kernelINS0_14default_configENS1_27upper_bound_config_selectorIilEEZNS1_14transform_implILb0ES3_S5_N6thrust23THRUST_200600_302600_NS6detail15normal_iteratorINS8_7pointerIiNS8_11hip_rocprim5par_tENS8_11use_defaultESE_EEEENSA_INSB_IlSD_SE_SE_EEEEZNS1_13binary_searchIS3_S5_NSA_INS8_10device_ptrIiEEEESG_SI_NS1_21upper_bound_search_opENS9_16wrapped_functionINS8_6system6detail7generic6detail18binary_search_lessEbEEEE10hipError_tPvRmT1_T2_T3_mmT4_T5_P12ihipStream_tbEUlRKiE_EESV_SZ_S10_mS11_S14_bEUlT_E_NS1_11comp_targetILNS1_3genE2ELNS1_11target_archE906ELNS1_3gpuE6ELNS1_3repE0EEENS1_30default_config_static_selectorELNS0_4arch9wavefront6targetE1EEEvSY_.has_indirect_call, 0
	.section	.AMDGPU.csdata,"",@progbits
; Kernel info:
; codeLenInByte = 700
; TotalNumSgprs: 24
; NumVgprs: 12
; ScratchSize: 0
; MemoryBound: 0
; FloatMode: 240
; IeeeMode: 1
; LDSByteSize: 0 bytes/workgroup (compile time only)
; SGPRBlocks: 2
; VGPRBlocks: 2
; NumSGPRsForWavesPerEU: 24
; NumVGPRsForWavesPerEU: 12
; Occupancy: 10
; WaveLimiterHint : 0
; COMPUTE_PGM_RSRC2:SCRATCH_EN: 0
; COMPUTE_PGM_RSRC2:USER_SGPR: 6
; COMPUTE_PGM_RSRC2:TRAP_HANDLER: 0
; COMPUTE_PGM_RSRC2:TGID_X_EN: 1
; COMPUTE_PGM_RSRC2:TGID_Y_EN: 0
; COMPUTE_PGM_RSRC2:TGID_Z_EN: 0
; COMPUTE_PGM_RSRC2:TIDIG_COMP_CNT: 0
	.section	.text._ZN7rocprim17ROCPRIM_400000_NS6detail17trampoline_kernelINS0_14default_configENS1_27upper_bound_config_selectorIilEEZNS1_14transform_implILb0ES3_S5_N6thrust23THRUST_200600_302600_NS6detail15normal_iteratorINS8_7pointerIiNS8_11hip_rocprim5par_tENS8_11use_defaultESE_EEEENSA_INSB_IlSD_SE_SE_EEEEZNS1_13binary_searchIS3_S5_NSA_INS8_10device_ptrIiEEEESG_SI_NS1_21upper_bound_search_opENS9_16wrapped_functionINS8_6system6detail7generic6detail18binary_search_lessEbEEEE10hipError_tPvRmT1_T2_T3_mmT4_T5_P12ihipStream_tbEUlRKiE_EESV_SZ_S10_mS11_S14_bEUlT_E_NS1_11comp_targetILNS1_3genE10ELNS1_11target_archE1201ELNS1_3gpuE5ELNS1_3repE0EEENS1_30default_config_static_selectorELNS0_4arch9wavefront6targetE1EEEvSY_,"axG",@progbits,_ZN7rocprim17ROCPRIM_400000_NS6detail17trampoline_kernelINS0_14default_configENS1_27upper_bound_config_selectorIilEEZNS1_14transform_implILb0ES3_S5_N6thrust23THRUST_200600_302600_NS6detail15normal_iteratorINS8_7pointerIiNS8_11hip_rocprim5par_tENS8_11use_defaultESE_EEEENSA_INSB_IlSD_SE_SE_EEEEZNS1_13binary_searchIS3_S5_NSA_INS8_10device_ptrIiEEEESG_SI_NS1_21upper_bound_search_opENS9_16wrapped_functionINS8_6system6detail7generic6detail18binary_search_lessEbEEEE10hipError_tPvRmT1_T2_T3_mmT4_T5_P12ihipStream_tbEUlRKiE_EESV_SZ_S10_mS11_S14_bEUlT_E_NS1_11comp_targetILNS1_3genE10ELNS1_11target_archE1201ELNS1_3gpuE5ELNS1_3repE0EEENS1_30default_config_static_selectorELNS0_4arch9wavefront6targetE1EEEvSY_,comdat
	.protected	_ZN7rocprim17ROCPRIM_400000_NS6detail17trampoline_kernelINS0_14default_configENS1_27upper_bound_config_selectorIilEEZNS1_14transform_implILb0ES3_S5_N6thrust23THRUST_200600_302600_NS6detail15normal_iteratorINS8_7pointerIiNS8_11hip_rocprim5par_tENS8_11use_defaultESE_EEEENSA_INSB_IlSD_SE_SE_EEEEZNS1_13binary_searchIS3_S5_NSA_INS8_10device_ptrIiEEEESG_SI_NS1_21upper_bound_search_opENS9_16wrapped_functionINS8_6system6detail7generic6detail18binary_search_lessEbEEEE10hipError_tPvRmT1_T2_T3_mmT4_T5_P12ihipStream_tbEUlRKiE_EESV_SZ_S10_mS11_S14_bEUlT_E_NS1_11comp_targetILNS1_3genE10ELNS1_11target_archE1201ELNS1_3gpuE5ELNS1_3repE0EEENS1_30default_config_static_selectorELNS0_4arch9wavefront6targetE1EEEvSY_ ; -- Begin function _ZN7rocprim17ROCPRIM_400000_NS6detail17trampoline_kernelINS0_14default_configENS1_27upper_bound_config_selectorIilEEZNS1_14transform_implILb0ES3_S5_N6thrust23THRUST_200600_302600_NS6detail15normal_iteratorINS8_7pointerIiNS8_11hip_rocprim5par_tENS8_11use_defaultESE_EEEENSA_INSB_IlSD_SE_SE_EEEEZNS1_13binary_searchIS3_S5_NSA_INS8_10device_ptrIiEEEESG_SI_NS1_21upper_bound_search_opENS9_16wrapped_functionINS8_6system6detail7generic6detail18binary_search_lessEbEEEE10hipError_tPvRmT1_T2_T3_mmT4_T5_P12ihipStream_tbEUlRKiE_EESV_SZ_S10_mS11_S14_bEUlT_E_NS1_11comp_targetILNS1_3genE10ELNS1_11target_archE1201ELNS1_3gpuE5ELNS1_3repE0EEENS1_30default_config_static_selectorELNS0_4arch9wavefront6targetE1EEEvSY_
	.globl	_ZN7rocprim17ROCPRIM_400000_NS6detail17trampoline_kernelINS0_14default_configENS1_27upper_bound_config_selectorIilEEZNS1_14transform_implILb0ES3_S5_N6thrust23THRUST_200600_302600_NS6detail15normal_iteratorINS8_7pointerIiNS8_11hip_rocprim5par_tENS8_11use_defaultESE_EEEENSA_INSB_IlSD_SE_SE_EEEEZNS1_13binary_searchIS3_S5_NSA_INS8_10device_ptrIiEEEESG_SI_NS1_21upper_bound_search_opENS9_16wrapped_functionINS8_6system6detail7generic6detail18binary_search_lessEbEEEE10hipError_tPvRmT1_T2_T3_mmT4_T5_P12ihipStream_tbEUlRKiE_EESV_SZ_S10_mS11_S14_bEUlT_E_NS1_11comp_targetILNS1_3genE10ELNS1_11target_archE1201ELNS1_3gpuE5ELNS1_3repE0EEENS1_30default_config_static_selectorELNS0_4arch9wavefront6targetE1EEEvSY_
	.p2align	8
	.type	_ZN7rocprim17ROCPRIM_400000_NS6detail17trampoline_kernelINS0_14default_configENS1_27upper_bound_config_selectorIilEEZNS1_14transform_implILb0ES3_S5_N6thrust23THRUST_200600_302600_NS6detail15normal_iteratorINS8_7pointerIiNS8_11hip_rocprim5par_tENS8_11use_defaultESE_EEEENSA_INSB_IlSD_SE_SE_EEEEZNS1_13binary_searchIS3_S5_NSA_INS8_10device_ptrIiEEEESG_SI_NS1_21upper_bound_search_opENS9_16wrapped_functionINS8_6system6detail7generic6detail18binary_search_lessEbEEEE10hipError_tPvRmT1_T2_T3_mmT4_T5_P12ihipStream_tbEUlRKiE_EESV_SZ_S10_mS11_S14_bEUlT_E_NS1_11comp_targetILNS1_3genE10ELNS1_11target_archE1201ELNS1_3gpuE5ELNS1_3repE0EEENS1_30default_config_static_selectorELNS0_4arch9wavefront6targetE1EEEvSY_,@function
_ZN7rocprim17ROCPRIM_400000_NS6detail17trampoline_kernelINS0_14default_configENS1_27upper_bound_config_selectorIilEEZNS1_14transform_implILb0ES3_S5_N6thrust23THRUST_200600_302600_NS6detail15normal_iteratorINS8_7pointerIiNS8_11hip_rocprim5par_tENS8_11use_defaultESE_EEEENSA_INSB_IlSD_SE_SE_EEEEZNS1_13binary_searchIS3_S5_NSA_INS8_10device_ptrIiEEEESG_SI_NS1_21upper_bound_search_opENS9_16wrapped_functionINS8_6system6detail7generic6detail18binary_search_lessEbEEEE10hipError_tPvRmT1_T2_T3_mmT4_T5_P12ihipStream_tbEUlRKiE_EESV_SZ_S10_mS11_S14_bEUlT_E_NS1_11comp_targetILNS1_3genE10ELNS1_11target_archE1201ELNS1_3gpuE5ELNS1_3repE0EEENS1_30default_config_static_selectorELNS0_4arch9wavefront6targetE1EEEvSY_: ; @_ZN7rocprim17ROCPRIM_400000_NS6detail17trampoline_kernelINS0_14default_configENS1_27upper_bound_config_selectorIilEEZNS1_14transform_implILb0ES3_S5_N6thrust23THRUST_200600_302600_NS6detail15normal_iteratorINS8_7pointerIiNS8_11hip_rocprim5par_tENS8_11use_defaultESE_EEEENSA_INSB_IlSD_SE_SE_EEEEZNS1_13binary_searchIS3_S5_NSA_INS8_10device_ptrIiEEEESG_SI_NS1_21upper_bound_search_opENS9_16wrapped_functionINS8_6system6detail7generic6detail18binary_search_lessEbEEEE10hipError_tPvRmT1_T2_T3_mmT4_T5_P12ihipStream_tbEUlRKiE_EESV_SZ_S10_mS11_S14_bEUlT_E_NS1_11comp_targetILNS1_3genE10ELNS1_11target_archE1201ELNS1_3gpuE5ELNS1_3repE0EEENS1_30default_config_static_selectorELNS0_4arch9wavefront6targetE1EEEvSY_
; %bb.0:
	.section	.rodata,"a",@progbits
	.p2align	6, 0x0
	.amdhsa_kernel _ZN7rocprim17ROCPRIM_400000_NS6detail17trampoline_kernelINS0_14default_configENS1_27upper_bound_config_selectorIilEEZNS1_14transform_implILb0ES3_S5_N6thrust23THRUST_200600_302600_NS6detail15normal_iteratorINS8_7pointerIiNS8_11hip_rocprim5par_tENS8_11use_defaultESE_EEEENSA_INSB_IlSD_SE_SE_EEEEZNS1_13binary_searchIS3_S5_NSA_INS8_10device_ptrIiEEEESG_SI_NS1_21upper_bound_search_opENS9_16wrapped_functionINS8_6system6detail7generic6detail18binary_search_lessEbEEEE10hipError_tPvRmT1_T2_T3_mmT4_T5_P12ihipStream_tbEUlRKiE_EESV_SZ_S10_mS11_S14_bEUlT_E_NS1_11comp_targetILNS1_3genE10ELNS1_11target_archE1201ELNS1_3gpuE5ELNS1_3repE0EEENS1_30default_config_static_selectorELNS0_4arch9wavefront6targetE1EEEvSY_
		.amdhsa_group_segment_fixed_size 0
		.amdhsa_private_segment_fixed_size 0
		.amdhsa_kernarg_size 56
		.amdhsa_user_sgpr_count 6
		.amdhsa_user_sgpr_private_segment_buffer 1
		.amdhsa_user_sgpr_dispatch_ptr 0
		.amdhsa_user_sgpr_queue_ptr 0
		.amdhsa_user_sgpr_kernarg_segment_ptr 1
		.amdhsa_user_sgpr_dispatch_id 0
		.amdhsa_user_sgpr_flat_scratch_init 0
		.amdhsa_user_sgpr_private_segment_size 0
		.amdhsa_uses_dynamic_stack 0
		.amdhsa_system_sgpr_private_segment_wavefront_offset 0
		.amdhsa_system_sgpr_workgroup_id_x 1
		.amdhsa_system_sgpr_workgroup_id_y 0
		.amdhsa_system_sgpr_workgroup_id_z 0
		.amdhsa_system_sgpr_workgroup_info 0
		.amdhsa_system_vgpr_workitem_id 0
		.amdhsa_next_free_vgpr 1
		.amdhsa_next_free_sgpr 0
		.amdhsa_reserve_vcc 0
		.amdhsa_reserve_flat_scratch 0
		.amdhsa_float_round_mode_32 0
		.amdhsa_float_round_mode_16_64 0
		.amdhsa_float_denorm_mode_32 3
		.amdhsa_float_denorm_mode_16_64 3
		.amdhsa_dx10_clamp 1
		.amdhsa_ieee_mode 1
		.amdhsa_fp16_overflow 0
		.amdhsa_exception_fp_ieee_invalid_op 0
		.amdhsa_exception_fp_denorm_src 0
		.amdhsa_exception_fp_ieee_div_zero 0
		.amdhsa_exception_fp_ieee_overflow 0
		.amdhsa_exception_fp_ieee_underflow 0
		.amdhsa_exception_fp_ieee_inexact 0
		.amdhsa_exception_int_div_zero 0
	.end_amdhsa_kernel
	.section	.text._ZN7rocprim17ROCPRIM_400000_NS6detail17trampoline_kernelINS0_14default_configENS1_27upper_bound_config_selectorIilEEZNS1_14transform_implILb0ES3_S5_N6thrust23THRUST_200600_302600_NS6detail15normal_iteratorINS8_7pointerIiNS8_11hip_rocprim5par_tENS8_11use_defaultESE_EEEENSA_INSB_IlSD_SE_SE_EEEEZNS1_13binary_searchIS3_S5_NSA_INS8_10device_ptrIiEEEESG_SI_NS1_21upper_bound_search_opENS9_16wrapped_functionINS8_6system6detail7generic6detail18binary_search_lessEbEEEE10hipError_tPvRmT1_T2_T3_mmT4_T5_P12ihipStream_tbEUlRKiE_EESV_SZ_S10_mS11_S14_bEUlT_E_NS1_11comp_targetILNS1_3genE10ELNS1_11target_archE1201ELNS1_3gpuE5ELNS1_3repE0EEENS1_30default_config_static_selectorELNS0_4arch9wavefront6targetE1EEEvSY_,"axG",@progbits,_ZN7rocprim17ROCPRIM_400000_NS6detail17trampoline_kernelINS0_14default_configENS1_27upper_bound_config_selectorIilEEZNS1_14transform_implILb0ES3_S5_N6thrust23THRUST_200600_302600_NS6detail15normal_iteratorINS8_7pointerIiNS8_11hip_rocprim5par_tENS8_11use_defaultESE_EEEENSA_INSB_IlSD_SE_SE_EEEEZNS1_13binary_searchIS3_S5_NSA_INS8_10device_ptrIiEEEESG_SI_NS1_21upper_bound_search_opENS9_16wrapped_functionINS8_6system6detail7generic6detail18binary_search_lessEbEEEE10hipError_tPvRmT1_T2_T3_mmT4_T5_P12ihipStream_tbEUlRKiE_EESV_SZ_S10_mS11_S14_bEUlT_E_NS1_11comp_targetILNS1_3genE10ELNS1_11target_archE1201ELNS1_3gpuE5ELNS1_3repE0EEENS1_30default_config_static_selectorELNS0_4arch9wavefront6targetE1EEEvSY_,comdat
.Lfunc_end586:
	.size	_ZN7rocprim17ROCPRIM_400000_NS6detail17trampoline_kernelINS0_14default_configENS1_27upper_bound_config_selectorIilEEZNS1_14transform_implILb0ES3_S5_N6thrust23THRUST_200600_302600_NS6detail15normal_iteratorINS8_7pointerIiNS8_11hip_rocprim5par_tENS8_11use_defaultESE_EEEENSA_INSB_IlSD_SE_SE_EEEEZNS1_13binary_searchIS3_S5_NSA_INS8_10device_ptrIiEEEESG_SI_NS1_21upper_bound_search_opENS9_16wrapped_functionINS8_6system6detail7generic6detail18binary_search_lessEbEEEE10hipError_tPvRmT1_T2_T3_mmT4_T5_P12ihipStream_tbEUlRKiE_EESV_SZ_S10_mS11_S14_bEUlT_E_NS1_11comp_targetILNS1_3genE10ELNS1_11target_archE1201ELNS1_3gpuE5ELNS1_3repE0EEENS1_30default_config_static_selectorELNS0_4arch9wavefront6targetE1EEEvSY_, .Lfunc_end586-_ZN7rocprim17ROCPRIM_400000_NS6detail17trampoline_kernelINS0_14default_configENS1_27upper_bound_config_selectorIilEEZNS1_14transform_implILb0ES3_S5_N6thrust23THRUST_200600_302600_NS6detail15normal_iteratorINS8_7pointerIiNS8_11hip_rocprim5par_tENS8_11use_defaultESE_EEEENSA_INSB_IlSD_SE_SE_EEEEZNS1_13binary_searchIS3_S5_NSA_INS8_10device_ptrIiEEEESG_SI_NS1_21upper_bound_search_opENS9_16wrapped_functionINS8_6system6detail7generic6detail18binary_search_lessEbEEEE10hipError_tPvRmT1_T2_T3_mmT4_T5_P12ihipStream_tbEUlRKiE_EESV_SZ_S10_mS11_S14_bEUlT_E_NS1_11comp_targetILNS1_3genE10ELNS1_11target_archE1201ELNS1_3gpuE5ELNS1_3repE0EEENS1_30default_config_static_selectorELNS0_4arch9wavefront6targetE1EEEvSY_
                                        ; -- End function
	.set _ZN7rocprim17ROCPRIM_400000_NS6detail17trampoline_kernelINS0_14default_configENS1_27upper_bound_config_selectorIilEEZNS1_14transform_implILb0ES3_S5_N6thrust23THRUST_200600_302600_NS6detail15normal_iteratorINS8_7pointerIiNS8_11hip_rocprim5par_tENS8_11use_defaultESE_EEEENSA_INSB_IlSD_SE_SE_EEEEZNS1_13binary_searchIS3_S5_NSA_INS8_10device_ptrIiEEEESG_SI_NS1_21upper_bound_search_opENS9_16wrapped_functionINS8_6system6detail7generic6detail18binary_search_lessEbEEEE10hipError_tPvRmT1_T2_T3_mmT4_T5_P12ihipStream_tbEUlRKiE_EESV_SZ_S10_mS11_S14_bEUlT_E_NS1_11comp_targetILNS1_3genE10ELNS1_11target_archE1201ELNS1_3gpuE5ELNS1_3repE0EEENS1_30default_config_static_selectorELNS0_4arch9wavefront6targetE1EEEvSY_.num_vgpr, 0
	.set _ZN7rocprim17ROCPRIM_400000_NS6detail17trampoline_kernelINS0_14default_configENS1_27upper_bound_config_selectorIilEEZNS1_14transform_implILb0ES3_S5_N6thrust23THRUST_200600_302600_NS6detail15normal_iteratorINS8_7pointerIiNS8_11hip_rocprim5par_tENS8_11use_defaultESE_EEEENSA_INSB_IlSD_SE_SE_EEEEZNS1_13binary_searchIS3_S5_NSA_INS8_10device_ptrIiEEEESG_SI_NS1_21upper_bound_search_opENS9_16wrapped_functionINS8_6system6detail7generic6detail18binary_search_lessEbEEEE10hipError_tPvRmT1_T2_T3_mmT4_T5_P12ihipStream_tbEUlRKiE_EESV_SZ_S10_mS11_S14_bEUlT_E_NS1_11comp_targetILNS1_3genE10ELNS1_11target_archE1201ELNS1_3gpuE5ELNS1_3repE0EEENS1_30default_config_static_selectorELNS0_4arch9wavefront6targetE1EEEvSY_.num_agpr, 0
	.set _ZN7rocprim17ROCPRIM_400000_NS6detail17trampoline_kernelINS0_14default_configENS1_27upper_bound_config_selectorIilEEZNS1_14transform_implILb0ES3_S5_N6thrust23THRUST_200600_302600_NS6detail15normal_iteratorINS8_7pointerIiNS8_11hip_rocprim5par_tENS8_11use_defaultESE_EEEENSA_INSB_IlSD_SE_SE_EEEEZNS1_13binary_searchIS3_S5_NSA_INS8_10device_ptrIiEEEESG_SI_NS1_21upper_bound_search_opENS9_16wrapped_functionINS8_6system6detail7generic6detail18binary_search_lessEbEEEE10hipError_tPvRmT1_T2_T3_mmT4_T5_P12ihipStream_tbEUlRKiE_EESV_SZ_S10_mS11_S14_bEUlT_E_NS1_11comp_targetILNS1_3genE10ELNS1_11target_archE1201ELNS1_3gpuE5ELNS1_3repE0EEENS1_30default_config_static_selectorELNS0_4arch9wavefront6targetE1EEEvSY_.numbered_sgpr, 0
	.set _ZN7rocprim17ROCPRIM_400000_NS6detail17trampoline_kernelINS0_14default_configENS1_27upper_bound_config_selectorIilEEZNS1_14transform_implILb0ES3_S5_N6thrust23THRUST_200600_302600_NS6detail15normal_iteratorINS8_7pointerIiNS8_11hip_rocprim5par_tENS8_11use_defaultESE_EEEENSA_INSB_IlSD_SE_SE_EEEEZNS1_13binary_searchIS3_S5_NSA_INS8_10device_ptrIiEEEESG_SI_NS1_21upper_bound_search_opENS9_16wrapped_functionINS8_6system6detail7generic6detail18binary_search_lessEbEEEE10hipError_tPvRmT1_T2_T3_mmT4_T5_P12ihipStream_tbEUlRKiE_EESV_SZ_S10_mS11_S14_bEUlT_E_NS1_11comp_targetILNS1_3genE10ELNS1_11target_archE1201ELNS1_3gpuE5ELNS1_3repE0EEENS1_30default_config_static_selectorELNS0_4arch9wavefront6targetE1EEEvSY_.num_named_barrier, 0
	.set _ZN7rocprim17ROCPRIM_400000_NS6detail17trampoline_kernelINS0_14default_configENS1_27upper_bound_config_selectorIilEEZNS1_14transform_implILb0ES3_S5_N6thrust23THRUST_200600_302600_NS6detail15normal_iteratorINS8_7pointerIiNS8_11hip_rocprim5par_tENS8_11use_defaultESE_EEEENSA_INSB_IlSD_SE_SE_EEEEZNS1_13binary_searchIS3_S5_NSA_INS8_10device_ptrIiEEEESG_SI_NS1_21upper_bound_search_opENS9_16wrapped_functionINS8_6system6detail7generic6detail18binary_search_lessEbEEEE10hipError_tPvRmT1_T2_T3_mmT4_T5_P12ihipStream_tbEUlRKiE_EESV_SZ_S10_mS11_S14_bEUlT_E_NS1_11comp_targetILNS1_3genE10ELNS1_11target_archE1201ELNS1_3gpuE5ELNS1_3repE0EEENS1_30default_config_static_selectorELNS0_4arch9wavefront6targetE1EEEvSY_.private_seg_size, 0
	.set _ZN7rocprim17ROCPRIM_400000_NS6detail17trampoline_kernelINS0_14default_configENS1_27upper_bound_config_selectorIilEEZNS1_14transform_implILb0ES3_S5_N6thrust23THRUST_200600_302600_NS6detail15normal_iteratorINS8_7pointerIiNS8_11hip_rocprim5par_tENS8_11use_defaultESE_EEEENSA_INSB_IlSD_SE_SE_EEEEZNS1_13binary_searchIS3_S5_NSA_INS8_10device_ptrIiEEEESG_SI_NS1_21upper_bound_search_opENS9_16wrapped_functionINS8_6system6detail7generic6detail18binary_search_lessEbEEEE10hipError_tPvRmT1_T2_T3_mmT4_T5_P12ihipStream_tbEUlRKiE_EESV_SZ_S10_mS11_S14_bEUlT_E_NS1_11comp_targetILNS1_3genE10ELNS1_11target_archE1201ELNS1_3gpuE5ELNS1_3repE0EEENS1_30default_config_static_selectorELNS0_4arch9wavefront6targetE1EEEvSY_.uses_vcc, 0
	.set _ZN7rocprim17ROCPRIM_400000_NS6detail17trampoline_kernelINS0_14default_configENS1_27upper_bound_config_selectorIilEEZNS1_14transform_implILb0ES3_S5_N6thrust23THRUST_200600_302600_NS6detail15normal_iteratorINS8_7pointerIiNS8_11hip_rocprim5par_tENS8_11use_defaultESE_EEEENSA_INSB_IlSD_SE_SE_EEEEZNS1_13binary_searchIS3_S5_NSA_INS8_10device_ptrIiEEEESG_SI_NS1_21upper_bound_search_opENS9_16wrapped_functionINS8_6system6detail7generic6detail18binary_search_lessEbEEEE10hipError_tPvRmT1_T2_T3_mmT4_T5_P12ihipStream_tbEUlRKiE_EESV_SZ_S10_mS11_S14_bEUlT_E_NS1_11comp_targetILNS1_3genE10ELNS1_11target_archE1201ELNS1_3gpuE5ELNS1_3repE0EEENS1_30default_config_static_selectorELNS0_4arch9wavefront6targetE1EEEvSY_.uses_flat_scratch, 0
	.set _ZN7rocprim17ROCPRIM_400000_NS6detail17trampoline_kernelINS0_14default_configENS1_27upper_bound_config_selectorIilEEZNS1_14transform_implILb0ES3_S5_N6thrust23THRUST_200600_302600_NS6detail15normal_iteratorINS8_7pointerIiNS8_11hip_rocprim5par_tENS8_11use_defaultESE_EEEENSA_INSB_IlSD_SE_SE_EEEEZNS1_13binary_searchIS3_S5_NSA_INS8_10device_ptrIiEEEESG_SI_NS1_21upper_bound_search_opENS9_16wrapped_functionINS8_6system6detail7generic6detail18binary_search_lessEbEEEE10hipError_tPvRmT1_T2_T3_mmT4_T5_P12ihipStream_tbEUlRKiE_EESV_SZ_S10_mS11_S14_bEUlT_E_NS1_11comp_targetILNS1_3genE10ELNS1_11target_archE1201ELNS1_3gpuE5ELNS1_3repE0EEENS1_30default_config_static_selectorELNS0_4arch9wavefront6targetE1EEEvSY_.has_dyn_sized_stack, 0
	.set _ZN7rocprim17ROCPRIM_400000_NS6detail17trampoline_kernelINS0_14default_configENS1_27upper_bound_config_selectorIilEEZNS1_14transform_implILb0ES3_S5_N6thrust23THRUST_200600_302600_NS6detail15normal_iteratorINS8_7pointerIiNS8_11hip_rocprim5par_tENS8_11use_defaultESE_EEEENSA_INSB_IlSD_SE_SE_EEEEZNS1_13binary_searchIS3_S5_NSA_INS8_10device_ptrIiEEEESG_SI_NS1_21upper_bound_search_opENS9_16wrapped_functionINS8_6system6detail7generic6detail18binary_search_lessEbEEEE10hipError_tPvRmT1_T2_T3_mmT4_T5_P12ihipStream_tbEUlRKiE_EESV_SZ_S10_mS11_S14_bEUlT_E_NS1_11comp_targetILNS1_3genE10ELNS1_11target_archE1201ELNS1_3gpuE5ELNS1_3repE0EEENS1_30default_config_static_selectorELNS0_4arch9wavefront6targetE1EEEvSY_.has_recursion, 0
	.set _ZN7rocprim17ROCPRIM_400000_NS6detail17trampoline_kernelINS0_14default_configENS1_27upper_bound_config_selectorIilEEZNS1_14transform_implILb0ES3_S5_N6thrust23THRUST_200600_302600_NS6detail15normal_iteratorINS8_7pointerIiNS8_11hip_rocprim5par_tENS8_11use_defaultESE_EEEENSA_INSB_IlSD_SE_SE_EEEEZNS1_13binary_searchIS3_S5_NSA_INS8_10device_ptrIiEEEESG_SI_NS1_21upper_bound_search_opENS9_16wrapped_functionINS8_6system6detail7generic6detail18binary_search_lessEbEEEE10hipError_tPvRmT1_T2_T3_mmT4_T5_P12ihipStream_tbEUlRKiE_EESV_SZ_S10_mS11_S14_bEUlT_E_NS1_11comp_targetILNS1_3genE10ELNS1_11target_archE1201ELNS1_3gpuE5ELNS1_3repE0EEENS1_30default_config_static_selectorELNS0_4arch9wavefront6targetE1EEEvSY_.has_indirect_call, 0
	.section	.AMDGPU.csdata,"",@progbits
; Kernel info:
; codeLenInByte = 0
; TotalNumSgprs: 4
; NumVgprs: 0
; ScratchSize: 0
; MemoryBound: 0
; FloatMode: 240
; IeeeMode: 1
; LDSByteSize: 0 bytes/workgroup (compile time only)
; SGPRBlocks: 0
; VGPRBlocks: 0
; NumSGPRsForWavesPerEU: 4
; NumVGPRsForWavesPerEU: 1
; Occupancy: 10
; WaveLimiterHint : 0
; COMPUTE_PGM_RSRC2:SCRATCH_EN: 0
; COMPUTE_PGM_RSRC2:USER_SGPR: 6
; COMPUTE_PGM_RSRC2:TRAP_HANDLER: 0
; COMPUTE_PGM_RSRC2:TGID_X_EN: 1
; COMPUTE_PGM_RSRC2:TGID_Y_EN: 0
; COMPUTE_PGM_RSRC2:TGID_Z_EN: 0
; COMPUTE_PGM_RSRC2:TIDIG_COMP_CNT: 0
	.section	.text._ZN7rocprim17ROCPRIM_400000_NS6detail17trampoline_kernelINS0_14default_configENS1_27upper_bound_config_selectorIilEEZNS1_14transform_implILb0ES3_S5_N6thrust23THRUST_200600_302600_NS6detail15normal_iteratorINS8_7pointerIiNS8_11hip_rocprim5par_tENS8_11use_defaultESE_EEEENSA_INSB_IlSD_SE_SE_EEEEZNS1_13binary_searchIS3_S5_NSA_INS8_10device_ptrIiEEEESG_SI_NS1_21upper_bound_search_opENS9_16wrapped_functionINS8_6system6detail7generic6detail18binary_search_lessEbEEEE10hipError_tPvRmT1_T2_T3_mmT4_T5_P12ihipStream_tbEUlRKiE_EESV_SZ_S10_mS11_S14_bEUlT_E_NS1_11comp_targetILNS1_3genE10ELNS1_11target_archE1200ELNS1_3gpuE4ELNS1_3repE0EEENS1_30default_config_static_selectorELNS0_4arch9wavefront6targetE1EEEvSY_,"axG",@progbits,_ZN7rocprim17ROCPRIM_400000_NS6detail17trampoline_kernelINS0_14default_configENS1_27upper_bound_config_selectorIilEEZNS1_14transform_implILb0ES3_S5_N6thrust23THRUST_200600_302600_NS6detail15normal_iteratorINS8_7pointerIiNS8_11hip_rocprim5par_tENS8_11use_defaultESE_EEEENSA_INSB_IlSD_SE_SE_EEEEZNS1_13binary_searchIS3_S5_NSA_INS8_10device_ptrIiEEEESG_SI_NS1_21upper_bound_search_opENS9_16wrapped_functionINS8_6system6detail7generic6detail18binary_search_lessEbEEEE10hipError_tPvRmT1_T2_T3_mmT4_T5_P12ihipStream_tbEUlRKiE_EESV_SZ_S10_mS11_S14_bEUlT_E_NS1_11comp_targetILNS1_3genE10ELNS1_11target_archE1200ELNS1_3gpuE4ELNS1_3repE0EEENS1_30default_config_static_selectorELNS0_4arch9wavefront6targetE1EEEvSY_,comdat
	.protected	_ZN7rocprim17ROCPRIM_400000_NS6detail17trampoline_kernelINS0_14default_configENS1_27upper_bound_config_selectorIilEEZNS1_14transform_implILb0ES3_S5_N6thrust23THRUST_200600_302600_NS6detail15normal_iteratorINS8_7pointerIiNS8_11hip_rocprim5par_tENS8_11use_defaultESE_EEEENSA_INSB_IlSD_SE_SE_EEEEZNS1_13binary_searchIS3_S5_NSA_INS8_10device_ptrIiEEEESG_SI_NS1_21upper_bound_search_opENS9_16wrapped_functionINS8_6system6detail7generic6detail18binary_search_lessEbEEEE10hipError_tPvRmT1_T2_T3_mmT4_T5_P12ihipStream_tbEUlRKiE_EESV_SZ_S10_mS11_S14_bEUlT_E_NS1_11comp_targetILNS1_3genE10ELNS1_11target_archE1200ELNS1_3gpuE4ELNS1_3repE0EEENS1_30default_config_static_selectorELNS0_4arch9wavefront6targetE1EEEvSY_ ; -- Begin function _ZN7rocprim17ROCPRIM_400000_NS6detail17trampoline_kernelINS0_14default_configENS1_27upper_bound_config_selectorIilEEZNS1_14transform_implILb0ES3_S5_N6thrust23THRUST_200600_302600_NS6detail15normal_iteratorINS8_7pointerIiNS8_11hip_rocprim5par_tENS8_11use_defaultESE_EEEENSA_INSB_IlSD_SE_SE_EEEEZNS1_13binary_searchIS3_S5_NSA_INS8_10device_ptrIiEEEESG_SI_NS1_21upper_bound_search_opENS9_16wrapped_functionINS8_6system6detail7generic6detail18binary_search_lessEbEEEE10hipError_tPvRmT1_T2_T3_mmT4_T5_P12ihipStream_tbEUlRKiE_EESV_SZ_S10_mS11_S14_bEUlT_E_NS1_11comp_targetILNS1_3genE10ELNS1_11target_archE1200ELNS1_3gpuE4ELNS1_3repE0EEENS1_30default_config_static_selectorELNS0_4arch9wavefront6targetE1EEEvSY_
	.globl	_ZN7rocprim17ROCPRIM_400000_NS6detail17trampoline_kernelINS0_14default_configENS1_27upper_bound_config_selectorIilEEZNS1_14transform_implILb0ES3_S5_N6thrust23THRUST_200600_302600_NS6detail15normal_iteratorINS8_7pointerIiNS8_11hip_rocprim5par_tENS8_11use_defaultESE_EEEENSA_INSB_IlSD_SE_SE_EEEEZNS1_13binary_searchIS3_S5_NSA_INS8_10device_ptrIiEEEESG_SI_NS1_21upper_bound_search_opENS9_16wrapped_functionINS8_6system6detail7generic6detail18binary_search_lessEbEEEE10hipError_tPvRmT1_T2_T3_mmT4_T5_P12ihipStream_tbEUlRKiE_EESV_SZ_S10_mS11_S14_bEUlT_E_NS1_11comp_targetILNS1_3genE10ELNS1_11target_archE1200ELNS1_3gpuE4ELNS1_3repE0EEENS1_30default_config_static_selectorELNS0_4arch9wavefront6targetE1EEEvSY_
	.p2align	8
	.type	_ZN7rocprim17ROCPRIM_400000_NS6detail17trampoline_kernelINS0_14default_configENS1_27upper_bound_config_selectorIilEEZNS1_14transform_implILb0ES3_S5_N6thrust23THRUST_200600_302600_NS6detail15normal_iteratorINS8_7pointerIiNS8_11hip_rocprim5par_tENS8_11use_defaultESE_EEEENSA_INSB_IlSD_SE_SE_EEEEZNS1_13binary_searchIS3_S5_NSA_INS8_10device_ptrIiEEEESG_SI_NS1_21upper_bound_search_opENS9_16wrapped_functionINS8_6system6detail7generic6detail18binary_search_lessEbEEEE10hipError_tPvRmT1_T2_T3_mmT4_T5_P12ihipStream_tbEUlRKiE_EESV_SZ_S10_mS11_S14_bEUlT_E_NS1_11comp_targetILNS1_3genE10ELNS1_11target_archE1200ELNS1_3gpuE4ELNS1_3repE0EEENS1_30default_config_static_selectorELNS0_4arch9wavefront6targetE1EEEvSY_,@function
_ZN7rocprim17ROCPRIM_400000_NS6detail17trampoline_kernelINS0_14default_configENS1_27upper_bound_config_selectorIilEEZNS1_14transform_implILb0ES3_S5_N6thrust23THRUST_200600_302600_NS6detail15normal_iteratorINS8_7pointerIiNS8_11hip_rocprim5par_tENS8_11use_defaultESE_EEEENSA_INSB_IlSD_SE_SE_EEEEZNS1_13binary_searchIS3_S5_NSA_INS8_10device_ptrIiEEEESG_SI_NS1_21upper_bound_search_opENS9_16wrapped_functionINS8_6system6detail7generic6detail18binary_search_lessEbEEEE10hipError_tPvRmT1_T2_T3_mmT4_T5_P12ihipStream_tbEUlRKiE_EESV_SZ_S10_mS11_S14_bEUlT_E_NS1_11comp_targetILNS1_3genE10ELNS1_11target_archE1200ELNS1_3gpuE4ELNS1_3repE0EEENS1_30default_config_static_selectorELNS0_4arch9wavefront6targetE1EEEvSY_: ; @_ZN7rocprim17ROCPRIM_400000_NS6detail17trampoline_kernelINS0_14default_configENS1_27upper_bound_config_selectorIilEEZNS1_14transform_implILb0ES3_S5_N6thrust23THRUST_200600_302600_NS6detail15normal_iteratorINS8_7pointerIiNS8_11hip_rocprim5par_tENS8_11use_defaultESE_EEEENSA_INSB_IlSD_SE_SE_EEEEZNS1_13binary_searchIS3_S5_NSA_INS8_10device_ptrIiEEEESG_SI_NS1_21upper_bound_search_opENS9_16wrapped_functionINS8_6system6detail7generic6detail18binary_search_lessEbEEEE10hipError_tPvRmT1_T2_T3_mmT4_T5_P12ihipStream_tbEUlRKiE_EESV_SZ_S10_mS11_S14_bEUlT_E_NS1_11comp_targetILNS1_3genE10ELNS1_11target_archE1200ELNS1_3gpuE4ELNS1_3repE0EEENS1_30default_config_static_selectorELNS0_4arch9wavefront6targetE1EEEvSY_
; %bb.0:
	.section	.rodata,"a",@progbits
	.p2align	6, 0x0
	.amdhsa_kernel _ZN7rocprim17ROCPRIM_400000_NS6detail17trampoline_kernelINS0_14default_configENS1_27upper_bound_config_selectorIilEEZNS1_14transform_implILb0ES3_S5_N6thrust23THRUST_200600_302600_NS6detail15normal_iteratorINS8_7pointerIiNS8_11hip_rocprim5par_tENS8_11use_defaultESE_EEEENSA_INSB_IlSD_SE_SE_EEEEZNS1_13binary_searchIS3_S5_NSA_INS8_10device_ptrIiEEEESG_SI_NS1_21upper_bound_search_opENS9_16wrapped_functionINS8_6system6detail7generic6detail18binary_search_lessEbEEEE10hipError_tPvRmT1_T2_T3_mmT4_T5_P12ihipStream_tbEUlRKiE_EESV_SZ_S10_mS11_S14_bEUlT_E_NS1_11comp_targetILNS1_3genE10ELNS1_11target_archE1200ELNS1_3gpuE4ELNS1_3repE0EEENS1_30default_config_static_selectorELNS0_4arch9wavefront6targetE1EEEvSY_
		.amdhsa_group_segment_fixed_size 0
		.amdhsa_private_segment_fixed_size 0
		.amdhsa_kernarg_size 56
		.amdhsa_user_sgpr_count 6
		.amdhsa_user_sgpr_private_segment_buffer 1
		.amdhsa_user_sgpr_dispatch_ptr 0
		.amdhsa_user_sgpr_queue_ptr 0
		.amdhsa_user_sgpr_kernarg_segment_ptr 1
		.amdhsa_user_sgpr_dispatch_id 0
		.amdhsa_user_sgpr_flat_scratch_init 0
		.amdhsa_user_sgpr_private_segment_size 0
		.amdhsa_uses_dynamic_stack 0
		.amdhsa_system_sgpr_private_segment_wavefront_offset 0
		.amdhsa_system_sgpr_workgroup_id_x 1
		.amdhsa_system_sgpr_workgroup_id_y 0
		.amdhsa_system_sgpr_workgroup_id_z 0
		.amdhsa_system_sgpr_workgroup_info 0
		.amdhsa_system_vgpr_workitem_id 0
		.amdhsa_next_free_vgpr 1
		.amdhsa_next_free_sgpr 0
		.amdhsa_reserve_vcc 0
		.amdhsa_reserve_flat_scratch 0
		.amdhsa_float_round_mode_32 0
		.amdhsa_float_round_mode_16_64 0
		.amdhsa_float_denorm_mode_32 3
		.amdhsa_float_denorm_mode_16_64 3
		.amdhsa_dx10_clamp 1
		.amdhsa_ieee_mode 1
		.amdhsa_fp16_overflow 0
		.amdhsa_exception_fp_ieee_invalid_op 0
		.amdhsa_exception_fp_denorm_src 0
		.amdhsa_exception_fp_ieee_div_zero 0
		.amdhsa_exception_fp_ieee_overflow 0
		.amdhsa_exception_fp_ieee_underflow 0
		.amdhsa_exception_fp_ieee_inexact 0
		.amdhsa_exception_int_div_zero 0
	.end_amdhsa_kernel
	.section	.text._ZN7rocprim17ROCPRIM_400000_NS6detail17trampoline_kernelINS0_14default_configENS1_27upper_bound_config_selectorIilEEZNS1_14transform_implILb0ES3_S5_N6thrust23THRUST_200600_302600_NS6detail15normal_iteratorINS8_7pointerIiNS8_11hip_rocprim5par_tENS8_11use_defaultESE_EEEENSA_INSB_IlSD_SE_SE_EEEEZNS1_13binary_searchIS3_S5_NSA_INS8_10device_ptrIiEEEESG_SI_NS1_21upper_bound_search_opENS9_16wrapped_functionINS8_6system6detail7generic6detail18binary_search_lessEbEEEE10hipError_tPvRmT1_T2_T3_mmT4_T5_P12ihipStream_tbEUlRKiE_EESV_SZ_S10_mS11_S14_bEUlT_E_NS1_11comp_targetILNS1_3genE10ELNS1_11target_archE1200ELNS1_3gpuE4ELNS1_3repE0EEENS1_30default_config_static_selectorELNS0_4arch9wavefront6targetE1EEEvSY_,"axG",@progbits,_ZN7rocprim17ROCPRIM_400000_NS6detail17trampoline_kernelINS0_14default_configENS1_27upper_bound_config_selectorIilEEZNS1_14transform_implILb0ES3_S5_N6thrust23THRUST_200600_302600_NS6detail15normal_iteratorINS8_7pointerIiNS8_11hip_rocprim5par_tENS8_11use_defaultESE_EEEENSA_INSB_IlSD_SE_SE_EEEEZNS1_13binary_searchIS3_S5_NSA_INS8_10device_ptrIiEEEESG_SI_NS1_21upper_bound_search_opENS9_16wrapped_functionINS8_6system6detail7generic6detail18binary_search_lessEbEEEE10hipError_tPvRmT1_T2_T3_mmT4_T5_P12ihipStream_tbEUlRKiE_EESV_SZ_S10_mS11_S14_bEUlT_E_NS1_11comp_targetILNS1_3genE10ELNS1_11target_archE1200ELNS1_3gpuE4ELNS1_3repE0EEENS1_30default_config_static_selectorELNS0_4arch9wavefront6targetE1EEEvSY_,comdat
.Lfunc_end587:
	.size	_ZN7rocprim17ROCPRIM_400000_NS6detail17trampoline_kernelINS0_14default_configENS1_27upper_bound_config_selectorIilEEZNS1_14transform_implILb0ES3_S5_N6thrust23THRUST_200600_302600_NS6detail15normal_iteratorINS8_7pointerIiNS8_11hip_rocprim5par_tENS8_11use_defaultESE_EEEENSA_INSB_IlSD_SE_SE_EEEEZNS1_13binary_searchIS3_S5_NSA_INS8_10device_ptrIiEEEESG_SI_NS1_21upper_bound_search_opENS9_16wrapped_functionINS8_6system6detail7generic6detail18binary_search_lessEbEEEE10hipError_tPvRmT1_T2_T3_mmT4_T5_P12ihipStream_tbEUlRKiE_EESV_SZ_S10_mS11_S14_bEUlT_E_NS1_11comp_targetILNS1_3genE10ELNS1_11target_archE1200ELNS1_3gpuE4ELNS1_3repE0EEENS1_30default_config_static_selectorELNS0_4arch9wavefront6targetE1EEEvSY_, .Lfunc_end587-_ZN7rocprim17ROCPRIM_400000_NS6detail17trampoline_kernelINS0_14default_configENS1_27upper_bound_config_selectorIilEEZNS1_14transform_implILb0ES3_S5_N6thrust23THRUST_200600_302600_NS6detail15normal_iteratorINS8_7pointerIiNS8_11hip_rocprim5par_tENS8_11use_defaultESE_EEEENSA_INSB_IlSD_SE_SE_EEEEZNS1_13binary_searchIS3_S5_NSA_INS8_10device_ptrIiEEEESG_SI_NS1_21upper_bound_search_opENS9_16wrapped_functionINS8_6system6detail7generic6detail18binary_search_lessEbEEEE10hipError_tPvRmT1_T2_T3_mmT4_T5_P12ihipStream_tbEUlRKiE_EESV_SZ_S10_mS11_S14_bEUlT_E_NS1_11comp_targetILNS1_3genE10ELNS1_11target_archE1200ELNS1_3gpuE4ELNS1_3repE0EEENS1_30default_config_static_selectorELNS0_4arch9wavefront6targetE1EEEvSY_
                                        ; -- End function
	.set _ZN7rocprim17ROCPRIM_400000_NS6detail17trampoline_kernelINS0_14default_configENS1_27upper_bound_config_selectorIilEEZNS1_14transform_implILb0ES3_S5_N6thrust23THRUST_200600_302600_NS6detail15normal_iteratorINS8_7pointerIiNS8_11hip_rocprim5par_tENS8_11use_defaultESE_EEEENSA_INSB_IlSD_SE_SE_EEEEZNS1_13binary_searchIS3_S5_NSA_INS8_10device_ptrIiEEEESG_SI_NS1_21upper_bound_search_opENS9_16wrapped_functionINS8_6system6detail7generic6detail18binary_search_lessEbEEEE10hipError_tPvRmT1_T2_T3_mmT4_T5_P12ihipStream_tbEUlRKiE_EESV_SZ_S10_mS11_S14_bEUlT_E_NS1_11comp_targetILNS1_3genE10ELNS1_11target_archE1200ELNS1_3gpuE4ELNS1_3repE0EEENS1_30default_config_static_selectorELNS0_4arch9wavefront6targetE1EEEvSY_.num_vgpr, 0
	.set _ZN7rocprim17ROCPRIM_400000_NS6detail17trampoline_kernelINS0_14default_configENS1_27upper_bound_config_selectorIilEEZNS1_14transform_implILb0ES3_S5_N6thrust23THRUST_200600_302600_NS6detail15normal_iteratorINS8_7pointerIiNS8_11hip_rocprim5par_tENS8_11use_defaultESE_EEEENSA_INSB_IlSD_SE_SE_EEEEZNS1_13binary_searchIS3_S5_NSA_INS8_10device_ptrIiEEEESG_SI_NS1_21upper_bound_search_opENS9_16wrapped_functionINS8_6system6detail7generic6detail18binary_search_lessEbEEEE10hipError_tPvRmT1_T2_T3_mmT4_T5_P12ihipStream_tbEUlRKiE_EESV_SZ_S10_mS11_S14_bEUlT_E_NS1_11comp_targetILNS1_3genE10ELNS1_11target_archE1200ELNS1_3gpuE4ELNS1_3repE0EEENS1_30default_config_static_selectorELNS0_4arch9wavefront6targetE1EEEvSY_.num_agpr, 0
	.set _ZN7rocprim17ROCPRIM_400000_NS6detail17trampoline_kernelINS0_14default_configENS1_27upper_bound_config_selectorIilEEZNS1_14transform_implILb0ES3_S5_N6thrust23THRUST_200600_302600_NS6detail15normal_iteratorINS8_7pointerIiNS8_11hip_rocprim5par_tENS8_11use_defaultESE_EEEENSA_INSB_IlSD_SE_SE_EEEEZNS1_13binary_searchIS3_S5_NSA_INS8_10device_ptrIiEEEESG_SI_NS1_21upper_bound_search_opENS9_16wrapped_functionINS8_6system6detail7generic6detail18binary_search_lessEbEEEE10hipError_tPvRmT1_T2_T3_mmT4_T5_P12ihipStream_tbEUlRKiE_EESV_SZ_S10_mS11_S14_bEUlT_E_NS1_11comp_targetILNS1_3genE10ELNS1_11target_archE1200ELNS1_3gpuE4ELNS1_3repE0EEENS1_30default_config_static_selectorELNS0_4arch9wavefront6targetE1EEEvSY_.numbered_sgpr, 0
	.set _ZN7rocprim17ROCPRIM_400000_NS6detail17trampoline_kernelINS0_14default_configENS1_27upper_bound_config_selectorIilEEZNS1_14transform_implILb0ES3_S5_N6thrust23THRUST_200600_302600_NS6detail15normal_iteratorINS8_7pointerIiNS8_11hip_rocprim5par_tENS8_11use_defaultESE_EEEENSA_INSB_IlSD_SE_SE_EEEEZNS1_13binary_searchIS3_S5_NSA_INS8_10device_ptrIiEEEESG_SI_NS1_21upper_bound_search_opENS9_16wrapped_functionINS8_6system6detail7generic6detail18binary_search_lessEbEEEE10hipError_tPvRmT1_T2_T3_mmT4_T5_P12ihipStream_tbEUlRKiE_EESV_SZ_S10_mS11_S14_bEUlT_E_NS1_11comp_targetILNS1_3genE10ELNS1_11target_archE1200ELNS1_3gpuE4ELNS1_3repE0EEENS1_30default_config_static_selectorELNS0_4arch9wavefront6targetE1EEEvSY_.num_named_barrier, 0
	.set _ZN7rocprim17ROCPRIM_400000_NS6detail17trampoline_kernelINS0_14default_configENS1_27upper_bound_config_selectorIilEEZNS1_14transform_implILb0ES3_S5_N6thrust23THRUST_200600_302600_NS6detail15normal_iteratorINS8_7pointerIiNS8_11hip_rocprim5par_tENS8_11use_defaultESE_EEEENSA_INSB_IlSD_SE_SE_EEEEZNS1_13binary_searchIS3_S5_NSA_INS8_10device_ptrIiEEEESG_SI_NS1_21upper_bound_search_opENS9_16wrapped_functionINS8_6system6detail7generic6detail18binary_search_lessEbEEEE10hipError_tPvRmT1_T2_T3_mmT4_T5_P12ihipStream_tbEUlRKiE_EESV_SZ_S10_mS11_S14_bEUlT_E_NS1_11comp_targetILNS1_3genE10ELNS1_11target_archE1200ELNS1_3gpuE4ELNS1_3repE0EEENS1_30default_config_static_selectorELNS0_4arch9wavefront6targetE1EEEvSY_.private_seg_size, 0
	.set _ZN7rocprim17ROCPRIM_400000_NS6detail17trampoline_kernelINS0_14default_configENS1_27upper_bound_config_selectorIilEEZNS1_14transform_implILb0ES3_S5_N6thrust23THRUST_200600_302600_NS6detail15normal_iteratorINS8_7pointerIiNS8_11hip_rocprim5par_tENS8_11use_defaultESE_EEEENSA_INSB_IlSD_SE_SE_EEEEZNS1_13binary_searchIS3_S5_NSA_INS8_10device_ptrIiEEEESG_SI_NS1_21upper_bound_search_opENS9_16wrapped_functionINS8_6system6detail7generic6detail18binary_search_lessEbEEEE10hipError_tPvRmT1_T2_T3_mmT4_T5_P12ihipStream_tbEUlRKiE_EESV_SZ_S10_mS11_S14_bEUlT_E_NS1_11comp_targetILNS1_3genE10ELNS1_11target_archE1200ELNS1_3gpuE4ELNS1_3repE0EEENS1_30default_config_static_selectorELNS0_4arch9wavefront6targetE1EEEvSY_.uses_vcc, 0
	.set _ZN7rocprim17ROCPRIM_400000_NS6detail17trampoline_kernelINS0_14default_configENS1_27upper_bound_config_selectorIilEEZNS1_14transform_implILb0ES3_S5_N6thrust23THRUST_200600_302600_NS6detail15normal_iteratorINS8_7pointerIiNS8_11hip_rocprim5par_tENS8_11use_defaultESE_EEEENSA_INSB_IlSD_SE_SE_EEEEZNS1_13binary_searchIS3_S5_NSA_INS8_10device_ptrIiEEEESG_SI_NS1_21upper_bound_search_opENS9_16wrapped_functionINS8_6system6detail7generic6detail18binary_search_lessEbEEEE10hipError_tPvRmT1_T2_T3_mmT4_T5_P12ihipStream_tbEUlRKiE_EESV_SZ_S10_mS11_S14_bEUlT_E_NS1_11comp_targetILNS1_3genE10ELNS1_11target_archE1200ELNS1_3gpuE4ELNS1_3repE0EEENS1_30default_config_static_selectorELNS0_4arch9wavefront6targetE1EEEvSY_.uses_flat_scratch, 0
	.set _ZN7rocprim17ROCPRIM_400000_NS6detail17trampoline_kernelINS0_14default_configENS1_27upper_bound_config_selectorIilEEZNS1_14transform_implILb0ES3_S5_N6thrust23THRUST_200600_302600_NS6detail15normal_iteratorINS8_7pointerIiNS8_11hip_rocprim5par_tENS8_11use_defaultESE_EEEENSA_INSB_IlSD_SE_SE_EEEEZNS1_13binary_searchIS3_S5_NSA_INS8_10device_ptrIiEEEESG_SI_NS1_21upper_bound_search_opENS9_16wrapped_functionINS8_6system6detail7generic6detail18binary_search_lessEbEEEE10hipError_tPvRmT1_T2_T3_mmT4_T5_P12ihipStream_tbEUlRKiE_EESV_SZ_S10_mS11_S14_bEUlT_E_NS1_11comp_targetILNS1_3genE10ELNS1_11target_archE1200ELNS1_3gpuE4ELNS1_3repE0EEENS1_30default_config_static_selectorELNS0_4arch9wavefront6targetE1EEEvSY_.has_dyn_sized_stack, 0
	.set _ZN7rocprim17ROCPRIM_400000_NS6detail17trampoline_kernelINS0_14default_configENS1_27upper_bound_config_selectorIilEEZNS1_14transform_implILb0ES3_S5_N6thrust23THRUST_200600_302600_NS6detail15normal_iteratorINS8_7pointerIiNS8_11hip_rocprim5par_tENS8_11use_defaultESE_EEEENSA_INSB_IlSD_SE_SE_EEEEZNS1_13binary_searchIS3_S5_NSA_INS8_10device_ptrIiEEEESG_SI_NS1_21upper_bound_search_opENS9_16wrapped_functionINS8_6system6detail7generic6detail18binary_search_lessEbEEEE10hipError_tPvRmT1_T2_T3_mmT4_T5_P12ihipStream_tbEUlRKiE_EESV_SZ_S10_mS11_S14_bEUlT_E_NS1_11comp_targetILNS1_3genE10ELNS1_11target_archE1200ELNS1_3gpuE4ELNS1_3repE0EEENS1_30default_config_static_selectorELNS0_4arch9wavefront6targetE1EEEvSY_.has_recursion, 0
	.set _ZN7rocprim17ROCPRIM_400000_NS6detail17trampoline_kernelINS0_14default_configENS1_27upper_bound_config_selectorIilEEZNS1_14transform_implILb0ES3_S5_N6thrust23THRUST_200600_302600_NS6detail15normal_iteratorINS8_7pointerIiNS8_11hip_rocprim5par_tENS8_11use_defaultESE_EEEENSA_INSB_IlSD_SE_SE_EEEEZNS1_13binary_searchIS3_S5_NSA_INS8_10device_ptrIiEEEESG_SI_NS1_21upper_bound_search_opENS9_16wrapped_functionINS8_6system6detail7generic6detail18binary_search_lessEbEEEE10hipError_tPvRmT1_T2_T3_mmT4_T5_P12ihipStream_tbEUlRKiE_EESV_SZ_S10_mS11_S14_bEUlT_E_NS1_11comp_targetILNS1_3genE10ELNS1_11target_archE1200ELNS1_3gpuE4ELNS1_3repE0EEENS1_30default_config_static_selectorELNS0_4arch9wavefront6targetE1EEEvSY_.has_indirect_call, 0
	.section	.AMDGPU.csdata,"",@progbits
; Kernel info:
; codeLenInByte = 0
; TotalNumSgprs: 4
; NumVgprs: 0
; ScratchSize: 0
; MemoryBound: 0
; FloatMode: 240
; IeeeMode: 1
; LDSByteSize: 0 bytes/workgroup (compile time only)
; SGPRBlocks: 0
; VGPRBlocks: 0
; NumSGPRsForWavesPerEU: 4
; NumVGPRsForWavesPerEU: 1
; Occupancy: 10
; WaveLimiterHint : 0
; COMPUTE_PGM_RSRC2:SCRATCH_EN: 0
; COMPUTE_PGM_RSRC2:USER_SGPR: 6
; COMPUTE_PGM_RSRC2:TRAP_HANDLER: 0
; COMPUTE_PGM_RSRC2:TGID_X_EN: 1
; COMPUTE_PGM_RSRC2:TGID_Y_EN: 0
; COMPUTE_PGM_RSRC2:TGID_Z_EN: 0
; COMPUTE_PGM_RSRC2:TIDIG_COMP_CNT: 0
	.section	.text._ZN7rocprim17ROCPRIM_400000_NS6detail17trampoline_kernelINS0_14default_configENS1_27upper_bound_config_selectorIilEEZNS1_14transform_implILb0ES3_S5_N6thrust23THRUST_200600_302600_NS6detail15normal_iteratorINS8_7pointerIiNS8_11hip_rocprim5par_tENS8_11use_defaultESE_EEEENSA_INSB_IlSD_SE_SE_EEEEZNS1_13binary_searchIS3_S5_NSA_INS8_10device_ptrIiEEEESG_SI_NS1_21upper_bound_search_opENS9_16wrapped_functionINS8_6system6detail7generic6detail18binary_search_lessEbEEEE10hipError_tPvRmT1_T2_T3_mmT4_T5_P12ihipStream_tbEUlRKiE_EESV_SZ_S10_mS11_S14_bEUlT_E_NS1_11comp_targetILNS1_3genE9ELNS1_11target_archE1100ELNS1_3gpuE3ELNS1_3repE0EEENS1_30default_config_static_selectorELNS0_4arch9wavefront6targetE1EEEvSY_,"axG",@progbits,_ZN7rocprim17ROCPRIM_400000_NS6detail17trampoline_kernelINS0_14default_configENS1_27upper_bound_config_selectorIilEEZNS1_14transform_implILb0ES3_S5_N6thrust23THRUST_200600_302600_NS6detail15normal_iteratorINS8_7pointerIiNS8_11hip_rocprim5par_tENS8_11use_defaultESE_EEEENSA_INSB_IlSD_SE_SE_EEEEZNS1_13binary_searchIS3_S5_NSA_INS8_10device_ptrIiEEEESG_SI_NS1_21upper_bound_search_opENS9_16wrapped_functionINS8_6system6detail7generic6detail18binary_search_lessEbEEEE10hipError_tPvRmT1_T2_T3_mmT4_T5_P12ihipStream_tbEUlRKiE_EESV_SZ_S10_mS11_S14_bEUlT_E_NS1_11comp_targetILNS1_3genE9ELNS1_11target_archE1100ELNS1_3gpuE3ELNS1_3repE0EEENS1_30default_config_static_selectorELNS0_4arch9wavefront6targetE1EEEvSY_,comdat
	.protected	_ZN7rocprim17ROCPRIM_400000_NS6detail17trampoline_kernelINS0_14default_configENS1_27upper_bound_config_selectorIilEEZNS1_14transform_implILb0ES3_S5_N6thrust23THRUST_200600_302600_NS6detail15normal_iteratorINS8_7pointerIiNS8_11hip_rocprim5par_tENS8_11use_defaultESE_EEEENSA_INSB_IlSD_SE_SE_EEEEZNS1_13binary_searchIS3_S5_NSA_INS8_10device_ptrIiEEEESG_SI_NS1_21upper_bound_search_opENS9_16wrapped_functionINS8_6system6detail7generic6detail18binary_search_lessEbEEEE10hipError_tPvRmT1_T2_T3_mmT4_T5_P12ihipStream_tbEUlRKiE_EESV_SZ_S10_mS11_S14_bEUlT_E_NS1_11comp_targetILNS1_3genE9ELNS1_11target_archE1100ELNS1_3gpuE3ELNS1_3repE0EEENS1_30default_config_static_selectorELNS0_4arch9wavefront6targetE1EEEvSY_ ; -- Begin function _ZN7rocprim17ROCPRIM_400000_NS6detail17trampoline_kernelINS0_14default_configENS1_27upper_bound_config_selectorIilEEZNS1_14transform_implILb0ES3_S5_N6thrust23THRUST_200600_302600_NS6detail15normal_iteratorINS8_7pointerIiNS8_11hip_rocprim5par_tENS8_11use_defaultESE_EEEENSA_INSB_IlSD_SE_SE_EEEEZNS1_13binary_searchIS3_S5_NSA_INS8_10device_ptrIiEEEESG_SI_NS1_21upper_bound_search_opENS9_16wrapped_functionINS8_6system6detail7generic6detail18binary_search_lessEbEEEE10hipError_tPvRmT1_T2_T3_mmT4_T5_P12ihipStream_tbEUlRKiE_EESV_SZ_S10_mS11_S14_bEUlT_E_NS1_11comp_targetILNS1_3genE9ELNS1_11target_archE1100ELNS1_3gpuE3ELNS1_3repE0EEENS1_30default_config_static_selectorELNS0_4arch9wavefront6targetE1EEEvSY_
	.globl	_ZN7rocprim17ROCPRIM_400000_NS6detail17trampoline_kernelINS0_14default_configENS1_27upper_bound_config_selectorIilEEZNS1_14transform_implILb0ES3_S5_N6thrust23THRUST_200600_302600_NS6detail15normal_iteratorINS8_7pointerIiNS8_11hip_rocprim5par_tENS8_11use_defaultESE_EEEENSA_INSB_IlSD_SE_SE_EEEEZNS1_13binary_searchIS3_S5_NSA_INS8_10device_ptrIiEEEESG_SI_NS1_21upper_bound_search_opENS9_16wrapped_functionINS8_6system6detail7generic6detail18binary_search_lessEbEEEE10hipError_tPvRmT1_T2_T3_mmT4_T5_P12ihipStream_tbEUlRKiE_EESV_SZ_S10_mS11_S14_bEUlT_E_NS1_11comp_targetILNS1_3genE9ELNS1_11target_archE1100ELNS1_3gpuE3ELNS1_3repE0EEENS1_30default_config_static_selectorELNS0_4arch9wavefront6targetE1EEEvSY_
	.p2align	8
	.type	_ZN7rocprim17ROCPRIM_400000_NS6detail17trampoline_kernelINS0_14default_configENS1_27upper_bound_config_selectorIilEEZNS1_14transform_implILb0ES3_S5_N6thrust23THRUST_200600_302600_NS6detail15normal_iteratorINS8_7pointerIiNS8_11hip_rocprim5par_tENS8_11use_defaultESE_EEEENSA_INSB_IlSD_SE_SE_EEEEZNS1_13binary_searchIS3_S5_NSA_INS8_10device_ptrIiEEEESG_SI_NS1_21upper_bound_search_opENS9_16wrapped_functionINS8_6system6detail7generic6detail18binary_search_lessEbEEEE10hipError_tPvRmT1_T2_T3_mmT4_T5_P12ihipStream_tbEUlRKiE_EESV_SZ_S10_mS11_S14_bEUlT_E_NS1_11comp_targetILNS1_3genE9ELNS1_11target_archE1100ELNS1_3gpuE3ELNS1_3repE0EEENS1_30default_config_static_selectorELNS0_4arch9wavefront6targetE1EEEvSY_,@function
_ZN7rocprim17ROCPRIM_400000_NS6detail17trampoline_kernelINS0_14default_configENS1_27upper_bound_config_selectorIilEEZNS1_14transform_implILb0ES3_S5_N6thrust23THRUST_200600_302600_NS6detail15normal_iteratorINS8_7pointerIiNS8_11hip_rocprim5par_tENS8_11use_defaultESE_EEEENSA_INSB_IlSD_SE_SE_EEEEZNS1_13binary_searchIS3_S5_NSA_INS8_10device_ptrIiEEEESG_SI_NS1_21upper_bound_search_opENS9_16wrapped_functionINS8_6system6detail7generic6detail18binary_search_lessEbEEEE10hipError_tPvRmT1_T2_T3_mmT4_T5_P12ihipStream_tbEUlRKiE_EESV_SZ_S10_mS11_S14_bEUlT_E_NS1_11comp_targetILNS1_3genE9ELNS1_11target_archE1100ELNS1_3gpuE3ELNS1_3repE0EEENS1_30default_config_static_selectorELNS0_4arch9wavefront6targetE1EEEvSY_: ; @_ZN7rocprim17ROCPRIM_400000_NS6detail17trampoline_kernelINS0_14default_configENS1_27upper_bound_config_selectorIilEEZNS1_14transform_implILb0ES3_S5_N6thrust23THRUST_200600_302600_NS6detail15normal_iteratorINS8_7pointerIiNS8_11hip_rocprim5par_tENS8_11use_defaultESE_EEEENSA_INSB_IlSD_SE_SE_EEEEZNS1_13binary_searchIS3_S5_NSA_INS8_10device_ptrIiEEEESG_SI_NS1_21upper_bound_search_opENS9_16wrapped_functionINS8_6system6detail7generic6detail18binary_search_lessEbEEEE10hipError_tPvRmT1_T2_T3_mmT4_T5_P12ihipStream_tbEUlRKiE_EESV_SZ_S10_mS11_S14_bEUlT_E_NS1_11comp_targetILNS1_3genE9ELNS1_11target_archE1100ELNS1_3gpuE3ELNS1_3repE0EEENS1_30default_config_static_selectorELNS0_4arch9wavefront6targetE1EEEvSY_
; %bb.0:
	.section	.rodata,"a",@progbits
	.p2align	6, 0x0
	.amdhsa_kernel _ZN7rocprim17ROCPRIM_400000_NS6detail17trampoline_kernelINS0_14default_configENS1_27upper_bound_config_selectorIilEEZNS1_14transform_implILb0ES3_S5_N6thrust23THRUST_200600_302600_NS6detail15normal_iteratorINS8_7pointerIiNS8_11hip_rocprim5par_tENS8_11use_defaultESE_EEEENSA_INSB_IlSD_SE_SE_EEEEZNS1_13binary_searchIS3_S5_NSA_INS8_10device_ptrIiEEEESG_SI_NS1_21upper_bound_search_opENS9_16wrapped_functionINS8_6system6detail7generic6detail18binary_search_lessEbEEEE10hipError_tPvRmT1_T2_T3_mmT4_T5_P12ihipStream_tbEUlRKiE_EESV_SZ_S10_mS11_S14_bEUlT_E_NS1_11comp_targetILNS1_3genE9ELNS1_11target_archE1100ELNS1_3gpuE3ELNS1_3repE0EEENS1_30default_config_static_selectorELNS0_4arch9wavefront6targetE1EEEvSY_
		.amdhsa_group_segment_fixed_size 0
		.amdhsa_private_segment_fixed_size 0
		.amdhsa_kernarg_size 56
		.amdhsa_user_sgpr_count 6
		.amdhsa_user_sgpr_private_segment_buffer 1
		.amdhsa_user_sgpr_dispatch_ptr 0
		.amdhsa_user_sgpr_queue_ptr 0
		.amdhsa_user_sgpr_kernarg_segment_ptr 1
		.amdhsa_user_sgpr_dispatch_id 0
		.amdhsa_user_sgpr_flat_scratch_init 0
		.amdhsa_user_sgpr_private_segment_size 0
		.amdhsa_uses_dynamic_stack 0
		.amdhsa_system_sgpr_private_segment_wavefront_offset 0
		.amdhsa_system_sgpr_workgroup_id_x 1
		.amdhsa_system_sgpr_workgroup_id_y 0
		.amdhsa_system_sgpr_workgroup_id_z 0
		.amdhsa_system_sgpr_workgroup_info 0
		.amdhsa_system_vgpr_workitem_id 0
		.amdhsa_next_free_vgpr 1
		.amdhsa_next_free_sgpr 0
		.amdhsa_reserve_vcc 0
		.amdhsa_reserve_flat_scratch 0
		.amdhsa_float_round_mode_32 0
		.amdhsa_float_round_mode_16_64 0
		.amdhsa_float_denorm_mode_32 3
		.amdhsa_float_denorm_mode_16_64 3
		.amdhsa_dx10_clamp 1
		.amdhsa_ieee_mode 1
		.amdhsa_fp16_overflow 0
		.amdhsa_exception_fp_ieee_invalid_op 0
		.amdhsa_exception_fp_denorm_src 0
		.amdhsa_exception_fp_ieee_div_zero 0
		.amdhsa_exception_fp_ieee_overflow 0
		.amdhsa_exception_fp_ieee_underflow 0
		.amdhsa_exception_fp_ieee_inexact 0
		.amdhsa_exception_int_div_zero 0
	.end_amdhsa_kernel
	.section	.text._ZN7rocprim17ROCPRIM_400000_NS6detail17trampoline_kernelINS0_14default_configENS1_27upper_bound_config_selectorIilEEZNS1_14transform_implILb0ES3_S5_N6thrust23THRUST_200600_302600_NS6detail15normal_iteratorINS8_7pointerIiNS8_11hip_rocprim5par_tENS8_11use_defaultESE_EEEENSA_INSB_IlSD_SE_SE_EEEEZNS1_13binary_searchIS3_S5_NSA_INS8_10device_ptrIiEEEESG_SI_NS1_21upper_bound_search_opENS9_16wrapped_functionINS8_6system6detail7generic6detail18binary_search_lessEbEEEE10hipError_tPvRmT1_T2_T3_mmT4_T5_P12ihipStream_tbEUlRKiE_EESV_SZ_S10_mS11_S14_bEUlT_E_NS1_11comp_targetILNS1_3genE9ELNS1_11target_archE1100ELNS1_3gpuE3ELNS1_3repE0EEENS1_30default_config_static_selectorELNS0_4arch9wavefront6targetE1EEEvSY_,"axG",@progbits,_ZN7rocprim17ROCPRIM_400000_NS6detail17trampoline_kernelINS0_14default_configENS1_27upper_bound_config_selectorIilEEZNS1_14transform_implILb0ES3_S5_N6thrust23THRUST_200600_302600_NS6detail15normal_iteratorINS8_7pointerIiNS8_11hip_rocprim5par_tENS8_11use_defaultESE_EEEENSA_INSB_IlSD_SE_SE_EEEEZNS1_13binary_searchIS3_S5_NSA_INS8_10device_ptrIiEEEESG_SI_NS1_21upper_bound_search_opENS9_16wrapped_functionINS8_6system6detail7generic6detail18binary_search_lessEbEEEE10hipError_tPvRmT1_T2_T3_mmT4_T5_P12ihipStream_tbEUlRKiE_EESV_SZ_S10_mS11_S14_bEUlT_E_NS1_11comp_targetILNS1_3genE9ELNS1_11target_archE1100ELNS1_3gpuE3ELNS1_3repE0EEENS1_30default_config_static_selectorELNS0_4arch9wavefront6targetE1EEEvSY_,comdat
.Lfunc_end588:
	.size	_ZN7rocprim17ROCPRIM_400000_NS6detail17trampoline_kernelINS0_14default_configENS1_27upper_bound_config_selectorIilEEZNS1_14transform_implILb0ES3_S5_N6thrust23THRUST_200600_302600_NS6detail15normal_iteratorINS8_7pointerIiNS8_11hip_rocprim5par_tENS8_11use_defaultESE_EEEENSA_INSB_IlSD_SE_SE_EEEEZNS1_13binary_searchIS3_S5_NSA_INS8_10device_ptrIiEEEESG_SI_NS1_21upper_bound_search_opENS9_16wrapped_functionINS8_6system6detail7generic6detail18binary_search_lessEbEEEE10hipError_tPvRmT1_T2_T3_mmT4_T5_P12ihipStream_tbEUlRKiE_EESV_SZ_S10_mS11_S14_bEUlT_E_NS1_11comp_targetILNS1_3genE9ELNS1_11target_archE1100ELNS1_3gpuE3ELNS1_3repE0EEENS1_30default_config_static_selectorELNS0_4arch9wavefront6targetE1EEEvSY_, .Lfunc_end588-_ZN7rocprim17ROCPRIM_400000_NS6detail17trampoline_kernelINS0_14default_configENS1_27upper_bound_config_selectorIilEEZNS1_14transform_implILb0ES3_S5_N6thrust23THRUST_200600_302600_NS6detail15normal_iteratorINS8_7pointerIiNS8_11hip_rocprim5par_tENS8_11use_defaultESE_EEEENSA_INSB_IlSD_SE_SE_EEEEZNS1_13binary_searchIS3_S5_NSA_INS8_10device_ptrIiEEEESG_SI_NS1_21upper_bound_search_opENS9_16wrapped_functionINS8_6system6detail7generic6detail18binary_search_lessEbEEEE10hipError_tPvRmT1_T2_T3_mmT4_T5_P12ihipStream_tbEUlRKiE_EESV_SZ_S10_mS11_S14_bEUlT_E_NS1_11comp_targetILNS1_3genE9ELNS1_11target_archE1100ELNS1_3gpuE3ELNS1_3repE0EEENS1_30default_config_static_selectorELNS0_4arch9wavefront6targetE1EEEvSY_
                                        ; -- End function
	.set _ZN7rocprim17ROCPRIM_400000_NS6detail17trampoline_kernelINS0_14default_configENS1_27upper_bound_config_selectorIilEEZNS1_14transform_implILb0ES3_S5_N6thrust23THRUST_200600_302600_NS6detail15normal_iteratorINS8_7pointerIiNS8_11hip_rocprim5par_tENS8_11use_defaultESE_EEEENSA_INSB_IlSD_SE_SE_EEEEZNS1_13binary_searchIS3_S5_NSA_INS8_10device_ptrIiEEEESG_SI_NS1_21upper_bound_search_opENS9_16wrapped_functionINS8_6system6detail7generic6detail18binary_search_lessEbEEEE10hipError_tPvRmT1_T2_T3_mmT4_T5_P12ihipStream_tbEUlRKiE_EESV_SZ_S10_mS11_S14_bEUlT_E_NS1_11comp_targetILNS1_3genE9ELNS1_11target_archE1100ELNS1_3gpuE3ELNS1_3repE0EEENS1_30default_config_static_selectorELNS0_4arch9wavefront6targetE1EEEvSY_.num_vgpr, 0
	.set _ZN7rocprim17ROCPRIM_400000_NS6detail17trampoline_kernelINS0_14default_configENS1_27upper_bound_config_selectorIilEEZNS1_14transform_implILb0ES3_S5_N6thrust23THRUST_200600_302600_NS6detail15normal_iteratorINS8_7pointerIiNS8_11hip_rocprim5par_tENS8_11use_defaultESE_EEEENSA_INSB_IlSD_SE_SE_EEEEZNS1_13binary_searchIS3_S5_NSA_INS8_10device_ptrIiEEEESG_SI_NS1_21upper_bound_search_opENS9_16wrapped_functionINS8_6system6detail7generic6detail18binary_search_lessEbEEEE10hipError_tPvRmT1_T2_T3_mmT4_T5_P12ihipStream_tbEUlRKiE_EESV_SZ_S10_mS11_S14_bEUlT_E_NS1_11comp_targetILNS1_3genE9ELNS1_11target_archE1100ELNS1_3gpuE3ELNS1_3repE0EEENS1_30default_config_static_selectorELNS0_4arch9wavefront6targetE1EEEvSY_.num_agpr, 0
	.set _ZN7rocprim17ROCPRIM_400000_NS6detail17trampoline_kernelINS0_14default_configENS1_27upper_bound_config_selectorIilEEZNS1_14transform_implILb0ES3_S5_N6thrust23THRUST_200600_302600_NS6detail15normal_iteratorINS8_7pointerIiNS8_11hip_rocprim5par_tENS8_11use_defaultESE_EEEENSA_INSB_IlSD_SE_SE_EEEEZNS1_13binary_searchIS3_S5_NSA_INS8_10device_ptrIiEEEESG_SI_NS1_21upper_bound_search_opENS9_16wrapped_functionINS8_6system6detail7generic6detail18binary_search_lessEbEEEE10hipError_tPvRmT1_T2_T3_mmT4_T5_P12ihipStream_tbEUlRKiE_EESV_SZ_S10_mS11_S14_bEUlT_E_NS1_11comp_targetILNS1_3genE9ELNS1_11target_archE1100ELNS1_3gpuE3ELNS1_3repE0EEENS1_30default_config_static_selectorELNS0_4arch9wavefront6targetE1EEEvSY_.numbered_sgpr, 0
	.set _ZN7rocprim17ROCPRIM_400000_NS6detail17trampoline_kernelINS0_14default_configENS1_27upper_bound_config_selectorIilEEZNS1_14transform_implILb0ES3_S5_N6thrust23THRUST_200600_302600_NS6detail15normal_iteratorINS8_7pointerIiNS8_11hip_rocprim5par_tENS8_11use_defaultESE_EEEENSA_INSB_IlSD_SE_SE_EEEEZNS1_13binary_searchIS3_S5_NSA_INS8_10device_ptrIiEEEESG_SI_NS1_21upper_bound_search_opENS9_16wrapped_functionINS8_6system6detail7generic6detail18binary_search_lessEbEEEE10hipError_tPvRmT1_T2_T3_mmT4_T5_P12ihipStream_tbEUlRKiE_EESV_SZ_S10_mS11_S14_bEUlT_E_NS1_11comp_targetILNS1_3genE9ELNS1_11target_archE1100ELNS1_3gpuE3ELNS1_3repE0EEENS1_30default_config_static_selectorELNS0_4arch9wavefront6targetE1EEEvSY_.num_named_barrier, 0
	.set _ZN7rocprim17ROCPRIM_400000_NS6detail17trampoline_kernelINS0_14default_configENS1_27upper_bound_config_selectorIilEEZNS1_14transform_implILb0ES3_S5_N6thrust23THRUST_200600_302600_NS6detail15normal_iteratorINS8_7pointerIiNS8_11hip_rocprim5par_tENS8_11use_defaultESE_EEEENSA_INSB_IlSD_SE_SE_EEEEZNS1_13binary_searchIS3_S5_NSA_INS8_10device_ptrIiEEEESG_SI_NS1_21upper_bound_search_opENS9_16wrapped_functionINS8_6system6detail7generic6detail18binary_search_lessEbEEEE10hipError_tPvRmT1_T2_T3_mmT4_T5_P12ihipStream_tbEUlRKiE_EESV_SZ_S10_mS11_S14_bEUlT_E_NS1_11comp_targetILNS1_3genE9ELNS1_11target_archE1100ELNS1_3gpuE3ELNS1_3repE0EEENS1_30default_config_static_selectorELNS0_4arch9wavefront6targetE1EEEvSY_.private_seg_size, 0
	.set _ZN7rocprim17ROCPRIM_400000_NS6detail17trampoline_kernelINS0_14default_configENS1_27upper_bound_config_selectorIilEEZNS1_14transform_implILb0ES3_S5_N6thrust23THRUST_200600_302600_NS6detail15normal_iteratorINS8_7pointerIiNS8_11hip_rocprim5par_tENS8_11use_defaultESE_EEEENSA_INSB_IlSD_SE_SE_EEEEZNS1_13binary_searchIS3_S5_NSA_INS8_10device_ptrIiEEEESG_SI_NS1_21upper_bound_search_opENS9_16wrapped_functionINS8_6system6detail7generic6detail18binary_search_lessEbEEEE10hipError_tPvRmT1_T2_T3_mmT4_T5_P12ihipStream_tbEUlRKiE_EESV_SZ_S10_mS11_S14_bEUlT_E_NS1_11comp_targetILNS1_3genE9ELNS1_11target_archE1100ELNS1_3gpuE3ELNS1_3repE0EEENS1_30default_config_static_selectorELNS0_4arch9wavefront6targetE1EEEvSY_.uses_vcc, 0
	.set _ZN7rocprim17ROCPRIM_400000_NS6detail17trampoline_kernelINS0_14default_configENS1_27upper_bound_config_selectorIilEEZNS1_14transform_implILb0ES3_S5_N6thrust23THRUST_200600_302600_NS6detail15normal_iteratorINS8_7pointerIiNS8_11hip_rocprim5par_tENS8_11use_defaultESE_EEEENSA_INSB_IlSD_SE_SE_EEEEZNS1_13binary_searchIS3_S5_NSA_INS8_10device_ptrIiEEEESG_SI_NS1_21upper_bound_search_opENS9_16wrapped_functionINS8_6system6detail7generic6detail18binary_search_lessEbEEEE10hipError_tPvRmT1_T2_T3_mmT4_T5_P12ihipStream_tbEUlRKiE_EESV_SZ_S10_mS11_S14_bEUlT_E_NS1_11comp_targetILNS1_3genE9ELNS1_11target_archE1100ELNS1_3gpuE3ELNS1_3repE0EEENS1_30default_config_static_selectorELNS0_4arch9wavefront6targetE1EEEvSY_.uses_flat_scratch, 0
	.set _ZN7rocprim17ROCPRIM_400000_NS6detail17trampoline_kernelINS0_14default_configENS1_27upper_bound_config_selectorIilEEZNS1_14transform_implILb0ES3_S5_N6thrust23THRUST_200600_302600_NS6detail15normal_iteratorINS8_7pointerIiNS8_11hip_rocprim5par_tENS8_11use_defaultESE_EEEENSA_INSB_IlSD_SE_SE_EEEEZNS1_13binary_searchIS3_S5_NSA_INS8_10device_ptrIiEEEESG_SI_NS1_21upper_bound_search_opENS9_16wrapped_functionINS8_6system6detail7generic6detail18binary_search_lessEbEEEE10hipError_tPvRmT1_T2_T3_mmT4_T5_P12ihipStream_tbEUlRKiE_EESV_SZ_S10_mS11_S14_bEUlT_E_NS1_11comp_targetILNS1_3genE9ELNS1_11target_archE1100ELNS1_3gpuE3ELNS1_3repE0EEENS1_30default_config_static_selectorELNS0_4arch9wavefront6targetE1EEEvSY_.has_dyn_sized_stack, 0
	.set _ZN7rocprim17ROCPRIM_400000_NS6detail17trampoline_kernelINS0_14default_configENS1_27upper_bound_config_selectorIilEEZNS1_14transform_implILb0ES3_S5_N6thrust23THRUST_200600_302600_NS6detail15normal_iteratorINS8_7pointerIiNS8_11hip_rocprim5par_tENS8_11use_defaultESE_EEEENSA_INSB_IlSD_SE_SE_EEEEZNS1_13binary_searchIS3_S5_NSA_INS8_10device_ptrIiEEEESG_SI_NS1_21upper_bound_search_opENS9_16wrapped_functionINS8_6system6detail7generic6detail18binary_search_lessEbEEEE10hipError_tPvRmT1_T2_T3_mmT4_T5_P12ihipStream_tbEUlRKiE_EESV_SZ_S10_mS11_S14_bEUlT_E_NS1_11comp_targetILNS1_3genE9ELNS1_11target_archE1100ELNS1_3gpuE3ELNS1_3repE0EEENS1_30default_config_static_selectorELNS0_4arch9wavefront6targetE1EEEvSY_.has_recursion, 0
	.set _ZN7rocprim17ROCPRIM_400000_NS6detail17trampoline_kernelINS0_14default_configENS1_27upper_bound_config_selectorIilEEZNS1_14transform_implILb0ES3_S5_N6thrust23THRUST_200600_302600_NS6detail15normal_iteratorINS8_7pointerIiNS8_11hip_rocprim5par_tENS8_11use_defaultESE_EEEENSA_INSB_IlSD_SE_SE_EEEEZNS1_13binary_searchIS3_S5_NSA_INS8_10device_ptrIiEEEESG_SI_NS1_21upper_bound_search_opENS9_16wrapped_functionINS8_6system6detail7generic6detail18binary_search_lessEbEEEE10hipError_tPvRmT1_T2_T3_mmT4_T5_P12ihipStream_tbEUlRKiE_EESV_SZ_S10_mS11_S14_bEUlT_E_NS1_11comp_targetILNS1_3genE9ELNS1_11target_archE1100ELNS1_3gpuE3ELNS1_3repE0EEENS1_30default_config_static_selectorELNS0_4arch9wavefront6targetE1EEEvSY_.has_indirect_call, 0
	.section	.AMDGPU.csdata,"",@progbits
; Kernel info:
; codeLenInByte = 0
; TotalNumSgprs: 4
; NumVgprs: 0
; ScratchSize: 0
; MemoryBound: 0
; FloatMode: 240
; IeeeMode: 1
; LDSByteSize: 0 bytes/workgroup (compile time only)
; SGPRBlocks: 0
; VGPRBlocks: 0
; NumSGPRsForWavesPerEU: 4
; NumVGPRsForWavesPerEU: 1
; Occupancy: 10
; WaveLimiterHint : 0
; COMPUTE_PGM_RSRC2:SCRATCH_EN: 0
; COMPUTE_PGM_RSRC2:USER_SGPR: 6
; COMPUTE_PGM_RSRC2:TRAP_HANDLER: 0
; COMPUTE_PGM_RSRC2:TGID_X_EN: 1
; COMPUTE_PGM_RSRC2:TGID_Y_EN: 0
; COMPUTE_PGM_RSRC2:TGID_Z_EN: 0
; COMPUTE_PGM_RSRC2:TIDIG_COMP_CNT: 0
	.section	.text._ZN7rocprim17ROCPRIM_400000_NS6detail17trampoline_kernelINS0_14default_configENS1_27upper_bound_config_selectorIilEEZNS1_14transform_implILb0ES3_S5_N6thrust23THRUST_200600_302600_NS6detail15normal_iteratorINS8_7pointerIiNS8_11hip_rocprim5par_tENS8_11use_defaultESE_EEEENSA_INSB_IlSD_SE_SE_EEEEZNS1_13binary_searchIS3_S5_NSA_INS8_10device_ptrIiEEEESG_SI_NS1_21upper_bound_search_opENS9_16wrapped_functionINS8_6system6detail7generic6detail18binary_search_lessEbEEEE10hipError_tPvRmT1_T2_T3_mmT4_T5_P12ihipStream_tbEUlRKiE_EESV_SZ_S10_mS11_S14_bEUlT_E_NS1_11comp_targetILNS1_3genE8ELNS1_11target_archE1030ELNS1_3gpuE2ELNS1_3repE0EEENS1_30default_config_static_selectorELNS0_4arch9wavefront6targetE1EEEvSY_,"axG",@progbits,_ZN7rocprim17ROCPRIM_400000_NS6detail17trampoline_kernelINS0_14default_configENS1_27upper_bound_config_selectorIilEEZNS1_14transform_implILb0ES3_S5_N6thrust23THRUST_200600_302600_NS6detail15normal_iteratorINS8_7pointerIiNS8_11hip_rocprim5par_tENS8_11use_defaultESE_EEEENSA_INSB_IlSD_SE_SE_EEEEZNS1_13binary_searchIS3_S5_NSA_INS8_10device_ptrIiEEEESG_SI_NS1_21upper_bound_search_opENS9_16wrapped_functionINS8_6system6detail7generic6detail18binary_search_lessEbEEEE10hipError_tPvRmT1_T2_T3_mmT4_T5_P12ihipStream_tbEUlRKiE_EESV_SZ_S10_mS11_S14_bEUlT_E_NS1_11comp_targetILNS1_3genE8ELNS1_11target_archE1030ELNS1_3gpuE2ELNS1_3repE0EEENS1_30default_config_static_selectorELNS0_4arch9wavefront6targetE1EEEvSY_,comdat
	.protected	_ZN7rocprim17ROCPRIM_400000_NS6detail17trampoline_kernelINS0_14default_configENS1_27upper_bound_config_selectorIilEEZNS1_14transform_implILb0ES3_S5_N6thrust23THRUST_200600_302600_NS6detail15normal_iteratorINS8_7pointerIiNS8_11hip_rocprim5par_tENS8_11use_defaultESE_EEEENSA_INSB_IlSD_SE_SE_EEEEZNS1_13binary_searchIS3_S5_NSA_INS8_10device_ptrIiEEEESG_SI_NS1_21upper_bound_search_opENS9_16wrapped_functionINS8_6system6detail7generic6detail18binary_search_lessEbEEEE10hipError_tPvRmT1_T2_T3_mmT4_T5_P12ihipStream_tbEUlRKiE_EESV_SZ_S10_mS11_S14_bEUlT_E_NS1_11comp_targetILNS1_3genE8ELNS1_11target_archE1030ELNS1_3gpuE2ELNS1_3repE0EEENS1_30default_config_static_selectorELNS0_4arch9wavefront6targetE1EEEvSY_ ; -- Begin function _ZN7rocprim17ROCPRIM_400000_NS6detail17trampoline_kernelINS0_14default_configENS1_27upper_bound_config_selectorIilEEZNS1_14transform_implILb0ES3_S5_N6thrust23THRUST_200600_302600_NS6detail15normal_iteratorINS8_7pointerIiNS8_11hip_rocprim5par_tENS8_11use_defaultESE_EEEENSA_INSB_IlSD_SE_SE_EEEEZNS1_13binary_searchIS3_S5_NSA_INS8_10device_ptrIiEEEESG_SI_NS1_21upper_bound_search_opENS9_16wrapped_functionINS8_6system6detail7generic6detail18binary_search_lessEbEEEE10hipError_tPvRmT1_T2_T3_mmT4_T5_P12ihipStream_tbEUlRKiE_EESV_SZ_S10_mS11_S14_bEUlT_E_NS1_11comp_targetILNS1_3genE8ELNS1_11target_archE1030ELNS1_3gpuE2ELNS1_3repE0EEENS1_30default_config_static_selectorELNS0_4arch9wavefront6targetE1EEEvSY_
	.globl	_ZN7rocprim17ROCPRIM_400000_NS6detail17trampoline_kernelINS0_14default_configENS1_27upper_bound_config_selectorIilEEZNS1_14transform_implILb0ES3_S5_N6thrust23THRUST_200600_302600_NS6detail15normal_iteratorINS8_7pointerIiNS8_11hip_rocprim5par_tENS8_11use_defaultESE_EEEENSA_INSB_IlSD_SE_SE_EEEEZNS1_13binary_searchIS3_S5_NSA_INS8_10device_ptrIiEEEESG_SI_NS1_21upper_bound_search_opENS9_16wrapped_functionINS8_6system6detail7generic6detail18binary_search_lessEbEEEE10hipError_tPvRmT1_T2_T3_mmT4_T5_P12ihipStream_tbEUlRKiE_EESV_SZ_S10_mS11_S14_bEUlT_E_NS1_11comp_targetILNS1_3genE8ELNS1_11target_archE1030ELNS1_3gpuE2ELNS1_3repE0EEENS1_30default_config_static_selectorELNS0_4arch9wavefront6targetE1EEEvSY_
	.p2align	8
	.type	_ZN7rocprim17ROCPRIM_400000_NS6detail17trampoline_kernelINS0_14default_configENS1_27upper_bound_config_selectorIilEEZNS1_14transform_implILb0ES3_S5_N6thrust23THRUST_200600_302600_NS6detail15normal_iteratorINS8_7pointerIiNS8_11hip_rocprim5par_tENS8_11use_defaultESE_EEEENSA_INSB_IlSD_SE_SE_EEEEZNS1_13binary_searchIS3_S5_NSA_INS8_10device_ptrIiEEEESG_SI_NS1_21upper_bound_search_opENS9_16wrapped_functionINS8_6system6detail7generic6detail18binary_search_lessEbEEEE10hipError_tPvRmT1_T2_T3_mmT4_T5_P12ihipStream_tbEUlRKiE_EESV_SZ_S10_mS11_S14_bEUlT_E_NS1_11comp_targetILNS1_3genE8ELNS1_11target_archE1030ELNS1_3gpuE2ELNS1_3repE0EEENS1_30default_config_static_selectorELNS0_4arch9wavefront6targetE1EEEvSY_,@function
_ZN7rocprim17ROCPRIM_400000_NS6detail17trampoline_kernelINS0_14default_configENS1_27upper_bound_config_selectorIilEEZNS1_14transform_implILb0ES3_S5_N6thrust23THRUST_200600_302600_NS6detail15normal_iteratorINS8_7pointerIiNS8_11hip_rocprim5par_tENS8_11use_defaultESE_EEEENSA_INSB_IlSD_SE_SE_EEEEZNS1_13binary_searchIS3_S5_NSA_INS8_10device_ptrIiEEEESG_SI_NS1_21upper_bound_search_opENS9_16wrapped_functionINS8_6system6detail7generic6detail18binary_search_lessEbEEEE10hipError_tPvRmT1_T2_T3_mmT4_T5_P12ihipStream_tbEUlRKiE_EESV_SZ_S10_mS11_S14_bEUlT_E_NS1_11comp_targetILNS1_3genE8ELNS1_11target_archE1030ELNS1_3gpuE2ELNS1_3repE0EEENS1_30default_config_static_selectorELNS0_4arch9wavefront6targetE1EEEvSY_: ; @_ZN7rocprim17ROCPRIM_400000_NS6detail17trampoline_kernelINS0_14default_configENS1_27upper_bound_config_selectorIilEEZNS1_14transform_implILb0ES3_S5_N6thrust23THRUST_200600_302600_NS6detail15normal_iteratorINS8_7pointerIiNS8_11hip_rocprim5par_tENS8_11use_defaultESE_EEEENSA_INSB_IlSD_SE_SE_EEEEZNS1_13binary_searchIS3_S5_NSA_INS8_10device_ptrIiEEEESG_SI_NS1_21upper_bound_search_opENS9_16wrapped_functionINS8_6system6detail7generic6detail18binary_search_lessEbEEEE10hipError_tPvRmT1_T2_T3_mmT4_T5_P12ihipStream_tbEUlRKiE_EESV_SZ_S10_mS11_S14_bEUlT_E_NS1_11comp_targetILNS1_3genE8ELNS1_11target_archE1030ELNS1_3gpuE2ELNS1_3repE0EEENS1_30default_config_static_selectorELNS0_4arch9wavefront6targetE1EEEvSY_
; %bb.0:
	.section	.rodata,"a",@progbits
	.p2align	6, 0x0
	.amdhsa_kernel _ZN7rocprim17ROCPRIM_400000_NS6detail17trampoline_kernelINS0_14default_configENS1_27upper_bound_config_selectorIilEEZNS1_14transform_implILb0ES3_S5_N6thrust23THRUST_200600_302600_NS6detail15normal_iteratorINS8_7pointerIiNS8_11hip_rocprim5par_tENS8_11use_defaultESE_EEEENSA_INSB_IlSD_SE_SE_EEEEZNS1_13binary_searchIS3_S5_NSA_INS8_10device_ptrIiEEEESG_SI_NS1_21upper_bound_search_opENS9_16wrapped_functionINS8_6system6detail7generic6detail18binary_search_lessEbEEEE10hipError_tPvRmT1_T2_T3_mmT4_T5_P12ihipStream_tbEUlRKiE_EESV_SZ_S10_mS11_S14_bEUlT_E_NS1_11comp_targetILNS1_3genE8ELNS1_11target_archE1030ELNS1_3gpuE2ELNS1_3repE0EEENS1_30default_config_static_selectorELNS0_4arch9wavefront6targetE1EEEvSY_
		.amdhsa_group_segment_fixed_size 0
		.amdhsa_private_segment_fixed_size 0
		.amdhsa_kernarg_size 56
		.amdhsa_user_sgpr_count 6
		.amdhsa_user_sgpr_private_segment_buffer 1
		.amdhsa_user_sgpr_dispatch_ptr 0
		.amdhsa_user_sgpr_queue_ptr 0
		.amdhsa_user_sgpr_kernarg_segment_ptr 1
		.amdhsa_user_sgpr_dispatch_id 0
		.amdhsa_user_sgpr_flat_scratch_init 0
		.amdhsa_user_sgpr_private_segment_size 0
		.amdhsa_uses_dynamic_stack 0
		.amdhsa_system_sgpr_private_segment_wavefront_offset 0
		.amdhsa_system_sgpr_workgroup_id_x 1
		.amdhsa_system_sgpr_workgroup_id_y 0
		.amdhsa_system_sgpr_workgroup_id_z 0
		.amdhsa_system_sgpr_workgroup_info 0
		.amdhsa_system_vgpr_workitem_id 0
		.amdhsa_next_free_vgpr 1
		.amdhsa_next_free_sgpr 0
		.amdhsa_reserve_vcc 0
		.amdhsa_reserve_flat_scratch 0
		.amdhsa_float_round_mode_32 0
		.amdhsa_float_round_mode_16_64 0
		.amdhsa_float_denorm_mode_32 3
		.amdhsa_float_denorm_mode_16_64 3
		.amdhsa_dx10_clamp 1
		.amdhsa_ieee_mode 1
		.amdhsa_fp16_overflow 0
		.amdhsa_exception_fp_ieee_invalid_op 0
		.amdhsa_exception_fp_denorm_src 0
		.amdhsa_exception_fp_ieee_div_zero 0
		.amdhsa_exception_fp_ieee_overflow 0
		.amdhsa_exception_fp_ieee_underflow 0
		.amdhsa_exception_fp_ieee_inexact 0
		.amdhsa_exception_int_div_zero 0
	.end_amdhsa_kernel
	.section	.text._ZN7rocprim17ROCPRIM_400000_NS6detail17trampoline_kernelINS0_14default_configENS1_27upper_bound_config_selectorIilEEZNS1_14transform_implILb0ES3_S5_N6thrust23THRUST_200600_302600_NS6detail15normal_iteratorINS8_7pointerIiNS8_11hip_rocprim5par_tENS8_11use_defaultESE_EEEENSA_INSB_IlSD_SE_SE_EEEEZNS1_13binary_searchIS3_S5_NSA_INS8_10device_ptrIiEEEESG_SI_NS1_21upper_bound_search_opENS9_16wrapped_functionINS8_6system6detail7generic6detail18binary_search_lessEbEEEE10hipError_tPvRmT1_T2_T3_mmT4_T5_P12ihipStream_tbEUlRKiE_EESV_SZ_S10_mS11_S14_bEUlT_E_NS1_11comp_targetILNS1_3genE8ELNS1_11target_archE1030ELNS1_3gpuE2ELNS1_3repE0EEENS1_30default_config_static_selectorELNS0_4arch9wavefront6targetE1EEEvSY_,"axG",@progbits,_ZN7rocprim17ROCPRIM_400000_NS6detail17trampoline_kernelINS0_14default_configENS1_27upper_bound_config_selectorIilEEZNS1_14transform_implILb0ES3_S5_N6thrust23THRUST_200600_302600_NS6detail15normal_iteratorINS8_7pointerIiNS8_11hip_rocprim5par_tENS8_11use_defaultESE_EEEENSA_INSB_IlSD_SE_SE_EEEEZNS1_13binary_searchIS3_S5_NSA_INS8_10device_ptrIiEEEESG_SI_NS1_21upper_bound_search_opENS9_16wrapped_functionINS8_6system6detail7generic6detail18binary_search_lessEbEEEE10hipError_tPvRmT1_T2_T3_mmT4_T5_P12ihipStream_tbEUlRKiE_EESV_SZ_S10_mS11_S14_bEUlT_E_NS1_11comp_targetILNS1_3genE8ELNS1_11target_archE1030ELNS1_3gpuE2ELNS1_3repE0EEENS1_30default_config_static_selectorELNS0_4arch9wavefront6targetE1EEEvSY_,comdat
.Lfunc_end589:
	.size	_ZN7rocprim17ROCPRIM_400000_NS6detail17trampoline_kernelINS0_14default_configENS1_27upper_bound_config_selectorIilEEZNS1_14transform_implILb0ES3_S5_N6thrust23THRUST_200600_302600_NS6detail15normal_iteratorINS8_7pointerIiNS8_11hip_rocprim5par_tENS8_11use_defaultESE_EEEENSA_INSB_IlSD_SE_SE_EEEEZNS1_13binary_searchIS3_S5_NSA_INS8_10device_ptrIiEEEESG_SI_NS1_21upper_bound_search_opENS9_16wrapped_functionINS8_6system6detail7generic6detail18binary_search_lessEbEEEE10hipError_tPvRmT1_T2_T3_mmT4_T5_P12ihipStream_tbEUlRKiE_EESV_SZ_S10_mS11_S14_bEUlT_E_NS1_11comp_targetILNS1_3genE8ELNS1_11target_archE1030ELNS1_3gpuE2ELNS1_3repE0EEENS1_30default_config_static_selectorELNS0_4arch9wavefront6targetE1EEEvSY_, .Lfunc_end589-_ZN7rocprim17ROCPRIM_400000_NS6detail17trampoline_kernelINS0_14default_configENS1_27upper_bound_config_selectorIilEEZNS1_14transform_implILb0ES3_S5_N6thrust23THRUST_200600_302600_NS6detail15normal_iteratorINS8_7pointerIiNS8_11hip_rocprim5par_tENS8_11use_defaultESE_EEEENSA_INSB_IlSD_SE_SE_EEEEZNS1_13binary_searchIS3_S5_NSA_INS8_10device_ptrIiEEEESG_SI_NS1_21upper_bound_search_opENS9_16wrapped_functionINS8_6system6detail7generic6detail18binary_search_lessEbEEEE10hipError_tPvRmT1_T2_T3_mmT4_T5_P12ihipStream_tbEUlRKiE_EESV_SZ_S10_mS11_S14_bEUlT_E_NS1_11comp_targetILNS1_3genE8ELNS1_11target_archE1030ELNS1_3gpuE2ELNS1_3repE0EEENS1_30default_config_static_selectorELNS0_4arch9wavefront6targetE1EEEvSY_
                                        ; -- End function
	.set _ZN7rocprim17ROCPRIM_400000_NS6detail17trampoline_kernelINS0_14default_configENS1_27upper_bound_config_selectorIilEEZNS1_14transform_implILb0ES3_S5_N6thrust23THRUST_200600_302600_NS6detail15normal_iteratorINS8_7pointerIiNS8_11hip_rocprim5par_tENS8_11use_defaultESE_EEEENSA_INSB_IlSD_SE_SE_EEEEZNS1_13binary_searchIS3_S5_NSA_INS8_10device_ptrIiEEEESG_SI_NS1_21upper_bound_search_opENS9_16wrapped_functionINS8_6system6detail7generic6detail18binary_search_lessEbEEEE10hipError_tPvRmT1_T2_T3_mmT4_T5_P12ihipStream_tbEUlRKiE_EESV_SZ_S10_mS11_S14_bEUlT_E_NS1_11comp_targetILNS1_3genE8ELNS1_11target_archE1030ELNS1_3gpuE2ELNS1_3repE0EEENS1_30default_config_static_selectorELNS0_4arch9wavefront6targetE1EEEvSY_.num_vgpr, 0
	.set _ZN7rocprim17ROCPRIM_400000_NS6detail17trampoline_kernelINS0_14default_configENS1_27upper_bound_config_selectorIilEEZNS1_14transform_implILb0ES3_S5_N6thrust23THRUST_200600_302600_NS6detail15normal_iteratorINS8_7pointerIiNS8_11hip_rocprim5par_tENS8_11use_defaultESE_EEEENSA_INSB_IlSD_SE_SE_EEEEZNS1_13binary_searchIS3_S5_NSA_INS8_10device_ptrIiEEEESG_SI_NS1_21upper_bound_search_opENS9_16wrapped_functionINS8_6system6detail7generic6detail18binary_search_lessEbEEEE10hipError_tPvRmT1_T2_T3_mmT4_T5_P12ihipStream_tbEUlRKiE_EESV_SZ_S10_mS11_S14_bEUlT_E_NS1_11comp_targetILNS1_3genE8ELNS1_11target_archE1030ELNS1_3gpuE2ELNS1_3repE0EEENS1_30default_config_static_selectorELNS0_4arch9wavefront6targetE1EEEvSY_.num_agpr, 0
	.set _ZN7rocprim17ROCPRIM_400000_NS6detail17trampoline_kernelINS0_14default_configENS1_27upper_bound_config_selectorIilEEZNS1_14transform_implILb0ES3_S5_N6thrust23THRUST_200600_302600_NS6detail15normal_iteratorINS8_7pointerIiNS8_11hip_rocprim5par_tENS8_11use_defaultESE_EEEENSA_INSB_IlSD_SE_SE_EEEEZNS1_13binary_searchIS3_S5_NSA_INS8_10device_ptrIiEEEESG_SI_NS1_21upper_bound_search_opENS9_16wrapped_functionINS8_6system6detail7generic6detail18binary_search_lessEbEEEE10hipError_tPvRmT1_T2_T3_mmT4_T5_P12ihipStream_tbEUlRKiE_EESV_SZ_S10_mS11_S14_bEUlT_E_NS1_11comp_targetILNS1_3genE8ELNS1_11target_archE1030ELNS1_3gpuE2ELNS1_3repE0EEENS1_30default_config_static_selectorELNS0_4arch9wavefront6targetE1EEEvSY_.numbered_sgpr, 0
	.set _ZN7rocprim17ROCPRIM_400000_NS6detail17trampoline_kernelINS0_14default_configENS1_27upper_bound_config_selectorIilEEZNS1_14transform_implILb0ES3_S5_N6thrust23THRUST_200600_302600_NS6detail15normal_iteratorINS8_7pointerIiNS8_11hip_rocprim5par_tENS8_11use_defaultESE_EEEENSA_INSB_IlSD_SE_SE_EEEEZNS1_13binary_searchIS3_S5_NSA_INS8_10device_ptrIiEEEESG_SI_NS1_21upper_bound_search_opENS9_16wrapped_functionINS8_6system6detail7generic6detail18binary_search_lessEbEEEE10hipError_tPvRmT1_T2_T3_mmT4_T5_P12ihipStream_tbEUlRKiE_EESV_SZ_S10_mS11_S14_bEUlT_E_NS1_11comp_targetILNS1_3genE8ELNS1_11target_archE1030ELNS1_3gpuE2ELNS1_3repE0EEENS1_30default_config_static_selectorELNS0_4arch9wavefront6targetE1EEEvSY_.num_named_barrier, 0
	.set _ZN7rocprim17ROCPRIM_400000_NS6detail17trampoline_kernelINS0_14default_configENS1_27upper_bound_config_selectorIilEEZNS1_14transform_implILb0ES3_S5_N6thrust23THRUST_200600_302600_NS6detail15normal_iteratorINS8_7pointerIiNS8_11hip_rocprim5par_tENS8_11use_defaultESE_EEEENSA_INSB_IlSD_SE_SE_EEEEZNS1_13binary_searchIS3_S5_NSA_INS8_10device_ptrIiEEEESG_SI_NS1_21upper_bound_search_opENS9_16wrapped_functionINS8_6system6detail7generic6detail18binary_search_lessEbEEEE10hipError_tPvRmT1_T2_T3_mmT4_T5_P12ihipStream_tbEUlRKiE_EESV_SZ_S10_mS11_S14_bEUlT_E_NS1_11comp_targetILNS1_3genE8ELNS1_11target_archE1030ELNS1_3gpuE2ELNS1_3repE0EEENS1_30default_config_static_selectorELNS0_4arch9wavefront6targetE1EEEvSY_.private_seg_size, 0
	.set _ZN7rocprim17ROCPRIM_400000_NS6detail17trampoline_kernelINS0_14default_configENS1_27upper_bound_config_selectorIilEEZNS1_14transform_implILb0ES3_S5_N6thrust23THRUST_200600_302600_NS6detail15normal_iteratorINS8_7pointerIiNS8_11hip_rocprim5par_tENS8_11use_defaultESE_EEEENSA_INSB_IlSD_SE_SE_EEEEZNS1_13binary_searchIS3_S5_NSA_INS8_10device_ptrIiEEEESG_SI_NS1_21upper_bound_search_opENS9_16wrapped_functionINS8_6system6detail7generic6detail18binary_search_lessEbEEEE10hipError_tPvRmT1_T2_T3_mmT4_T5_P12ihipStream_tbEUlRKiE_EESV_SZ_S10_mS11_S14_bEUlT_E_NS1_11comp_targetILNS1_3genE8ELNS1_11target_archE1030ELNS1_3gpuE2ELNS1_3repE0EEENS1_30default_config_static_selectorELNS0_4arch9wavefront6targetE1EEEvSY_.uses_vcc, 0
	.set _ZN7rocprim17ROCPRIM_400000_NS6detail17trampoline_kernelINS0_14default_configENS1_27upper_bound_config_selectorIilEEZNS1_14transform_implILb0ES3_S5_N6thrust23THRUST_200600_302600_NS6detail15normal_iteratorINS8_7pointerIiNS8_11hip_rocprim5par_tENS8_11use_defaultESE_EEEENSA_INSB_IlSD_SE_SE_EEEEZNS1_13binary_searchIS3_S5_NSA_INS8_10device_ptrIiEEEESG_SI_NS1_21upper_bound_search_opENS9_16wrapped_functionINS8_6system6detail7generic6detail18binary_search_lessEbEEEE10hipError_tPvRmT1_T2_T3_mmT4_T5_P12ihipStream_tbEUlRKiE_EESV_SZ_S10_mS11_S14_bEUlT_E_NS1_11comp_targetILNS1_3genE8ELNS1_11target_archE1030ELNS1_3gpuE2ELNS1_3repE0EEENS1_30default_config_static_selectorELNS0_4arch9wavefront6targetE1EEEvSY_.uses_flat_scratch, 0
	.set _ZN7rocprim17ROCPRIM_400000_NS6detail17trampoline_kernelINS0_14default_configENS1_27upper_bound_config_selectorIilEEZNS1_14transform_implILb0ES3_S5_N6thrust23THRUST_200600_302600_NS6detail15normal_iteratorINS8_7pointerIiNS8_11hip_rocprim5par_tENS8_11use_defaultESE_EEEENSA_INSB_IlSD_SE_SE_EEEEZNS1_13binary_searchIS3_S5_NSA_INS8_10device_ptrIiEEEESG_SI_NS1_21upper_bound_search_opENS9_16wrapped_functionINS8_6system6detail7generic6detail18binary_search_lessEbEEEE10hipError_tPvRmT1_T2_T3_mmT4_T5_P12ihipStream_tbEUlRKiE_EESV_SZ_S10_mS11_S14_bEUlT_E_NS1_11comp_targetILNS1_3genE8ELNS1_11target_archE1030ELNS1_3gpuE2ELNS1_3repE0EEENS1_30default_config_static_selectorELNS0_4arch9wavefront6targetE1EEEvSY_.has_dyn_sized_stack, 0
	.set _ZN7rocprim17ROCPRIM_400000_NS6detail17trampoline_kernelINS0_14default_configENS1_27upper_bound_config_selectorIilEEZNS1_14transform_implILb0ES3_S5_N6thrust23THRUST_200600_302600_NS6detail15normal_iteratorINS8_7pointerIiNS8_11hip_rocprim5par_tENS8_11use_defaultESE_EEEENSA_INSB_IlSD_SE_SE_EEEEZNS1_13binary_searchIS3_S5_NSA_INS8_10device_ptrIiEEEESG_SI_NS1_21upper_bound_search_opENS9_16wrapped_functionINS8_6system6detail7generic6detail18binary_search_lessEbEEEE10hipError_tPvRmT1_T2_T3_mmT4_T5_P12ihipStream_tbEUlRKiE_EESV_SZ_S10_mS11_S14_bEUlT_E_NS1_11comp_targetILNS1_3genE8ELNS1_11target_archE1030ELNS1_3gpuE2ELNS1_3repE0EEENS1_30default_config_static_selectorELNS0_4arch9wavefront6targetE1EEEvSY_.has_recursion, 0
	.set _ZN7rocprim17ROCPRIM_400000_NS6detail17trampoline_kernelINS0_14default_configENS1_27upper_bound_config_selectorIilEEZNS1_14transform_implILb0ES3_S5_N6thrust23THRUST_200600_302600_NS6detail15normal_iteratorINS8_7pointerIiNS8_11hip_rocprim5par_tENS8_11use_defaultESE_EEEENSA_INSB_IlSD_SE_SE_EEEEZNS1_13binary_searchIS3_S5_NSA_INS8_10device_ptrIiEEEESG_SI_NS1_21upper_bound_search_opENS9_16wrapped_functionINS8_6system6detail7generic6detail18binary_search_lessEbEEEE10hipError_tPvRmT1_T2_T3_mmT4_T5_P12ihipStream_tbEUlRKiE_EESV_SZ_S10_mS11_S14_bEUlT_E_NS1_11comp_targetILNS1_3genE8ELNS1_11target_archE1030ELNS1_3gpuE2ELNS1_3repE0EEENS1_30default_config_static_selectorELNS0_4arch9wavefront6targetE1EEEvSY_.has_indirect_call, 0
	.section	.AMDGPU.csdata,"",@progbits
; Kernel info:
; codeLenInByte = 0
; TotalNumSgprs: 4
; NumVgprs: 0
; ScratchSize: 0
; MemoryBound: 0
; FloatMode: 240
; IeeeMode: 1
; LDSByteSize: 0 bytes/workgroup (compile time only)
; SGPRBlocks: 0
; VGPRBlocks: 0
; NumSGPRsForWavesPerEU: 4
; NumVGPRsForWavesPerEU: 1
; Occupancy: 10
; WaveLimiterHint : 0
; COMPUTE_PGM_RSRC2:SCRATCH_EN: 0
; COMPUTE_PGM_RSRC2:USER_SGPR: 6
; COMPUTE_PGM_RSRC2:TRAP_HANDLER: 0
; COMPUTE_PGM_RSRC2:TGID_X_EN: 1
; COMPUTE_PGM_RSRC2:TGID_Y_EN: 0
; COMPUTE_PGM_RSRC2:TGID_Z_EN: 0
; COMPUTE_PGM_RSRC2:TIDIG_COMP_CNT: 0
	.section	.text._ZN7rocprim17ROCPRIM_400000_NS6detail17trampoline_kernelINS0_14default_configENS1_27upper_bound_config_selectorIslEEZNS1_14transform_implILb0ES3_S5_N6thrust23THRUST_200600_302600_NS6detail15normal_iteratorINS8_7pointerIsNS8_11hip_rocprim5par_tENS8_11use_defaultESE_EEEENSA_INSB_IlSD_SE_SE_EEEEZNS1_13binary_searchIS3_S5_NSA_INS8_10device_ptrIsEEEESG_SI_NS1_21upper_bound_search_opENS9_16wrapped_functionINS8_6system6detail7generic6detail18binary_search_lessEbEEEE10hipError_tPvRmT1_T2_T3_mmT4_T5_P12ihipStream_tbEUlRKsE_EESV_SZ_S10_mS11_S14_bEUlT_E_NS1_11comp_targetILNS1_3genE0ELNS1_11target_archE4294967295ELNS1_3gpuE0ELNS1_3repE0EEENS1_30default_config_static_selectorELNS0_4arch9wavefront6targetE1EEEvSY_,"axG",@progbits,_ZN7rocprim17ROCPRIM_400000_NS6detail17trampoline_kernelINS0_14default_configENS1_27upper_bound_config_selectorIslEEZNS1_14transform_implILb0ES3_S5_N6thrust23THRUST_200600_302600_NS6detail15normal_iteratorINS8_7pointerIsNS8_11hip_rocprim5par_tENS8_11use_defaultESE_EEEENSA_INSB_IlSD_SE_SE_EEEEZNS1_13binary_searchIS3_S5_NSA_INS8_10device_ptrIsEEEESG_SI_NS1_21upper_bound_search_opENS9_16wrapped_functionINS8_6system6detail7generic6detail18binary_search_lessEbEEEE10hipError_tPvRmT1_T2_T3_mmT4_T5_P12ihipStream_tbEUlRKsE_EESV_SZ_S10_mS11_S14_bEUlT_E_NS1_11comp_targetILNS1_3genE0ELNS1_11target_archE4294967295ELNS1_3gpuE0ELNS1_3repE0EEENS1_30default_config_static_selectorELNS0_4arch9wavefront6targetE1EEEvSY_,comdat
	.protected	_ZN7rocprim17ROCPRIM_400000_NS6detail17trampoline_kernelINS0_14default_configENS1_27upper_bound_config_selectorIslEEZNS1_14transform_implILb0ES3_S5_N6thrust23THRUST_200600_302600_NS6detail15normal_iteratorINS8_7pointerIsNS8_11hip_rocprim5par_tENS8_11use_defaultESE_EEEENSA_INSB_IlSD_SE_SE_EEEEZNS1_13binary_searchIS3_S5_NSA_INS8_10device_ptrIsEEEESG_SI_NS1_21upper_bound_search_opENS9_16wrapped_functionINS8_6system6detail7generic6detail18binary_search_lessEbEEEE10hipError_tPvRmT1_T2_T3_mmT4_T5_P12ihipStream_tbEUlRKsE_EESV_SZ_S10_mS11_S14_bEUlT_E_NS1_11comp_targetILNS1_3genE0ELNS1_11target_archE4294967295ELNS1_3gpuE0ELNS1_3repE0EEENS1_30default_config_static_selectorELNS0_4arch9wavefront6targetE1EEEvSY_ ; -- Begin function _ZN7rocprim17ROCPRIM_400000_NS6detail17trampoline_kernelINS0_14default_configENS1_27upper_bound_config_selectorIslEEZNS1_14transform_implILb0ES3_S5_N6thrust23THRUST_200600_302600_NS6detail15normal_iteratorINS8_7pointerIsNS8_11hip_rocprim5par_tENS8_11use_defaultESE_EEEENSA_INSB_IlSD_SE_SE_EEEEZNS1_13binary_searchIS3_S5_NSA_INS8_10device_ptrIsEEEESG_SI_NS1_21upper_bound_search_opENS9_16wrapped_functionINS8_6system6detail7generic6detail18binary_search_lessEbEEEE10hipError_tPvRmT1_T2_T3_mmT4_T5_P12ihipStream_tbEUlRKsE_EESV_SZ_S10_mS11_S14_bEUlT_E_NS1_11comp_targetILNS1_3genE0ELNS1_11target_archE4294967295ELNS1_3gpuE0ELNS1_3repE0EEENS1_30default_config_static_selectorELNS0_4arch9wavefront6targetE1EEEvSY_
	.globl	_ZN7rocprim17ROCPRIM_400000_NS6detail17trampoline_kernelINS0_14default_configENS1_27upper_bound_config_selectorIslEEZNS1_14transform_implILb0ES3_S5_N6thrust23THRUST_200600_302600_NS6detail15normal_iteratorINS8_7pointerIsNS8_11hip_rocprim5par_tENS8_11use_defaultESE_EEEENSA_INSB_IlSD_SE_SE_EEEEZNS1_13binary_searchIS3_S5_NSA_INS8_10device_ptrIsEEEESG_SI_NS1_21upper_bound_search_opENS9_16wrapped_functionINS8_6system6detail7generic6detail18binary_search_lessEbEEEE10hipError_tPvRmT1_T2_T3_mmT4_T5_P12ihipStream_tbEUlRKsE_EESV_SZ_S10_mS11_S14_bEUlT_E_NS1_11comp_targetILNS1_3genE0ELNS1_11target_archE4294967295ELNS1_3gpuE0ELNS1_3repE0EEENS1_30default_config_static_selectorELNS0_4arch9wavefront6targetE1EEEvSY_
	.p2align	8
	.type	_ZN7rocprim17ROCPRIM_400000_NS6detail17trampoline_kernelINS0_14default_configENS1_27upper_bound_config_selectorIslEEZNS1_14transform_implILb0ES3_S5_N6thrust23THRUST_200600_302600_NS6detail15normal_iteratorINS8_7pointerIsNS8_11hip_rocprim5par_tENS8_11use_defaultESE_EEEENSA_INSB_IlSD_SE_SE_EEEEZNS1_13binary_searchIS3_S5_NSA_INS8_10device_ptrIsEEEESG_SI_NS1_21upper_bound_search_opENS9_16wrapped_functionINS8_6system6detail7generic6detail18binary_search_lessEbEEEE10hipError_tPvRmT1_T2_T3_mmT4_T5_P12ihipStream_tbEUlRKsE_EESV_SZ_S10_mS11_S14_bEUlT_E_NS1_11comp_targetILNS1_3genE0ELNS1_11target_archE4294967295ELNS1_3gpuE0ELNS1_3repE0EEENS1_30default_config_static_selectorELNS0_4arch9wavefront6targetE1EEEvSY_,@function
_ZN7rocprim17ROCPRIM_400000_NS6detail17trampoline_kernelINS0_14default_configENS1_27upper_bound_config_selectorIslEEZNS1_14transform_implILb0ES3_S5_N6thrust23THRUST_200600_302600_NS6detail15normal_iteratorINS8_7pointerIsNS8_11hip_rocprim5par_tENS8_11use_defaultESE_EEEENSA_INSB_IlSD_SE_SE_EEEEZNS1_13binary_searchIS3_S5_NSA_INS8_10device_ptrIsEEEESG_SI_NS1_21upper_bound_search_opENS9_16wrapped_functionINS8_6system6detail7generic6detail18binary_search_lessEbEEEE10hipError_tPvRmT1_T2_T3_mmT4_T5_P12ihipStream_tbEUlRKsE_EESV_SZ_S10_mS11_S14_bEUlT_E_NS1_11comp_targetILNS1_3genE0ELNS1_11target_archE4294967295ELNS1_3gpuE0ELNS1_3repE0EEENS1_30default_config_static_selectorELNS0_4arch9wavefront6targetE1EEEvSY_: ; @_ZN7rocprim17ROCPRIM_400000_NS6detail17trampoline_kernelINS0_14default_configENS1_27upper_bound_config_selectorIslEEZNS1_14transform_implILb0ES3_S5_N6thrust23THRUST_200600_302600_NS6detail15normal_iteratorINS8_7pointerIsNS8_11hip_rocprim5par_tENS8_11use_defaultESE_EEEENSA_INSB_IlSD_SE_SE_EEEEZNS1_13binary_searchIS3_S5_NSA_INS8_10device_ptrIsEEEESG_SI_NS1_21upper_bound_search_opENS9_16wrapped_functionINS8_6system6detail7generic6detail18binary_search_lessEbEEEE10hipError_tPvRmT1_T2_T3_mmT4_T5_P12ihipStream_tbEUlRKsE_EESV_SZ_S10_mS11_S14_bEUlT_E_NS1_11comp_targetILNS1_3genE0ELNS1_11target_archE4294967295ELNS1_3gpuE0ELNS1_3repE0EEENS1_30default_config_static_selectorELNS0_4arch9wavefront6targetE1EEEvSY_
; %bb.0:
	.section	.rodata,"a",@progbits
	.p2align	6, 0x0
	.amdhsa_kernel _ZN7rocprim17ROCPRIM_400000_NS6detail17trampoline_kernelINS0_14default_configENS1_27upper_bound_config_selectorIslEEZNS1_14transform_implILb0ES3_S5_N6thrust23THRUST_200600_302600_NS6detail15normal_iteratorINS8_7pointerIsNS8_11hip_rocprim5par_tENS8_11use_defaultESE_EEEENSA_INSB_IlSD_SE_SE_EEEEZNS1_13binary_searchIS3_S5_NSA_INS8_10device_ptrIsEEEESG_SI_NS1_21upper_bound_search_opENS9_16wrapped_functionINS8_6system6detail7generic6detail18binary_search_lessEbEEEE10hipError_tPvRmT1_T2_T3_mmT4_T5_P12ihipStream_tbEUlRKsE_EESV_SZ_S10_mS11_S14_bEUlT_E_NS1_11comp_targetILNS1_3genE0ELNS1_11target_archE4294967295ELNS1_3gpuE0ELNS1_3repE0EEENS1_30default_config_static_selectorELNS0_4arch9wavefront6targetE1EEEvSY_
		.amdhsa_group_segment_fixed_size 0
		.amdhsa_private_segment_fixed_size 0
		.amdhsa_kernarg_size 56
		.amdhsa_user_sgpr_count 6
		.amdhsa_user_sgpr_private_segment_buffer 1
		.amdhsa_user_sgpr_dispatch_ptr 0
		.amdhsa_user_sgpr_queue_ptr 0
		.amdhsa_user_sgpr_kernarg_segment_ptr 1
		.amdhsa_user_sgpr_dispatch_id 0
		.amdhsa_user_sgpr_flat_scratch_init 0
		.amdhsa_user_sgpr_private_segment_size 0
		.amdhsa_uses_dynamic_stack 0
		.amdhsa_system_sgpr_private_segment_wavefront_offset 0
		.amdhsa_system_sgpr_workgroup_id_x 1
		.amdhsa_system_sgpr_workgroup_id_y 0
		.amdhsa_system_sgpr_workgroup_id_z 0
		.amdhsa_system_sgpr_workgroup_info 0
		.amdhsa_system_vgpr_workitem_id 0
		.amdhsa_next_free_vgpr 1
		.amdhsa_next_free_sgpr 0
		.amdhsa_reserve_vcc 0
		.amdhsa_reserve_flat_scratch 0
		.amdhsa_float_round_mode_32 0
		.amdhsa_float_round_mode_16_64 0
		.amdhsa_float_denorm_mode_32 3
		.amdhsa_float_denorm_mode_16_64 3
		.amdhsa_dx10_clamp 1
		.amdhsa_ieee_mode 1
		.amdhsa_fp16_overflow 0
		.amdhsa_exception_fp_ieee_invalid_op 0
		.amdhsa_exception_fp_denorm_src 0
		.amdhsa_exception_fp_ieee_div_zero 0
		.amdhsa_exception_fp_ieee_overflow 0
		.amdhsa_exception_fp_ieee_underflow 0
		.amdhsa_exception_fp_ieee_inexact 0
		.amdhsa_exception_int_div_zero 0
	.end_amdhsa_kernel
	.section	.text._ZN7rocprim17ROCPRIM_400000_NS6detail17trampoline_kernelINS0_14default_configENS1_27upper_bound_config_selectorIslEEZNS1_14transform_implILb0ES3_S5_N6thrust23THRUST_200600_302600_NS6detail15normal_iteratorINS8_7pointerIsNS8_11hip_rocprim5par_tENS8_11use_defaultESE_EEEENSA_INSB_IlSD_SE_SE_EEEEZNS1_13binary_searchIS3_S5_NSA_INS8_10device_ptrIsEEEESG_SI_NS1_21upper_bound_search_opENS9_16wrapped_functionINS8_6system6detail7generic6detail18binary_search_lessEbEEEE10hipError_tPvRmT1_T2_T3_mmT4_T5_P12ihipStream_tbEUlRKsE_EESV_SZ_S10_mS11_S14_bEUlT_E_NS1_11comp_targetILNS1_3genE0ELNS1_11target_archE4294967295ELNS1_3gpuE0ELNS1_3repE0EEENS1_30default_config_static_selectorELNS0_4arch9wavefront6targetE1EEEvSY_,"axG",@progbits,_ZN7rocprim17ROCPRIM_400000_NS6detail17trampoline_kernelINS0_14default_configENS1_27upper_bound_config_selectorIslEEZNS1_14transform_implILb0ES3_S5_N6thrust23THRUST_200600_302600_NS6detail15normal_iteratorINS8_7pointerIsNS8_11hip_rocprim5par_tENS8_11use_defaultESE_EEEENSA_INSB_IlSD_SE_SE_EEEEZNS1_13binary_searchIS3_S5_NSA_INS8_10device_ptrIsEEEESG_SI_NS1_21upper_bound_search_opENS9_16wrapped_functionINS8_6system6detail7generic6detail18binary_search_lessEbEEEE10hipError_tPvRmT1_T2_T3_mmT4_T5_P12ihipStream_tbEUlRKsE_EESV_SZ_S10_mS11_S14_bEUlT_E_NS1_11comp_targetILNS1_3genE0ELNS1_11target_archE4294967295ELNS1_3gpuE0ELNS1_3repE0EEENS1_30default_config_static_selectorELNS0_4arch9wavefront6targetE1EEEvSY_,comdat
.Lfunc_end590:
	.size	_ZN7rocprim17ROCPRIM_400000_NS6detail17trampoline_kernelINS0_14default_configENS1_27upper_bound_config_selectorIslEEZNS1_14transform_implILb0ES3_S5_N6thrust23THRUST_200600_302600_NS6detail15normal_iteratorINS8_7pointerIsNS8_11hip_rocprim5par_tENS8_11use_defaultESE_EEEENSA_INSB_IlSD_SE_SE_EEEEZNS1_13binary_searchIS3_S5_NSA_INS8_10device_ptrIsEEEESG_SI_NS1_21upper_bound_search_opENS9_16wrapped_functionINS8_6system6detail7generic6detail18binary_search_lessEbEEEE10hipError_tPvRmT1_T2_T3_mmT4_T5_P12ihipStream_tbEUlRKsE_EESV_SZ_S10_mS11_S14_bEUlT_E_NS1_11comp_targetILNS1_3genE0ELNS1_11target_archE4294967295ELNS1_3gpuE0ELNS1_3repE0EEENS1_30default_config_static_selectorELNS0_4arch9wavefront6targetE1EEEvSY_, .Lfunc_end590-_ZN7rocprim17ROCPRIM_400000_NS6detail17trampoline_kernelINS0_14default_configENS1_27upper_bound_config_selectorIslEEZNS1_14transform_implILb0ES3_S5_N6thrust23THRUST_200600_302600_NS6detail15normal_iteratorINS8_7pointerIsNS8_11hip_rocprim5par_tENS8_11use_defaultESE_EEEENSA_INSB_IlSD_SE_SE_EEEEZNS1_13binary_searchIS3_S5_NSA_INS8_10device_ptrIsEEEESG_SI_NS1_21upper_bound_search_opENS9_16wrapped_functionINS8_6system6detail7generic6detail18binary_search_lessEbEEEE10hipError_tPvRmT1_T2_T3_mmT4_T5_P12ihipStream_tbEUlRKsE_EESV_SZ_S10_mS11_S14_bEUlT_E_NS1_11comp_targetILNS1_3genE0ELNS1_11target_archE4294967295ELNS1_3gpuE0ELNS1_3repE0EEENS1_30default_config_static_selectorELNS0_4arch9wavefront6targetE1EEEvSY_
                                        ; -- End function
	.set _ZN7rocprim17ROCPRIM_400000_NS6detail17trampoline_kernelINS0_14default_configENS1_27upper_bound_config_selectorIslEEZNS1_14transform_implILb0ES3_S5_N6thrust23THRUST_200600_302600_NS6detail15normal_iteratorINS8_7pointerIsNS8_11hip_rocprim5par_tENS8_11use_defaultESE_EEEENSA_INSB_IlSD_SE_SE_EEEEZNS1_13binary_searchIS3_S5_NSA_INS8_10device_ptrIsEEEESG_SI_NS1_21upper_bound_search_opENS9_16wrapped_functionINS8_6system6detail7generic6detail18binary_search_lessEbEEEE10hipError_tPvRmT1_T2_T3_mmT4_T5_P12ihipStream_tbEUlRKsE_EESV_SZ_S10_mS11_S14_bEUlT_E_NS1_11comp_targetILNS1_3genE0ELNS1_11target_archE4294967295ELNS1_3gpuE0ELNS1_3repE0EEENS1_30default_config_static_selectorELNS0_4arch9wavefront6targetE1EEEvSY_.num_vgpr, 0
	.set _ZN7rocprim17ROCPRIM_400000_NS6detail17trampoline_kernelINS0_14default_configENS1_27upper_bound_config_selectorIslEEZNS1_14transform_implILb0ES3_S5_N6thrust23THRUST_200600_302600_NS6detail15normal_iteratorINS8_7pointerIsNS8_11hip_rocprim5par_tENS8_11use_defaultESE_EEEENSA_INSB_IlSD_SE_SE_EEEEZNS1_13binary_searchIS3_S5_NSA_INS8_10device_ptrIsEEEESG_SI_NS1_21upper_bound_search_opENS9_16wrapped_functionINS8_6system6detail7generic6detail18binary_search_lessEbEEEE10hipError_tPvRmT1_T2_T3_mmT4_T5_P12ihipStream_tbEUlRKsE_EESV_SZ_S10_mS11_S14_bEUlT_E_NS1_11comp_targetILNS1_3genE0ELNS1_11target_archE4294967295ELNS1_3gpuE0ELNS1_3repE0EEENS1_30default_config_static_selectorELNS0_4arch9wavefront6targetE1EEEvSY_.num_agpr, 0
	.set _ZN7rocprim17ROCPRIM_400000_NS6detail17trampoline_kernelINS0_14default_configENS1_27upper_bound_config_selectorIslEEZNS1_14transform_implILb0ES3_S5_N6thrust23THRUST_200600_302600_NS6detail15normal_iteratorINS8_7pointerIsNS8_11hip_rocprim5par_tENS8_11use_defaultESE_EEEENSA_INSB_IlSD_SE_SE_EEEEZNS1_13binary_searchIS3_S5_NSA_INS8_10device_ptrIsEEEESG_SI_NS1_21upper_bound_search_opENS9_16wrapped_functionINS8_6system6detail7generic6detail18binary_search_lessEbEEEE10hipError_tPvRmT1_T2_T3_mmT4_T5_P12ihipStream_tbEUlRKsE_EESV_SZ_S10_mS11_S14_bEUlT_E_NS1_11comp_targetILNS1_3genE0ELNS1_11target_archE4294967295ELNS1_3gpuE0ELNS1_3repE0EEENS1_30default_config_static_selectorELNS0_4arch9wavefront6targetE1EEEvSY_.numbered_sgpr, 0
	.set _ZN7rocprim17ROCPRIM_400000_NS6detail17trampoline_kernelINS0_14default_configENS1_27upper_bound_config_selectorIslEEZNS1_14transform_implILb0ES3_S5_N6thrust23THRUST_200600_302600_NS6detail15normal_iteratorINS8_7pointerIsNS8_11hip_rocprim5par_tENS8_11use_defaultESE_EEEENSA_INSB_IlSD_SE_SE_EEEEZNS1_13binary_searchIS3_S5_NSA_INS8_10device_ptrIsEEEESG_SI_NS1_21upper_bound_search_opENS9_16wrapped_functionINS8_6system6detail7generic6detail18binary_search_lessEbEEEE10hipError_tPvRmT1_T2_T3_mmT4_T5_P12ihipStream_tbEUlRKsE_EESV_SZ_S10_mS11_S14_bEUlT_E_NS1_11comp_targetILNS1_3genE0ELNS1_11target_archE4294967295ELNS1_3gpuE0ELNS1_3repE0EEENS1_30default_config_static_selectorELNS0_4arch9wavefront6targetE1EEEvSY_.num_named_barrier, 0
	.set _ZN7rocprim17ROCPRIM_400000_NS6detail17trampoline_kernelINS0_14default_configENS1_27upper_bound_config_selectorIslEEZNS1_14transform_implILb0ES3_S5_N6thrust23THRUST_200600_302600_NS6detail15normal_iteratorINS8_7pointerIsNS8_11hip_rocprim5par_tENS8_11use_defaultESE_EEEENSA_INSB_IlSD_SE_SE_EEEEZNS1_13binary_searchIS3_S5_NSA_INS8_10device_ptrIsEEEESG_SI_NS1_21upper_bound_search_opENS9_16wrapped_functionINS8_6system6detail7generic6detail18binary_search_lessEbEEEE10hipError_tPvRmT1_T2_T3_mmT4_T5_P12ihipStream_tbEUlRKsE_EESV_SZ_S10_mS11_S14_bEUlT_E_NS1_11comp_targetILNS1_3genE0ELNS1_11target_archE4294967295ELNS1_3gpuE0ELNS1_3repE0EEENS1_30default_config_static_selectorELNS0_4arch9wavefront6targetE1EEEvSY_.private_seg_size, 0
	.set _ZN7rocprim17ROCPRIM_400000_NS6detail17trampoline_kernelINS0_14default_configENS1_27upper_bound_config_selectorIslEEZNS1_14transform_implILb0ES3_S5_N6thrust23THRUST_200600_302600_NS6detail15normal_iteratorINS8_7pointerIsNS8_11hip_rocprim5par_tENS8_11use_defaultESE_EEEENSA_INSB_IlSD_SE_SE_EEEEZNS1_13binary_searchIS3_S5_NSA_INS8_10device_ptrIsEEEESG_SI_NS1_21upper_bound_search_opENS9_16wrapped_functionINS8_6system6detail7generic6detail18binary_search_lessEbEEEE10hipError_tPvRmT1_T2_T3_mmT4_T5_P12ihipStream_tbEUlRKsE_EESV_SZ_S10_mS11_S14_bEUlT_E_NS1_11comp_targetILNS1_3genE0ELNS1_11target_archE4294967295ELNS1_3gpuE0ELNS1_3repE0EEENS1_30default_config_static_selectorELNS0_4arch9wavefront6targetE1EEEvSY_.uses_vcc, 0
	.set _ZN7rocprim17ROCPRIM_400000_NS6detail17trampoline_kernelINS0_14default_configENS1_27upper_bound_config_selectorIslEEZNS1_14transform_implILb0ES3_S5_N6thrust23THRUST_200600_302600_NS6detail15normal_iteratorINS8_7pointerIsNS8_11hip_rocprim5par_tENS8_11use_defaultESE_EEEENSA_INSB_IlSD_SE_SE_EEEEZNS1_13binary_searchIS3_S5_NSA_INS8_10device_ptrIsEEEESG_SI_NS1_21upper_bound_search_opENS9_16wrapped_functionINS8_6system6detail7generic6detail18binary_search_lessEbEEEE10hipError_tPvRmT1_T2_T3_mmT4_T5_P12ihipStream_tbEUlRKsE_EESV_SZ_S10_mS11_S14_bEUlT_E_NS1_11comp_targetILNS1_3genE0ELNS1_11target_archE4294967295ELNS1_3gpuE0ELNS1_3repE0EEENS1_30default_config_static_selectorELNS0_4arch9wavefront6targetE1EEEvSY_.uses_flat_scratch, 0
	.set _ZN7rocprim17ROCPRIM_400000_NS6detail17trampoline_kernelINS0_14default_configENS1_27upper_bound_config_selectorIslEEZNS1_14transform_implILb0ES3_S5_N6thrust23THRUST_200600_302600_NS6detail15normal_iteratorINS8_7pointerIsNS8_11hip_rocprim5par_tENS8_11use_defaultESE_EEEENSA_INSB_IlSD_SE_SE_EEEEZNS1_13binary_searchIS3_S5_NSA_INS8_10device_ptrIsEEEESG_SI_NS1_21upper_bound_search_opENS9_16wrapped_functionINS8_6system6detail7generic6detail18binary_search_lessEbEEEE10hipError_tPvRmT1_T2_T3_mmT4_T5_P12ihipStream_tbEUlRKsE_EESV_SZ_S10_mS11_S14_bEUlT_E_NS1_11comp_targetILNS1_3genE0ELNS1_11target_archE4294967295ELNS1_3gpuE0ELNS1_3repE0EEENS1_30default_config_static_selectorELNS0_4arch9wavefront6targetE1EEEvSY_.has_dyn_sized_stack, 0
	.set _ZN7rocprim17ROCPRIM_400000_NS6detail17trampoline_kernelINS0_14default_configENS1_27upper_bound_config_selectorIslEEZNS1_14transform_implILb0ES3_S5_N6thrust23THRUST_200600_302600_NS6detail15normal_iteratorINS8_7pointerIsNS8_11hip_rocprim5par_tENS8_11use_defaultESE_EEEENSA_INSB_IlSD_SE_SE_EEEEZNS1_13binary_searchIS3_S5_NSA_INS8_10device_ptrIsEEEESG_SI_NS1_21upper_bound_search_opENS9_16wrapped_functionINS8_6system6detail7generic6detail18binary_search_lessEbEEEE10hipError_tPvRmT1_T2_T3_mmT4_T5_P12ihipStream_tbEUlRKsE_EESV_SZ_S10_mS11_S14_bEUlT_E_NS1_11comp_targetILNS1_3genE0ELNS1_11target_archE4294967295ELNS1_3gpuE0ELNS1_3repE0EEENS1_30default_config_static_selectorELNS0_4arch9wavefront6targetE1EEEvSY_.has_recursion, 0
	.set _ZN7rocprim17ROCPRIM_400000_NS6detail17trampoline_kernelINS0_14default_configENS1_27upper_bound_config_selectorIslEEZNS1_14transform_implILb0ES3_S5_N6thrust23THRUST_200600_302600_NS6detail15normal_iteratorINS8_7pointerIsNS8_11hip_rocprim5par_tENS8_11use_defaultESE_EEEENSA_INSB_IlSD_SE_SE_EEEEZNS1_13binary_searchIS3_S5_NSA_INS8_10device_ptrIsEEEESG_SI_NS1_21upper_bound_search_opENS9_16wrapped_functionINS8_6system6detail7generic6detail18binary_search_lessEbEEEE10hipError_tPvRmT1_T2_T3_mmT4_T5_P12ihipStream_tbEUlRKsE_EESV_SZ_S10_mS11_S14_bEUlT_E_NS1_11comp_targetILNS1_3genE0ELNS1_11target_archE4294967295ELNS1_3gpuE0ELNS1_3repE0EEENS1_30default_config_static_selectorELNS0_4arch9wavefront6targetE1EEEvSY_.has_indirect_call, 0
	.section	.AMDGPU.csdata,"",@progbits
; Kernel info:
; codeLenInByte = 0
; TotalNumSgprs: 4
; NumVgprs: 0
; ScratchSize: 0
; MemoryBound: 0
; FloatMode: 240
; IeeeMode: 1
; LDSByteSize: 0 bytes/workgroup (compile time only)
; SGPRBlocks: 0
; VGPRBlocks: 0
; NumSGPRsForWavesPerEU: 4
; NumVGPRsForWavesPerEU: 1
; Occupancy: 10
; WaveLimiterHint : 0
; COMPUTE_PGM_RSRC2:SCRATCH_EN: 0
; COMPUTE_PGM_RSRC2:USER_SGPR: 6
; COMPUTE_PGM_RSRC2:TRAP_HANDLER: 0
; COMPUTE_PGM_RSRC2:TGID_X_EN: 1
; COMPUTE_PGM_RSRC2:TGID_Y_EN: 0
; COMPUTE_PGM_RSRC2:TGID_Z_EN: 0
; COMPUTE_PGM_RSRC2:TIDIG_COMP_CNT: 0
	.section	.text._ZN7rocprim17ROCPRIM_400000_NS6detail17trampoline_kernelINS0_14default_configENS1_27upper_bound_config_selectorIslEEZNS1_14transform_implILb0ES3_S5_N6thrust23THRUST_200600_302600_NS6detail15normal_iteratorINS8_7pointerIsNS8_11hip_rocprim5par_tENS8_11use_defaultESE_EEEENSA_INSB_IlSD_SE_SE_EEEEZNS1_13binary_searchIS3_S5_NSA_INS8_10device_ptrIsEEEESG_SI_NS1_21upper_bound_search_opENS9_16wrapped_functionINS8_6system6detail7generic6detail18binary_search_lessEbEEEE10hipError_tPvRmT1_T2_T3_mmT4_T5_P12ihipStream_tbEUlRKsE_EESV_SZ_S10_mS11_S14_bEUlT_E_NS1_11comp_targetILNS1_3genE5ELNS1_11target_archE942ELNS1_3gpuE9ELNS1_3repE0EEENS1_30default_config_static_selectorELNS0_4arch9wavefront6targetE1EEEvSY_,"axG",@progbits,_ZN7rocprim17ROCPRIM_400000_NS6detail17trampoline_kernelINS0_14default_configENS1_27upper_bound_config_selectorIslEEZNS1_14transform_implILb0ES3_S5_N6thrust23THRUST_200600_302600_NS6detail15normal_iteratorINS8_7pointerIsNS8_11hip_rocprim5par_tENS8_11use_defaultESE_EEEENSA_INSB_IlSD_SE_SE_EEEEZNS1_13binary_searchIS3_S5_NSA_INS8_10device_ptrIsEEEESG_SI_NS1_21upper_bound_search_opENS9_16wrapped_functionINS8_6system6detail7generic6detail18binary_search_lessEbEEEE10hipError_tPvRmT1_T2_T3_mmT4_T5_P12ihipStream_tbEUlRKsE_EESV_SZ_S10_mS11_S14_bEUlT_E_NS1_11comp_targetILNS1_3genE5ELNS1_11target_archE942ELNS1_3gpuE9ELNS1_3repE0EEENS1_30default_config_static_selectorELNS0_4arch9wavefront6targetE1EEEvSY_,comdat
	.protected	_ZN7rocprim17ROCPRIM_400000_NS6detail17trampoline_kernelINS0_14default_configENS1_27upper_bound_config_selectorIslEEZNS1_14transform_implILb0ES3_S5_N6thrust23THRUST_200600_302600_NS6detail15normal_iteratorINS8_7pointerIsNS8_11hip_rocprim5par_tENS8_11use_defaultESE_EEEENSA_INSB_IlSD_SE_SE_EEEEZNS1_13binary_searchIS3_S5_NSA_INS8_10device_ptrIsEEEESG_SI_NS1_21upper_bound_search_opENS9_16wrapped_functionINS8_6system6detail7generic6detail18binary_search_lessEbEEEE10hipError_tPvRmT1_T2_T3_mmT4_T5_P12ihipStream_tbEUlRKsE_EESV_SZ_S10_mS11_S14_bEUlT_E_NS1_11comp_targetILNS1_3genE5ELNS1_11target_archE942ELNS1_3gpuE9ELNS1_3repE0EEENS1_30default_config_static_selectorELNS0_4arch9wavefront6targetE1EEEvSY_ ; -- Begin function _ZN7rocprim17ROCPRIM_400000_NS6detail17trampoline_kernelINS0_14default_configENS1_27upper_bound_config_selectorIslEEZNS1_14transform_implILb0ES3_S5_N6thrust23THRUST_200600_302600_NS6detail15normal_iteratorINS8_7pointerIsNS8_11hip_rocprim5par_tENS8_11use_defaultESE_EEEENSA_INSB_IlSD_SE_SE_EEEEZNS1_13binary_searchIS3_S5_NSA_INS8_10device_ptrIsEEEESG_SI_NS1_21upper_bound_search_opENS9_16wrapped_functionINS8_6system6detail7generic6detail18binary_search_lessEbEEEE10hipError_tPvRmT1_T2_T3_mmT4_T5_P12ihipStream_tbEUlRKsE_EESV_SZ_S10_mS11_S14_bEUlT_E_NS1_11comp_targetILNS1_3genE5ELNS1_11target_archE942ELNS1_3gpuE9ELNS1_3repE0EEENS1_30default_config_static_selectorELNS0_4arch9wavefront6targetE1EEEvSY_
	.globl	_ZN7rocprim17ROCPRIM_400000_NS6detail17trampoline_kernelINS0_14default_configENS1_27upper_bound_config_selectorIslEEZNS1_14transform_implILb0ES3_S5_N6thrust23THRUST_200600_302600_NS6detail15normal_iteratorINS8_7pointerIsNS8_11hip_rocprim5par_tENS8_11use_defaultESE_EEEENSA_INSB_IlSD_SE_SE_EEEEZNS1_13binary_searchIS3_S5_NSA_INS8_10device_ptrIsEEEESG_SI_NS1_21upper_bound_search_opENS9_16wrapped_functionINS8_6system6detail7generic6detail18binary_search_lessEbEEEE10hipError_tPvRmT1_T2_T3_mmT4_T5_P12ihipStream_tbEUlRKsE_EESV_SZ_S10_mS11_S14_bEUlT_E_NS1_11comp_targetILNS1_3genE5ELNS1_11target_archE942ELNS1_3gpuE9ELNS1_3repE0EEENS1_30default_config_static_selectorELNS0_4arch9wavefront6targetE1EEEvSY_
	.p2align	8
	.type	_ZN7rocprim17ROCPRIM_400000_NS6detail17trampoline_kernelINS0_14default_configENS1_27upper_bound_config_selectorIslEEZNS1_14transform_implILb0ES3_S5_N6thrust23THRUST_200600_302600_NS6detail15normal_iteratorINS8_7pointerIsNS8_11hip_rocprim5par_tENS8_11use_defaultESE_EEEENSA_INSB_IlSD_SE_SE_EEEEZNS1_13binary_searchIS3_S5_NSA_INS8_10device_ptrIsEEEESG_SI_NS1_21upper_bound_search_opENS9_16wrapped_functionINS8_6system6detail7generic6detail18binary_search_lessEbEEEE10hipError_tPvRmT1_T2_T3_mmT4_T5_P12ihipStream_tbEUlRKsE_EESV_SZ_S10_mS11_S14_bEUlT_E_NS1_11comp_targetILNS1_3genE5ELNS1_11target_archE942ELNS1_3gpuE9ELNS1_3repE0EEENS1_30default_config_static_selectorELNS0_4arch9wavefront6targetE1EEEvSY_,@function
_ZN7rocprim17ROCPRIM_400000_NS6detail17trampoline_kernelINS0_14default_configENS1_27upper_bound_config_selectorIslEEZNS1_14transform_implILb0ES3_S5_N6thrust23THRUST_200600_302600_NS6detail15normal_iteratorINS8_7pointerIsNS8_11hip_rocprim5par_tENS8_11use_defaultESE_EEEENSA_INSB_IlSD_SE_SE_EEEEZNS1_13binary_searchIS3_S5_NSA_INS8_10device_ptrIsEEEESG_SI_NS1_21upper_bound_search_opENS9_16wrapped_functionINS8_6system6detail7generic6detail18binary_search_lessEbEEEE10hipError_tPvRmT1_T2_T3_mmT4_T5_P12ihipStream_tbEUlRKsE_EESV_SZ_S10_mS11_S14_bEUlT_E_NS1_11comp_targetILNS1_3genE5ELNS1_11target_archE942ELNS1_3gpuE9ELNS1_3repE0EEENS1_30default_config_static_selectorELNS0_4arch9wavefront6targetE1EEEvSY_: ; @_ZN7rocprim17ROCPRIM_400000_NS6detail17trampoline_kernelINS0_14default_configENS1_27upper_bound_config_selectorIslEEZNS1_14transform_implILb0ES3_S5_N6thrust23THRUST_200600_302600_NS6detail15normal_iteratorINS8_7pointerIsNS8_11hip_rocprim5par_tENS8_11use_defaultESE_EEEENSA_INSB_IlSD_SE_SE_EEEEZNS1_13binary_searchIS3_S5_NSA_INS8_10device_ptrIsEEEESG_SI_NS1_21upper_bound_search_opENS9_16wrapped_functionINS8_6system6detail7generic6detail18binary_search_lessEbEEEE10hipError_tPvRmT1_T2_T3_mmT4_T5_P12ihipStream_tbEUlRKsE_EESV_SZ_S10_mS11_S14_bEUlT_E_NS1_11comp_targetILNS1_3genE5ELNS1_11target_archE942ELNS1_3gpuE9ELNS1_3repE0EEENS1_30default_config_static_selectorELNS0_4arch9wavefront6targetE1EEEvSY_
; %bb.0:
	.section	.rodata,"a",@progbits
	.p2align	6, 0x0
	.amdhsa_kernel _ZN7rocprim17ROCPRIM_400000_NS6detail17trampoline_kernelINS0_14default_configENS1_27upper_bound_config_selectorIslEEZNS1_14transform_implILb0ES3_S5_N6thrust23THRUST_200600_302600_NS6detail15normal_iteratorINS8_7pointerIsNS8_11hip_rocprim5par_tENS8_11use_defaultESE_EEEENSA_INSB_IlSD_SE_SE_EEEEZNS1_13binary_searchIS3_S5_NSA_INS8_10device_ptrIsEEEESG_SI_NS1_21upper_bound_search_opENS9_16wrapped_functionINS8_6system6detail7generic6detail18binary_search_lessEbEEEE10hipError_tPvRmT1_T2_T3_mmT4_T5_P12ihipStream_tbEUlRKsE_EESV_SZ_S10_mS11_S14_bEUlT_E_NS1_11comp_targetILNS1_3genE5ELNS1_11target_archE942ELNS1_3gpuE9ELNS1_3repE0EEENS1_30default_config_static_selectorELNS0_4arch9wavefront6targetE1EEEvSY_
		.amdhsa_group_segment_fixed_size 0
		.amdhsa_private_segment_fixed_size 0
		.amdhsa_kernarg_size 56
		.amdhsa_user_sgpr_count 6
		.amdhsa_user_sgpr_private_segment_buffer 1
		.amdhsa_user_sgpr_dispatch_ptr 0
		.amdhsa_user_sgpr_queue_ptr 0
		.amdhsa_user_sgpr_kernarg_segment_ptr 1
		.amdhsa_user_sgpr_dispatch_id 0
		.amdhsa_user_sgpr_flat_scratch_init 0
		.amdhsa_user_sgpr_private_segment_size 0
		.amdhsa_uses_dynamic_stack 0
		.amdhsa_system_sgpr_private_segment_wavefront_offset 0
		.amdhsa_system_sgpr_workgroup_id_x 1
		.amdhsa_system_sgpr_workgroup_id_y 0
		.amdhsa_system_sgpr_workgroup_id_z 0
		.amdhsa_system_sgpr_workgroup_info 0
		.amdhsa_system_vgpr_workitem_id 0
		.amdhsa_next_free_vgpr 1
		.amdhsa_next_free_sgpr 0
		.amdhsa_reserve_vcc 0
		.amdhsa_reserve_flat_scratch 0
		.amdhsa_float_round_mode_32 0
		.amdhsa_float_round_mode_16_64 0
		.amdhsa_float_denorm_mode_32 3
		.amdhsa_float_denorm_mode_16_64 3
		.amdhsa_dx10_clamp 1
		.amdhsa_ieee_mode 1
		.amdhsa_fp16_overflow 0
		.amdhsa_exception_fp_ieee_invalid_op 0
		.amdhsa_exception_fp_denorm_src 0
		.amdhsa_exception_fp_ieee_div_zero 0
		.amdhsa_exception_fp_ieee_overflow 0
		.amdhsa_exception_fp_ieee_underflow 0
		.amdhsa_exception_fp_ieee_inexact 0
		.amdhsa_exception_int_div_zero 0
	.end_amdhsa_kernel
	.section	.text._ZN7rocprim17ROCPRIM_400000_NS6detail17trampoline_kernelINS0_14default_configENS1_27upper_bound_config_selectorIslEEZNS1_14transform_implILb0ES3_S5_N6thrust23THRUST_200600_302600_NS6detail15normal_iteratorINS8_7pointerIsNS8_11hip_rocprim5par_tENS8_11use_defaultESE_EEEENSA_INSB_IlSD_SE_SE_EEEEZNS1_13binary_searchIS3_S5_NSA_INS8_10device_ptrIsEEEESG_SI_NS1_21upper_bound_search_opENS9_16wrapped_functionINS8_6system6detail7generic6detail18binary_search_lessEbEEEE10hipError_tPvRmT1_T2_T3_mmT4_T5_P12ihipStream_tbEUlRKsE_EESV_SZ_S10_mS11_S14_bEUlT_E_NS1_11comp_targetILNS1_3genE5ELNS1_11target_archE942ELNS1_3gpuE9ELNS1_3repE0EEENS1_30default_config_static_selectorELNS0_4arch9wavefront6targetE1EEEvSY_,"axG",@progbits,_ZN7rocprim17ROCPRIM_400000_NS6detail17trampoline_kernelINS0_14default_configENS1_27upper_bound_config_selectorIslEEZNS1_14transform_implILb0ES3_S5_N6thrust23THRUST_200600_302600_NS6detail15normal_iteratorINS8_7pointerIsNS8_11hip_rocprim5par_tENS8_11use_defaultESE_EEEENSA_INSB_IlSD_SE_SE_EEEEZNS1_13binary_searchIS3_S5_NSA_INS8_10device_ptrIsEEEESG_SI_NS1_21upper_bound_search_opENS9_16wrapped_functionINS8_6system6detail7generic6detail18binary_search_lessEbEEEE10hipError_tPvRmT1_T2_T3_mmT4_T5_P12ihipStream_tbEUlRKsE_EESV_SZ_S10_mS11_S14_bEUlT_E_NS1_11comp_targetILNS1_3genE5ELNS1_11target_archE942ELNS1_3gpuE9ELNS1_3repE0EEENS1_30default_config_static_selectorELNS0_4arch9wavefront6targetE1EEEvSY_,comdat
.Lfunc_end591:
	.size	_ZN7rocprim17ROCPRIM_400000_NS6detail17trampoline_kernelINS0_14default_configENS1_27upper_bound_config_selectorIslEEZNS1_14transform_implILb0ES3_S5_N6thrust23THRUST_200600_302600_NS6detail15normal_iteratorINS8_7pointerIsNS8_11hip_rocprim5par_tENS8_11use_defaultESE_EEEENSA_INSB_IlSD_SE_SE_EEEEZNS1_13binary_searchIS3_S5_NSA_INS8_10device_ptrIsEEEESG_SI_NS1_21upper_bound_search_opENS9_16wrapped_functionINS8_6system6detail7generic6detail18binary_search_lessEbEEEE10hipError_tPvRmT1_T2_T3_mmT4_T5_P12ihipStream_tbEUlRKsE_EESV_SZ_S10_mS11_S14_bEUlT_E_NS1_11comp_targetILNS1_3genE5ELNS1_11target_archE942ELNS1_3gpuE9ELNS1_3repE0EEENS1_30default_config_static_selectorELNS0_4arch9wavefront6targetE1EEEvSY_, .Lfunc_end591-_ZN7rocprim17ROCPRIM_400000_NS6detail17trampoline_kernelINS0_14default_configENS1_27upper_bound_config_selectorIslEEZNS1_14transform_implILb0ES3_S5_N6thrust23THRUST_200600_302600_NS6detail15normal_iteratorINS8_7pointerIsNS8_11hip_rocprim5par_tENS8_11use_defaultESE_EEEENSA_INSB_IlSD_SE_SE_EEEEZNS1_13binary_searchIS3_S5_NSA_INS8_10device_ptrIsEEEESG_SI_NS1_21upper_bound_search_opENS9_16wrapped_functionINS8_6system6detail7generic6detail18binary_search_lessEbEEEE10hipError_tPvRmT1_T2_T3_mmT4_T5_P12ihipStream_tbEUlRKsE_EESV_SZ_S10_mS11_S14_bEUlT_E_NS1_11comp_targetILNS1_3genE5ELNS1_11target_archE942ELNS1_3gpuE9ELNS1_3repE0EEENS1_30default_config_static_selectorELNS0_4arch9wavefront6targetE1EEEvSY_
                                        ; -- End function
	.set _ZN7rocprim17ROCPRIM_400000_NS6detail17trampoline_kernelINS0_14default_configENS1_27upper_bound_config_selectorIslEEZNS1_14transform_implILb0ES3_S5_N6thrust23THRUST_200600_302600_NS6detail15normal_iteratorINS8_7pointerIsNS8_11hip_rocprim5par_tENS8_11use_defaultESE_EEEENSA_INSB_IlSD_SE_SE_EEEEZNS1_13binary_searchIS3_S5_NSA_INS8_10device_ptrIsEEEESG_SI_NS1_21upper_bound_search_opENS9_16wrapped_functionINS8_6system6detail7generic6detail18binary_search_lessEbEEEE10hipError_tPvRmT1_T2_T3_mmT4_T5_P12ihipStream_tbEUlRKsE_EESV_SZ_S10_mS11_S14_bEUlT_E_NS1_11comp_targetILNS1_3genE5ELNS1_11target_archE942ELNS1_3gpuE9ELNS1_3repE0EEENS1_30default_config_static_selectorELNS0_4arch9wavefront6targetE1EEEvSY_.num_vgpr, 0
	.set _ZN7rocprim17ROCPRIM_400000_NS6detail17trampoline_kernelINS0_14default_configENS1_27upper_bound_config_selectorIslEEZNS1_14transform_implILb0ES3_S5_N6thrust23THRUST_200600_302600_NS6detail15normal_iteratorINS8_7pointerIsNS8_11hip_rocprim5par_tENS8_11use_defaultESE_EEEENSA_INSB_IlSD_SE_SE_EEEEZNS1_13binary_searchIS3_S5_NSA_INS8_10device_ptrIsEEEESG_SI_NS1_21upper_bound_search_opENS9_16wrapped_functionINS8_6system6detail7generic6detail18binary_search_lessEbEEEE10hipError_tPvRmT1_T2_T3_mmT4_T5_P12ihipStream_tbEUlRKsE_EESV_SZ_S10_mS11_S14_bEUlT_E_NS1_11comp_targetILNS1_3genE5ELNS1_11target_archE942ELNS1_3gpuE9ELNS1_3repE0EEENS1_30default_config_static_selectorELNS0_4arch9wavefront6targetE1EEEvSY_.num_agpr, 0
	.set _ZN7rocprim17ROCPRIM_400000_NS6detail17trampoline_kernelINS0_14default_configENS1_27upper_bound_config_selectorIslEEZNS1_14transform_implILb0ES3_S5_N6thrust23THRUST_200600_302600_NS6detail15normal_iteratorINS8_7pointerIsNS8_11hip_rocprim5par_tENS8_11use_defaultESE_EEEENSA_INSB_IlSD_SE_SE_EEEEZNS1_13binary_searchIS3_S5_NSA_INS8_10device_ptrIsEEEESG_SI_NS1_21upper_bound_search_opENS9_16wrapped_functionINS8_6system6detail7generic6detail18binary_search_lessEbEEEE10hipError_tPvRmT1_T2_T3_mmT4_T5_P12ihipStream_tbEUlRKsE_EESV_SZ_S10_mS11_S14_bEUlT_E_NS1_11comp_targetILNS1_3genE5ELNS1_11target_archE942ELNS1_3gpuE9ELNS1_3repE0EEENS1_30default_config_static_selectorELNS0_4arch9wavefront6targetE1EEEvSY_.numbered_sgpr, 0
	.set _ZN7rocprim17ROCPRIM_400000_NS6detail17trampoline_kernelINS0_14default_configENS1_27upper_bound_config_selectorIslEEZNS1_14transform_implILb0ES3_S5_N6thrust23THRUST_200600_302600_NS6detail15normal_iteratorINS8_7pointerIsNS8_11hip_rocprim5par_tENS8_11use_defaultESE_EEEENSA_INSB_IlSD_SE_SE_EEEEZNS1_13binary_searchIS3_S5_NSA_INS8_10device_ptrIsEEEESG_SI_NS1_21upper_bound_search_opENS9_16wrapped_functionINS8_6system6detail7generic6detail18binary_search_lessEbEEEE10hipError_tPvRmT1_T2_T3_mmT4_T5_P12ihipStream_tbEUlRKsE_EESV_SZ_S10_mS11_S14_bEUlT_E_NS1_11comp_targetILNS1_3genE5ELNS1_11target_archE942ELNS1_3gpuE9ELNS1_3repE0EEENS1_30default_config_static_selectorELNS0_4arch9wavefront6targetE1EEEvSY_.num_named_barrier, 0
	.set _ZN7rocprim17ROCPRIM_400000_NS6detail17trampoline_kernelINS0_14default_configENS1_27upper_bound_config_selectorIslEEZNS1_14transform_implILb0ES3_S5_N6thrust23THRUST_200600_302600_NS6detail15normal_iteratorINS8_7pointerIsNS8_11hip_rocprim5par_tENS8_11use_defaultESE_EEEENSA_INSB_IlSD_SE_SE_EEEEZNS1_13binary_searchIS3_S5_NSA_INS8_10device_ptrIsEEEESG_SI_NS1_21upper_bound_search_opENS9_16wrapped_functionINS8_6system6detail7generic6detail18binary_search_lessEbEEEE10hipError_tPvRmT1_T2_T3_mmT4_T5_P12ihipStream_tbEUlRKsE_EESV_SZ_S10_mS11_S14_bEUlT_E_NS1_11comp_targetILNS1_3genE5ELNS1_11target_archE942ELNS1_3gpuE9ELNS1_3repE0EEENS1_30default_config_static_selectorELNS0_4arch9wavefront6targetE1EEEvSY_.private_seg_size, 0
	.set _ZN7rocprim17ROCPRIM_400000_NS6detail17trampoline_kernelINS0_14default_configENS1_27upper_bound_config_selectorIslEEZNS1_14transform_implILb0ES3_S5_N6thrust23THRUST_200600_302600_NS6detail15normal_iteratorINS8_7pointerIsNS8_11hip_rocprim5par_tENS8_11use_defaultESE_EEEENSA_INSB_IlSD_SE_SE_EEEEZNS1_13binary_searchIS3_S5_NSA_INS8_10device_ptrIsEEEESG_SI_NS1_21upper_bound_search_opENS9_16wrapped_functionINS8_6system6detail7generic6detail18binary_search_lessEbEEEE10hipError_tPvRmT1_T2_T3_mmT4_T5_P12ihipStream_tbEUlRKsE_EESV_SZ_S10_mS11_S14_bEUlT_E_NS1_11comp_targetILNS1_3genE5ELNS1_11target_archE942ELNS1_3gpuE9ELNS1_3repE0EEENS1_30default_config_static_selectorELNS0_4arch9wavefront6targetE1EEEvSY_.uses_vcc, 0
	.set _ZN7rocprim17ROCPRIM_400000_NS6detail17trampoline_kernelINS0_14default_configENS1_27upper_bound_config_selectorIslEEZNS1_14transform_implILb0ES3_S5_N6thrust23THRUST_200600_302600_NS6detail15normal_iteratorINS8_7pointerIsNS8_11hip_rocprim5par_tENS8_11use_defaultESE_EEEENSA_INSB_IlSD_SE_SE_EEEEZNS1_13binary_searchIS3_S5_NSA_INS8_10device_ptrIsEEEESG_SI_NS1_21upper_bound_search_opENS9_16wrapped_functionINS8_6system6detail7generic6detail18binary_search_lessEbEEEE10hipError_tPvRmT1_T2_T3_mmT4_T5_P12ihipStream_tbEUlRKsE_EESV_SZ_S10_mS11_S14_bEUlT_E_NS1_11comp_targetILNS1_3genE5ELNS1_11target_archE942ELNS1_3gpuE9ELNS1_3repE0EEENS1_30default_config_static_selectorELNS0_4arch9wavefront6targetE1EEEvSY_.uses_flat_scratch, 0
	.set _ZN7rocprim17ROCPRIM_400000_NS6detail17trampoline_kernelINS0_14default_configENS1_27upper_bound_config_selectorIslEEZNS1_14transform_implILb0ES3_S5_N6thrust23THRUST_200600_302600_NS6detail15normal_iteratorINS8_7pointerIsNS8_11hip_rocprim5par_tENS8_11use_defaultESE_EEEENSA_INSB_IlSD_SE_SE_EEEEZNS1_13binary_searchIS3_S5_NSA_INS8_10device_ptrIsEEEESG_SI_NS1_21upper_bound_search_opENS9_16wrapped_functionINS8_6system6detail7generic6detail18binary_search_lessEbEEEE10hipError_tPvRmT1_T2_T3_mmT4_T5_P12ihipStream_tbEUlRKsE_EESV_SZ_S10_mS11_S14_bEUlT_E_NS1_11comp_targetILNS1_3genE5ELNS1_11target_archE942ELNS1_3gpuE9ELNS1_3repE0EEENS1_30default_config_static_selectorELNS0_4arch9wavefront6targetE1EEEvSY_.has_dyn_sized_stack, 0
	.set _ZN7rocprim17ROCPRIM_400000_NS6detail17trampoline_kernelINS0_14default_configENS1_27upper_bound_config_selectorIslEEZNS1_14transform_implILb0ES3_S5_N6thrust23THRUST_200600_302600_NS6detail15normal_iteratorINS8_7pointerIsNS8_11hip_rocprim5par_tENS8_11use_defaultESE_EEEENSA_INSB_IlSD_SE_SE_EEEEZNS1_13binary_searchIS3_S5_NSA_INS8_10device_ptrIsEEEESG_SI_NS1_21upper_bound_search_opENS9_16wrapped_functionINS8_6system6detail7generic6detail18binary_search_lessEbEEEE10hipError_tPvRmT1_T2_T3_mmT4_T5_P12ihipStream_tbEUlRKsE_EESV_SZ_S10_mS11_S14_bEUlT_E_NS1_11comp_targetILNS1_3genE5ELNS1_11target_archE942ELNS1_3gpuE9ELNS1_3repE0EEENS1_30default_config_static_selectorELNS0_4arch9wavefront6targetE1EEEvSY_.has_recursion, 0
	.set _ZN7rocprim17ROCPRIM_400000_NS6detail17trampoline_kernelINS0_14default_configENS1_27upper_bound_config_selectorIslEEZNS1_14transform_implILb0ES3_S5_N6thrust23THRUST_200600_302600_NS6detail15normal_iteratorINS8_7pointerIsNS8_11hip_rocprim5par_tENS8_11use_defaultESE_EEEENSA_INSB_IlSD_SE_SE_EEEEZNS1_13binary_searchIS3_S5_NSA_INS8_10device_ptrIsEEEESG_SI_NS1_21upper_bound_search_opENS9_16wrapped_functionINS8_6system6detail7generic6detail18binary_search_lessEbEEEE10hipError_tPvRmT1_T2_T3_mmT4_T5_P12ihipStream_tbEUlRKsE_EESV_SZ_S10_mS11_S14_bEUlT_E_NS1_11comp_targetILNS1_3genE5ELNS1_11target_archE942ELNS1_3gpuE9ELNS1_3repE0EEENS1_30default_config_static_selectorELNS0_4arch9wavefront6targetE1EEEvSY_.has_indirect_call, 0
	.section	.AMDGPU.csdata,"",@progbits
; Kernel info:
; codeLenInByte = 0
; TotalNumSgprs: 4
; NumVgprs: 0
; ScratchSize: 0
; MemoryBound: 0
; FloatMode: 240
; IeeeMode: 1
; LDSByteSize: 0 bytes/workgroup (compile time only)
; SGPRBlocks: 0
; VGPRBlocks: 0
; NumSGPRsForWavesPerEU: 4
; NumVGPRsForWavesPerEU: 1
; Occupancy: 10
; WaveLimiterHint : 0
; COMPUTE_PGM_RSRC2:SCRATCH_EN: 0
; COMPUTE_PGM_RSRC2:USER_SGPR: 6
; COMPUTE_PGM_RSRC2:TRAP_HANDLER: 0
; COMPUTE_PGM_RSRC2:TGID_X_EN: 1
; COMPUTE_PGM_RSRC2:TGID_Y_EN: 0
; COMPUTE_PGM_RSRC2:TGID_Z_EN: 0
; COMPUTE_PGM_RSRC2:TIDIG_COMP_CNT: 0
	.section	.text._ZN7rocprim17ROCPRIM_400000_NS6detail17trampoline_kernelINS0_14default_configENS1_27upper_bound_config_selectorIslEEZNS1_14transform_implILb0ES3_S5_N6thrust23THRUST_200600_302600_NS6detail15normal_iteratorINS8_7pointerIsNS8_11hip_rocprim5par_tENS8_11use_defaultESE_EEEENSA_INSB_IlSD_SE_SE_EEEEZNS1_13binary_searchIS3_S5_NSA_INS8_10device_ptrIsEEEESG_SI_NS1_21upper_bound_search_opENS9_16wrapped_functionINS8_6system6detail7generic6detail18binary_search_lessEbEEEE10hipError_tPvRmT1_T2_T3_mmT4_T5_P12ihipStream_tbEUlRKsE_EESV_SZ_S10_mS11_S14_bEUlT_E_NS1_11comp_targetILNS1_3genE4ELNS1_11target_archE910ELNS1_3gpuE8ELNS1_3repE0EEENS1_30default_config_static_selectorELNS0_4arch9wavefront6targetE1EEEvSY_,"axG",@progbits,_ZN7rocprim17ROCPRIM_400000_NS6detail17trampoline_kernelINS0_14default_configENS1_27upper_bound_config_selectorIslEEZNS1_14transform_implILb0ES3_S5_N6thrust23THRUST_200600_302600_NS6detail15normal_iteratorINS8_7pointerIsNS8_11hip_rocprim5par_tENS8_11use_defaultESE_EEEENSA_INSB_IlSD_SE_SE_EEEEZNS1_13binary_searchIS3_S5_NSA_INS8_10device_ptrIsEEEESG_SI_NS1_21upper_bound_search_opENS9_16wrapped_functionINS8_6system6detail7generic6detail18binary_search_lessEbEEEE10hipError_tPvRmT1_T2_T3_mmT4_T5_P12ihipStream_tbEUlRKsE_EESV_SZ_S10_mS11_S14_bEUlT_E_NS1_11comp_targetILNS1_3genE4ELNS1_11target_archE910ELNS1_3gpuE8ELNS1_3repE0EEENS1_30default_config_static_selectorELNS0_4arch9wavefront6targetE1EEEvSY_,comdat
	.protected	_ZN7rocprim17ROCPRIM_400000_NS6detail17trampoline_kernelINS0_14default_configENS1_27upper_bound_config_selectorIslEEZNS1_14transform_implILb0ES3_S5_N6thrust23THRUST_200600_302600_NS6detail15normal_iteratorINS8_7pointerIsNS8_11hip_rocprim5par_tENS8_11use_defaultESE_EEEENSA_INSB_IlSD_SE_SE_EEEEZNS1_13binary_searchIS3_S5_NSA_INS8_10device_ptrIsEEEESG_SI_NS1_21upper_bound_search_opENS9_16wrapped_functionINS8_6system6detail7generic6detail18binary_search_lessEbEEEE10hipError_tPvRmT1_T2_T3_mmT4_T5_P12ihipStream_tbEUlRKsE_EESV_SZ_S10_mS11_S14_bEUlT_E_NS1_11comp_targetILNS1_3genE4ELNS1_11target_archE910ELNS1_3gpuE8ELNS1_3repE0EEENS1_30default_config_static_selectorELNS0_4arch9wavefront6targetE1EEEvSY_ ; -- Begin function _ZN7rocprim17ROCPRIM_400000_NS6detail17trampoline_kernelINS0_14default_configENS1_27upper_bound_config_selectorIslEEZNS1_14transform_implILb0ES3_S5_N6thrust23THRUST_200600_302600_NS6detail15normal_iteratorINS8_7pointerIsNS8_11hip_rocprim5par_tENS8_11use_defaultESE_EEEENSA_INSB_IlSD_SE_SE_EEEEZNS1_13binary_searchIS3_S5_NSA_INS8_10device_ptrIsEEEESG_SI_NS1_21upper_bound_search_opENS9_16wrapped_functionINS8_6system6detail7generic6detail18binary_search_lessEbEEEE10hipError_tPvRmT1_T2_T3_mmT4_T5_P12ihipStream_tbEUlRKsE_EESV_SZ_S10_mS11_S14_bEUlT_E_NS1_11comp_targetILNS1_3genE4ELNS1_11target_archE910ELNS1_3gpuE8ELNS1_3repE0EEENS1_30default_config_static_selectorELNS0_4arch9wavefront6targetE1EEEvSY_
	.globl	_ZN7rocprim17ROCPRIM_400000_NS6detail17trampoline_kernelINS0_14default_configENS1_27upper_bound_config_selectorIslEEZNS1_14transform_implILb0ES3_S5_N6thrust23THRUST_200600_302600_NS6detail15normal_iteratorINS8_7pointerIsNS8_11hip_rocprim5par_tENS8_11use_defaultESE_EEEENSA_INSB_IlSD_SE_SE_EEEEZNS1_13binary_searchIS3_S5_NSA_INS8_10device_ptrIsEEEESG_SI_NS1_21upper_bound_search_opENS9_16wrapped_functionINS8_6system6detail7generic6detail18binary_search_lessEbEEEE10hipError_tPvRmT1_T2_T3_mmT4_T5_P12ihipStream_tbEUlRKsE_EESV_SZ_S10_mS11_S14_bEUlT_E_NS1_11comp_targetILNS1_3genE4ELNS1_11target_archE910ELNS1_3gpuE8ELNS1_3repE0EEENS1_30default_config_static_selectorELNS0_4arch9wavefront6targetE1EEEvSY_
	.p2align	8
	.type	_ZN7rocprim17ROCPRIM_400000_NS6detail17trampoline_kernelINS0_14default_configENS1_27upper_bound_config_selectorIslEEZNS1_14transform_implILb0ES3_S5_N6thrust23THRUST_200600_302600_NS6detail15normal_iteratorINS8_7pointerIsNS8_11hip_rocprim5par_tENS8_11use_defaultESE_EEEENSA_INSB_IlSD_SE_SE_EEEEZNS1_13binary_searchIS3_S5_NSA_INS8_10device_ptrIsEEEESG_SI_NS1_21upper_bound_search_opENS9_16wrapped_functionINS8_6system6detail7generic6detail18binary_search_lessEbEEEE10hipError_tPvRmT1_T2_T3_mmT4_T5_P12ihipStream_tbEUlRKsE_EESV_SZ_S10_mS11_S14_bEUlT_E_NS1_11comp_targetILNS1_3genE4ELNS1_11target_archE910ELNS1_3gpuE8ELNS1_3repE0EEENS1_30default_config_static_selectorELNS0_4arch9wavefront6targetE1EEEvSY_,@function
_ZN7rocprim17ROCPRIM_400000_NS6detail17trampoline_kernelINS0_14default_configENS1_27upper_bound_config_selectorIslEEZNS1_14transform_implILb0ES3_S5_N6thrust23THRUST_200600_302600_NS6detail15normal_iteratorINS8_7pointerIsNS8_11hip_rocprim5par_tENS8_11use_defaultESE_EEEENSA_INSB_IlSD_SE_SE_EEEEZNS1_13binary_searchIS3_S5_NSA_INS8_10device_ptrIsEEEESG_SI_NS1_21upper_bound_search_opENS9_16wrapped_functionINS8_6system6detail7generic6detail18binary_search_lessEbEEEE10hipError_tPvRmT1_T2_T3_mmT4_T5_P12ihipStream_tbEUlRKsE_EESV_SZ_S10_mS11_S14_bEUlT_E_NS1_11comp_targetILNS1_3genE4ELNS1_11target_archE910ELNS1_3gpuE8ELNS1_3repE0EEENS1_30default_config_static_selectorELNS0_4arch9wavefront6targetE1EEEvSY_: ; @_ZN7rocprim17ROCPRIM_400000_NS6detail17trampoline_kernelINS0_14default_configENS1_27upper_bound_config_selectorIslEEZNS1_14transform_implILb0ES3_S5_N6thrust23THRUST_200600_302600_NS6detail15normal_iteratorINS8_7pointerIsNS8_11hip_rocprim5par_tENS8_11use_defaultESE_EEEENSA_INSB_IlSD_SE_SE_EEEEZNS1_13binary_searchIS3_S5_NSA_INS8_10device_ptrIsEEEESG_SI_NS1_21upper_bound_search_opENS9_16wrapped_functionINS8_6system6detail7generic6detail18binary_search_lessEbEEEE10hipError_tPvRmT1_T2_T3_mmT4_T5_P12ihipStream_tbEUlRKsE_EESV_SZ_S10_mS11_S14_bEUlT_E_NS1_11comp_targetILNS1_3genE4ELNS1_11target_archE910ELNS1_3gpuE8ELNS1_3repE0EEENS1_30default_config_static_selectorELNS0_4arch9wavefront6targetE1EEEvSY_
; %bb.0:
	.section	.rodata,"a",@progbits
	.p2align	6, 0x0
	.amdhsa_kernel _ZN7rocprim17ROCPRIM_400000_NS6detail17trampoline_kernelINS0_14default_configENS1_27upper_bound_config_selectorIslEEZNS1_14transform_implILb0ES3_S5_N6thrust23THRUST_200600_302600_NS6detail15normal_iteratorINS8_7pointerIsNS8_11hip_rocprim5par_tENS8_11use_defaultESE_EEEENSA_INSB_IlSD_SE_SE_EEEEZNS1_13binary_searchIS3_S5_NSA_INS8_10device_ptrIsEEEESG_SI_NS1_21upper_bound_search_opENS9_16wrapped_functionINS8_6system6detail7generic6detail18binary_search_lessEbEEEE10hipError_tPvRmT1_T2_T3_mmT4_T5_P12ihipStream_tbEUlRKsE_EESV_SZ_S10_mS11_S14_bEUlT_E_NS1_11comp_targetILNS1_3genE4ELNS1_11target_archE910ELNS1_3gpuE8ELNS1_3repE0EEENS1_30default_config_static_selectorELNS0_4arch9wavefront6targetE1EEEvSY_
		.amdhsa_group_segment_fixed_size 0
		.amdhsa_private_segment_fixed_size 0
		.amdhsa_kernarg_size 56
		.amdhsa_user_sgpr_count 6
		.amdhsa_user_sgpr_private_segment_buffer 1
		.amdhsa_user_sgpr_dispatch_ptr 0
		.amdhsa_user_sgpr_queue_ptr 0
		.amdhsa_user_sgpr_kernarg_segment_ptr 1
		.amdhsa_user_sgpr_dispatch_id 0
		.amdhsa_user_sgpr_flat_scratch_init 0
		.amdhsa_user_sgpr_private_segment_size 0
		.amdhsa_uses_dynamic_stack 0
		.amdhsa_system_sgpr_private_segment_wavefront_offset 0
		.amdhsa_system_sgpr_workgroup_id_x 1
		.amdhsa_system_sgpr_workgroup_id_y 0
		.amdhsa_system_sgpr_workgroup_id_z 0
		.amdhsa_system_sgpr_workgroup_info 0
		.amdhsa_system_vgpr_workitem_id 0
		.amdhsa_next_free_vgpr 1
		.amdhsa_next_free_sgpr 0
		.amdhsa_reserve_vcc 0
		.amdhsa_reserve_flat_scratch 0
		.amdhsa_float_round_mode_32 0
		.amdhsa_float_round_mode_16_64 0
		.amdhsa_float_denorm_mode_32 3
		.amdhsa_float_denorm_mode_16_64 3
		.amdhsa_dx10_clamp 1
		.amdhsa_ieee_mode 1
		.amdhsa_fp16_overflow 0
		.amdhsa_exception_fp_ieee_invalid_op 0
		.amdhsa_exception_fp_denorm_src 0
		.amdhsa_exception_fp_ieee_div_zero 0
		.amdhsa_exception_fp_ieee_overflow 0
		.amdhsa_exception_fp_ieee_underflow 0
		.amdhsa_exception_fp_ieee_inexact 0
		.amdhsa_exception_int_div_zero 0
	.end_amdhsa_kernel
	.section	.text._ZN7rocprim17ROCPRIM_400000_NS6detail17trampoline_kernelINS0_14default_configENS1_27upper_bound_config_selectorIslEEZNS1_14transform_implILb0ES3_S5_N6thrust23THRUST_200600_302600_NS6detail15normal_iteratorINS8_7pointerIsNS8_11hip_rocprim5par_tENS8_11use_defaultESE_EEEENSA_INSB_IlSD_SE_SE_EEEEZNS1_13binary_searchIS3_S5_NSA_INS8_10device_ptrIsEEEESG_SI_NS1_21upper_bound_search_opENS9_16wrapped_functionINS8_6system6detail7generic6detail18binary_search_lessEbEEEE10hipError_tPvRmT1_T2_T3_mmT4_T5_P12ihipStream_tbEUlRKsE_EESV_SZ_S10_mS11_S14_bEUlT_E_NS1_11comp_targetILNS1_3genE4ELNS1_11target_archE910ELNS1_3gpuE8ELNS1_3repE0EEENS1_30default_config_static_selectorELNS0_4arch9wavefront6targetE1EEEvSY_,"axG",@progbits,_ZN7rocprim17ROCPRIM_400000_NS6detail17trampoline_kernelINS0_14default_configENS1_27upper_bound_config_selectorIslEEZNS1_14transform_implILb0ES3_S5_N6thrust23THRUST_200600_302600_NS6detail15normal_iteratorINS8_7pointerIsNS8_11hip_rocprim5par_tENS8_11use_defaultESE_EEEENSA_INSB_IlSD_SE_SE_EEEEZNS1_13binary_searchIS3_S5_NSA_INS8_10device_ptrIsEEEESG_SI_NS1_21upper_bound_search_opENS9_16wrapped_functionINS8_6system6detail7generic6detail18binary_search_lessEbEEEE10hipError_tPvRmT1_T2_T3_mmT4_T5_P12ihipStream_tbEUlRKsE_EESV_SZ_S10_mS11_S14_bEUlT_E_NS1_11comp_targetILNS1_3genE4ELNS1_11target_archE910ELNS1_3gpuE8ELNS1_3repE0EEENS1_30default_config_static_selectorELNS0_4arch9wavefront6targetE1EEEvSY_,comdat
.Lfunc_end592:
	.size	_ZN7rocprim17ROCPRIM_400000_NS6detail17trampoline_kernelINS0_14default_configENS1_27upper_bound_config_selectorIslEEZNS1_14transform_implILb0ES3_S5_N6thrust23THRUST_200600_302600_NS6detail15normal_iteratorINS8_7pointerIsNS8_11hip_rocprim5par_tENS8_11use_defaultESE_EEEENSA_INSB_IlSD_SE_SE_EEEEZNS1_13binary_searchIS3_S5_NSA_INS8_10device_ptrIsEEEESG_SI_NS1_21upper_bound_search_opENS9_16wrapped_functionINS8_6system6detail7generic6detail18binary_search_lessEbEEEE10hipError_tPvRmT1_T2_T3_mmT4_T5_P12ihipStream_tbEUlRKsE_EESV_SZ_S10_mS11_S14_bEUlT_E_NS1_11comp_targetILNS1_3genE4ELNS1_11target_archE910ELNS1_3gpuE8ELNS1_3repE0EEENS1_30default_config_static_selectorELNS0_4arch9wavefront6targetE1EEEvSY_, .Lfunc_end592-_ZN7rocprim17ROCPRIM_400000_NS6detail17trampoline_kernelINS0_14default_configENS1_27upper_bound_config_selectorIslEEZNS1_14transform_implILb0ES3_S5_N6thrust23THRUST_200600_302600_NS6detail15normal_iteratorINS8_7pointerIsNS8_11hip_rocprim5par_tENS8_11use_defaultESE_EEEENSA_INSB_IlSD_SE_SE_EEEEZNS1_13binary_searchIS3_S5_NSA_INS8_10device_ptrIsEEEESG_SI_NS1_21upper_bound_search_opENS9_16wrapped_functionINS8_6system6detail7generic6detail18binary_search_lessEbEEEE10hipError_tPvRmT1_T2_T3_mmT4_T5_P12ihipStream_tbEUlRKsE_EESV_SZ_S10_mS11_S14_bEUlT_E_NS1_11comp_targetILNS1_3genE4ELNS1_11target_archE910ELNS1_3gpuE8ELNS1_3repE0EEENS1_30default_config_static_selectorELNS0_4arch9wavefront6targetE1EEEvSY_
                                        ; -- End function
	.set _ZN7rocprim17ROCPRIM_400000_NS6detail17trampoline_kernelINS0_14default_configENS1_27upper_bound_config_selectorIslEEZNS1_14transform_implILb0ES3_S5_N6thrust23THRUST_200600_302600_NS6detail15normal_iteratorINS8_7pointerIsNS8_11hip_rocprim5par_tENS8_11use_defaultESE_EEEENSA_INSB_IlSD_SE_SE_EEEEZNS1_13binary_searchIS3_S5_NSA_INS8_10device_ptrIsEEEESG_SI_NS1_21upper_bound_search_opENS9_16wrapped_functionINS8_6system6detail7generic6detail18binary_search_lessEbEEEE10hipError_tPvRmT1_T2_T3_mmT4_T5_P12ihipStream_tbEUlRKsE_EESV_SZ_S10_mS11_S14_bEUlT_E_NS1_11comp_targetILNS1_3genE4ELNS1_11target_archE910ELNS1_3gpuE8ELNS1_3repE0EEENS1_30default_config_static_selectorELNS0_4arch9wavefront6targetE1EEEvSY_.num_vgpr, 0
	.set _ZN7rocprim17ROCPRIM_400000_NS6detail17trampoline_kernelINS0_14default_configENS1_27upper_bound_config_selectorIslEEZNS1_14transform_implILb0ES3_S5_N6thrust23THRUST_200600_302600_NS6detail15normal_iteratorINS8_7pointerIsNS8_11hip_rocprim5par_tENS8_11use_defaultESE_EEEENSA_INSB_IlSD_SE_SE_EEEEZNS1_13binary_searchIS3_S5_NSA_INS8_10device_ptrIsEEEESG_SI_NS1_21upper_bound_search_opENS9_16wrapped_functionINS8_6system6detail7generic6detail18binary_search_lessEbEEEE10hipError_tPvRmT1_T2_T3_mmT4_T5_P12ihipStream_tbEUlRKsE_EESV_SZ_S10_mS11_S14_bEUlT_E_NS1_11comp_targetILNS1_3genE4ELNS1_11target_archE910ELNS1_3gpuE8ELNS1_3repE0EEENS1_30default_config_static_selectorELNS0_4arch9wavefront6targetE1EEEvSY_.num_agpr, 0
	.set _ZN7rocprim17ROCPRIM_400000_NS6detail17trampoline_kernelINS0_14default_configENS1_27upper_bound_config_selectorIslEEZNS1_14transform_implILb0ES3_S5_N6thrust23THRUST_200600_302600_NS6detail15normal_iteratorINS8_7pointerIsNS8_11hip_rocprim5par_tENS8_11use_defaultESE_EEEENSA_INSB_IlSD_SE_SE_EEEEZNS1_13binary_searchIS3_S5_NSA_INS8_10device_ptrIsEEEESG_SI_NS1_21upper_bound_search_opENS9_16wrapped_functionINS8_6system6detail7generic6detail18binary_search_lessEbEEEE10hipError_tPvRmT1_T2_T3_mmT4_T5_P12ihipStream_tbEUlRKsE_EESV_SZ_S10_mS11_S14_bEUlT_E_NS1_11comp_targetILNS1_3genE4ELNS1_11target_archE910ELNS1_3gpuE8ELNS1_3repE0EEENS1_30default_config_static_selectorELNS0_4arch9wavefront6targetE1EEEvSY_.numbered_sgpr, 0
	.set _ZN7rocprim17ROCPRIM_400000_NS6detail17trampoline_kernelINS0_14default_configENS1_27upper_bound_config_selectorIslEEZNS1_14transform_implILb0ES3_S5_N6thrust23THRUST_200600_302600_NS6detail15normal_iteratorINS8_7pointerIsNS8_11hip_rocprim5par_tENS8_11use_defaultESE_EEEENSA_INSB_IlSD_SE_SE_EEEEZNS1_13binary_searchIS3_S5_NSA_INS8_10device_ptrIsEEEESG_SI_NS1_21upper_bound_search_opENS9_16wrapped_functionINS8_6system6detail7generic6detail18binary_search_lessEbEEEE10hipError_tPvRmT1_T2_T3_mmT4_T5_P12ihipStream_tbEUlRKsE_EESV_SZ_S10_mS11_S14_bEUlT_E_NS1_11comp_targetILNS1_3genE4ELNS1_11target_archE910ELNS1_3gpuE8ELNS1_3repE0EEENS1_30default_config_static_selectorELNS0_4arch9wavefront6targetE1EEEvSY_.num_named_barrier, 0
	.set _ZN7rocprim17ROCPRIM_400000_NS6detail17trampoline_kernelINS0_14default_configENS1_27upper_bound_config_selectorIslEEZNS1_14transform_implILb0ES3_S5_N6thrust23THRUST_200600_302600_NS6detail15normal_iteratorINS8_7pointerIsNS8_11hip_rocprim5par_tENS8_11use_defaultESE_EEEENSA_INSB_IlSD_SE_SE_EEEEZNS1_13binary_searchIS3_S5_NSA_INS8_10device_ptrIsEEEESG_SI_NS1_21upper_bound_search_opENS9_16wrapped_functionINS8_6system6detail7generic6detail18binary_search_lessEbEEEE10hipError_tPvRmT1_T2_T3_mmT4_T5_P12ihipStream_tbEUlRKsE_EESV_SZ_S10_mS11_S14_bEUlT_E_NS1_11comp_targetILNS1_3genE4ELNS1_11target_archE910ELNS1_3gpuE8ELNS1_3repE0EEENS1_30default_config_static_selectorELNS0_4arch9wavefront6targetE1EEEvSY_.private_seg_size, 0
	.set _ZN7rocprim17ROCPRIM_400000_NS6detail17trampoline_kernelINS0_14default_configENS1_27upper_bound_config_selectorIslEEZNS1_14transform_implILb0ES3_S5_N6thrust23THRUST_200600_302600_NS6detail15normal_iteratorINS8_7pointerIsNS8_11hip_rocprim5par_tENS8_11use_defaultESE_EEEENSA_INSB_IlSD_SE_SE_EEEEZNS1_13binary_searchIS3_S5_NSA_INS8_10device_ptrIsEEEESG_SI_NS1_21upper_bound_search_opENS9_16wrapped_functionINS8_6system6detail7generic6detail18binary_search_lessEbEEEE10hipError_tPvRmT1_T2_T3_mmT4_T5_P12ihipStream_tbEUlRKsE_EESV_SZ_S10_mS11_S14_bEUlT_E_NS1_11comp_targetILNS1_3genE4ELNS1_11target_archE910ELNS1_3gpuE8ELNS1_3repE0EEENS1_30default_config_static_selectorELNS0_4arch9wavefront6targetE1EEEvSY_.uses_vcc, 0
	.set _ZN7rocprim17ROCPRIM_400000_NS6detail17trampoline_kernelINS0_14default_configENS1_27upper_bound_config_selectorIslEEZNS1_14transform_implILb0ES3_S5_N6thrust23THRUST_200600_302600_NS6detail15normal_iteratorINS8_7pointerIsNS8_11hip_rocprim5par_tENS8_11use_defaultESE_EEEENSA_INSB_IlSD_SE_SE_EEEEZNS1_13binary_searchIS3_S5_NSA_INS8_10device_ptrIsEEEESG_SI_NS1_21upper_bound_search_opENS9_16wrapped_functionINS8_6system6detail7generic6detail18binary_search_lessEbEEEE10hipError_tPvRmT1_T2_T3_mmT4_T5_P12ihipStream_tbEUlRKsE_EESV_SZ_S10_mS11_S14_bEUlT_E_NS1_11comp_targetILNS1_3genE4ELNS1_11target_archE910ELNS1_3gpuE8ELNS1_3repE0EEENS1_30default_config_static_selectorELNS0_4arch9wavefront6targetE1EEEvSY_.uses_flat_scratch, 0
	.set _ZN7rocprim17ROCPRIM_400000_NS6detail17trampoline_kernelINS0_14default_configENS1_27upper_bound_config_selectorIslEEZNS1_14transform_implILb0ES3_S5_N6thrust23THRUST_200600_302600_NS6detail15normal_iteratorINS8_7pointerIsNS8_11hip_rocprim5par_tENS8_11use_defaultESE_EEEENSA_INSB_IlSD_SE_SE_EEEEZNS1_13binary_searchIS3_S5_NSA_INS8_10device_ptrIsEEEESG_SI_NS1_21upper_bound_search_opENS9_16wrapped_functionINS8_6system6detail7generic6detail18binary_search_lessEbEEEE10hipError_tPvRmT1_T2_T3_mmT4_T5_P12ihipStream_tbEUlRKsE_EESV_SZ_S10_mS11_S14_bEUlT_E_NS1_11comp_targetILNS1_3genE4ELNS1_11target_archE910ELNS1_3gpuE8ELNS1_3repE0EEENS1_30default_config_static_selectorELNS0_4arch9wavefront6targetE1EEEvSY_.has_dyn_sized_stack, 0
	.set _ZN7rocprim17ROCPRIM_400000_NS6detail17trampoline_kernelINS0_14default_configENS1_27upper_bound_config_selectorIslEEZNS1_14transform_implILb0ES3_S5_N6thrust23THRUST_200600_302600_NS6detail15normal_iteratorINS8_7pointerIsNS8_11hip_rocprim5par_tENS8_11use_defaultESE_EEEENSA_INSB_IlSD_SE_SE_EEEEZNS1_13binary_searchIS3_S5_NSA_INS8_10device_ptrIsEEEESG_SI_NS1_21upper_bound_search_opENS9_16wrapped_functionINS8_6system6detail7generic6detail18binary_search_lessEbEEEE10hipError_tPvRmT1_T2_T3_mmT4_T5_P12ihipStream_tbEUlRKsE_EESV_SZ_S10_mS11_S14_bEUlT_E_NS1_11comp_targetILNS1_3genE4ELNS1_11target_archE910ELNS1_3gpuE8ELNS1_3repE0EEENS1_30default_config_static_selectorELNS0_4arch9wavefront6targetE1EEEvSY_.has_recursion, 0
	.set _ZN7rocprim17ROCPRIM_400000_NS6detail17trampoline_kernelINS0_14default_configENS1_27upper_bound_config_selectorIslEEZNS1_14transform_implILb0ES3_S5_N6thrust23THRUST_200600_302600_NS6detail15normal_iteratorINS8_7pointerIsNS8_11hip_rocprim5par_tENS8_11use_defaultESE_EEEENSA_INSB_IlSD_SE_SE_EEEEZNS1_13binary_searchIS3_S5_NSA_INS8_10device_ptrIsEEEESG_SI_NS1_21upper_bound_search_opENS9_16wrapped_functionINS8_6system6detail7generic6detail18binary_search_lessEbEEEE10hipError_tPvRmT1_T2_T3_mmT4_T5_P12ihipStream_tbEUlRKsE_EESV_SZ_S10_mS11_S14_bEUlT_E_NS1_11comp_targetILNS1_3genE4ELNS1_11target_archE910ELNS1_3gpuE8ELNS1_3repE0EEENS1_30default_config_static_selectorELNS0_4arch9wavefront6targetE1EEEvSY_.has_indirect_call, 0
	.section	.AMDGPU.csdata,"",@progbits
; Kernel info:
; codeLenInByte = 0
; TotalNumSgprs: 4
; NumVgprs: 0
; ScratchSize: 0
; MemoryBound: 0
; FloatMode: 240
; IeeeMode: 1
; LDSByteSize: 0 bytes/workgroup (compile time only)
; SGPRBlocks: 0
; VGPRBlocks: 0
; NumSGPRsForWavesPerEU: 4
; NumVGPRsForWavesPerEU: 1
; Occupancy: 10
; WaveLimiterHint : 0
; COMPUTE_PGM_RSRC2:SCRATCH_EN: 0
; COMPUTE_PGM_RSRC2:USER_SGPR: 6
; COMPUTE_PGM_RSRC2:TRAP_HANDLER: 0
; COMPUTE_PGM_RSRC2:TGID_X_EN: 1
; COMPUTE_PGM_RSRC2:TGID_Y_EN: 0
; COMPUTE_PGM_RSRC2:TGID_Z_EN: 0
; COMPUTE_PGM_RSRC2:TIDIG_COMP_CNT: 0
	.section	.text._ZN7rocprim17ROCPRIM_400000_NS6detail17trampoline_kernelINS0_14default_configENS1_27upper_bound_config_selectorIslEEZNS1_14transform_implILb0ES3_S5_N6thrust23THRUST_200600_302600_NS6detail15normal_iteratorINS8_7pointerIsNS8_11hip_rocprim5par_tENS8_11use_defaultESE_EEEENSA_INSB_IlSD_SE_SE_EEEEZNS1_13binary_searchIS3_S5_NSA_INS8_10device_ptrIsEEEESG_SI_NS1_21upper_bound_search_opENS9_16wrapped_functionINS8_6system6detail7generic6detail18binary_search_lessEbEEEE10hipError_tPvRmT1_T2_T3_mmT4_T5_P12ihipStream_tbEUlRKsE_EESV_SZ_S10_mS11_S14_bEUlT_E_NS1_11comp_targetILNS1_3genE3ELNS1_11target_archE908ELNS1_3gpuE7ELNS1_3repE0EEENS1_30default_config_static_selectorELNS0_4arch9wavefront6targetE1EEEvSY_,"axG",@progbits,_ZN7rocprim17ROCPRIM_400000_NS6detail17trampoline_kernelINS0_14default_configENS1_27upper_bound_config_selectorIslEEZNS1_14transform_implILb0ES3_S5_N6thrust23THRUST_200600_302600_NS6detail15normal_iteratorINS8_7pointerIsNS8_11hip_rocprim5par_tENS8_11use_defaultESE_EEEENSA_INSB_IlSD_SE_SE_EEEEZNS1_13binary_searchIS3_S5_NSA_INS8_10device_ptrIsEEEESG_SI_NS1_21upper_bound_search_opENS9_16wrapped_functionINS8_6system6detail7generic6detail18binary_search_lessEbEEEE10hipError_tPvRmT1_T2_T3_mmT4_T5_P12ihipStream_tbEUlRKsE_EESV_SZ_S10_mS11_S14_bEUlT_E_NS1_11comp_targetILNS1_3genE3ELNS1_11target_archE908ELNS1_3gpuE7ELNS1_3repE0EEENS1_30default_config_static_selectorELNS0_4arch9wavefront6targetE1EEEvSY_,comdat
	.protected	_ZN7rocprim17ROCPRIM_400000_NS6detail17trampoline_kernelINS0_14default_configENS1_27upper_bound_config_selectorIslEEZNS1_14transform_implILb0ES3_S5_N6thrust23THRUST_200600_302600_NS6detail15normal_iteratorINS8_7pointerIsNS8_11hip_rocprim5par_tENS8_11use_defaultESE_EEEENSA_INSB_IlSD_SE_SE_EEEEZNS1_13binary_searchIS3_S5_NSA_INS8_10device_ptrIsEEEESG_SI_NS1_21upper_bound_search_opENS9_16wrapped_functionINS8_6system6detail7generic6detail18binary_search_lessEbEEEE10hipError_tPvRmT1_T2_T3_mmT4_T5_P12ihipStream_tbEUlRKsE_EESV_SZ_S10_mS11_S14_bEUlT_E_NS1_11comp_targetILNS1_3genE3ELNS1_11target_archE908ELNS1_3gpuE7ELNS1_3repE0EEENS1_30default_config_static_selectorELNS0_4arch9wavefront6targetE1EEEvSY_ ; -- Begin function _ZN7rocprim17ROCPRIM_400000_NS6detail17trampoline_kernelINS0_14default_configENS1_27upper_bound_config_selectorIslEEZNS1_14transform_implILb0ES3_S5_N6thrust23THRUST_200600_302600_NS6detail15normal_iteratorINS8_7pointerIsNS8_11hip_rocprim5par_tENS8_11use_defaultESE_EEEENSA_INSB_IlSD_SE_SE_EEEEZNS1_13binary_searchIS3_S5_NSA_INS8_10device_ptrIsEEEESG_SI_NS1_21upper_bound_search_opENS9_16wrapped_functionINS8_6system6detail7generic6detail18binary_search_lessEbEEEE10hipError_tPvRmT1_T2_T3_mmT4_T5_P12ihipStream_tbEUlRKsE_EESV_SZ_S10_mS11_S14_bEUlT_E_NS1_11comp_targetILNS1_3genE3ELNS1_11target_archE908ELNS1_3gpuE7ELNS1_3repE0EEENS1_30default_config_static_selectorELNS0_4arch9wavefront6targetE1EEEvSY_
	.globl	_ZN7rocprim17ROCPRIM_400000_NS6detail17trampoline_kernelINS0_14default_configENS1_27upper_bound_config_selectorIslEEZNS1_14transform_implILb0ES3_S5_N6thrust23THRUST_200600_302600_NS6detail15normal_iteratorINS8_7pointerIsNS8_11hip_rocprim5par_tENS8_11use_defaultESE_EEEENSA_INSB_IlSD_SE_SE_EEEEZNS1_13binary_searchIS3_S5_NSA_INS8_10device_ptrIsEEEESG_SI_NS1_21upper_bound_search_opENS9_16wrapped_functionINS8_6system6detail7generic6detail18binary_search_lessEbEEEE10hipError_tPvRmT1_T2_T3_mmT4_T5_P12ihipStream_tbEUlRKsE_EESV_SZ_S10_mS11_S14_bEUlT_E_NS1_11comp_targetILNS1_3genE3ELNS1_11target_archE908ELNS1_3gpuE7ELNS1_3repE0EEENS1_30default_config_static_selectorELNS0_4arch9wavefront6targetE1EEEvSY_
	.p2align	8
	.type	_ZN7rocprim17ROCPRIM_400000_NS6detail17trampoline_kernelINS0_14default_configENS1_27upper_bound_config_selectorIslEEZNS1_14transform_implILb0ES3_S5_N6thrust23THRUST_200600_302600_NS6detail15normal_iteratorINS8_7pointerIsNS8_11hip_rocprim5par_tENS8_11use_defaultESE_EEEENSA_INSB_IlSD_SE_SE_EEEEZNS1_13binary_searchIS3_S5_NSA_INS8_10device_ptrIsEEEESG_SI_NS1_21upper_bound_search_opENS9_16wrapped_functionINS8_6system6detail7generic6detail18binary_search_lessEbEEEE10hipError_tPvRmT1_T2_T3_mmT4_T5_P12ihipStream_tbEUlRKsE_EESV_SZ_S10_mS11_S14_bEUlT_E_NS1_11comp_targetILNS1_3genE3ELNS1_11target_archE908ELNS1_3gpuE7ELNS1_3repE0EEENS1_30default_config_static_selectorELNS0_4arch9wavefront6targetE1EEEvSY_,@function
_ZN7rocprim17ROCPRIM_400000_NS6detail17trampoline_kernelINS0_14default_configENS1_27upper_bound_config_selectorIslEEZNS1_14transform_implILb0ES3_S5_N6thrust23THRUST_200600_302600_NS6detail15normal_iteratorINS8_7pointerIsNS8_11hip_rocprim5par_tENS8_11use_defaultESE_EEEENSA_INSB_IlSD_SE_SE_EEEEZNS1_13binary_searchIS3_S5_NSA_INS8_10device_ptrIsEEEESG_SI_NS1_21upper_bound_search_opENS9_16wrapped_functionINS8_6system6detail7generic6detail18binary_search_lessEbEEEE10hipError_tPvRmT1_T2_T3_mmT4_T5_P12ihipStream_tbEUlRKsE_EESV_SZ_S10_mS11_S14_bEUlT_E_NS1_11comp_targetILNS1_3genE3ELNS1_11target_archE908ELNS1_3gpuE7ELNS1_3repE0EEENS1_30default_config_static_selectorELNS0_4arch9wavefront6targetE1EEEvSY_: ; @_ZN7rocprim17ROCPRIM_400000_NS6detail17trampoline_kernelINS0_14default_configENS1_27upper_bound_config_selectorIslEEZNS1_14transform_implILb0ES3_S5_N6thrust23THRUST_200600_302600_NS6detail15normal_iteratorINS8_7pointerIsNS8_11hip_rocprim5par_tENS8_11use_defaultESE_EEEENSA_INSB_IlSD_SE_SE_EEEEZNS1_13binary_searchIS3_S5_NSA_INS8_10device_ptrIsEEEESG_SI_NS1_21upper_bound_search_opENS9_16wrapped_functionINS8_6system6detail7generic6detail18binary_search_lessEbEEEE10hipError_tPvRmT1_T2_T3_mmT4_T5_P12ihipStream_tbEUlRKsE_EESV_SZ_S10_mS11_S14_bEUlT_E_NS1_11comp_targetILNS1_3genE3ELNS1_11target_archE908ELNS1_3gpuE7ELNS1_3repE0EEENS1_30default_config_static_selectorELNS0_4arch9wavefront6targetE1EEEvSY_
; %bb.0:
	.section	.rodata,"a",@progbits
	.p2align	6, 0x0
	.amdhsa_kernel _ZN7rocprim17ROCPRIM_400000_NS6detail17trampoline_kernelINS0_14default_configENS1_27upper_bound_config_selectorIslEEZNS1_14transform_implILb0ES3_S5_N6thrust23THRUST_200600_302600_NS6detail15normal_iteratorINS8_7pointerIsNS8_11hip_rocprim5par_tENS8_11use_defaultESE_EEEENSA_INSB_IlSD_SE_SE_EEEEZNS1_13binary_searchIS3_S5_NSA_INS8_10device_ptrIsEEEESG_SI_NS1_21upper_bound_search_opENS9_16wrapped_functionINS8_6system6detail7generic6detail18binary_search_lessEbEEEE10hipError_tPvRmT1_T2_T3_mmT4_T5_P12ihipStream_tbEUlRKsE_EESV_SZ_S10_mS11_S14_bEUlT_E_NS1_11comp_targetILNS1_3genE3ELNS1_11target_archE908ELNS1_3gpuE7ELNS1_3repE0EEENS1_30default_config_static_selectorELNS0_4arch9wavefront6targetE1EEEvSY_
		.amdhsa_group_segment_fixed_size 0
		.amdhsa_private_segment_fixed_size 0
		.amdhsa_kernarg_size 56
		.amdhsa_user_sgpr_count 6
		.amdhsa_user_sgpr_private_segment_buffer 1
		.amdhsa_user_sgpr_dispatch_ptr 0
		.amdhsa_user_sgpr_queue_ptr 0
		.amdhsa_user_sgpr_kernarg_segment_ptr 1
		.amdhsa_user_sgpr_dispatch_id 0
		.amdhsa_user_sgpr_flat_scratch_init 0
		.amdhsa_user_sgpr_private_segment_size 0
		.amdhsa_uses_dynamic_stack 0
		.amdhsa_system_sgpr_private_segment_wavefront_offset 0
		.amdhsa_system_sgpr_workgroup_id_x 1
		.amdhsa_system_sgpr_workgroup_id_y 0
		.amdhsa_system_sgpr_workgroup_id_z 0
		.amdhsa_system_sgpr_workgroup_info 0
		.amdhsa_system_vgpr_workitem_id 0
		.amdhsa_next_free_vgpr 1
		.amdhsa_next_free_sgpr 0
		.amdhsa_reserve_vcc 0
		.amdhsa_reserve_flat_scratch 0
		.amdhsa_float_round_mode_32 0
		.amdhsa_float_round_mode_16_64 0
		.amdhsa_float_denorm_mode_32 3
		.amdhsa_float_denorm_mode_16_64 3
		.amdhsa_dx10_clamp 1
		.amdhsa_ieee_mode 1
		.amdhsa_fp16_overflow 0
		.amdhsa_exception_fp_ieee_invalid_op 0
		.amdhsa_exception_fp_denorm_src 0
		.amdhsa_exception_fp_ieee_div_zero 0
		.amdhsa_exception_fp_ieee_overflow 0
		.amdhsa_exception_fp_ieee_underflow 0
		.amdhsa_exception_fp_ieee_inexact 0
		.amdhsa_exception_int_div_zero 0
	.end_amdhsa_kernel
	.section	.text._ZN7rocprim17ROCPRIM_400000_NS6detail17trampoline_kernelINS0_14default_configENS1_27upper_bound_config_selectorIslEEZNS1_14transform_implILb0ES3_S5_N6thrust23THRUST_200600_302600_NS6detail15normal_iteratorINS8_7pointerIsNS8_11hip_rocprim5par_tENS8_11use_defaultESE_EEEENSA_INSB_IlSD_SE_SE_EEEEZNS1_13binary_searchIS3_S5_NSA_INS8_10device_ptrIsEEEESG_SI_NS1_21upper_bound_search_opENS9_16wrapped_functionINS8_6system6detail7generic6detail18binary_search_lessEbEEEE10hipError_tPvRmT1_T2_T3_mmT4_T5_P12ihipStream_tbEUlRKsE_EESV_SZ_S10_mS11_S14_bEUlT_E_NS1_11comp_targetILNS1_3genE3ELNS1_11target_archE908ELNS1_3gpuE7ELNS1_3repE0EEENS1_30default_config_static_selectorELNS0_4arch9wavefront6targetE1EEEvSY_,"axG",@progbits,_ZN7rocprim17ROCPRIM_400000_NS6detail17trampoline_kernelINS0_14default_configENS1_27upper_bound_config_selectorIslEEZNS1_14transform_implILb0ES3_S5_N6thrust23THRUST_200600_302600_NS6detail15normal_iteratorINS8_7pointerIsNS8_11hip_rocprim5par_tENS8_11use_defaultESE_EEEENSA_INSB_IlSD_SE_SE_EEEEZNS1_13binary_searchIS3_S5_NSA_INS8_10device_ptrIsEEEESG_SI_NS1_21upper_bound_search_opENS9_16wrapped_functionINS8_6system6detail7generic6detail18binary_search_lessEbEEEE10hipError_tPvRmT1_T2_T3_mmT4_T5_P12ihipStream_tbEUlRKsE_EESV_SZ_S10_mS11_S14_bEUlT_E_NS1_11comp_targetILNS1_3genE3ELNS1_11target_archE908ELNS1_3gpuE7ELNS1_3repE0EEENS1_30default_config_static_selectorELNS0_4arch9wavefront6targetE1EEEvSY_,comdat
.Lfunc_end593:
	.size	_ZN7rocprim17ROCPRIM_400000_NS6detail17trampoline_kernelINS0_14default_configENS1_27upper_bound_config_selectorIslEEZNS1_14transform_implILb0ES3_S5_N6thrust23THRUST_200600_302600_NS6detail15normal_iteratorINS8_7pointerIsNS8_11hip_rocprim5par_tENS8_11use_defaultESE_EEEENSA_INSB_IlSD_SE_SE_EEEEZNS1_13binary_searchIS3_S5_NSA_INS8_10device_ptrIsEEEESG_SI_NS1_21upper_bound_search_opENS9_16wrapped_functionINS8_6system6detail7generic6detail18binary_search_lessEbEEEE10hipError_tPvRmT1_T2_T3_mmT4_T5_P12ihipStream_tbEUlRKsE_EESV_SZ_S10_mS11_S14_bEUlT_E_NS1_11comp_targetILNS1_3genE3ELNS1_11target_archE908ELNS1_3gpuE7ELNS1_3repE0EEENS1_30default_config_static_selectorELNS0_4arch9wavefront6targetE1EEEvSY_, .Lfunc_end593-_ZN7rocprim17ROCPRIM_400000_NS6detail17trampoline_kernelINS0_14default_configENS1_27upper_bound_config_selectorIslEEZNS1_14transform_implILb0ES3_S5_N6thrust23THRUST_200600_302600_NS6detail15normal_iteratorINS8_7pointerIsNS8_11hip_rocprim5par_tENS8_11use_defaultESE_EEEENSA_INSB_IlSD_SE_SE_EEEEZNS1_13binary_searchIS3_S5_NSA_INS8_10device_ptrIsEEEESG_SI_NS1_21upper_bound_search_opENS9_16wrapped_functionINS8_6system6detail7generic6detail18binary_search_lessEbEEEE10hipError_tPvRmT1_T2_T3_mmT4_T5_P12ihipStream_tbEUlRKsE_EESV_SZ_S10_mS11_S14_bEUlT_E_NS1_11comp_targetILNS1_3genE3ELNS1_11target_archE908ELNS1_3gpuE7ELNS1_3repE0EEENS1_30default_config_static_selectorELNS0_4arch9wavefront6targetE1EEEvSY_
                                        ; -- End function
	.set _ZN7rocprim17ROCPRIM_400000_NS6detail17trampoline_kernelINS0_14default_configENS1_27upper_bound_config_selectorIslEEZNS1_14transform_implILb0ES3_S5_N6thrust23THRUST_200600_302600_NS6detail15normal_iteratorINS8_7pointerIsNS8_11hip_rocprim5par_tENS8_11use_defaultESE_EEEENSA_INSB_IlSD_SE_SE_EEEEZNS1_13binary_searchIS3_S5_NSA_INS8_10device_ptrIsEEEESG_SI_NS1_21upper_bound_search_opENS9_16wrapped_functionINS8_6system6detail7generic6detail18binary_search_lessEbEEEE10hipError_tPvRmT1_T2_T3_mmT4_T5_P12ihipStream_tbEUlRKsE_EESV_SZ_S10_mS11_S14_bEUlT_E_NS1_11comp_targetILNS1_3genE3ELNS1_11target_archE908ELNS1_3gpuE7ELNS1_3repE0EEENS1_30default_config_static_selectorELNS0_4arch9wavefront6targetE1EEEvSY_.num_vgpr, 0
	.set _ZN7rocprim17ROCPRIM_400000_NS6detail17trampoline_kernelINS0_14default_configENS1_27upper_bound_config_selectorIslEEZNS1_14transform_implILb0ES3_S5_N6thrust23THRUST_200600_302600_NS6detail15normal_iteratorINS8_7pointerIsNS8_11hip_rocprim5par_tENS8_11use_defaultESE_EEEENSA_INSB_IlSD_SE_SE_EEEEZNS1_13binary_searchIS3_S5_NSA_INS8_10device_ptrIsEEEESG_SI_NS1_21upper_bound_search_opENS9_16wrapped_functionINS8_6system6detail7generic6detail18binary_search_lessEbEEEE10hipError_tPvRmT1_T2_T3_mmT4_T5_P12ihipStream_tbEUlRKsE_EESV_SZ_S10_mS11_S14_bEUlT_E_NS1_11comp_targetILNS1_3genE3ELNS1_11target_archE908ELNS1_3gpuE7ELNS1_3repE0EEENS1_30default_config_static_selectorELNS0_4arch9wavefront6targetE1EEEvSY_.num_agpr, 0
	.set _ZN7rocprim17ROCPRIM_400000_NS6detail17trampoline_kernelINS0_14default_configENS1_27upper_bound_config_selectorIslEEZNS1_14transform_implILb0ES3_S5_N6thrust23THRUST_200600_302600_NS6detail15normal_iteratorINS8_7pointerIsNS8_11hip_rocprim5par_tENS8_11use_defaultESE_EEEENSA_INSB_IlSD_SE_SE_EEEEZNS1_13binary_searchIS3_S5_NSA_INS8_10device_ptrIsEEEESG_SI_NS1_21upper_bound_search_opENS9_16wrapped_functionINS8_6system6detail7generic6detail18binary_search_lessEbEEEE10hipError_tPvRmT1_T2_T3_mmT4_T5_P12ihipStream_tbEUlRKsE_EESV_SZ_S10_mS11_S14_bEUlT_E_NS1_11comp_targetILNS1_3genE3ELNS1_11target_archE908ELNS1_3gpuE7ELNS1_3repE0EEENS1_30default_config_static_selectorELNS0_4arch9wavefront6targetE1EEEvSY_.numbered_sgpr, 0
	.set _ZN7rocprim17ROCPRIM_400000_NS6detail17trampoline_kernelINS0_14default_configENS1_27upper_bound_config_selectorIslEEZNS1_14transform_implILb0ES3_S5_N6thrust23THRUST_200600_302600_NS6detail15normal_iteratorINS8_7pointerIsNS8_11hip_rocprim5par_tENS8_11use_defaultESE_EEEENSA_INSB_IlSD_SE_SE_EEEEZNS1_13binary_searchIS3_S5_NSA_INS8_10device_ptrIsEEEESG_SI_NS1_21upper_bound_search_opENS9_16wrapped_functionINS8_6system6detail7generic6detail18binary_search_lessEbEEEE10hipError_tPvRmT1_T2_T3_mmT4_T5_P12ihipStream_tbEUlRKsE_EESV_SZ_S10_mS11_S14_bEUlT_E_NS1_11comp_targetILNS1_3genE3ELNS1_11target_archE908ELNS1_3gpuE7ELNS1_3repE0EEENS1_30default_config_static_selectorELNS0_4arch9wavefront6targetE1EEEvSY_.num_named_barrier, 0
	.set _ZN7rocprim17ROCPRIM_400000_NS6detail17trampoline_kernelINS0_14default_configENS1_27upper_bound_config_selectorIslEEZNS1_14transform_implILb0ES3_S5_N6thrust23THRUST_200600_302600_NS6detail15normal_iteratorINS8_7pointerIsNS8_11hip_rocprim5par_tENS8_11use_defaultESE_EEEENSA_INSB_IlSD_SE_SE_EEEEZNS1_13binary_searchIS3_S5_NSA_INS8_10device_ptrIsEEEESG_SI_NS1_21upper_bound_search_opENS9_16wrapped_functionINS8_6system6detail7generic6detail18binary_search_lessEbEEEE10hipError_tPvRmT1_T2_T3_mmT4_T5_P12ihipStream_tbEUlRKsE_EESV_SZ_S10_mS11_S14_bEUlT_E_NS1_11comp_targetILNS1_3genE3ELNS1_11target_archE908ELNS1_3gpuE7ELNS1_3repE0EEENS1_30default_config_static_selectorELNS0_4arch9wavefront6targetE1EEEvSY_.private_seg_size, 0
	.set _ZN7rocprim17ROCPRIM_400000_NS6detail17trampoline_kernelINS0_14default_configENS1_27upper_bound_config_selectorIslEEZNS1_14transform_implILb0ES3_S5_N6thrust23THRUST_200600_302600_NS6detail15normal_iteratorINS8_7pointerIsNS8_11hip_rocprim5par_tENS8_11use_defaultESE_EEEENSA_INSB_IlSD_SE_SE_EEEEZNS1_13binary_searchIS3_S5_NSA_INS8_10device_ptrIsEEEESG_SI_NS1_21upper_bound_search_opENS9_16wrapped_functionINS8_6system6detail7generic6detail18binary_search_lessEbEEEE10hipError_tPvRmT1_T2_T3_mmT4_T5_P12ihipStream_tbEUlRKsE_EESV_SZ_S10_mS11_S14_bEUlT_E_NS1_11comp_targetILNS1_3genE3ELNS1_11target_archE908ELNS1_3gpuE7ELNS1_3repE0EEENS1_30default_config_static_selectorELNS0_4arch9wavefront6targetE1EEEvSY_.uses_vcc, 0
	.set _ZN7rocprim17ROCPRIM_400000_NS6detail17trampoline_kernelINS0_14default_configENS1_27upper_bound_config_selectorIslEEZNS1_14transform_implILb0ES3_S5_N6thrust23THRUST_200600_302600_NS6detail15normal_iteratorINS8_7pointerIsNS8_11hip_rocprim5par_tENS8_11use_defaultESE_EEEENSA_INSB_IlSD_SE_SE_EEEEZNS1_13binary_searchIS3_S5_NSA_INS8_10device_ptrIsEEEESG_SI_NS1_21upper_bound_search_opENS9_16wrapped_functionINS8_6system6detail7generic6detail18binary_search_lessEbEEEE10hipError_tPvRmT1_T2_T3_mmT4_T5_P12ihipStream_tbEUlRKsE_EESV_SZ_S10_mS11_S14_bEUlT_E_NS1_11comp_targetILNS1_3genE3ELNS1_11target_archE908ELNS1_3gpuE7ELNS1_3repE0EEENS1_30default_config_static_selectorELNS0_4arch9wavefront6targetE1EEEvSY_.uses_flat_scratch, 0
	.set _ZN7rocprim17ROCPRIM_400000_NS6detail17trampoline_kernelINS0_14default_configENS1_27upper_bound_config_selectorIslEEZNS1_14transform_implILb0ES3_S5_N6thrust23THRUST_200600_302600_NS6detail15normal_iteratorINS8_7pointerIsNS8_11hip_rocprim5par_tENS8_11use_defaultESE_EEEENSA_INSB_IlSD_SE_SE_EEEEZNS1_13binary_searchIS3_S5_NSA_INS8_10device_ptrIsEEEESG_SI_NS1_21upper_bound_search_opENS9_16wrapped_functionINS8_6system6detail7generic6detail18binary_search_lessEbEEEE10hipError_tPvRmT1_T2_T3_mmT4_T5_P12ihipStream_tbEUlRKsE_EESV_SZ_S10_mS11_S14_bEUlT_E_NS1_11comp_targetILNS1_3genE3ELNS1_11target_archE908ELNS1_3gpuE7ELNS1_3repE0EEENS1_30default_config_static_selectorELNS0_4arch9wavefront6targetE1EEEvSY_.has_dyn_sized_stack, 0
	.set _ZN7rocprim17ROCPRIM_400000_NS6detail17trampoline_kernelINS0_14default_configENS1_27upper_bound_config_selectorIslEEZNS1_14transform_implILb0ES3_S5_N6thrust23THRUST_200600_302600_NS6detail15normal_iteratorINS8_7pointerIsNS8_11hip_rocprim5par_tENS8_11use_defaultESE_EEEENSA_INSB_IlSD_SE_SE_EEEEZNS1_13binary_searchIS3_S5_NSA_INS8_10device_ptrIsEEEESG_SI_NS1_21upper_bound_search_opENS9_16wrapped_functionINS8_6system6detail7generic6detail18binary_search_lessEbEEEE10hipError_tPvRmT1_T2_T3_mmT4_T5_P12ihipStream_tbEUlRKsE_EESV_SZ_S10_mS11_S14_bEUlT_E_NS1_11comp_targetILNS1_3genE3ELNS1_11target_archE908ELNS1_3gpuE7ELNS1_3repE0EEENS1_30default_config_static_selectorELNS0_4arch9wavefront6targetE1EEEvSY_.has_recursion, 0
	.set _ZN7rocprim17ROCPRIM_400000_NS6detail17trampoline_kernelINS0_14default_configENS1_27upper_bound_config_selectorIslEEZNS1_14transform_implILb0ES3_S5_N6thrust23THRUST_200600_302600_NS6detail15normal_iteratorINS8_7pointerIsNS8_11hip_rocprim5par_tENS8_11use_defaultESE_EEEENSA_INSB_IlSD_SE_SE_EEEEZNS1_13binary_searchIS3_S5_NSA_INS8_10device_ptrIsEEEESG_SI_NS1_21upper_bound_search_opENS9_16wrapped_functionINS8_6system6detail7generic6detail18binary_search_lessEbEEEE10hipError_tPvRmT1_T2_T3_mmT4_T5_P12ihipStream_tbEUlRKsE_EESV_SZ_S10_mS11_S14_bEUlT_E_NS1_11comp_targetILNS1_3genE3ELNS1_11target_archE908ELNS1_3gpuE7ELNS1_3repE0EEENS1_30default_config_static_selectorELNS0_4arch9wavefront6targetE1EEEvSY_.has_indirect_call, 0
	.section	.AMDGPU.csdata,"",@progbits
; Kernel info:
; codeLenInByte = 0
; TotalNumSgprs: 4
; NumVgprs: 0
; ScratchSize: 0
; MemoryBound: 0
; FloatMode: 240
; IeeeMode: 1
; LDSByteSize: 0 bytes/workgroup (compile time only)
; SGPRBlocks: 0
; VGPRBlocks: 0
; NumSGPRsForWavesPerEU: 4
; NumVGPRsForWavesPerEU: 1
; Occupancy: 10
; WaveLimiterHint : 0
; COMPUTE_PGM_RSRC2:SCRATCH_EN: 0
; COMPUTE_PGM_RSRC2:USER_SGPR: 6
; COMPUTE_PGM_RSRC2:TRAP_HANDLER: 0
; COMPUTE_PGM_RSRC2:TGID_X_EN: 1
; COMPUTE_PGM_RSRC2:TGID_Y_EN: 0
; COMPUTE_PGM_RSRC2:TGID_Z_EN: 0
; COMPUTE_PGM_RSRC2:TIDIG_COMP_CNT: 0
	.section	.text._ZN7rocprim17ROCPRIM_400000_NS6detail17trampoline_kernelINS0_14default_configENS1_27upper_bound_config_selectorIslEEZNS1_14transform_implILb0ES3_S5_N6thrust23THRUST_200600_302600_NS6detail15normal_iteratorINS8_7pointerIsNS8_11hip_rocprim5par_tENS8_11use_defaultESE_EEEENSA_INSB_IlSD_SE_SE_EEEEZNS1_13binary_searchIS3_S5_NSA_INS8_10device_ptrIsEEEESG_SI_NS1_21upper_bound_search_opENS9_16wrapped_functionINS8_6system6detail7generic6detail18binary_search_lessEbEEEE10hipError_tPvRmT1_T2_T3_mmT4_T5_P12ihipStream_tbEUlRKsE_EESV_SZ_S10_mS11_S14_bEUlT_E_NS1_11comp_targetILNS1_3genE2ELNS1_11target_archE906ELNS1_3gpuE6ELNS1_3repE0EEENS1_30default_config_static_selectorELNS0_4arch9wavefront6targetE1EEEvSY_,"axG",@progbits,_ZN7rocprim17ROCPRIM_400000_NS6detail17trampoline_kernelINS0_14default_configENS1_27upper_bound_config_selectorIslEEZNS1_14transform_implILb0ES3_S5_N6thrust23THRUST_200600_302600_NS6detail15normal_iteratorINS8_7pointerIsNS8_11hip_rocprim5par_tENS8_11use_defaultESE_EEEENSA_INSB_IlSD_SE_SE_EEEEZNS1_13binary_searchIS3_S5_NSA_INS8_10device_ptrIsEEEESG_SI_NS1_21upper_bound_search_opENS9_16wrapped_functionINS8_6system6detail7generic6detail18binary_search_lessEbEEEE10hipError_tPvRmT1_T2_T3_mmT4_T5_P12ihipStream_tbEUlRKsE_EESV_SZ_S10_mS11_S14_bEUlT_E_NS1_11comp_targetILNS1_3genE2ELNS1_11target_archE906ELNS1_3gpuE6ELNS1_3repE0EEENS1_30default_config_static_selectorELNS0_4arch9wavefront6targetE1EEEvSY_,comdat
	.protected	_ZN7rocprim17ROCPRIM_400000_NS6detail17trampoline_kernelINS0_14default_configENS1_27upper_bound_config_selectorIslEEZNS1_14transform_implILb0ES3_S5_N6thrust23THRUST_200600_302600_NS6detail15normal_iteratorINS8_7pointerIsNS8_11hip_rocprim5par_tENS8_11use_defaultESE_EEEENSA_INSB_IlSD_SE_SE_EEEEZNS1_13binary_searchIS3_S5_NSA_INS8_10device_ptrIsEEEESG_SI_NS1_21upper_bound_search_opENS9_16wrapped_functionINS8_6system6detail7generic6detail18binary_search_lessEbEEEE10hipError_tPvRmT1_T2_T3_mmT4_T5_P12ihipStream_tbEUlRKsE_EESV_SZ_S10_mS11_S14_bEUlT_E_NS1_11comp_targetILNS1_3genE2ELNS1_11target_archE906ELNS1_3gpuE6ELNS1_3repE0EEENS1_30default_config_static_selectorELNS0_4arch9wavefront6targetE1EEEvSY_ ; -- Begin function _ZN7rocprim17ROCPRIM_400000_NS6detail17trampoline_kernelINS0_14default_configENS1_27upper_bound_config_selectorIslEEZNS1_14transform_implILb0ES3_S5_N6thrust23THRUST_200600_302600_NS6detail15normal_iteratorINS8_7pointerIsNS8_11hip_rocprim5par_tENS8_11use_defaultESE_EEEENSA_INSB_IlSD_SE_SE_EEEEZNS1_13binary_searchIS3_S5_NSA_INS8_10device_ptrIsEEEESG_SI_NS1_21upper_bound_search_opENS9_16wrapped_functionINS8_6system6detail7generic6detail18binary_search_lessEbEEEE10hipError_tPvRmT1_T2_T3_mmT4_T5_P12ihipStream_tbEUlRKsE_EESV_SZ_S10_mS11_S14_bEUlT_E_NS1_11comp_targetILNS1_3genE2ELNS1_11target_archE906ELNS1_3gpuE6ELNS1_3repE0EEENS1_30default_config_static_selectorELNS0_4arch9wavefront6targetE1EEEvSY_
	.globl	_ZN7rocprim17ROCPRIM_400000_NS6detail17trampoline_kernelINS0_14default_configENS1_27upper_bound_config_selectorIslEEZNS1_14transform_implILb0ES3_S5_N6thrust23THRUST_200600_302600_NS6detail15normal_iteratorINS8_7pointerIsNS8_11hip_rocprim5par_tENS8_11use_defaultESE_EEEENSA_INSB_IlSD_SE_SE_EEEEZNS1_13binary_searchIS3_S5_NSA_INS8_10device_ptrIsEEEESG_SI_NS1_21upper_bound_search_opENS9_16wrapped_functionINS8_6system6detail7generic6detail18binary_search_lessEbEEEE10hipError_tPvRmT1_T2_T3_mmT4_T5_P12ihipStream_tbEUlRKsE_EESV_SZ_S10_mS11_S14_bEUlT_E_NS1_11comp_targetILNS1_3genE2ELNS1_11target_archE906ELNS1_3gpuE6ELNS1_3repE0EEENS1_30default_config_static_selectorELNS0_4arch9wavefront6targetE1EEEvSY_
	.p2align	8
	.type	_ZN7rocprim17ROCPRIM_400000_NS6detail17trampoline_kernelINS0_14default_configENS1_27upper_bound_config_selectorIslEEZNS1_14transform_implILb0ES3_S5_N6thrust23THRUST_200600_302600_NS6detail15normal_iteratorINS8_7pointerIsNS8_11hip_rocprim5par_tENS8_11use_defaultESE_EEEENSA_INSB_IlSD_SE_SE_EEEEZNS1_13binary_searchIS3_S5_NSA_INS8_10device_ptrIsEEEESG_SI_NS1_21upper_bound_search_opENS9_16wrapped_functionINS8_6system6detail7generic6detail18binary_search_lessEbEEEE10hipError_tPvRmT1_T2_T3_mmT4_T5_P12ihipStream_tbEUlRKsE_EESV_SZ_S10_mS11_S14_bEUlT_E_NS1_11comp_targetILNS1_3genE2ELNS1_11target_archE906ELNS1_3gpuE6ELNS1_3repE0EEENS1_30default_config_static_selectorELNS0_4arch9wavefront6targetE1EEEvSY_,@function
_ZN7rocprim17ROCPRIM_400000_NS6detail17trampoline_kernelINS0_14default_configENS1_27upper_bound_config_selectorIslEEZNS1_14transform_implILb0ES3_S5_N6thrust23THRUST_200600_302600_NS6detail15normal_iteratorINS8_7pointerIsNS8_11hip_rocprim5par_tENS8_11use_defaultESE_EEEENSA_INSB_IlSD_SE_SE_EEEEZNS1_13binary_searchIS3_S5_NSA_INS8_10device_ptrIsEEEESG_SI_NS1_21upper_bound_search_opENS9_16wrapped_functionINS8_6system6detail7generic6detail18binary_search_lessEbEEEE10hipError_tPvRmT1_T2_T3_mmT4_T5_P12ihipStream_tbEUlRKsE_EESV_SZ_S10_mS11_S14_bEUlT_E_NS1_11comp_targetILNS1_3genE2ELNS1_11target_archE906ELNS1_3gpuE6ELNS1_3repE0EEENS1_30default_config_static_selectorELNS0_4arch9wavefront6targetE1EEEvSY_: ; @_ZN7rocprim17ROCPRIM_400000_NS6detail17trampoline_kernelINS0_14default_configENS1_27upper_bound_config_selectorIslEEZNS1_14transform_implILb0ES3_S5_N6thrust23THRUST_200600_302600_NS6detail15normal_iteratorINS8_7pointerIsNS8_11hip_rocprim5par_tENS8_11use_defaultESE_EEEENSA_INSB_IlSD_SE_SE_EEEEZNS1_13binary_searchIS3_S5_NSA_INS8_10device_ptrIsEEEESG_SI_NS1_21upper_bound_search_opENS9_16wrapped_functionINS8_6system6detail7generic6detail18binary_search_lessEbEEEE10hipError_tPvRmT1_T2_T3_mmT4_T5_P12ihipStream_tbEUlRKsE_EESV_SZ_S10_mS11_S14_bEUlT_E_NS1_11comp_targetILNS1_3genE2ELNS1_11target_archE906ELNS1_3gpuE6ELNS1_3repE0EEENS1_30default_config_static_selectorELNS0_4arch9wavefront6targetE1EEEvSY_
; %bb.0:
	s_load_dwordx8 s[8:15], s[4:5], 0x0
	s_load_dwordx4 s[16:19], s[4:5], 0x20
	s_load_dword s2, s[4:5], 0x38
	s_waitcnt lgkmcnt(0)
	s_lshl_b64 s[0:1], s[10:11], 1
	s_add_u32 s3, s8, s0
	s_addc_u32 s4, s9, s1
	s_lshl_b64 s[0:1], s[10:11], 3
	s_add_u32 s20, s14, s0
	s_addc_u32 s21, s15, s1
	s_lshl_b32 s8, s6, 10
	s_mov_b32 s9, 0
	s_add_i32 s2, s2, -1
	s_lshl_b64 s[0:1], s[8:9], 1
	s_add_u32 s13, s3, s0
	s_addc_u32 s14, s4, s1
	s_cmp_lg_u32 s6, s2
	s_cbranch_scc0 .LBB594_14
; %bb.1:
	v_lshlrev_b32_e32 v1, 1, v0
	v_mov_b32_e32 v2, s14
	v_add_co_u32_e32 v1, vcc, s13, v1
	v_addc_co_u32_e32 v2, vcc, 0, v2, vcc
	flat_load_ushort v7, v[1:2] offset:512
	flat_load_ushort v9, v[1:2] offset:1024
	;; [unrolled: 1-line block ×3, first 2 shown]
	s_cmp_lg_u64 s[18:19], 0
	s_cselect_b64 s[2:3], -1, 0
	s_cmp_eq_u64 s[18:19], 0
	s_mov_b64 s[0:1], 0
	s_cbranch_scc1 .LBB594_15
; %bb.2:
	flat_load_ushort v5, v[1:2]
	v_mov_b32_e32 v1, 0
	v_mov_b32_e32 v3, s18
	;; [unrolled: 1-line block ×5, first 2 shown]
.LBB594_3:                              ; =>This Inner Loop Header: Depth=1
	v_sub_co_u32_e32 v12, vcc, v3, v1
	v_subb_co_u32_e32 v13, vcc, v4, v2, vcc
	v_lshrrev_b64 v[14:15], 1, v[12:13]
	v_lshrrev_b64 v[12:13], 6, v[12:13]
	v_add_co_u32_e32 v8, vcc, v14, v1
	v_addc_co_u32_e32 v10, vcc, v15, v2, vcc
	v_add_co_u32_e32 v12, vcc, v8, v12
	v_addc_co_u32_e32 v13, vcc, v10, v13, vcc
	v_lshlrev_b64 v[14:15], 1, v[12:13]
	v_add_co_u32_e32 v14, vcc, s16, v14
	v_addc_co_u32_e32 v15, vcc, v6, v15, vcc
	global_load_ushort v8, v[14:15], off
	v_add_co_u32_e32 v10, vcc, 1, v12
	v_addc_co_u32_e32 v14, vcc, 0, v13, vcc
	s_waitcnt vmcnt(0) lgkmcnt(0)
	v_cmp_lt_i16_e32 vcc, v5, v8
	v_cndmask_b32_e32 v4, v4, v13, vcc
	v_cndmask_b32_e32 v3, v3, v12, vcc
	;; [unrolled: 1-line block ×4, first 2 shown]
	v_cmp_ge_u64_e32 vcc, v[1:2], v[3:4]
	s_or_b64 s[0:1], vcc, s[0:1]
	s_andn2_b64 exec, exec, s[0:1]
	s_cbranch_execnz .LBB594_3
; %bb.4:
	s_or_b64 exec, exec, s[0:1]
	v_cndmask_b32_e64 v3, 0, 1, s[2:3]
	v_cmp_ne_u32_e64 s[0:1], 1, v3
	s_andn2_b64 vcc, exec, s[2:3]
	s_cbranch_vccnz .LBB594_16
.LBB594_5:
	v_mov_b32_e32 v3, 0
	v_mov_b32_e32 v5, s18
	s_mov_b64 s[2:3], 0
	v_mov_b32_e32 v4, 0
	v_mov_b32_e32 v6, s19
	;; [unrolled: 1-line block ×3, first 2 shown]
.LBB594_6:                              ; =>This Inner Loop Header: Depth=1
	v_sub_co_u32_e32 v12, vcc, v5, v3
	v_subb_co_u32_e32 v13, vcc, v6, v4, vcc
	v_lshrrev_b64 v[14:15], 1, v[12:13]
	v_lshrrev_b64 v[12:13], 6, v[12:13]
	v_add_co_u32_e32 v10, vcc, v14, v3
	v_addc_co_u32_e32 v14, vcc, v15, v4, vcc
	v_add_co_u32_e32 v12, vcc, v10, v12
	v_addc_co_u32_e32 v13, vcc, v14, v13, vcc
	v_lshlrev_b64 v[14:15], 1, v[12:13]
	v_add_co_u32_e32 v14, vcc, s16, v14
	v_addc_co_u32_e32 v15, vcc, v8, v15, vcc
	global_load_ushort v10, v[14:15], off
	v_add_co_u32_e32 v14, vcc, 1, v12
	v_addc_co_u32_e32 v15, vcc, 0, v13, vcc
	s_waitcnt vmcnt(0) lgkmcnt(0)
	v_cmp_lt_i16_e32 vcc, v7, v10
	v_cndmask_b32_e32 v6, v6, v13, vcc
	v_cndmask_b32_e32 v5, v5, v12, vcc
	;; [unrolled: 1-line block ×4, first 2 shown]
	v_cmp_ge_u64_e32 vcc, v[3:4], v[5:6]
	s_or_b64 s[2:3], vcc, s[2:3]
	s_andn2_b64 exec, exec, s[2:3]
	s_cbranch_execnz .LBB594_6
; %bb.7:
	s_or_b64 exec, exec, s[2:3]
	s_and_b64 vcc, exec, s[0:1]
	s_cbranch_vccnz .LBB594_17
.LBB594_8:
	v_mov_b32_e32 v5, 0
	s_waitcnt vmcnt(0) lgkmcnt(0)
	v_mov_b32_e32 v7, s18
	s_mov_b64 s[2:3], 0
	v_mov_b32_e32 v6, 0
	v_mov_b32_e32 v8, s19
	;; [unrolled: 1-line block ×3, first 2 shown]
.LBB594_9:                              ; =>This Inner Loop Header: Depth=1
	v_sub_co_u32_e32 v12, vcc, v7, v5
	v_subb_co_u32_e32 v13, vcc, v8, v6, vcc
	v_lshrrev_b64 v[14:15], 1, v[12:13]
	v_lshrrev_b64 v[12:13], 6, v[12:13]
	v_add_co_u32_e32 v14, vcc, v14, v5
	v_addc_co_u32_e32 v15, vcc, v15, v6, vcc
	v_add_co_u32_e32 v12, vcc, v14, v12
	v_addc_co_u32_e32 v13, vcc, v15, v13, vcc
	v_lshlrev_b64 v[14:15], 1, v[12:13]
	v_add_co_u32_e32 v14, vcc, s16, v14
	v_addc_co_u32_e32 v15, vcc, v10, v15, vcc
	global_load_ushort v14, v[14:15], off
	v_add_co_u32_e32 v15, vcc, 1, v12
	v_addc_co_u32_e32 v16, vcc, 0, v13, vcc
	s_waitcnt vmcnt(0)
	v_cmp_lt_i16_e32 vcc, v9, v14
	v_cndmask_b32_e32 v8, v8, v13, vcc
	v_cndmask_b32_e32 v7, v7, v12, vcc
	;; [unrolled: 1-line block ×4, first 2 shown]
	v_cmp_ge_u64_e32 vcc, v[5:6], v[7:8]
	s_or_b64 s[2:3], vcc, s[2:3]
	s_andn2_b64 exec, exec, s[2:3]
	s_cbranch_execnz .LBB594_9
; %bb.10:
	s_or_b64 exec, exec, s[2:3]
	s_and_b64 vcc, exec, s[0:1]
	s_cbranch_vccnz .LBB594_18
.LBB594_11:
	s_waitcnt vmcnt(0) lgkmcnt(0)
	v_mov_b32_e32 v7, 0
	v_mov_b32_e32 v9, s18
	s_mov_b64 s[0:1], 0
	v_mov_b32_e32 v8, 0
	v_mov_b32_e32 v10, s19
	;; [unrolled: 1-line block ×3, first 2 shown]
.LBB594_12:                             ; =>This Inner Loop Header: Depth=1
	v_sub_co_u32_e32 v13, vcc, v9, v7
	v_subb_co_u32_e32 v14, vcc, v10, v8, vcc
	v_lshrrev_b64 v[15:16], 1, v[13:14]
	v_lshrrev_b64 v[13:14], 6, v[13:14]
	v_add_co_u32_e32 v15, vcc, v15, v7
	v_addc_co_u32_e32 v16, vcc, v16, v8, vcc
	v_add_co_u32_e32 v13, vcc, v15, v13
	v_addc_co_u32_e32 v14, vcc, v16, v14, vcc
	v_lshlrev_b64 v[15:16], 1, v[13:14]
	v_add_co_u32_e32 v15, vcc, s16, v15
	v_addc_co_u32_e32 v16, vcc, v12, v16, vcc
	global_load_ushort v15, v[15:16], off
	v_add_co_u32_e32 v16, vcc, 1, v13
	v_addc_co_u32_e32 v17, vcc, 0, v14, vcc
	s_waitcnt vmcnt(0)
	v_cmp_lt_i16_e32 vcc, v11, v15
	v_cndmask_b32_e32 v10, v10, v14, vcc
	v_cndmask_b32_e32 v9, v9, v13, vcc
	;; [unrolled: 1-line block ×4, first 2 shown]
	v_cmp_ge_u64_e32 vcc, v[7:8], v[9:10]
	s_or_b64 s[0:1], vcc, s[0:1]
	s_andn2_b64 exec, exec, s[0:1]
	s_cbranch_execnz .LBB594_12
; %bb.13:
	s_or_b64 exec, exec, s[0:1]
	s_branch .LBB594_19
.LBB594_14:
	s_mov_b64 s[6:7], 0
                                        ; implicit-def: $vgpr7_vgpr8
                                        ; implicit-def: $vgpr11_vgpr12
	s_cbranch_execnz .LBB594_20
	s_branch .LBB594_59
.LBB594_15:
	v_mov_b32_e32 v1, 0
	v_mov_b32_e32 v2, 0
	v_cndmask_b32_e64 v3, 0, 1, s[2:3]
	v_cmp_ne_u32_e64 s[0:1], 1, v3
	s_andn2_b64 vcc, exec, s[2:3]
	s_cbranch_vccz .LBB594_5
.LBB594_16:
	v_mov_b32_e32 v3, 0
	v_mov_b32_e32 v4, 0
	s_and_b64 vcc, exec, s[0:1]
	s_cbranch_vccz .LBB594_8
.LBB594_17:
	v_mov_b32_e32 v5, 0
	v_mov_b32_e32 v6, 0
	s_and_b64 vcc, exec, s[0:1]
	s_cbranch_vccz .LBB594_11
.LBB594_18:
	s_waitcnt vmcnt(0) lgkmcnt(0)
	v_mov_b32_e32 v7, 0
	v_mov_b32_e32 v8, 0
.LBB594_19:
	s_lshl_b64 s[0:1], s[8:9], 3
	s_add_u32 s0, s20, s0
	s_addc_u32 s1, s21, s1
	v_lshlrev_b32_e32 v9, 3, v0
	v_mov_b32_e32 v10, s1
	v_add_co_u32_e32 v11, vcc, s0, v9
	v_addc_co_u32_e32 v12, vcc, 0, v10, vcc
	flat_store_dwordx2 v[11:12], v[1:2]
	flat_store_dwordx2 v[11:12], v[3:4] offset:2048
	v_add_co_u32_e32 v1, vcc, 0x1000, v11
	v_addc_co_u32_e32 v2, vcc, 0, v12, vcc
	flat_store_dwordx2 v[1:2], v[5:6]
	s_mov_b64 s[6:7], -1
	s_branch .LBB594_59
.LBB594_20:
	s_sub_i32 s10, s12, s8
	v_mov_b32_e32 v1, 0
	v_cmp_gt_u32_e64 s[0:1], s10, v0
	v_mov_b32_e32 v2, v1
	s_and_saveexec_b64 s[2:3], s[0:1]
	s_cbranch_execz .LBB594_22
; %bb.21:
	v_lshlrev_b32_e32 v2, 1, v0
	v_mov_b32_e32 v3, s14
	v_add_co_u32_e32 v2, vcc, s13, v2
	v_addc_co_u32_e32 v3, vcc, 0, v3, vcc
	flat_load_ushort v2, v[2:3]
	v_mov_b32_e32 v3, v1
	s_waitcnt vmcnt(0) lgkmcnt(0)
	v_and_b32_e32 v2, 0xffff, v2
	v_mov_b32_e32 v1, v2
	v_mov_b32_e32 v2, v3
.LBB594_22:
	s_or_b64 exec, exec, s[2:3]
	v_or_b32_e32 v3, 0x100, v0
	v_cmp_gt_u32_e64 s[2:3], s10, v3
	s_and_saveexec_b64 s[4:5], s[2:3]
	s_cbranch_execz .LBB594_24
; %bb.23:
	v_lshlrev_b32_e32 v3, 1, v0
	v_mov_b32_e32 v4, s14
	v_add_co_u32_e32 v3, vcc, s13, v3
	v_addc_co_u32_e32 v4, vcc, 0, v4, vcc
	flat_load_ushort v3, v[3:4] offset:512
	s_mov_b32 s6, 0x5040100
	s_waitcnt vmcnt(0) lgkmcnt(0)
	v_perm_b32 v1, v3, v1, s6
.LBB594_24:
	s_or_b64 exec, exec, s[4:5]
	v_or_b32_e32 v3, 0x200, v0
	v_cmp_gt_u32_e64 s[4:5], s10, v3
	s_and_saveexec_b64 s[6:7], s[4:5]
	s_cbranch_execz .LBB594_26
; %bb.25:
	v_lshlrev_b32_e32 v3, 1, v0
	v_mov_b32_e32 v4, s14
	v_add_co_u32_e32 v3, vcc, s13, v3
	v_addc_co_u32_e32 v4, vcc, 0, v4, vcc
	flat_load_ushort v3, v[3:4] offset:1024
	s_mov_b32 s11, 0xffff
	s_waitcnt vmcnt(0) lgkmcnt(0)
	v_bfi_b32 v2, s11, v3, v2
.LBB594_26:
	s_or_b64 exec, exec, s[6:7]
	v_or_b32_e32 v3, 0x300, v0
	v_cmp_gt_u32_e64 s[6:7], s10, v3
	s_and_saveexec_b64 s[10:11], s[6:7]
	s_cbranch_execz .LBB594_28
; %bb.27:
	v_lshlrev_b32_e32 v3, 1, v0
	v_mov_b32_e32 v4, s14
	v_add_co_u32_e32 v3, vcc, s13, v3
	v_addc_co_u32_e32 v4, vcc, 0, v4, vcc
	flat_load_ushort v3, v[3:4] offset:1536
	s_mov_b32 s12, 0x5040100
	s_waitcnt vmcnt(0) lgkmcnt(0)
	v_perm_b32 v2, v3, v2, s12
.LBB594_28:
	s_or_b64 exec, exec, s[10:11]
	s_cmp_lg_u64 s[18:19], 0
	s_cselect_b64 s[10:11], -1, 0
                                        ; implicit-def: $vgpr3_vgpr4
	s_and_saveexec_b64 s[12:13], s[0:1]
	s_cbranch_execnz .LBB594_32
; %bb.29:
	s_or_b64 exec, exec, s[12:13]
                                        ; implicit-def: $vgpr5_vgpr6
	s_and_saveexec_b64 s[12:13], s[2:3]
	s_cbranch_execnz .LBB594_37
.LBB594_30:
	s_or_b64 exec, exec, s[12:13]
                                        ; implicit-def: $vgpr9_vgpr10
	s_and_saveexec_b64 s[12:13], s[4:5]
	s_cbranch_execnz .LBB594_42
.LBB594_31:
	s_or_b64 exec, exec, s[12:13]
                                        ; implicit-def: $vgpr7_vgpr8
	s_and_saveexec_b64 s[12:13], s[6:7]
	s_cbranch_execnz .LBB594_47
	s_branch .LBB594_52
.LBB594_32:
	s_andn2_b64 vcc, exec, s[10:11]
	s_cbranch_vccnz .LBB594_36
; %bb.33:
	v_mov_b32_e32 v3, 0
	v_mov_b32_e32 v5, s18
	s_mov_b64 s[14:15], 0
	v_mov_b32_e32 v4, 0
	v_mov_b32_e32 v6, s19
	;; [unrolled: 1-line block ×3, first 2 shown]
.LBB594_34:                             ; =>This Inner Loop Header: Depth=1
	v_sub_co_u32_e32 v8, vcc, v5, v3
	v_subb_co_u32_e32 v9, vcc, v6, v4, vcc
	v_lshrrev_b64 v[10:11], 1, v[8:9]
	v_lshrrev_b64 v[8:9], 6, v[8:9]
	v_add_co_u32_e32 v10, vcc, v10, v3
	v_addc_co_u32_e32 v11, vcc, v11, v4, vcc
	v_add_co_u32_e32 v8, vcc, v10, v8
	v_addc_co_u32_e32 v9, vcc, v11, v9, vcc
	v_lshlrev_b64 v[10:11], 1, v[8:9]
	v_add_co_u32_e32 v10, vcc, s16, v10
	v_addc_co_u32_e32 v11, vcc, v7, v11, vcc
	global_load_ushort v10, v[10:11], off
	v_add_co_u32_e32 v11, vcc, 1, v8
	v_addc_co_u32_e32 v12, vcc, 0, v9, vcc
	s_waitcnt vmcnt(0)
	v_cmp_lt_i16_e32 vcc, v1, v10
	v_cndmask_b32_e32 v6, v6, v9, vcc
	v_cndmask_b32_e32 v5, v5, v8, vcc
	;; [unrolled: 1-line block ×4, first 2 shown]
	v_cmp_ge_u64_e32 vcc, v[3:4], v[5:6]
	s_or_b64 s[14:15], vcc, s[14:15]
	s_andn2_b64 exec, exec, s[14:15]
	s_cbranch_execnz .LBB594_34
; %bb.35:
	s_or_b64 exec, exec, s[14:15]
	s_or_b64 exec, exec, s[12:13]
                                        ; implicit-def: $vgpr5_vgpr6
	s_and_saveexec_b64 s[12:13], s[2:3]
	s_cbranch_execz .LBB594_30
	s_branch .LBB594_37
.LBB594_36:
	v_mov_b32_e32 v3, 0
	v_mov_b32_e32 v4, 0
	s_or_b64 exec, exec, s[12:13]
                                        ; implicit-def: $vgpr5_vgpr6
	s_and_saveexec_b64 s[12:13], s[2:3]
	s_cbranch_execz .LBB594_30
.LBB594_37:
	s_andn2_b64 vcc, exec, s[10:11]
	s_cbranch_vccnz .LBB594_41
; %bb.38:
	v_mov_b32_e32 v5, 0
	v_mov_b32_e32 v7, s18
	s_mov_b64 s[14:15], 0
	v_mov_b32_e32 v6, 0
	v_mov_b32_e32 v8, s19
	;; [unrolled: 1-line block ×3, first 2 shown]
.LBB594_39:                             ; =>This Inner Loop Header: Depth=1
	v_sub_co_u32_e32 v10, vcc, v7, v5
	v_subb_co_u32_e32 v11, vcc, v8, v6, vcc
	v_lshrrev_b64 v[12:13], 1, v[10:11]
	v_lshrrev_b64 v[10:11], 6, v[10:11]
	v_add_co_u32_e32 v12, vcc, v12, v5
	v_addc_co_u32_e32 v13, vcc, v13, v6, vcc
	v_add_co_u32_e32 v10, vcc, v12, v10
	v_addc_co_u32_e32 v11, vcc, v13, v11, vcc
	v_lshlrev_b64 v[12:13], 1, v[10:11]
	v_add_co_u32_e32 v12, vcc, s16, v12
	v_addc_co_u32_e32 v13, vcc, v9, v13, vcc
	global_load_ushort v12, v[12:13], off
	v_add_co_u32_e32 v13, vcc, 1, v10
	v_addc_co_u32_e32 v14, vcc, 0, v11, vcc
	s_waitcnt vmcnt(0)
	v_cmp_lt_i16_sdwa vcc, v1, v12 src0_sel:WORD_1 src1_sel:DWORD
	v_cndmask_b32_e32 v8, v8, v11, vcc
	v_cndmask_b32_e32 v7, v7, v10, vcc
	;; [unrolled: 1-line block ×4, first 2 shown]
	v_cmp_ge_u64_e32 vcc, v[5:6], v[7:8]
	s_or_b64 s[14:15], vcc, s[14:15]
	s_andn2_b64 exec, exec, s[14:15]
	s_cbranch_execnz .LBB594_39
; %bb.40:
	s_or_b64 exec, exec, s[14:15]
	s_or_b64 exec, exec, s[12:13]
                                        ; implicit-def: $vgpr9_vgpr10
	s_and_saveexec_b64 s[12:13], s[4:5]
	s_cbranch_execz .LBB594_31
	s_branch .LBB594_42
.LBB594_41:
	v_mov_b32_e32 v5, 0
	v_mov_b32_e32 v6, 0
	s_or_b64 exec, exec, s[12:13]
                                        ; implicit-def: $vgpr9_vgpr10
	s_and_saveexec_b64 s[12:13], s[4:5]
	s_cbranch_execz .LBB594_31
.LBB594_42:
	s_andn2_b64 vcc, exec, s[10:11]
	s_cbranch_vccnz .LBB594_46
; %bb.43:
	v_mov_b32_e32 v9, 0
	v_mov_b32_e32 v7, s18
	s_mov_b64 s[14:15], 0
	v_mov_b32_e32 v10, 0
	v_mov_b32_e32 v8, s19
	;; [unrolled: 1-line block ×3, first 2 shown]
.LBB594_44:                             ; =>This Inner Loop Header: Depth=1
	v_sub_co_u32_e32 v11, vcc, v7, v9
	v_subb_co_u32_e32 v12, vcc, v8, v10, vcc
	v_lshrrev_b64 v[13:14], 1, v[11:12]
	v_lshrrev_b64 v[11:12], 6, v[11:12]
	v_add_co_u32_e32 v13, vcc, v13, v9
	v_addc_co_u32_e32 v14, vcc, v14, v10, vcc
	v_add_co_u32_e32 v11, vcc, v13, v11
	v_addc_co_u32_e32 v12, vcc, v14, v12, vcc
	v_lshlrev_b64 v[13:14], 1, v[11:12]
	v_add_co_u32_e32 v13, vcc, s16, v13
	v_addc_co_u32_e32 v14, vcc, v1, v14, vcc
	global_load_ushort v13, v[13:14], off
	v_add_co_u32_e32 v14, vcc, 1, v11
	v_addc_co_u32_e32 v15, vcc, 0, v12, vcc
	s_waitcnt vmcnt(0)
	v_cmp_lt_i16_e32 vcc, v2, v13
	v_cndmask_b32_e32 v8, v8, v12, vcc
	v_cndmask_b32_e32 v7, v7, v11, vcc
	;; [unrolled: 1-line block ×4, first 2 shown]
	v_cmp_ge_u64_e32 vcc, v[9:10], v[7:8]
	s_or_b64 s[14:15], vcc, s[14:15]
	s_andn2_b64 exec, exec, s[14:15]
	s_cbranch_execnz .LBB594_44
; %bb.45:
	s_or_b64 exec, exec, s[14:15]
	s_or_b64 exec, exec, s[12:13]
                                        ; implicit-def: $vgpr7_vgpr8
	s_and_saveexec_b64 s[12:13], s[6:7]
	s_cbranch_execnz .LBB594_47
	s_branch .LBB594_52
.LBB594_46:
	v_mov_b32_e32 v9, 0
	v_mov_b32_e32 v10, 0
	s_or_b64 exec, exec, s[12:13]
                                        ; implicit-def: $vgpr7_vgpr8
	s_and_saveexec_b64 s[12:13], s[6:7]
	s_cbranch_execz .LBB594_52
.LBB594_47:
	s_andn2_b64 vcc, exec, s[10:11]
	s_cbranch_vccnz .LBB594_51
; %bb.48:
	v_mov_b32_e32 v7, 0
	v_mov_b32_e32 v11, s18
	s_mov_b64 s[10:11], 0
	v_mov_b32_e32 v8, 0
	v_mov_b32_e32 v12, s19
	;; [unrolled: 1-line block ×3, first 2 shown]
.LBB594_49:                             ; =>This Inner Loop Header: Depth=1
	v_sub_co_u32_e32 v13, vcc, v11, v7
	v_subb_co_u32_e32 v14, vcc, v12, v8, vcc
	v_lshrrev_b64 v[15:16], 1, v[13:14]
	v_lshrrev_b64 v[13:14], 6, v[13:14]
	v_add_co_u32_e32 v15, vcc, v15, v7
	v_addc_co_u32_e32 v16, vcc, v16, v8, vcc
	v_add_co_u32_e32 v13, vcc, v15, v13
	v_addc_co_u32_e32 v14, vcc, v16, v14, vcc
	v_lshlrev_b64 v[15:16], 1, v[13:14]
	v_add_co_u32_e32 v15, vcc, s16, v15
	v_addc_co_u32_e32 v16, vcc, v1, v16, vcc
	global_load_ushort v15, v[15:16], off
	v_add_co_u32_e32 v16, vcc, 1, v13
	v_addc_co_u32_e32 v17, vcc, 0, v14, vcc
	s_waitcnt vmcnt(0)
	v_cmp_lt_i16_sdwa vcc, v2, v15 src0_sel:WORD_1 src1_sel:DWORD
	v_cndmask_b32_e32 v12, v12, v14, vcc
	v_cndmask_b32_e32 v11, v11, v13, vcc
	;; [unrolled: 1-line block ×4, first 2 shown]
	v_cmp_ge_u64_e32 vcc, v[7:8], v[11:12]
	s_or_b64 s[10:11], vcc, s[10:11]
	s_andn2_b64 exec, exec, s[10:11]
	s_cbranch_execnz .LBB594_49
; %bb.50:
	s_or_b64 exec, exec, s[10:11]
	s_branch .LBB594_52
.LBB594_51:
	v_mov_b32_e32 v7, 0
	v_mov_b32_e32 v8, 0
.LBB594_52:
	s_or_b64 exec, exec, s[12:13]
	s_lshl_b64 s[8:9], s[8:9], 3
	s_add_u32 s8, s20, s8
	s_addc_u32 s9, s21, s9
	v_lshlrev_b32_e32 v0, 3, v0
	v_mov_b32_e32 v1, s9
	v_add_co_u32_e32 v11, vcc, s8, v0
	v_addc_co_u32_e32 v12, vcc, 0, v1, vcc
	s_and_saveexec_b64 s[8:9], s[0:1]
	s_xor_b64 s[0:1], exec, s[8:9]
	s_cbranch_execz .LBB594_54
; %bb.53:
	flat_store_dwordx2 v[11:12], v[3:4]
.LBB594_54:
	s_or_b64 exec, exec, s[0:1]
	s_and_saveexec_b64 s[0:1], s[2:3]
	s_cbranch_execz .LBB594_56
; %bb.55:
	flat_store_dwordx2 v[11:12], v[5:6] offset:2048
.LBB594_56:
	s_or_b64 exec, exec, s[0:1]
	s_and_saveexec_b64 s[0:1], s[4:5]
	s_cbranch_execz .LBB594_58
; %bb.57:
	v_add_co_u32_e32 v0, vcc, 0x1000, v11
	v_addc_co_u32_e32 v1, vcc, 0, v12, vcc
	flat_store_dwordx2 v[0:1], v[9:10]
.LBB594_58:
	s_or_b64 exec, exec, s[0:1]
.LBB594_59:
	s_and_saveexec_b64 s[0:1], s[6:7]
	s_cbranch_execnz .LBB594_61
; %bb.60:
	s_endpgm
.LBB594_61:
	v_add_co_u32_e32 v0, vcc, 0x1000, v11
	v_addc_co_u32_e32 v1, vcc, 0, v12, vcc
	flat_store_dwordx2 v[0:1], v[7:8] offset:2048
	s_endpgm
	.section	.rodata,"a",@progbits
	.p2align	6, 0x0
	.amdhsa_kernel _ZN7rocprim17ROCPRIM_400000_NS6detail17trampoline_kernelINS0_14default_configENS1_27upper_bound_config_selectorIslEEZNS1_14transform_implILb0ES3_S5_N6thrust23THRUST_200600_302600_NS6detail15normal_iteratorINS8_7pointerIsNS8_11hip_rocprim5par_tENS8_11use_defaultESE_EEEENSA_INSB_IlSD_SE_SE_EEEEZNS1_13binary_searchIS3_S5_NSA_INS8_10device_ptrIsEEEESG_SI_NS1_21upper_bound_search_opENS9_16wrapped_functionINS8_6system6detail7generic6detail18binary_search_lessEbEEEE10hipError_tPvRmT1_T2_T3_mmT4_T5_P12ihipStream_tbEUlRKsE_EESV_SZ_S10_mS11_S14_bEUlT_E_NS1_11comp_targetILNS1_3genE2ELNS1_11target_archE906ELNS1_3gpuE6ELNS1_3repE0EEENS1_30default_config_static_selectorELNS0_4arch9wavefront6targetE1EEEvSY_
		.amdhsa_group_segment_fixed_size 0
		.amdhsa_private_segment_fixed_size 0
		.amdhsa_kernarg_size 312
		.amdhsa_user_sgpr_count 6
		.amdhsa_user_sgpr_private_segment_buffer 1
		.amdhsa_user_sgpr_dispatch_ptr 0
		.amdhsa_user_sgpr_queue_ptr 0
		.amdhsa_user_sgpr_kernarg_segment_ptr 1
		.amdhsa_user_sgpr_dispatch_id 0
		.amdhsa_user_sgpr_flat_scratch_init 0
		.amdhsa_user_sgpr_private_segment_size 0
		.amdhsa_uses_dynamic_stack 0
		.amdhsa_system_sgpr_private_segment_wavefront_offset 0
		.amdhsa_system_sgpr_workgroup_id_x 1
		.amdhsa_system_sgpr_workgroup_id_y 0
		.amdhsa_system_sgpr_workgroup_id_z 0
		.amdhsa_system_sgpr_workgroup_info 0
		.amdhsa_system_vgpr_workitem_id 0
		.amdhsa_next_free_vgpr 18
		.amdhsa_next_free_sgpr 22
		.amdhsa_reserve_vcc 1
		.amdhsa_reserve_flat_scratch 0
		.amdhsa_float_round_mode_32 0
		.amdhsa_float_round_mode_16_64 0
		.amdhsa_float_denorm_mode_32 3
		.amdhsa_float_denorm_mode_16_64 3
		.amdhsa_dx10_clamp 1
		.amdhsa_ieee_mode 1
		.amdhsa_fp16_overflow 0
		.amdhsa_exception_fp_ieee_invalid_op 0
		.amdhsa_exception_fp_denorm_src 0
		.amdhsa_exception_fp_ieee_div_zero 0
		.amdhsa_exception_fp_ieee_overflow 0
		.amdhsa_exception_fp_ieee_underflow 0
		.amdhsa_exception_fp_ieee_inexact 0
		.amdhsa_exception_int_div_zero 0
	.end_amdhsa_kernel
	.section	.text._ZN7rocprim17ROCPRIM_400000_NS6detail17trampoline_kernelINS0_14default_configENS1_27upper_bound_config_selectorIslEEZNS1_14transform_implILb0ES3_S5_N6thrust23THRUST_200600_302600_NS6detail15normal_iteratorINS8_7pointerIsNS8_11hip_rocprim5par_tENS8_11use_defaultESE_EEEENSA_INSB_IlSD_SE_SE_EEEEZNS1_13binary_searchIS3_S5_NSA_INS8_10device_ptrIsEEEESG_SI_NS1_21upper_bound_search_opENS9_16wrapped_functionINS8_6system6detail7generic6detail18binary_search_lessEbEEEE10hipError_tPvRmT1_T2_T3_mmT4_T5_P12ihipStream_tbEUlRKsE_EESV_SZ_S10_mS11_S14_bEUlT_E_NS1_11comp_targetILNS1_3genE2ELNS1_11target_archE906ELNS1_3gpuE6ELNS1_3repE0EEENS1_30default_config_static_selectorELNS0_4arch9wavefront6targetE1EEEvSY_,"axG",@progbits,_ZN7rocprim17ROCPRIM_400000_NS6detail17trampoline_kernelINS0_14default_configENS1_27upper_bound_config_selectorIslEEZNS1_14transform_implILb0ES3_S5_N6thrust23THRUST_200600_302600_NS6detail15normal_iteratorINS8_7pointerIsNS8_11hip_rocprim5par_tENS8_11use_defaultESE_EEEENSA_INSB_IlSD_SE_SE_EEEEZNS1_13binary_searchIS3_S5_NSA_INS8_10device_ptrIsEEEESG_SI_NS1_21upper_bound_search_opENS9_16wrapped_functionINS8_6system6detail7generic6detail18binary_search_lessEbEEEE10hipError_tPvRmT1_T2_T3_mmT4_T5_P12ihipStream_tbEUlRKsE_EESV_SZ_S10_mS11_S14_bEUlT_E_NS1_11comp_targetILNS1_3genE2ELNS1_11target_archE906ELNS1_3gpuE6ELNS1_3repE0EEENS1_30default_config_static_selectorELNS0_4arch9wavefront6targetE1EEEvSY_,comdat
.Lfunc_end594:
	.size	_ZN7rocprim17ROCPRIM_400000_NS6detail17trampoline_kernelINS0_14default_configENS1_27upper_bound_config_selectorIslEEZNS1_14transform_implILb0ES3_S5_N6thrust23THRUST_200600_302600_NS6detail15normal_iteratorINS8_7pointerIsNS8_11hip_rocprim5par_tENS8_11use_defaultESE_EEEENSA_INSB_IlSD_SE_SE_EEEEZNS1_13binary_searchIS3_S5_NSA_INS8_10device_ptrIsEEEESG_SI_NS1_21upper_bound_search_opENS9_16wrapped_functionINS8_6system6detail7generic6detail18binary_search_lessEbEEEE10hipError_tPvRmT1_T2_T3_mmT4_T5_P12ihipStream_tbEUlRKsE_EESV_SZ_S10_mS11_S14_bEUlT_E_NS1_11comp_targetILNS1_3genE2ELNS1_11target_archE906ELNS1_3gpuE6ELNS1_3repE0EEENS1_30default_config_static_selectorELNS0_4arch9wavefront6targetE1EEEvSY_, .Lfunc_end594-_ZN7rocprim17ROCPRIM_400000_NS6detail17trampoline_kernelINS0_14default_configENS1_27upper_bound_config_selectorIslEEZNS1_14transform_implILb0ES3_S5_N6thrust23THRUST_200600_302600_NS6detail15normal_iteratorINS8_7pointerIsNS8_11hip_rocprim5par_tENS8_11use_defaultESE_EEEENSA_INSB_IlSD_SE_SE_EEEEZNS1_13binary_searchIS3_S5_NSA_INS8_10device_ptrIsEEEESG_SI_NS1_21upper_bound_search_opENS9_16wrapped_functionINS8_6system6detail7generic6detail18binary_search_lessEbEEEE10hipError_tPvRmT1_T2_T3_mmT4_T5_P12ihipStream_tbEUlRKsE_EESV_SZ_S10_mS11_S14_bEUlT_E_NS1_11comp_targetILNS1_3genE2ELNS1_11target_archE906ELNS1_3gpuE6ELNS1_3repE0EEENS1_30default_config_static_selectorELNS0_4arch9wavefront6targetE1EEEvSY_
                                        ; -- End function
	.set _ZN7rocprim17ROCPRIM_400000_NS6detail17trampoline_kernelINS0_14default_configENS1_27upper_bound_config_selectorIslEEZNS1_14transform_implILb0ES3_S5_N6thrust23THRUST_200600_302600_NS6detail15normal_iteratorINS8_7pointerIsNS8_11hip_rocprim5par_tENS8_11use_defaultESE_EEEENSA_INSB_IlSD_SE_SE_EEEEZNS1_13binary_searchIS3_S5_NSA_INS8_10device_ptrIsEEEESG_SI_NS1_21upper_bound_search_opENS9_16wrapped_functionINS8_6system6detail7generic6detail18binary_search_lessEbEEEE10hipError_tPvRmT1_T2_T3_mmT4_T5_P12ihipStream_tbEUlRKsE_EESV_SZ_S10_mS11_S14_bEUlT_E_NS1_11comp_targetILNS1_3genE2ELNS1_11target_archE906ELNS1_3gpuE6ELNS1_3repE0EEENS1_30default_config_static_selectorELNS0_4arch9wavefront6targetE1EEEvSY_.num_vgpr, 18
	.set _ZN7rocprim17ROCPRIM_400000_NS6detail17trampoline_kernelINS0_14default_configENS1_27upper_bound_config_selectorIslEEZNS1_14transform_implILb0ES3_S5_N6thrust23THRUST_200600_302600_NS6detail15normal_iteratorINS8_7pointerIsNS8_11hip_rocprim5par_tENS8_11use_defaultESE_EEEENSA_INSB_IlSD_SE_SE_EEEEZNS1_13binary_searchIS3_S5_NSA_INS8_10device_ptrIsEEEESG_SI_NS1_21upper_bound_search_opENS9_16wrapped_functionINS8_6system6detail7generic6detail18binary_search_lessEbEEEE10hipError_tPvRmT1_T2_T3_mmT4_T5_P12ihipStream_tbEUlRKsE_EESV_SZ_S10_mS11_S14_bEUlT_E_NS1_11comp_targetILNS1_3genE2ELNS1_11target_archE906ELNS1_3gpuE6ELNS1_3repE0EEENS1_30default_config_static_selectorELNS0_4arch9wavefront6targetE1EEEvSY_.num_agpr, 0
	.set _ZN7rocprim17ROCPRIM_400000_NS6detail17trampoline_kernelINS0_14default_configENS1_27upper_bound_config_selectorIslEEZNS1_14transform_implILb0ES3_S5_N6thrust23THRUST_200600_302600_NS6detail15normal_iteratorINS8_7pointerIsNS8_11hip_rocprim5par_tENS8_11use_defaultESE_EEEENSA_INSB_IlSD_SE_SE_EEEEZNS1_13binary_searchIS3_S5_NSA_INS8_10device_ptrIsEEEESG_SI_NS1_21upper_bound_search_opENS9_16wrapped_functionINS8_6system6detail7generic6detail18binary_search_lessEbEEEE10hipError_tPvRmT1_T2_T3_mmT4_T5_P12ihipStream_tbEUlRKsE_EESV_SZ_S10_mS11_S14_bEUlT_E_NS1_11comp_targetILNS1_3genE2ELNS1_11target_archE906ELNS1_3gpuE6ELNS1_3repE0EEENS1_30default_config_static_selectorELNS0_4arch9wavefront6targetE1EEEvSY_.numbered_sgpr, 22
	.set _ZN7rocprim17ROCPRIM_400000_NS6detail17trampoline_kernelINS0_14default_configENS1_27upper_bound_config_selectorIslEEZNS1_14transform_implILb0ES3_S5_N6thrust23THRUST_200600_302600_NS6detail15normal_iteratorINS8_7pointerIsNS8_11hip_rocprim5par_tENS8_11use_defaultESE_EEEENSA_INSB_IlSD_SE_SE_EEEEZNS1_13binary_searchIS3_S5_NSA_INS8_10device_ptrIsEEEESG_SI_NS1_21upper_bound_search_opENS9_16wrapped_functionINS8_6system6detail7generic6detail18binary_search_lessEbEEEE10hipError_tPvRmT1_T2_T3_mmT4_T5_P12ihipStream_tbEUlRKsE_EESV_SZ_S10_mS11_S14_bEUlT_E_NS1_11comp_targetILNS1_3genE2ELNS1_11target_archE906ELNS1_3gpuE6ELNS1_3repE0EEENS1_30default_config_static_selectorELNS0_4arch9wavefront6targetE1EEEvSY_.num_named_barrier, 0
	.set _ZN7rocprim17ROCPRIM_400000_NS6detail17trampoline_kernelINS0_14default_configENS1_27upper_bound_config_selectorIslEEZNS1_14transform_implILb0ES3_S5_N6thrust23THRUST_200600_302600_NS6detail15normal_iteratorINS8_7pointerIsNS8_11hip_rocprim5par_tENS8_11use_defaultESE_EEEENSA_INSB_IlSD_SE_SE_EEEEZNS1_13binary_searchIS3_S5_NSA_INS8_10device_ptrIsEEEESG_SI_NS1_21upper_bound_search_opENS9_16wrapped_functionINS8_6system6detail7generic6detail18binary_search_lessEbEEEE10hipError_tPvRmT1_T2_T3_mmT4_T5_P12ihipStream_tbEUlRKsE_EESV_SZ_S10_mS11_S14_bEUlT_E_NS1_11comp_targetILNS1_3genE2ELNS1_11target_archE906ELNS1_3gpuE6ELNS1_3repE0EEENS1_30default_config_static_selectorELNS0_4arch9wavefront6targetE1EEEvSY_.private_seg_size, 0
	.set _ZN7rocprim17ROCPRIM_400000_NS6detail17trampoline_kernelINS0_14default_configENS1_27upper_bound_config_selectorIslEEZNS1_14transform_implILb0ES3_S5_N6thrust23THRUST_200600_302600_NS6detail15normal_iteratorINS8_7pointerIsNS8_11hip_rocprim5par_tENS8_11use_defaultESE_EEEENSA_INSB_IlSD_SE_SE_EEEEZNS1_13binary_searchIS3_S5_NSA_INS8_10device_ptrIsEEEESG_SI_NS1_21upper_bound_search_opENS9_16wrapped_functionINS8_6system6detail7generic6detail18binary_search_lessEbEEEE10hipError_tPvRmT1_T2_T3_mmT4_T5_P12ihipStream_tbEUlRKsE_EESV_SZ_S10_mS11_S14_bEUlT_E_NS1_11comp_targetILNS1_3genE2ELNS1_11target_archE906ELNS1_3gpuE6ELNS1_3repE0EEENS1_30default_config_static_selectorELNS0_4arch9wavefront6targetE1EEEvSY_.uses_vcc, 1
	.set _ZN7rocprim17ROCPRIM_400000_NS6detail17trampoline_kernelINS0_14default_configENS1_27upper_bound_config_selectorIslEEZNS1_14transform_implILb0ES3_S5_N6thrust23THRUST_200600_302600_NS6detail15normal_iteratorINS8_7pointerIsNS8_11hip_rocprim5par_tENS8_11use_defaultESE_EEEENSA_INSB_IlSD_SE_SE_EEEEZNS1_13binary_searchIS3_S5_NSA_INS8_10device_ptrIsEEEESG_SI_NS1_21upper_bound_search_opENS9_16wrapped_functionINS8_6system6detail7generic6detail18binary_search_lessEbEEEE10hipError_tPvRmT1_T2_T3_mmT4_T5_P12ihipStream_tbEUlRKsE_EESV_SZ_S10_mS11_S14_bEUlT_E_NS1_11comp_targetILNS1_3genE2ELNS1_11target_archE906ELNS1_3gpuE6ELNS1_3repE0EEENS1_30default_config_static_selectorELNS0_4arch9wavefront6targetE1EEEvSY_.uses_flat_scratch, 0
	.set _ZN7rocprim17ROCPRIM_400000_NS6detail17trampoline_kernelINS0_14default_configENS1_27upper_bound_config_selectorIslEEZNS1_14transform_implILb0ES3_S5_N6thrust23THRUST_200600_302600_NS6detail15normal_iteratorINS8_7pointerIsNS8_11hip_rocprim5par_tENS8_11use_defaultESE_EEEENSA_INSB_IlSD_SE_SE_EEEEZNS1_13binary_searchIS3_S5_NSA_INS8_10device_ptrIsEEEESG_SI_NS1_21upper_bound_search_opENS9_16wrapped_functionINS8_6system6detail7generic6detail18binary_search_lessEbEEEE10hipError_tPvRmT1_T2_T3_mmT4_T5_P12ihipStream_tbEUlRKsE_EESV_SZ_S10_mS11_S14_bEUlT_E_NS1_11comp_targetILNS1_3genE2ELNS1_11target_archE906ELNS1_3gpuE6ELNS1_3repE0EEENS1_30default_config_static_selectorELNS0_4arch9wavefront6targetE1EEEvSY_.has_dyn_sized_stack, 0
	.set _ZN7rocprim17ROCPRIM_400000_NS6detail17trampoline_kernelINS0_14default_configENS1_27upper_bound_config_selectorIslEEZNS1_14transform_implILb0ES3_S5_N6thrust23THRUST_200600_302600_NS6detail15normal_iteratorINS8_7pointerIsNS8_11hip_rocprim5par_tENS8_11use_defaultESE_EEEENSA_INSB_IlSD_SE_SE_EEEEZNS1_13binary_searchIS3_S5_NSA_INS8_10device_ptrIsEEEESG_SI_NS1_21upper_bound_search_opENS9_16wrapped_functionINS8_6system6detail7generic6detail18binary_search_lessEbEEEE10hipError_tPvRmT1_T2_T3_mmT4_T5_P12ihipStream_tbEUlRKsE_EESV_SZ_S10_mS11_S14_bEUlT_E_NS1_11comp_targetILNS1_3genE2ELNS1_11target_archE906ELNS1_3gpuE6ELNS1_3repE0EEENS1_30default_config_static_selectorELNS0_4arch9wavefront6targetE1EEEvSY_.has_recursion, 0
	.set _ZN7rocprim17ROCPRIM_400000_NS6detail17trampoline_kernelINS0_14default_configENS1_27upper_bound_config_selectorIslEEZNS1_14transform_implILb0ES3_S5_N6thrust23THRUST_200600_302600_NS6detail15normal_iteratorINS8_7pointerIsNS8_11hip_rocprim5par_tENS8_11use_defaultESE_EEEENSA_INSB_IlSD_SE_SE_EEEEZNS1_13binary_searchIS3_S5_NSA_INS8_10device_ptrIsEEEESG_SI_NS1_21upper_bound_search_opENS9_16wrapped_functionINS8_6system6detail7generic6detail18binary_search_lessEbEEEE10hipError_tPvRmT1_T2_T3_mmT4_T5_P12ihipStream_tbEUlRKsE_EESV_SZ_S10_mS11_S14_bEUlT_E_NS1_11comp_targetILNS1_3genE2ELNS1_11target_archE906ELNS1_3gpuE6ELNS1_3repE0EEENS1_30default_config_static_selectorELNS0_4arch9wavefront6targetE1EEEvSY_.has_indirect_call, 0
	.section	.AMDGPU.csdata,"",@progbits
; Kernel info:
; codeLenInByte = 2136
; TotalNumSgprs: 26
; NumVgprs: 18
; ScratchSize: 0
; MemoryBound: 0
; FloatMode: 240
; IeeeMode: 1
; LDSByteSize: 0 bytes/workgroup (compile time only)
; SGPRBlocks: 3
; VGPRBlocks: 4
; NumSGPRsForWavesPerEU: 26
; NumVGPRsForWavesPerEU: 18
; Occupancy: 10
; WaveLimiterHint : 1
; COMPUTE_PGM_RSRC2:SCRATCH_EN: 0
; COMPUTE_PGM_RSRC2:USER_SGPR: 6
; COMPUTE_PGM_RSRC2:TRAP_HANDLER: 0
; COMPUTE_PGM_RSRC2:TGID_X_EN: 1
; COMPUTE_PGM_RSRC2:TGID_Y_EN: 0
; COMPUTE_PGM_RSRC2:TGID_Z_EN: 0
; COMPUTE_PGM_RSRC2:TIDIG_COMP_CNT: 0
	.section	.text._ZN7rocprim17ROCPRIM_400000_NS6detail17trampoline_kernelINS0_14default_configENS1_27upper_bound_config_selectorIslEEZNS1_14transform_implILb0ES3_S5_N6thrust23THRUST_200600_302600_NS6detail15normal_iteratorINS8_7pointerIsNS8_11hip_rocprim5par_tENS8_11use_defaultESE_EEEENSA_INSB_IlSD_SE_SE_EEEEZNS1_13binary_searchIS3_S5_NSA_INS8_10device_ptrIsEEEESG_SI_NS1_21upper_bound_search_opENS9_16wrapped_functionINS8_6system6detail7generic6detail18binary_search_lessEbEEEE10hipError_tPvRmT1_T2_T3_mmT4_T5_P12ihipStream_tbEUlRKsE_EESV_SZ_S10_mS11_S14_bEUlT_E_NS1_11comp_targetILNS1_3genE10ELNS1_11target_archE1201ELNS1_3gpuE5ELNS1_3repE0EEENS1_30default_config_static_selectorELNS0_4arch9wavefront6targetE1EEEvSY_,"axG",@progbits,_ZN7rocprim17ROCPRIM_400000_NS6detail17trampoline_kernelINS0_14default_configENS1_27upper_bound_config_selectorIslEEZNS1_14transform_implILb0ES3_S5_N6thrust23THRUST_200600_302600_NS6detail15normal_iteratorINS8_7pointerIsNS8_11hip_rocprim5par_tENS8_11use_defaultESE_EEEENSA_INSB_IlSD_SE_SE_EEEEZNS1_13binary_searchIS3_S5_NSA_INS8_10device_ptrIsEEEESG_SI_NS1_21upper_bound_search_opENS9_16wrapped_functionINS8_6system6detail7generic6detail18binary_search_lessEbEEEE10hipError_tPvRmT1_T2_T3_mmT4_T5_P12ihipStream_tbEUlRKsE_EESV_SZ_S10_mS11_S14_bEUlT_E_NS1_11comp_targetILNS1_3genE10ELNS1_11target_archE1201ELNS1_3gpuE5ELNS1_3repE0EEENS1_30default_config_static_selectorELNS0_4arch9wavefront6targetE1EEEvSY_,comdat
	.protected	_ZN7rocprim17ROCPRIM_400000_NS6detail17trampoline_kernelINS0_14default_configENS1_27upper_bound_config_selectorIslEEZNS1_14transform_implILb0ES3_S5_N6thrust23THRUST_200600_302600_NS6detail15normal_iteratorINS8_7pointerIsNS8_11hip_rocprim5par_tENS8_11use_defaultESE_EEEENSA_INSB_IlSD_SE_SE_EEEEZNS1_13binary_searchIS3_S5_NSA_INS8_10device_ptrIsEEEESG_SI_NS1_21upper_bound_search_opENS9_16wrapped_functionINS8_6system6detail7generic6detail18binary_search_lessEbEEEE10hipError_tPvRmT1_T2_T3_mmT4_T5_P12ihipStream_tbEUlRKsE_EESV_SZ_S10_mS11_S14_bEUlT_E_NS1_11comp_targetILNS1_3genE10ELNS1_11target_archE1201ELNS1_3gpuE5ELNS1_3repE0EEENS1_30default_config_static_selectorELNS0_4arch9wavefront6targetE1EEEvSY_ ; -- Begin function _ZN7rocprim17ROCPRIM_400000_NS6detail17trampoline_kernelINS0_14default_configENS1_27upper_bound_config_selectorIslEEZNS1_14transform_implILb0ES3_S5_N6thrust23THRUST_200600_302600_NS6detail15normal_iteratorINS8_7pointerIsNS8_11hip_rocprim5par_tENS8_11use_defaultESE_EEEENSA_INSB_IlSD_SE_SE_EEEEZNS1_13binary_searchIS3_S5_NSA_INS8_10device_ptrIsEEEESG_SI_NS1_21upper_bound_search_opENS9_16wrapped_functionINS8_6system6detail7generic6detail18binary_search_lessEbEEEE10hipError_tPvRmT1_T2_T3_mmT4_T5_P12ihipStream_tbEUlRKsE_EESV_SZ_S10_mS11_S14_bEUlT_E_NS1_11comp_targetILNS1_3genE10ELNS1_11target_archE1201ELNS1_3gpuE5ELNS1_3repE0EEENS1_30default_config_static_selectorELNS0_4arch9wavefront6targetE1EEEvSY_
	.globl	_ZN7rocprim17ROCPRIM_400000_NS6detail17trampoline_kernelINS0_14default_configENS1_27upper_bound_config_selectorIslEEZNS1_14transform_implILb0ES3_S5_N6thrust23THRUST_200600_302600_NS6detail15normal_iteratorINS8_7pointerIsNS8_11hip_rocprim5par_tENS8_11use_defaultESE_EEEENSA_INSB_IlSD_SE_SE_EEEEZNS1_13binary_searchIS3_S5_NSA_INS8_10device_ptrIsEEEESG_SI_NS1_21upper_bound_search_opENS9_16wrapped_functionINS8_6system6detail7generic6detail18binary_search_lessEbEEEE10hipError_tPvRmT1_T2_T3_mmT4_T5_P12ihipStream_tbEUlRKsE_EESV_SZ_S10_mS11_S14_bEUlT_E_NS1_11comp_targetILNS1_3genE10ELNS1_11target_archE1201ELNS1_3gpuE5ELNS1_3repE0EEENS1_30default_config_static_selectorELNS0_4arch9wavefront6targetE1EEEvSY_
	.p2align	8
	.type	_ZN7rocprim17ROCPRIM_400000_NS6detail17trampoline_kernelINS0_14default_configENS1_27upper_bound_config_selectorIslEEZNS1_14transform_implILb0ES3_S5_N6thrust23THRUST_200600_302600_NS6detail15normal_iteratorINS8_7pointerIsNS8_11hip_rocprim5par_tENS8_11use_defaultESE_EEEENSA_INSB_IlSD_SE_SE_EEEEZNS1_13binary_searchIS3_S5_NSA_INS8_10device_ptrIsEEEESG_SI_NS1_21upper_bound_search_opENS9_16wrapped_functionINS8_6system6detail7generic6detail18binary_search_lessEbEEEE10hipError_tPvRmT1_T2_T3_mmT4_T5_P12ihipStream_tbEUlRKsE_EESV_SZ_S10_mS11_S14_bEUlT_E_NS1_11comp_targetILNS1_3genE10ELNS1_11target_archE1201ELNS1_3gpuE5ELNS1_3repE0EEENS1_30default_config_static_selectorELNS0_4arch9wavefront6targetE1EEEvSY_,@function
_ZN7rocprim17ROCPRIM_400000_NS6detail17trampoline_kernelINS0_14default_configENS1_27upper_bound_config_selectorIslEEZNS1_14transform_implILb0ES3_S5_N6thrust23THRUST_200600_302600_NS6detail15normal_iteratorINS8_7pointerIsNS8_11hip_rocprim5par_tENS8_11use_defaultESE_EEEENSA_INSB_IlSD_SE_SE_EEEEZNS1_13binary_searchIS3_S5_NSA_INS8_10device_ptrIsEEEESG_SI_NS1_21upper_bound_search_opENS9_16wrapped_functionINS8_6system6detail7generic6detail18binary_search_lessEbEEEE10hipError_tPvRmT1_T2_T3_mmT4_T5_P12ihipStream_tbEUlRKsE_EESV_SZ_S10_mS11_S14_bEUlT_E_NS1_11comp_targetILNS1_3genE10ELNS1_11target_archE1201ELNS1_3gpuE5ELNS1_3repE0EEENS1_30default_config_static_selectorELNS0_4arch9wavefront6targetE1EEEvSY_: ; @_ZN7rocprim17ROCPRIM_400000_NS6detail17trampoline_kernelINS0_14default_configENS1_27upper_bound_config_selectorIslEEZNS1_14transform_implILb0ES3_S5_N6thrust23THRUST_200600_302600_NS6detail15normal_iteratorINS8_7pointerIsNS8_11hip_rocprim5par_tENS8_11use_defaultESE_EEEENSA_INSB_IlSD_SE_SE_EEEEZNS1_13binary_searchIS3_S5_NSA_INS8_10device_ptrIsEEEESG_SI_NS1_21upper_bound_search_opENS9_16wrapped_functionINS8_6system6detail7generic6detail18binary_search_lessEbEEEE10hipError_tPvRmT1_T2_T3_mmT4_T5_P12ihipStream_tbEUlRKsE_EESV_SZ_S10_mS11_S14_bEUlT_E_NS1_11comp_targetILNS1_3genE10ELNS1_11target_archE1201ELNS1_3gpuE5ELNS1_3repE0EEENS1_30default_config_static_selectorELNS0_4arch9wavefront6targetE1EEEvSY_
; %bb.0:
	.section	.rodata,"a",@progbits
	.p2align	6, 0x0
	.amdhsa_kernel _ZN7rocprim17ROCPRIM_400000_NS6detail17trampoline_kernelINS0_14default_configENS1_27upper_bound_config_selectorIslEEZNS1_14transform_implILb0ES3_S5_N6thrust23THRUST_200600_302600_NS6detail15normal_iteratorINS8_7pointerIsNS8_11hip_rocprim5par_tENS8_11use_defaultESE_EEEENSA_INSB_IlSD_SE_SE_EEEEZNS1_13binary_searchIS3_S5_NSA_INS8_10device_ptrIsEEEESG_SI_NS1_21upper_bound_search_opENS9_16wrapped_functionINS8_6system6detail7generic6detail18binary_search_lessEbEEEE10hipError_tPvRmT1_T2_T3_mmT4_T5_P12ihipStream_tbEUlRKsE_EESV_SZ_S10_mS11_S14_bEUlT_E_NS1_11comp_targetILNS1_3genE10ELNS1_11target_archE1201ELNS1_3gpuE5ELNS1_3repE0EEENS1_30default_config_static_selectorELNS0_4arch9wavefront6targetE1EEEvSY_
		.amdhsa_group_segment_fixed_size 0
		.amdhsa_private_segment_fixed_size 0
		.amdhsa_kernarg_size 56
		.amdhsa_user_sgpr_count 6
		.amdhsa_user_sgpr_private_segment_buffer 1
		.amdhsa_user_sgpr_dispatch_ptr 0
		.amdhsa_user_sgpr_queue_ptr 0
		.amdhsa_user_sgpr_kernarg_segment_ptr 1
		.amdhsa_user_sgpr_dispatch_id 0
		.amdhsa_user_sgpr_flat_scratch_init 0
		.amdhsa_user_sgpr_private_segment_size 0
		.amdhsa_uses_dynamic_stack 0
		.amdhsa_system_sgpr_private_segment_wavefront_offset 0
		.amdhsa_system_sgpr_workgroup_id_x 1
		.amdhsa_system_sgpr_workgroup_id_y 0
		.amdhsa_system_sgpr_workgroup_id_z 0
		.amdhsa_system_sgpr_workgroup_info 0
		.amdhsa_system_vgpr_workitem_id 0
		.amdhsa_next_free_vgpr 1
		.amdhsa_next_free_sgpr 0
		.amdhsa_reserve_vcc 0
		.amdhsa_reserve_flat_scratch 0
		.amdhsa_float_round_mode_32 0
		.amdhsa_float_round_mode_16_64 0
		.amdhsa_float_denorm_mode_32 3
		.amdhsa_float_denorm_mode_16_64 3
		.amdhsa_dx10_clamp 1
		.amdhsa_ieee_mode 1
		.amdhsa_fp16_overflow 0
		.amdhsa_exception_fp_ieee_invalid_op 0
		.amdhsa_exception_fp_denorm_src 0
		.amdhsa_exception_fp_ieee_div_zero 0
		.amdhsa_exception_fp_ieee_overflow 0
		.amdhsa_exception_fp_ieee_underflow 0
		.amdhsa_exception_fp_ieee_inexact 0
		.amdhsa_exception_int_div_zero 0
	.end_amdhsa_kernel
	.section	.text._ZN7rocprim17ROCPRIM_400000_NS6detail17trampoline_kernelINS0_14default_configENS1_27upper_bound_config_selectorIslEEZNS1_14transform_implILb0ES3_S5_N6thrust23THRUST_200600_302600_NS6detail15normal_iteratorINS8_7pointerIsNS8_11hip_rocprim5par_tENS8_11use_defaultESE_EEEENSA_INSB_IlSD_SE_SE_EEEEZNS1_13binary_searchIS3_S5_NSA_INS8_10device_ptrIsEEEESG_SI_NS1_21upper_bound_search_opENS9_16wrapped_functionINS8_6system6detail7generic6detail18binary_search_lessEbEEEE10hipError_tPvRmT1_T2_T3_mmT4_T5_P12ihipStream_tbEUlRKsE_EESV_SZ_S10_mS11_S14_bEUlT_E_NS1_11comp_targetILNS1_3genE10ELNS1_11target_archE1201ELNS1_3gpuE5ELNS1_3repE0EEENS1_30default_config_static_selectorELNS0_4arch9wavefront6targetE1EEEvSY_,"axG",@progbits,_ZN7rocprim17ROCPRIM_400000_NS6detail17trampoline_kernelINS0_14default_configENS1_27upper_bound_config_selectorIslEEZNS1_14transform_implILb0ES3_S5_N6thrust23THRUST_200600_302600_NS6detail15normal_iteratorINS8_7pointerIsNS8_11hip_rocprim5par_tENS8_11use_defaultESE_EEEENSA_INSB_IlSD_SE_SE_EEEEZNS1_13binary_searchIS3_S5_NSA_INS8_10device_ptrIsEEEESG_SI_NS1_21upper_bound_search_opENS9_16wrapped_functionINS8_6system6detail7generic6detail18binary_search_lessEbEEEE10hipError_tPvRmT1_T2_T3_mmT4_T5_P12ihipStream_tbEUlRKsE_EESV_SZ_S10_mS11_S14_bEUlT_E_NS1_11comp_targetILNS1_3genE10ELNS1_11target_archE1201ELNS1_3gpuE5ELNS1_3repE0EEENS1_30default_config_static_selectorELNS0_4arch9wavefront6targetE1EEEvSY_,comdat
.Lfunc_end595:
	.size	_ZN7rocprim17ROCPRIM_400000_NS6detail17trampoline_kernelINS0_14default_configENS1_27upper_bound_config_selectorIslEEZNS1_14transform_implILb0ES3_S5_N6thrust23THRUST_200600_302600_NS6detail15normal_iteratorINS8_7pointerIsNS8_11hip_rocprim5par_tENS8_11use_defaultESE_EEEENSA_INSB_IlSD_SE_SE_EEEEZNS1_13binary_searchIS3_S5_NSA_INS8_10device_ptrIsEEEESG_SI_NS1_21upper_bound_search_opENS9_16wrapped_functionINS8_6system6detail7generic6detail18binary_search_lessEbEEEE10hipError_tPvRmT1_T2_T3_mmT4_T5_P12ihipStream_tbEUlRKsE_EESV_SZ_S10_mS11_S14_bEUlT_E_NS1_11comp_targetILNS1_3genE10ELNS1_11target_archE1201ELNS1_3gpuE5ELNS1_3repE0EEENS1_30default_config_static_selectorELNS0_4arch9wavefront6targetE1EEEvSY_, .Lfunc_end595-_ZN7rocprim17ROCPRIM_400000_NS6detail17trampoline_kernelINS0_14default_configENS1_27upper_bound_config_selectorIslEEZNS1_14transform_implILb0ES3_S5_N6thrust23THRUST_200600_302600_NS6detail15normal_iteratorINS8_7pointerIsNS8_11hip_rocprim5par_tENS8_11use_defaultESE_EEEENSA_INSB_IlSD_SE_SE_EEEEZNS1_13binary_searchIS3_S5_NSA_INS8_10device_ptrIsEEEESG_SI_NS1_21upper_bound_search_opENS9_16wrapped_functionINS8_6system6detail7generic6detail18binary_search_lessEbEEEE10hipError_tPvRmT1_T2_T3_mmT4_T5_P12ihipStream_tbEUlRKsE_EESV_SZ_S10_mS11_S14_bEUlT_E_NS1_11comp_targetILNS1_3genE10ELNS1_11target_archE1201ELNS1_3gpuE5ELNS1_3repE0EEENS1_30default_config_static_selectorELNS0_4arch9wavefront6targetE1EEEvSY_
                                        ; -- End function
	.set _ZN7rocprim17ROCPRIM_400000_NS6detail17trampoline_kernelINS0_14default_configENS1_27upper_bound_config_selectorIslEEZNS1_14transform_implILb0ES3_S5_N6thrust23THRUST_200600_302600_NS6detail15normal_iteratorINS8_7pointerIsNS8_11hip_rocprim5par_tENS8_11use_defaultESE_EEEENSA_INSB_IlSD_SE_SE_EEEEZNS1_13binary_searchIS3_S5_NSA_INS8_10device_ptrIsEEEESG_SI_NS1_21upper_bound_search_opENS9_16wrapped_functionINS8_6system6detail7generic6detail18binary_search_lessEbEEEE10hipError_tPvRmT1_T2_T3_mmT4_T5_P12ihipStream_tbEUlRKsE_EESV_SZ_S10_mS11_S14_bEUlT_E_NS1_11comp_targetILNS1_3genE10ELNS1_11target_archE1201ELNS1_3gpuE5ELNS1_3repE0EEENS1_30default_config_static_selectorELNS0_4arch9wavefront6targetE1EEEvSY_.num_vgpr, 0
	.set _ZN7rocprim17ROCPRIM_400000_NS6detail17trampoline_kernelINS0_14default_configENS1_27upper_bound_config_selectorIslEEZNS1_14transform_implILb0ES3_S5_N6thrust23THRUST_200600_302600_NS6detail15normal_iteratorINS8_7pointerIsNS8_11hip_rocprim5par_tENS8_11use_defaultESE_EEEENSA_INSB_IlSD_SE_SE_EEEEZNS1_13binary_searchIS3_S5_NSA_INS8_10device_ptrIsEEEESG_SI_NS1_21upper_bound_search_opENS9_16wrapped_functionINS8_6system6detail7generic6detail18binary_search_lessEbEEEE10hipError_tPvRmT1_T2_T3_mmT4_T5_P12ihipStream_tbEUlRKsE_EESV_SZ_S10_mS11_S14_bEUlT_E_NS1_11comp_targetILNS1_3genE10ELNS1_11target_archE1201ELNS1_3gpuE5ELNS1_3repE0EEENS1_30default_config_static_selectorELNS0_4arch9wavefront6targetE1EEEvSY_.num_agpr, 0
	.set _ZN7rocprim17ROCPRIM_400000_NS6detail17trampoline_kernelINS0_14default_configENS1_27upper_bound_config_selectorIslEEZNS1_14transform_implILb0ES3_S5_N6thrust23THRUST_200600_302600_NS6detail15normal_iteratorINS8_7pointerIsNS8_11hip_rocprim5par_tENS8_11use_defaultESE_EEEENSA_INSB_IlSD_SE_SE_EEEEZNS1_13binary_searchIS3_S5_NSA_INS8_10device_ptrIsEEEESG_SI_NS1_21upper_bound_search_opENS9_16wrapped_functionINS8_6system6detail7generic6detail18binary_search_lessEbEEEE10hipError_tPvRmT1_T2_T3_mmT4_T5_P12ihipStream_tbEUlRKsE_EESV_SZ_S10_mS11_S14_bEUlT_E_NS1_11comp_targetILNS1_3genE10ELNS1_11target_archE1201ELNS1_3gpuE5ELNS1_3repE0EEENS1_30default_config_static_selectorELNS0_4arch9wavefront6targetE1EEEvSY_.numbered_sgpr, 0
	.set _ZN7rocprim17ROCPRIM_400000_NS6detail17trampoline_kernelINS0_14default_configENS1_27upper_bound_config_selectorIslEEZNS1_14transform_implILb0ES3_S5_N6thrust23THRUST_200600_302600_NS6detail15normal_iteratorINS8_7pointerIsNS8_11hip_rocprim5par_tENS8_11use_defaultESE_EEEENSA_INSB_IlSD_SE_SE_EEEEZNS1_13binary_searchIS3_S5_NSA_INS8_10device_ptrIsEEEESG_SI_NS1_21upper_bound_search_opENS9_16wrapped_functionINS8_6system6detail7generic6detail18binary_search_lessEbEEEE10hipError_tPvRmT1_T2_T3_mmT4_T5_P12ihipStream_tbEUlRKsE_EESV_SZ_S10_mS11_S14_bEUlT_E_NS1_11comp_targetILNS1_3genE10ELNS1_11target_archE1201ELNS1_3gpuE5ELNS1_3repE0EEENS1_30default_config_static_selectorELNS0_4arch9wavefront6targetE1EEEvSY_.num_named_barrier, 0
	.set _ZN7rocprim17ROCPRIM_400000_NS6detail17trampoline_kernelINS0_14default_configENS1_27upper_bound_config_selectorIslEEZNS1_14transform_implILb0ES3_S5_N6thrust23THRUST_200600_302600_NS6detail15normal_iteratorINS8_7pointerIsNS8_11hip_rocprim5par_tENS8_11use_defaultESE_EEEENSA_INSB_IlSD_SE_SE_EEEEZNS1_13binary_searchIS3_S5_NSA_INS8_10device_ptrIsEEEESG_SI_NS1_21upper_bound_search_opENS9_16wrapped_functionINS8_6system6detail7generic6detail18binary_search_lessEbEEEE10hipError_tPvRmT1_T2_T3_mmT4_T5_P12ihipStream_tbEUlRKsE_EESV_SZ_S10_mS11_S14_bEUlT_E_NS1_11comp_targetILNS1_3genE10ELNS1_11target_archE1201ELNS1_3gpuE5ELNS1_3repE0EEENS1_30default_config_static_selectorELNS0_4arch9wavefront6targetE1EEEvSY_.private_seg_size, 0
	.set _ZN7rocprim17ROCPRIM_400000_NS6detail17trampoline_kernelINS0_14default_configENS1_27upper_bound_config_selectorIslEEZNS1_14transform_implILb0ES3_S5_N6thrust23THRUST_200600_302600_NS6detail15normal_iteratorINS8_7pointerIsNS8_11hip_rocprim5par_tENS8_11use_defaultESE_EEEENSA_INSB_IlSD_SE_SE_EEEEZNS1_13binary_searchIS3_S5_NSA_INS8_10device_ptrIsEEEESG_SI_NS1_21upper_bound_search_opENS9_16wrapped_functionINS8_6system6detail7generic6detail18binary_search_lessEbEEEE10hipError_tPvRmT1_T2_T3_mmT4_T5_P12ihipStream_tbEUlRKsE_EESV_SZ_S10_mS11_S14_bEUlT_E_NS1_11comp_targetILNS1_3genE10ELNS1_11target_archE1201ELNS1_3gpuE5ELNS1_3repE0EEENS1_30default_config_static_selectorELNS0_4arch9wavefront6targetE1EEEvSY_.uses_vcc, 0
	.set _ZN7rocprim17ROCPRIM_400000_NS6detail17trampoline_kernelINS0_14default_configENS1_27upper_bound_config_selectorIslEEZNS1_14transform_implILb0ES3_S5_N6thrust23THRUST_200600_302600_NS6detail15normal_iteratorINS8_7pointerIsNS8_11hip_rocprim5par_tENS8_11use_defaultESE_EEEENSA_INSB_IlSD_SE_SE_EEEEZNS1_13binary_searchIS3_S5_NSA_INS8_10device_ptrIsEEEESG_SI_NS1_21upper_bound_search_opENS9_16wrapped_functionINS8_6system6detail7generic6detail18binary_search_lessEbEEEE10hipError_tPvRmT1_T2_T3_mmT4_T5_P12ihipStream_tbEUlRKsE_EESV_SZ_S10_mS11_S14_bEUlT_E_NS1_11comp_targetILNS1_3genE10ELNS1_11target_archE1201ELNS1_3gpuE5ELNS1_3repE0EEENS1_30default_config_static_selectorELNS0_4arch9wavefront6targetE1EEEvSY_.uses_flat_scratch, 0
	.set _ZN7rocprim17ROCPRIM_400000_NS6detail17trampoline_kernelINS0_14default_configENS1_27upper_bound_config_selectorIslEEZNS1_14transform_implILb0ES3_S5_N6thrust23THRUST_200600_302600_NS6detail15normal_iteratorINS8_7pointerIsNS8_11hip_rocprim5par_tENS8_11use_defaultESE_EEEENSA_INSB_IlSD_SE_SE_EEEEZNS1_13binary_searchIS3_S5_NSA_INS8_10device_ptrIsEEEESG_SI_NS1_21upper_bound_search_opENS9_16wrapped_functionINS8_6system6detail7generic6detail18binary_search_lessEbEEEE10hipError_tPvRmT1_T2_T3_mmT4_T5_P12ihipStream_tbEUlRKsE_EESV_SZ_S10_mS11_S14_bEUlT_E_NS1_11comp_targetILNS1_3genE10ELNS1_11target_archE1201ELNS1_3gpuE5ELNS1_3repE0EEENS1_30default_config_static_selectorELNS0_4arch9wavefront6targetE1EEEvSY_.has_dyn_sized_stack, 0
	.set _ZN7rocprim17ROCPRIM_400000_NS6detail17trampoline_kernelINS0_14default_configENS1_27upper_bound_config_selectorIslEEZNS1_14transform_implILb0ES3_S5_N6thrust23THRUST_200600_302600_NS6detail15normal_iteratorINS8_7pointerIsNS8_11hip_rocprim5par_tENS8_11use_defaultESE_EEEENSA_INSB_IlSD_SE_SE_EEEEZNS1_13binary_searchIS3_S5_NSA_INS8_10device_ptrIsEEEESG_SI_NS1_21upper_bound_search_opENS9_16wrapped_functionINS8_6system6detail7generic6detail18binary_search_lessEbEEEE10hipError_tPvRmT1_T2_T3_mmT4_T5_P12ihipStream_tbEUlRKsE_EESV_SZ_S10_mS11_S14_bEUlT_E_NS1_11comp_targetILNS1_3genE10ELNS1_11target_archE1201ELNS1_3gpuE5ELNS1_3repE0EEENS1_30default_config_static_selectorELNS0_4arch9wavefront6targetE1EEEvSY_.has_recursion, 0
	.set _ZN7rocprim17ROCPRIM_400000_NS6detail17trampoline_kernelINS0_14default_configENS1_27upper_bound_config_selectorIslEEZNS1_14transform_implILb0ES3_S5_N6thrust23THRUST_200600_302600_NS6detail15normal_iteratorINS8_7pointerIsNS8_11hip_rocprim5par_tENS8_11use_defaultESE_EEEENSA_INSB_IlSD_SE_SE_EEEEZNS1_13binary_searchIS3_S5_NSA_INS8_10device_ptrIsEEEESG_SI_NS1_21upper_bound_search_opENS9_16wrapped_functionINS8_6system6detail7generic6detail18binary_search_lessEbEEEE10hipError_tPvRmT1_T2_T3_mmT4_T5_P12ihipStream_tbEUlRKsE_EESV_SZ_S10_mS11_S14_bEUlT_E_NS1_11comp_targetILNS1_3genE10ELNS1_11target_archE1201ELNS1_3gpuE5ELNS1_3repE0EEENS1_30default_config_static_selectorELNS0_4arch9wavefront6targetE1EEEvSY_.has_indirect_call, 0
	.section	.AMDGPU.csdata,"",@progbits
; Kernel info:
; codeLenInByte = 0
; TotalNumSgprs: 4
; NumVgprs: 0
; ScratchSize: 0
; MemoryBound: 0
; FloatMode: 240
; IeeeMode: 1
; LDSByteSize: 0 bytes/workgroup (compile time only)
; SGPRBlocks: 0
; VGPRBlocks: 0
; NumSGPRsForWavesPerEU: 4
; NumVGPRsForWavesPerEU: 1
; Occupancy: 10
; WaveLimiterHint : 0
; COMPUTE_PGM_RSRC2:SCRATCH_EN: 0
; COMPUTE_PGM_RSRC2:USER_SGPR: 6
; COMPUTE_PGM_RSRC2:TRAP_HANDLER: 0
; COMPUTE_PGM_RSRC2:TGID_X_EN: 1
; COMPUTE_PGM_RSRC2:TGID_Y_EN: 0
; COMPUTE_PGM_RSRC2:TGID_Z_EN: 0
; COMPUTE_PGM_RSRC2:TIDIG_COMP_CNT: 0
	.section	.text._ZN7rocprim17ROCPRIM_400000_NS6detail17trampoline_kernelINS0_14default_configENS1_27upper_bound_config_selectorIslEEZNS1_14transform_implILb0ES3_S5_N6thrust23THRUST_200600_302600_NS6detail15normal_iteratorINS8_7pointerIsNS8_11hip_rocprim5par_tENS8_11use_defaultESE_EEEENSA_INSB_IlSD_SE_SE_EEEEZNS1_13binary_searchIS3_S5_NSA_INS8_10device_ptrIsEEEESG_SI_NS1_21upper_bound_search_opENS9_16wrapped_functionINS8_6system6detail7generic6detail18binary_search_lessEbEEEE10hipError_tPvRmT1_T2_T3_mmT4_T5_P12ihipStream_tbEUlRKsE_EESV_SZ_S10_mS11_S14_bEUlT_E_NS1_11comp_targetILNS1_3genE10ELNS1_11target_archE1200ELNS1_3gpuE4ELNS1_3repE0EEENS1_30default_config_static_selectorELNS0_4arch9wavefront6targetE1EEEvSY_,"axG",@progbits,_ZN7rocprim17ROCPRIM_400000_NS6detail17trampoline_kernelINS0_14default_configENS1_27upper_bound_config_selectorIslEEZNS1_14transform_implILb0ES3_S5_N6thrust23THRUST_200600_302600_NS6detail15normal_iteratorINS8_7pointerIsNS8_11hip_rocprim5par_tENS8_11use_defaultESE_EEEENSA_INSB_IlSD_SE_SE_EEEEZNS1_13binary_searchIS3_S5_NSA_INS8_10device_ptrIsEEEESG_SI_NS1_21upper_bound_search_opENS9_16wrapped_functionINS8_6system6detail7generic6detail18binary_search_lessEbEEEE10hipError_tPvRmT1_T2_T3_mmT4_T5_P12ihipStream_tbEUlRKsE_EESV_SZ_S10_mS11_S14_bEUlT_E_NS1_11comp_targetILNS1_3genE10ELNS1_11target_archE1200ELNS1_3gpuE4ELNS1_3repE0EEENS1_30default_config_static_selectorELNS0_4arch9wavefront6targetE1EEEvSY_,comdat
	.protected	_ZN7rocprim17ROCPRIM_400000_NS6detail17trampoline_kernelINS0_14default_configENS1_27upper_bound_config_selectorIslEEZNS1_14transform_implILb0ES3_S5_N6thrust23THRUST_200600_302600_NS6detail15normal_iteratorINS8_7pointerIsNS8_11hip_rocprim5par_tENS8_11use_defaultESE_EEEENSA_INSB_IlSD_SE_SE_EEEEZNS1_13binary_searchIS3_S5_NSA_INS8_10device_ptrIsEEEESG_SI_NS1_21upper_bound_search_opENS9_16wrapped_functionINS8_6system6detail7generic6detail18binary_search_lessEbEEEE10hipError_tPvRmT1_T2_T3_mmT4_T5_P12ihipStream_tbEUlRKsE_EESV_SZ_S10_mS11_S14_bEUlT_E_NS1_11comp_targetILNS1_3genE10ELNS1_11target_archE1200ELNS1_3gpuE4ELNS1_3repE0EEENS1_30default_config_static_selectorELNS0_4arch9wavefront6targetE1EEEvSY_ ; -- Begin function _ZN7rocprim17ROCPRIM_400000_NS6detail17trampoline_kernelINS0_14default_configENS1_27upper_bound_config_selectorIslEEZNS1_14transform_implILb0ES3_S5_N6thrust23THRUST_200600_302600_NS6detail15normal_iteratorINS8_7pointerIsNS8_11hip_rocprim5par_tENS8_11use_defaultESE_EEEENSA_INSB_IlSD_SE_SE_EEEEZNS1_13binary_searchIS3_S5_NSA_INS8_10device_ptrIsEEEESG_SI_NS1_21upper_bound_search_opENS9_16wrapped_functionINS8_6system6detail7generic6detail18binary_search_lessEbEEEE10hipError_tPvRmT1_T2_T3_mmT4_T5_P12ihipStream_tbEUlRKsE_EESV_SZ_S10_mS11_S14_bEUlT_E_NS1_11comp_targetILNS1_3genE10ELNS1_11target_archE1200ELNS1_3gpuE4ELNS1_3repE0EEENS1_30default_config_static_selectorELNS0_4arch9wavefront6targetE1EEEvSY_
	.globl	_ZN7rocprim17ROCPRIM_400000_NS6detail17trampoline_kernelINS0_14default_configENS1_27upper_bound_config_selectorIslEEZNS1_14transform_implILb0ES3_S5_N6thrust23THRUST_200600_302600_NS6detail15normal_iteratorINS8_7pointerIsNS8_11hip_rocprim5par_tENS8_11use_defaultESE_EEEENSA_INSB_IlSD_SE_SE_EEEEZNS1_13binary_searchIS3_S5_NSA_INS8_10device_ptrIsEEEESG_SI_NS1_21upper_bound_search_opENS9_16wrapped_functionINS8_6system6detail7generic6detail18binary_search_lessEbEEEE10hipError_tPvRmT1_T2_T3_mmT4_T5_P12ihipStream_tbEUlRKsE_EESV_SZ_S10_mS11_S14_bEUlT_E_NS1_11comp_targetILNS1_3genE10ELNS1_11target_archE1200ELNS1_3gpuE4ELNS1_3repE0EEENS1_30default_config_static_selectorELNS0_4arch9wavefront6targetE1EEEvSY_
	.p2align	8
	.type	_ZN7rocprim17ROCPRIM_400000_NS6detail17trampoline_kernelINS0_14default_configENS1_27upper_bound_config_selectorIslEEZNS1_14transform_implILb0ES3_S5_N6thrust23THRUST_200600_302600_NS6detail15normal_iteratorINS8_7pointerIsNS8_11hip_rocprim5par_tENS8_11use_defaultESE_EEEENSA_INSB_IlSD_SE_SE_EEEEZNS1_13binary_searchIS3_S5_NSA_INS8_10device_ptrIsEEEESG_SI_NS1_21upper_bound_search_opENS9_16wrapped_functionINS8_6system6detail7generic6detail18binary_search_lessEbEEEE10hipError_tPvRmT1_T2_T3_mmT4_T5_P12ihipStream_tbEUlRKsE_EESV_SZ_S10_mS11_S14_bEUlT_E_NS1_11comp_targetILNS1_3genE10ELNS1_11target_archE1200ELNS1_3gpuE4ELNS1_3repE0EEENS1_30default_config_static_selectorELNS0_4arch9wavefront6targetE1EEEvSY_,@function
_ZN7rocprim17ROCPRIM_400000_NS6detail17trampoline_kernelINS0_14default_configENS1_27upper_bound_config_selectorIslEEZNS1_14transform_implILb0ES3_S5_N6thrust23THRUST_200600_302600_NS6detail15normal_iteratorINS8_7pointerIsNS8_11hip_rocprim5par_tENS8_11use_defaultESE_EEEENSA_INSB_IlSD_SE_SE_EEEEZNS1_13binary_searchIS3_S5_NSA_INS8_10device_ptrIsEEEESG_SI_NS1_21upper_bound_search_opENS9_16wrapped_functionINS8_6system6detail7generic6detail18binary_search_lessEbEEEE10hipError_tPvRmT1_T2_T3_mmT4_T5_P12ihipStream_tbEUlRKsE_EESV_SZ_S10_mS11_S14_bEUlT_E_NS1_11comp_targetILNS1_3genE10ELNS1_11target_archE1200ELNS1_3gpuE4ELNS1_3repE0EEENS1_30default_config_static_selectorELNS0_4arch9wavefront6targetE1EEEvSY_: ; @_ZN7rocprim17ROCPRIM_400000_NS6detail17trampoline_kernelINS0_14default_configENS1_27upper_bound_config_selectorIslEEZNS1_14transform_implILb0ES3_S5_N6thrust23THRUST_200600_302600_NS6detail15normal_iteratorINS8_7pointerIsNS8_11hip_rocprim5par_tENS8_11use_defaultESE_EEEENSA_INSB_IlSD_SE_SE_EEEEZNS1_13binary_searchIS3_S5_NSA_INS8_10device_ptrIsEEEESG_SI_NS1_21upper_bound_search_opENS9_16wrapped_functionINS8_6system6detail7generic6detail18binary_search_lessEbEEEE10hipError_tPvRmT1_T2_T3_mmT4_T5_P12ihipStream_tbEUlRKsE_EESV_SZ_S10_mS11_S14_bEUlT_E_NS1_11comp_targetILNS1_3genE10ELNS1_11target_archE1200ELNS1_3gpuE4ELNS1_3repE0EEENS1_30default_config_static_selectorELNS0_4arch9wavefront6targetE1EEEvSY_
; %bb.0:
	.section	.rodata,"a",@progbits
	.p2align	6, 0x0
	.amdhsa_kernel _ZN7rocprim17ROCPRIM_400000_NS6detail17trampoline_kernelINS0_14default_configENS1_27upper_bound_config_selectorIslEEZNS1_14transform_implILb0ES3_S5_N6thrust23THRUST_200600_302600_NS6detail15normal_iteratorINS8_7pointerIsNS8_11hip_rocprim5par_tENS8_11use_defaultESE_EEEENSA_INSB_IlSD_SE_SE_EEEEZNS1_13binary_searchIS3_S5_NSA_INS8_10device_ptrIsEEEESG_SI_NS1_21upper_bound_search_opENS9_16wrapped_functionINS8_6system6detail7generic6detail18binary_search_lessEbEEEE10hipError_tPvRmT1_T2_T3_mmT4_T5_P12ihipStream_tbEUlRKsE_EESV_SZ_S10_mS11_S14_bEUlT_E_NS1_11comp_targetILNS1_3genE10ELNS1_11target_archE1200ELNS1_3gpuE4ELNS1_3repE0EEENS1_30default_config_static_selectorELNS0_4arch9wavefront6targetE1EEEvSY_
		.amdhsa_group_segment_fixed_size 0
		.amdhsa_private_segment_fixed_size 0
		.amdhsa_kernarg_size 56
		.amdhsa_user_sgpr_count 6
		.amdhsa_user_sgpr_private_segment_buffer 1
		.amdhsa_user_sgpr_dispatch_ptr 0
		.amdhsa_user_sgpr_queue_ptr 0
		.amdhsa_user_sgpr_kernarg_segment_ptr 1
		.amdhsa_user_sgpr_dispatch_id 0
		.amdhsa_user_sgpr_flat_scratch_init 0
		.amdhsa_user_sgpr_private_segment_size 0
		.amdhsa_uses_dynamic_stack 0
		.amdhsa_system_sgpr_private_segment_wavefront_offset 0
		.amdhsa_system_sgpr_workgroup_id_x 1
		.amdhsa_system_sgpr_workgroup_id_y 0
		.amdhsa_system_sgpr_workgroup_id_z 0
		.amdhsa_system_sgpr_workgroup_info 0
		.amdhsa_system_vgpr_workitem_id 0
		.amdhsa_next_free_vgpr 1
		.amdhsa_next_free_sgpr 0
		.amdhsa_reserve_vcc 0
		.amdhsa_reserve_flat_scratch 0
		.amdhsa_float_round_mode_32 0
		.amdhsa_float_round_mode_16_64 0
		.amdhsa_float_denorm_mode_32 3
		.amdhsa_float_denorm_mode_16_64 3
		.amdhsa_dx10_clamp 1
		.amdhsa_ieee_mode 1
		.amdhsa_fp16_overflow 0
		.amdhsa_exception_fp_ieee_invalid_op 0
		.amdhsa_exception_fp_denorm_src 0
		.amdhsa_exception_fp_ieee_div_zero 0
		.amdhsa_exception_fp_ieee_overflow 0
		.amdhsa_exception_fp_ieee_underflow 0
		.amdhsa_exception_fp_ieee_inexact 0
		.amdhsa_exception_int_div_zero 0
	.end_amdhsa_kernel
	.section	.text._ZN7rocprim17ROCPRIM_400000_NS6detail17trampoline_kernelINS0_14default_configENS1_27upper_bound_config_selectorIslEEZNS1_14transform_implILb0ES3_S5_N6thrust23THRUST_200600_302600_NS6detail15normal_iteratorINS8_7pointerIsNS8_11hip_rocprim5par_tENS8_11use_defaultESE_EEEENSA_INSB_IlSD_SE_SE_EEEEZNS1_13binary_searchIS3_S5_NSA_INS8_10device_ptrIsEEEESG_SI_NS1_21upper_bound_search_opENS9_16wrapped_functionINS8_6system6detail7generic6detail18binary_search_lessEbEEEE10hipError_tPvRmT1_T2_T3_mmT4_T5_P12ihipStream_tbEUlRKsE_EESV_SZ_S10_mS11_S14_bEUlT_E_NS1_11comp_targetILNS1_3genE10ELNS1_11target_archE1200ELNS1_3gpuE4ELNS1_3repE0EEENS1_30default_config_static_selectorELNS0_4arch9wavefront6targetE1EEEvSY_,"axG",@progbits,_ZN7rocprim17ROCPRIM_400000_NS6detail17trampoline_kernelINS0_14default_configENS1_27upper_bound_config_selectorIslEEZNS1_14transform_implILb0ES3_S5_N6thrust23THRUST_200600_302600_NS6detail15normal_iteratorINS8_7pointerIsNS8_11hip_rocprim5par_tENS8_11use_defaultESE_EEEENSA_INSB_IlSD_SE_SE_EEEEZNS1_13binary_searchIS3_S5_NSA_INS8_10device_ptrIsEEEESG_SI_NS1_21upper_bound_search_opENS9_16wrapped_functionINS8_6system6detail7generic6detail18binary_search_lessEbEEEE10hipError_tPvRmT1_T2_T3_mmT4_T5_P12ihipStream_tbEUlRKsE_EESV_SZ_S10_mS11_S14_bEUlT_E_NS1_11comp_targetILNS1_3genE10ELNS1_11target_archE1200ELNS1_3gpuE4ELNS1_3repE0EEENS1_30default_config_static_selectorELNS0_4arch9wavefront6targetE1EEEvSY_,comdat
.Lfunc_end596:
	.size	_ZN7rocprim17ROCPRIM_400000_NS6detail17trampoline_kernelINS0_14default_configENS1_27upper_bound_config_selectorIslEEZNS1_14transform_implILb0ES3_S5_N6thrust23THRUST_200600_302600_NS6detail15normal_iteratorINS8_7pointerIsNS8_11hip_rocprim5par_tENS8_11use_defaultESE_EEEENSA_INSB_IlSD_SE_SE_EEEEZNS1_13binary_searchIS3_S5_NSA_INS8_10device_ptrIsEEEESG_SI_NS1_21upper_bound_search_opENS9_16wrapped_functionINS8_6system6detail7generic6detail18binary_search_lessEbEEEE10hipError_tPvRmT1_T2_T3_mmT4_T5_P12ihipStream_tbEUlRKsE_EESV_SZ_S10_mS11_S14_bEUlT_E_NS1_11comp_targetILNS1_3genE10ELNS1_11target_archE1200ELNS1_3gpuE4ELNS1_3repE0EEENS1_30default_config_static_selectorELNS0_4arch9wavefront6targetE1EEEvSY_, .Lfunc_end596-_ZN7rocprim17ROCPRIM_400000_NS6detail17trampoline_kernelINS0_14default_configENS1_27upper_bound_config_selectorIslEEZNS1_14transform_implILb0ES3_S5_N6thrust23THRUST_200600_302600_NS6detail15normal_iteratorINS8_7pointerIsNS8_11hip_rocprim5par_tENS8_11use_defaultESE_EEEENSA_INSB_IlSD_SE_SE_EEEEZNS1_13binary_searchIS3_S5_NSA_INS8_10device_ptrIsEEEESG_SI_NS1_21upper_bound_search_opENS9_16wrapped_functionINS8_6system6detail7generic6detail18binary_search_lessEbEEEE10hipError_tPvRmT1_T2_T3_mmT4_T5_P12ihipStream_tbEUlRKsE_EESV_SZ_S10_mS11_S14_bEUlT_E_NS1_11comp_targetILNS1_3genE10ELNS1_11target_archE1200ELNS1_3gpuE4ELNS1_3repE0EEENS1_30default_config_static_selectorELNS0_4arch9wavefront6targetE1EEEvSY_
                                        ; -- End function
	.set _ZN7rocprim17ROCPRIM_400000_NS6detail17trampoline_kernelINS0_14default_configENS1_27upper_bound_config_selectorIslEEZNS1_14transform_implILb0ES3_S5_N6thrust23THRUST_200600_302600_NS6detail15normal_iteratorINS8_7pointerIsNS8_11hip_rocprim5par_tENS8_11use_defaultESE_EEEENSA_INSB_IlSD_SE_SE_EEEEZNS1_13binary_searchIS3_S5_NSA_INS8_10device_ptrIsEEEESG_SI_NS1_21upper_bound_search_opENS9_16wrapped_functionINS8_6system6detail7generic6detail18binary_search_lessEbEEEE10hipError_tPvRmT1_T2_T3_mmT4_T5_P12ihipStream_tbEUlRKsE_EESV_SZ_S10_mS11_S14_bEUlT_E_NS1_11comp_targetILNS1_3genE10ELNS1_11target_archE1200ELNS1_3gpuE4ELNS1_3repE0EEENS1_30default_config_static_selectorELNS0_4arch9wavefront6targetE1EEEvSY_.num_vgpr, 0
	.set _ZN7rocprim17ROCPRIM_400000_NS6detail17trampoline_kernelINS0_14default_configENS1_27upper_bound_config_selectorIslEEZNS1_14transform_implILb0ES3_S5_N6thrust23THRUST_200600_302600_NS6detail15normal_iteratorINS8_7pointerIsNS8_11hip_rocprim5par_tENS8_11use_defaultESE_EEEENSA_INSB_IlSD_SE_SE_EEEEZNS1_13binary_searchIS3_S5_NSA_INS8_10device_ptrIsEEEESG_SI_NS1_21upper_bound_search_opENS9_16wrapped_functionINS8_6system6detail7generic6detail18binary_search_lessEbEEEE10hipError_tPvRmT1_T2_T3_mmT4_T5_P12ihipStream_tbEUlRKsE_EESV_SZ_S10_mS11_S14_bEUlT_E_NS1_11comp_targetILNS1_3genE10ELNS1_11target_archE1200ELNS1_3gpuE4ELNS1_3repE0EEENS1_30default_config_static_selectorELNS0_4arch9wavefront6targetE1EEEvSY_.num_agpr, 0
	.set _ZN7rocprim17ROCPRIM_400000_NS6detail17trampoline_kernelINS0_14default_configENS1_27upper_bound_config_selectorIslEEZNS1_14transform_implILb0ES3_S5_N6thrust23THRUST_200600_302600_NS6detail15normal_iteratorINS8_7pointerIsNS8_11hip_rocprim5par_tENS8_11use_defaultESE_EEEENSA_INSB_IlSD_SE_SE_EEEEZNS1_13binary_searchIS3_S5_NSA_INS8_10device_ptrIsEEEESG_SI_NS1_21upper_bound_search_opENS9_16wrapped_functionINS8_6system6detail7generic6detail18binary_search_lessEbEEEE10hipError_tPvRmT1_T2_T3_mmT4_T5_P12ihipStream_tbEUlRKsE_EESV_SZ_S10_mS11_S14_bEUlT_E_NS1_11comp_targetILNS1_3genE10ELNS1_11target_archE1200ELNS1_3gpuE4ELNS1_3repE0EEENS1_30default_config_static_selectorELNS0_4arch9wavefront6targetE1EEEvSY_.numbered_sgpr, 0
	.set _ZN7rocprim17ROCPRIM_400000_NS6detail17trampoline_kernelINS0_14default_configENS1_27upper_bound_config_selectorIslEEZNS1_14transform_implILb0ES3_S5_N6thrust23THRUST_200600_302600_NS6detail15normal_iteratorINS8_7pointerIsNS8_11hip_rocprim5par_tENS8_11use_defaultESE_EEEENSA_INSB_IlSD_SE_SE_EEEEZNS1_13binary_searchIS3_S5_NSA_INS8_10device_ptrIsEEEESG_SI_NS1_21upper_bound_search_opENS9_16wrapped_functionINS8_6system6detail7generic6detail18binary_search_lessEbEEEE10hipError_tPvRmT1_T2_T3_mmT4_T5_P12ihipStream_tbEUlRKsE_EESV_SZ_S10_mS11_S14_bEUlT_E_NS1_11comp_targetILNS1_3genE10ELNS1_11target_archE1200ELNS1_3gpuE4ELNS1_3repE0EEENS1_30default_config_static_selectorELNS0_4arch9wavefront6targetE1EEEvSY_.num_named_barrier, 0
	.set _ZN7rocprim17ROCPRIM_400000_NS6detail17trampoline_kernelINS0_14default_configENS1_27upper_bound_config_selectorIslEEZNS1_14transform_implILb0ES3_S5_N6thrust23THRUST_200600_302600_NS6detail15normal_iteratorINS8_7pointerIsNS8_11hip_rocprim5par_tENS8_11use_defaultESE_EEEENSA_INSB_IlSD_SE_SE_EEEEZNS1_13binary_searchIS3_S5_NSA_INS8_10device_ptrIsEEEESG_SI_NS1_21upper_bound_search_opENS9_16wrapped_functionINS8_6system6detail7generic6detail18binary_search_lessEbEEEE10hipError_tPvRmT1_T2_T3_mmT4_T5_P12ihipStream_tbEUlRKsE_EESV_SZ_S10_mS11_S14_bEUlT_E_NS1_11comp_targetILNS1_3genE10ELNS1_11target_archE1200ELNS1_3gpuE4ELNS1_3repE0EEENS1_30default_config_static_selectorELNS0_4arch9wavefront6targetE1EEEvSY_.private_seg_size, 0
	.set _ZN7rocprim17ROCPRIM_400000_NS6detail17trampoline_kernelINS0_14default_configENS1_27upper_bound_config_selectorIslEEZNS1_14transform_implILb0ES3_S5_N6thrust23THRUST_200600_302600_NS6detail15normal_iteratorINS8_7pointerIsNS8_11hip_rocprim5par_tENS8_11use_defaultESE_EEEENSA_INSB_IlSD_SE_SE_EEEEZNS1_13binary_searchIS3_S5_NSA_INS8_10device_ptrIsEEEESG_SI_NS1_21upper_bound_search_opENS9_16wrapped_functionINS8_6system6detail7generic6detail18binary_search_lessEbEEEE10hipError_tPvRmT1_T2_T3_mmT4_T5_P12ihipStream_tbEUlRKsE_EESV_SZ_S10_mS11_S14_bEUlT_E_NS1_11comp_targetILNS1_3genE10ELNS1_11target_archE1200ELNS1_3gpuE4ELNS1_3repE0EEENS1_30default_config_static_selectorELNS0_4arch9wavefront6targetE1EEEvSY_.uses_vcc, 0
	.set _ZN7rocprim17ROCPRIM_400000_NS6detail17trampoline_kernelINS0_14default_configENS1_27upper_bound_config_selectorIslEEZNS1_14transform_implILb0ES3_S5_N6thrust23THRUST_200600_302600_NS6detail15normal_iteratorINS8_7pointerIsNS8_11hip_rocprim5par_tENS8_11use_defaultESE_EEEENSA_INSB_IlSD_SE_SE_EEEEZNS1_13binary_searchIS3_S5_NSA_INS8_10device_ptrIsEEEESG_SI_NS1_21upper_bound_search_opENS9_16wrapped_functionINS8_6system6detail7generic6detail18binary_search_lessEbEEEE10hipError_tPvRmT1_T2_T3_mmT4_T5_P12ihipStream_tbEUlRKsE_EESV_SZ_S10_mS11_S14_bEUlT_E_NS1_11comp_targetILNS1_3genE10ELNS1_11target_archE1200ELNS1_3gpuE4ELNS1_3repE0EEENS1_30default_config_static_selectorELNS0_4arch9wavefront6targetE1EEEvSY_.uses_flat_scratch, 0
	.set _ZN7rocprim17ROCPRIM_400000_NS6detail17trampoline_kernelINS0_14default_configENS1_27upper_bound_config_selectorIslEEZNS1_14transform_implILb0ES3_S5_N6thrust23THRUST_200600_302600_NS6detail15normal_iteratorINS8_7pointerIsNS8_11hip_rocprim5par_tENS8_11use_defaultESE_EEEENSA_INSB_IlSD_SE_SE_EEEEZNS1_13binary_searchIS3_S5_NSA_INS8_10device_ptrIsEEEESG_SI_NS1_21upper_bound_search_opENS9_16wrapped_functionINS8_6system6detail7generic6detail18binary_search_lessEbEEEE10hipError_tPvRmT1_T2_T3_mmT4_T5_P12ihipStream_tbEUlRKsE_EESV_SZ_S10_mS11_S14_bEUlT_E_NS1_11comp_targetILNS1_3genE10ELNS1_11target_archE1200ELNS1_3gpuE4ELNS1_3repE0EEENS1_30default_config_static_selectorELNS0_4arch9wavefront6targetE1EEEvSY_.has_dyn_sized_stack, 0
	.set _ZN7rocprim17ROCPRIM_400000_NS6detail17trampoline_kernelINS0_14default_configENS1_27upper_bound_config_selectorIslEEZNS1_14transform_implILb0ES3_S5_N6thrust23THRUST_200600_302600_NS6detail15normal_iteratorINS8_7pointerIsNS8_11hip_rocprim5par_tENS8_11use_defaultESE_EEEENSA_INSB_IlSD_SE_SE_EEEEZNS1_13binary_searchIS3_S5_NSA_INS8_10device_ptrIsEEEESG_SI_NS1_21upper_bound_search_opENS9_16wrapped_functionINS8_6system6detail7generic6detail18binary_search_lessEbEEEE10hipError_tPvRmT1_T2_T3_mmT4_T5_P12ihipStream_tbEUlRKsE_EESV_SZ_S10_mS11_S14_bEUlT_E_NS1_11comp_targetILNS1_3genE10ELNS1_11target_archE1200ELNS1_3gpuE4ELNS1_3repE0EEENS1_30default_config_static_selectorELNS0_4arch9wavefront6targetE1EEEvSY_.has_recursion, 0
	.set _ZN7rocprim17ROCPRIM_400000_NS6detail17trampoline_kernelINS0_14default_configENS1_27upper_bound_config_selectorIslEEZNS1_14transform_implILb0ES3_S5_N6thrust23THRUST_200600_302600_NS6detail15normal_iteratorINS8_7pointerIsNS8_11hip_rocprim5par_tENS8_11use_defaultESE_EEEENSA_INSB_IlSD_SE_SE_EEEEZNS1_13binary_searchIS3_S5_NSA_INS8_10device_ptrIsEEEESG_SI_NS1_21upper_bound_search_opENS9_16wrapped_functionINS8_6system6detail7generic6detail18binary_search_lessEbEEEE10hipError_tPvRmT1_T2_T3_mmT4_T5_P12ihipStream_tbEUlRKsE_EESV_SZ_S10_mS11_S14_bEUlT_E_NS1_11comp_targetILNS1_3genE10ELNS1_11target_archE1200ELNS1_3gpuE4ELNS1_3repE0EEENS1_30default_config_static_selectorELNS0_4arch9wavefront6targetE1EEEvSY_.has_indirect_call, 0
	.section	.AMDGPU.csdata,"",@progbits
; Kernel info:
; codeLenInByte = 0
; TotalNumSgprs: 4
; NumVgprs: 0
; ScratchSize: 0
; MemoryBound: 0
; FloatMode: 240
; IeeeMode: 1
; LDSByteSize: 0 bytes/workgroup (compile time only)
; SGPRBlocks: 0
; VGPRBlocks: 0
; NumSGPRsForWavesPerEU: 4
; NumVGPRsForWavesPerEU: 1
; Occupancy: 10
; WaveLimiterHint : 0
; COMPUTE_PGM_RSRC2:SCRATCH_EN: 0
; COMPUTE_PGM_RSRC2:USER_SGPR: 6
; COMPUTE_PGM_RSRC2:TRAP_HANDLER: 0
; COMPUTE_PGM_RSRC2:TGID_X_EN: 1
; COMPUTE_PGM_RSRC2:TGID_Y_EN: 0
; COMPUTE_PGM_RSRC2:TGID_Z_EN: 0
; COMPUTE_PGM_RSRC2:TIDIG_COMP_CNT: 0
	.section	.text._ZN7rocprim17ROCPRIM_400000_NS6detail17trampoline_kernelINS0_14default_configENS1_27upper_bound_config_selectorIslEEZNS1_14transform_implILb0ES3_S5_N6thrust23THRUST_200600_302600_NS6detail15normal_iteratorINS8_7pointerIsNS8_11hip_rocprim5par_tENS8_11use_defaultESE_EEEENSA_INSB_IlSD_SE_SE_EEEEZNS1_13binary_searchIS3_S5_NSA_INS8_10device_ptrIsEEEESG_SI_NS1_21upper_bound_search_opENS9_16wrapped_functionINS8_6system6detail7generic6detail18binary_search_lessEbEEEE10hipError_tPvRmT1_T2_T3_mmT4_T5_P12ihipStream_tbEUlRKsE_EESV_SZ_S10_mS11_S14_bEUlT_E_NS1_11comp_targetILNS1_3genE9ELNS1_11target_archE1100ELNS1_3gpuE3ELNS1_3repE0EEENS1_30default_config_static_selectorELNS0_4arch9wavefront6targetE1EEEvSY_,"axG",@progbits,_ZN7rocprim17ROCPRIM_400000_NS6detail17trampoline_kernelINS0_14default_configENS1_27upper_bound_config_selectorIslEEZNS1_14transform_implILb0ES3_S5_N6thrust23THRUST_200600_302600_NS6detail15normal_iteratorINS8_7pointerIsNS8_11hip_rocprim5par_tENS8_11use_defaultESE_EEEENSA_INSB_IlSD_SE_SE_EEEEZNS1_13binary_searchIS3_S5_NSA_INS8_10device_ptrIsEEEESG_SI_NS1_21upper_bound_search_opENS9_16wrapped_functionINS8_6system6detail7generic6detail18binary_search_lessEbEEEE10hipError_tPvRmT1_T2_T3_mmT4_T5_P12ihipStream_tbEUlRKsE_EESV_SZ_S10_mS11_S14_bEUlT_E_NS1_11comp_targetILNS1_3genE9ELNS1_11target_archE1100ELNS1_3gpuE3ELNS1_3repE0EEENS1_30default_config_static_selectorELNS0_4arch9wavefront6targetE1EEEvSY_,comdat
	.protected	_ZN7rocprim17ROCPRIM_400000_NS6detail17trampoline_kernelINS0_14default_configENS1_27upper_bound_config_selectorIslEEZNS1_14transform_implILb0ES3_S5_N6thrust23THRUST_200600_302600_NS6detail15normal_iteratorINS8_7pointerIsNS8_11hip_rocprim5par_tENS8_11use_defaultESE_EEEENSA_INSB_IlSD_SE_SE_EEEEZNS1_13binary_searchIS3_S5_NSA_INS8_10device_ptrIsEEEESG_SI_NS1_21upper_bound_search_opENS9_16wrapped_functionINS8_6system6detail7generic6detail18binary_search_lessEbEEEE10hipError_tPvRmT1_T2_T3_mmT4_T5_P12ihipStream_tbEUlRKsE_EESV_SZ_S10_mS11_S14_bEUlT_E_NS1_11comp_targetILNS1_3genE9ELNS1_11target_archE1100ELNS1_3gpuE3ELNS1_3repE0EEENS1_30default_config_static_selectorELNS0_4arch9wavefront6targetE1EEEvSY_ ; -- Begin function _ZN7rocprim17ROCPRIM_400000_NS6detail17trampoline_kernelINS0_14default_configENS1_27upper_bound_config_selectorIslEEZNS1_14transform_implILb0ES3_S5_N6thrust23THRUST_200600_302600_NS6detail15normal_iteratorINS8_7pointerIsNS8_11hip_rocprim5par_tENS8_11use_defaultESE_EEEENSA_INSB_IlSD_SE_SE_EEEEZNS1_13binary_searchIS3_S5_NSA_INS8_10device_ptrIsEEEESG_SI_NS1_21upper_bound_search_opENS9_16wrapped_functionINS8_6system6detail7generic6detail18binary_search_lessEbEEEE10hipError_tPvRmT1_T2_T3_mmT4_T5_P12ihipStream_tbEUlRKsE_EESV_SZ_S10_mS11_S14_bEUlT_E_NS1_11comp_targetILNS1_3genE9ELNS1_11target_archE1100ELNS1_3gpuE3ELNS1_3repE0EEENS1_30default_config_static_selectorELNS0_4arch9wavefront6targetE1EEEvSY_
	.globl	_ZN7rocprim17ROCPRIM_400000_NS6detail17trampoline_kernelINS0_14default_configENS1_27upper_bound_config_selectorIslEEZNS1_14transform_implILb0ES3_S5_N6thrust23THRUST_200600_302600_NS6detail15normal_iteratorINS8_7pointerIsNS8_11hip_rocprim5par_tENS8_11use_defaultESE_EEEENSA_INSB_IlSD_SE_SE_EEEEZNS1_13binary_searchIS3_S5_NSA_INS8_10device_ptrIsEEEESG_SI_NS1_21upper_bound_search_opENS9_16wrapped_functionINS8_6system6detail7generic6detail18binary_search_lessEbEEEE10hipError_tPvRmT1_T2_T3_mmT4_T5_P12ihipStream_tbEUlRKsE_EESV_SZ_S10_mS11_S14_bEUlT_E_NS1_11comp_targetILNS1_3genE9ELNS1_11target_archE1100ELNS1_3gpuE3ELNS1_3repE0EEENS1_30default_config_static_selectorELNS0_4arch9wavefront6targetE1EEEvSY_
	.p2align	8
	.type	_ZN7rocprim17ROCPRIM_400000_NS6detail17trampoline_kernelINS0_14default_configENS1_27upper_bound_config_selectorIslEEZNS1_14transform_implILb0ES3_S5_N6thrust23THRUST_200600_302600_NS6detail15normal_iteratorINS8_7pointerIsNS8_11hip_rocprim5par_tENS8_11use_defaultESE_EEEENSA_INSB_IlSD_SE_SE_EEEEZNS1_13binary_searchIS3_S5_NSA_INS8_10device_ptrIsEEEESG_SI_NS1_21upper_bound_search_opENS9_16wrapped_functionINS8_6system6detail7generic6detail18binary_search_lessEbEEEE10hipError_tPvRmT1_T2_T3_mmT4_T5_P12ihipStream_tbEUlRKsE_EESV_SZ_S10_mS11_S14_bEUlT_E_NS1_11comp_targetILNS1_3genE9ELNS1_11target_archE1100ELNS1_3gpuE3ELNS1_3repE0EEENS1_30default_config_static_selectorELNS0_4arch9wavefront6targetE1EEEvSY_,@function
_ZN7rocprim17ROCPRIM_400000_NS6detail17trampoline_kernelINS0_14default_configENS1_27upper_bound_config_selectorIslEEZNS1_14transform_implILb0ES3_S5_N6thrust23THRUST_200600_302600_NS6detail15normal_iteratorINS8_7pointerIsNS8_11hip_rocprim5par_tENS8_11use_defaultESE_EEEENSA_INSB_IlSD_SE_SE_EEEEZNS1_13binary_searchIS3_S5_NSA_INS8_10device_ptrIsEEEESG_SI_NS1_21upper_bound_search_opENS9_16wrapped_functionINS8_6system6detail7generic6detail18binary_search_lessEbEEEE10hipError_tPvRmT1_T2_T3_mmT4_T5_P12ihipStream_tbEUlRKsE_EESV_SZ_S10_mS11_S14_bEUlT_E_NS1_11comp_targetILNS1_3genE9ELNS1_11target_archE1100ELNS1_3gpuE3ELNS1_3repE0EEENS1_30default_config_static_selectorELNS0_4arch9wavefront6targetE1EEEvSY_: ; @_ZN7rocprim17ROCPRIM_400000_NS6detail17trampoline_kernelINS0_14default_configENS1_27upper_bound_config_selectorIslEEZNS1_14transform_implILb0ES3_S5_N6thrust23THRUST_200600_302600_NS6detail15normal_iteratorINS8_7pointerIsNS8_11hip_rocprim5par_tENS8_11use_defaultESE_EEEENSA_INSB_IlSD_SE_SE_EEEEZNS1_13binary_searchIS3_S5_NSA_INS8_10device_ptrIsEEEESG_SI_NS1_21upper_bound_search_opENS9_16wrapped_functionINS8_6system6detail7generic6detail18binary_search_lessEbEEEE10hipError_tPvRmT1_T2_T3_mmT4_T5_P12ihipStream_tbEUlRKsE_EESV_SZ_S10_mS11_S14_bEUlT_E_NS1_11comp_targetILNS1_3genE9ELNS1_11target_archE1100ELNS1_3gpuE3ELNS1_3repE0EEENS1_30default_config_static_selectorELNS0_4arch9wavefront6targetE1EEEvSY_
; %bb.0:
	.section	.rodata,"a",@progbits
	.p2align	6, 0x0
	.amdhsa_kernel _ZN7rocprim17ROCPRIM_400000_NS6detail17trampoline_kernelINS0_14default_configENS1_27upper_bound_config_selectorIslEEZNS1_14transform_implILb0ES3_S5_N6thrust23THRUST_200600_302600_NS6detail15normal_iteratorINS8_7pointerIsNS8_11hip_rocprim5par_tENS8_11use_defaultESE_EEEENSA_INSB_IlSD_SE_SE_EEEEZNS1_13binary_searchIS3_S5_NSA_INS8_10device_ptrIsEEEESG_SI_NS1_21upper_bound_search_opENS9_16wrapped_functionINS8_6system6detail7generic6detail18binary_search_lessEbEEEE10hipError_tPvRmT1_T2_T3_mmT4_T5_P12ihipStream_tbEUlRKsE_EESV_SZ_S10_mS11_S14_bEUlT_E_NS1_11comp_targetILNS1_3genE9ELNS1_11target_archE1100ELNS1_3gpuE3ELNS1_3repE0EEENS1_30default_config_static_selectorELNS0_4arch9wavefront6targetE1EEEvSY_
		.amdhsa_group_segment_fixed_size 0
		.amdhsa_private_segment_fixed_size 0
		.amdhsa_kernarg_size 56
		.amdhsa_user_sgpr_count 6
		.amdhsa_user_sgpr_private_segment_buffer 1
		.amdhsa_user_sgpr_dispatch_ptr 0
		.amdhsa_user_sgpr_queue_ptr 0
		.amdhsa_user_sgpr_kernarg_segment_ptr 1
		.amdhsa_user_sgpr_dispatch_id 0
		.amdhsa_user_sgpr_flat_scratch_init 0
		.amdhsa_user_sgpr_private_segment_size 0
		.amdhsa_uses_dynamic_stack 0
		.amdhsa_system_sgpr_private_segment_wavefront_offset 0
		.amdhsa_system_sgpr_workgroup_id_x 1
		.amdhsa_system_sgpr_workgroup_id_y 0
		.amdhsa_system_sgpr_workgroup_id_z 0
		.amdhsa_system_sgpr_workgroup_info 0
		.amdhsa_system_vgpr_workitem_id 0
		.amdhsa_next_free_vgpr 1
		.amdhsa_next_free_sgpr 0
		.amdhsa_reserve_vcc 0
		.amdhsa_reserve_flat_scratch 0
		.amdhsa_float_round_mode_32 0
		.amdhsa_float_round_mode_16_64 0
		.amdhsa_float_denorm_mode_32 3
		.amdhsa_float_denorm_mode_16_64 3
		.amdhsa_dx10_clamp 1
		.amdhsa_ieee_mode 1
		.amdhsa_fp16_overflow 0
		.amdhsa_exception_fp_ieee_invalid_op 0
		.amdhsa_exception_fp_denorm_src 0
		.amdhsa_exception_fp_ieee_div_zero 0
		.amdhsa_exception_fp_ieee_overflow 0
		.amdhsa_exception_fp_ieee_underflow 0
		.amdhsa_exception_fp_ieee_inexact 0
		.amdhsa_exception_int_div_zero 0
	.end_amdhsa_kernel
	.section	.text._ZN7rocprim17ROCPRIM_400000_NS6detail17trampoline_kernelINS0_14default_configENS1_27upper_bound_config_selectorIslEEZNS1_14transform_implILb0ES3_S5_N6thrust23THRUST_200600_302600_NS6detail15normal_iteratorINS8_7pointerIsNS8_11hip_rocprim5par_tENS8_11use_defaultESE_EEEENSA_INSB_IlSD_SE_SE_EEEEZNS1_13binary_searchIS3_S5_NSA_INS8_10device_ptrIsEEEESG_SI_NS1_21upper_bound_search_opENS9_16wrapped_functionINS8_6system6detail7generic6detail18binary_search_lessEbEEEE10hipError_tPvRmT1_T2_T3_mmT4_T5_P12ihipStream_tbEUlRKsE_EESV_SZ_S10_mS11_S14_bEUlT_E_NS1_11comp_targetILNS1_3genE9ELNS1_11target_archE1100ELNS1_3gpuE3ELNS1_3repE0EEENS1_30default_config_static_selectorELNS0_4arch9wavefront6targetE1EEEvSY_,"axG",@progbits,_ZN7rocprim17ROCPRIM_400000_NS6detail17trampoline_kernelINS0_14default_configENS1_27upper_bound_config_selectorIslEEZNS1_14transform_implILb0ES3_S5_N6thrust23THRUST_200600_302600_NS6detail15normal_iteratorINS8_7pointerIsNS8_11hip_rocprim5par_tENS8_11use_defaultESE_EEEENSA_INSB_IlSD_SE_SE_EEEEZNS1_13binary_searchIS3_S5_NSA_INS8_10device_ptrIsEEEESG_SI_NS1_21upper_bound_search_opENS9_16wrapped_functionINS8_6system6detail7generic6detail18binary_search_lessEbEEEE10hipError_tPvRmT1_T2_T3_mmT4_T5_P12ihipStream_tbEUlRKsE_EESV_SZ_S10_mS11_S14_bEUlT_E_NS1_11comp_targetILNS1_3genE9ELNS1_11target_archE1100ELNS1_3gpuE3ELNS1_3repE0EEENS1_30default_config_static_selectorELNS0_4arch9wavefront6targetE1EEEvSY_,comdat
.Lfunc_end597:
	.size	_ZN7rocprim17ROCPRIM_400000_NS6detail17trampoline_kernelINS0_14default_configENS1_27upper_bound_config_selectorIslEEZNS1_14transform_implILb0ES3_S5_N6thrust23THRUST_200600_302600_NS6detail15normal_iteratorINS8_7pointerIsNS8_11hip_rocprim5par_tENS8_11use_defaultESE_EEEENSA_INSB_IlSD_SE_SE_EEEEZNS1_13binary_searchIS3_S5_NSA_INS8_10device_ptrIsEEEESG_SI_NS1_21upper_bound_search_opENS9_16wrapped_functionINS8_6system6detail7generic6detail18binary_search_lessEbEEEE10hipError_tPvRmT1_T2_T3_mmT4_T5_P12ihipStream_tbEUlRKsE_EESV_SZ_S10_mS11_S14_bEUlT_E_NS1_11comp_targetILNS1_3genE9ELNS1_11target_archE1100ELNS1_3gpuE3ELNS1_3repE0EEENS1_30default_config_static_selectorELNS0_4arch9wavefront6targetE1EEEvSY_, .Lfunc_end597-_ZN7rocprim17ROCPRIM_400000_NS6detail17trampoline_kernelINS0_14default_configENS1_27upper_bound_config_selectorIslEEZNS1_14transform_implILb0ES3_S5_N6thrust23THRUST_200600_302600_NS6detail15normal_iteratorINS8_7pointerIsNS8_11hip_rocprim5par_tENS8_11use_defaultESE_EEEENSA_INSB_IlSD_SE_SE_EEEEZNS1_13binary_searchIS3_S5_NSA_INS8_10device_ptrIsEEEESG_SI_NS1_21upper_bound_search_opENS9_16wrapped_functionINS8_6system6detail7generic6detail18binary_search_lessEbEEEE10hipError_tPvRmT1_T2_T3_mmT4_T5_P12ihipStream_tbEUlRKsE_EESV_SZ_S10_mS11_S14_bEUlT_E_NS1_11comp_targetILNS1_3genE9ELNS1_11target_archE1100ELNS1_3gpuE3ELNS1_3repE0EEENS1_30default_config_static_selectorELNS0_4arch9wavefront6targetE1EEEvSY_
                                        ; -- End function
	.set _ZN7rocprim17ROCPRIM_400000_NS6detail17trampoline_kernelINS0_14default_configENS1_27upper_bound_config_selectorIslEEZNS1_14transform_implILb0ES3_S5_N6thrust23THRUST_200600_302600_NS6detail15normal_iteratorINS8_7pointerIsNS8_11hip_rocprim5par_tENS8_11use_defaultESE_EEEENSA_INSB_IlSD_SE_SE_EEEEZNS1_13binary_searchIS3_S5_NSA_INS8_10device_ptrIsEEEESG_SI_NS1_21upper_bound_search_opENS9_16wrapped_functionINS8_6system6detail7generic6detail18binary_search_lessEbEEEE10hipError_tPvRmT1_T2_T3_mmT4_T5_P12ihipStream_tbEUlRKsE_EESV_SZ_S10_mS11_S14_bEUlT_E_NS1_11comp_targetILNS1_3genE9ELNS1_11target_archE1100ELNS1_3gpuE3ELNS1_3repE0EEENS1_30default_config_static_selectorELNS0_4arch9wavefront6targetE1EEEvSY_.num_vgpr, 0
	.set _ZN7rocprim17ROCPRIM_400000_NS6detail17trampoline_kernelINS0_14default_configENS1_27upper_bound_config_selectorIslEEZNS1_14transform_implILb0ES3_S5_N6thrust23THRUST_200600_302600_NS6detail15normal_iteratorINS8_7pointerIsNS8_11hip_rocprim5par_tENS8_11use_defaultESE_EEEENSA_INSB_IlSD_SE_SE_EEEEZNS1_13binary_searchIS3_S5_NSA_INS8_10device_ptrIsEEEESG_SI_NS1_21upper_bound_search_opENS9_16wrapped_functionINS8_6system6detail7generic6detail18binary_search_lessEbEEEE10hipError_tPvRmT1_T2_T3_mmT4_T5_P12ihipStream_tbEUlRKsE_EESV_SZ_S10_mS11_S14_bEUlT_E_NS1_11comp_targetILNS1_3genE9ELNS1_11target_archE1100ELNS1_3gpuE3ELNS1_3repE0EEENS1_30default_config_static_selectorELNS0_4arch9wavefront6targetE1EEEvSY_.num_agpr, 0
	.set _ZN7rocprim17ROCPRIM_400000_NS6detail17trampoline_kernelINS0_14default_configENS1_27upper_bound_config_selectorIslEEZNS1_14transform_implILb0ES3_S5_N6thrust23THRUST_200600_302600_NS6detail15normal_iteratorINS8_7pointerIsNS8_11hip_rocprim5par_tENS8_11use_defaultESE_EEEENSA_INSB_IlSD_SE_SE_EEEEZNS1_13binary_searchIS3_S5_NSA_INS8_10device_ptrIsEEEESG_SI_NS1_21upper_bound_search_opENS9_16wrapped_functionINS8_6system6detail7generic6detail18binary_search_lessEbEEEE10hipError_tPvRmT1_T2_T3_mmT4_T5_P12ihipStream_tbEUlRKsE_EESV_SZ_S10_mS11_S14_bEUlT_E_NS1_11comp_targetILNS1_3genE9ELNS1_11target_archE1100ELNS1_3gpuE3ELNS1_3repE0EEENS1_30default_config_static_selectorELNS0_4arch9wavefront6targetE1EEEvSY_.numbered_sgpr, 0
	.set _ZN7rocprim17ROCPRIM_400000_NS6detail17trampoline_kernelINS0_14default_configENS1_27upper_bound_config_selectorIslEEZNS1_14transform_implILb0ES3_S5_N6thrust23THRUST_200600_302600_NS6detail15normal_iteratorINS8_7pointerIsNS8_11hip_rocprim5par_tENS8_11use_defaultESE_EEEENSA_INSB_IlSD_SE_SE_EEEEZNS1_13binary_searchIS3_S5_NSA_INS8_10device_ptrIsEEEESG_SI_NS1_21upper_bound_search_opENS9_16wrapped_functionINS8_6system6detail7generic6detail18binary_search_lessEbEEEE10hipError_tPvRmT1_T2_T3_mmT4_T5_P12ihipStream_tbEUlRKsE_EESV_SZ_S10_mS11_S14_bEUlT_E_NS1_11comp_targetILNS1_3genE9ELNS1_11target_archE1100ELNS1_3gpuE3ELNS1_3repE0EEENS1_30default_config_static_selectorELNS0_4arch9wavefront6targetE1EEEvSY_.num_named_barrier, 0
	.set _ZN7rocprim17ROCPRIM_400000_NS6detail17trampoline_kernelINS0_14default_configENS1_27upper_bound_config_selectorIslEEZNS1_14transform_implILb0ES3_S5_N6thrust23THRUST_200600_302600_NS6detail15normal_iteratorINS8_7pointerIsNS8_11hip_rocprim5par_tENS8_11use_defaultESE_EEEENSA_INSB_IlSD_SE_SE_EEEEZNS1_13binary_searchIS3_S5_NSA_INS8_10device_ptrIsEEEESG_SI_NS1_21upper_bound_search_opENS9_16wrapped_functionINS8_6system6detail7generic6detail18binary_search_lessEbEEEE10hipError_tPvRmT1_T2_T3_mmT4_T5_P12ihipStream_tbEUlRKsE_EESV_SZ_S10_mS11_S14_bEUlT_E_NS1_11comp_targetILNS1_3genE9ELNS1_11target_archE1100ELNS1_3gpuE3ELNS1_3repE0EEENS1_30default_config_static_selectorELNS0_4arch9wavefront6targetE1EEEvSY_.private_seg_size, 0
	.set _ZN7rocprim17ROCPRIM_400000_NS6detail17trampoline_kernelINS0_14default_configENS1_27upper_bound_config_selectorIslEEZNS1_14transform_implILb0ES3_S5_N6thrust23THRUST_200600_302600_NS6detail15normal_iteratorINS8_7pointerIsNS8_11hip_rocprim5par_tENS8_11use_defaultESE_EEEENSA_INSB_IlSD_SE_SE_EEEEZNS1_13binary_searchIS3_S5_NSA_INS8_10device_ptrIsEEEESG_SI_NS1_21upper_bound_search_opENS9_16wrapped_functionINS8_6system6detail7generic6detail18binary_search_lessEbEEEE10hipError_tPvRmT1_T2_T3_mmT4_T5_P12ihipStream_tbEUlRKsE_EESV_SZ_S10_mS11_S14_bEUlT_E_NS1_11comp_targetILNS1_3genE9ELNS1_11target_archE1100ELNS1_3gpuE3ELNS1_3repE0EEENS1_30default_config_static_selectorELNS0_4arch9wavefront6targetE1EEEvSY_.uses_vcc, 0
	.set _ZN7rocprim17ROCPRIM_400000_NS6detail17trampoline_kernelINS0_14default_configENS1_27upper_bound_config_selectorIslEEZNS1_14transform_implILb0ES3_S5_N6thrust23THRUST_200600_302600_NS6detail15normal_iteratorINS8_7pointerIsNS8_11hip_rocprim5par_tENS8_11use_defaultESE_EEEENSA_INSB_IlSD_SE_SE_EEEEZNS1_13binary_searchIS3_S5_NSA_INS8_10device_ptrIsEEEESG_SI_NS1_21upper_bound_search_opENS9_16wrapped_functionINS8_6system6detail7generic6detail18binary_search_lessEbEEEE10hipError_tPvRmT1_T2_T3_mmT4_T5_P12ihipStream_tbEUlRKsE_EESV_SZ_S10_mS11_S14_bEUlT_E_NS1_11comp_targetILNS1_3genE9ELNS1_11target_archE1100ELNS1_3gpuE3ELNS1_3repE0EEENS1_30default_config_static_selectorELNS0_4arch9wavefront6targetE1EEEvSY_.uses_flat_scratch, 0
	.set _ZN7rocprim17ROCPRIM_400000_NS6detail17trampoline_kernelINS0_14default_configENS1_27upper_bound_config_selectorIslEEZNS1_14transform_implILb0ES3_S5_N6thrust23THRUST_200600_302600_NS6detail15normal_iteratorINS8_7pointerIsNS8_11hip_rocprim5par_tENS8_11use_defaultESE_EEEENSA_INSB_IlSD_SE_SE_EEEEZNS1_13binary_searchIS3_S5_NSA_INS8_10device_ptrIsEEEESG_SI_NS1_21upper_bound_search_opENS9_16wrapped_functionINS8_6system6detail7generic6detail18binary_search_lessEbEEEE10hipError_tPvRmT1_T2_T3_mmT4_T5_P12ihipStream_tbEUlRKsE_EESV_SZ_S10_mS11_S14_bEUlT_E_NS1_11comp_targetILNS1_3genE9ELNS1_11target_archE1100ELNS1_3gpuE3ELNS1_3repE0EEENS1_30default_config_static_selectorELNS0_4arch9wavefront6targetE1EEEvSY_.has_dyn_sized_stack, 0
	.set _ZN7rocprim17ROCPRIM_400000_NS6detail17trampoline_kernelINS0_14default_configENS1_27upper_bound_config_selectorIslEEZNS1_14transform_implILb0ES3_S5_N6thrust23THRUST_200600_302600_NS6detail15normal_iteratorINS8_7pointerIsNS8_11hip_rocprim5par_tENS8_11use_defaultESE_EEEENSA_INSB_IlSD_SE_SE_EEEEZNS1_13binary_searchIS3_S5_NSA_INS8_10device_ptrIsEEEESG_SI_NS1_21upper_bound_search_opENS9_16wrapped_functionINS8_6system6detail7generic6detail18binary_search_lessEbEEEE10hipError_tPvRmT1_T2_T3_mmT4_T5_P12ihipStream_tbEUlRKsE_EESV_SZ_S10_mS11_S14_bEUlT_E_NS1_11comp_targetILNS1_3genE9ELNS1_11target_archE1100ELNS1_3gpuE3ELNS1_3repE0EEENS1_30default_config_static_selectorELNS0_4arch9wavefront6targetE1EEEvSY_.has_recursion, 0
	.set _ZN7rocprim17ROCPRIM_400000_NS6detail17trampoline_kernelINS0_14default_configENS1_27upper_bound_config_selectorIslEEZNS1_14transform_implILb0ES3_S5_N6thrust23THRUST_200600_302600_NS6detail15normal_iteratorINS8_7pointerIsNS8_11hip_rocprim5par_tENS8_11use_defaultESE_EEEENSA_INSB_IlSD_SE_SE_EEEEZNS1_13binary_searchIS3_S5_NSA_INS8_10device_ptrIsEEEESG_SI_NS1_21upper_bound_search_opENS9_16wrapped_functionINS8_6system6detail7generic6detail18binary_search_lessEbEEEE10hipError_tPvRmT1_T2_T3_mmT4_T5_P12ihipStream_tbEUlRKsE_EESV_SZ_S10_mS11_S14_bEUlT_E_NS1_11comp_targetILNS1_3genE9ELNS1_11target_archE1100ELNS1_3gpuE3ELNS1_3repE0EEENS1_30default_config_static_selectorELNS0_4arch9wavefront6targetE1EEEvSY_.has_indirect_call, 0
	.section	.AMDGPU.csdata,"",@progbits
; Kernel info:
; codeLenInByte = 0
; TotalNumSgprs: 4
; NumVgprs: 0
; ScratchSize: 0
; MemoryBound: 0
; FloatMode: 240
; IeeeMode: 1
; LDSByteSize: 0 bytes/workgroup (compile time only)
; SGPRBlocks: 0
; VGPRBlocks: 0
; NumSGPRsForWavesPerEU: 4
; NumVGPRsForWavesPerEU: 1
; Occupancy: 10
; WaveLimiterHint : 0
; COMPUTE_PGM_RSRC2:SCRATCH_EN: 0
; COMPUTE_PGM_RSRC2:USER_SGPR: 6
; COMPUTE_PGM_RSRC2:TRAP_HANDLER: 0
; COMPUTE_PGM_RSRC2:TGID_X_EN: 1
; COMPUTE_PGM_RSRC2:TGID_Y_EN: 0
; COMPUTE_PGM_RSRC2:TGID_Z_EN: 0
; COMPUTE_PGM_RSRC2:TIDIG_COMP_CNT: 0
	.section	.text._ZN7rocprim17ROCPRIM_400000_NS6detail17trampoline_kernelINS0_14default_configENS1_27upper_bound_config_selectorIslEEZNS1_14transform_implILb0ES3_S5_N6thrust23THRUST_200600_302600_NS6detail15normal_iteratorINS8_7pointerIsNS8_11hip_rocprim5par_tENS8_11use_defaultESE_EEEENSA_INSB_IlSD_SE_SE_EEEEZNS1_13binary_searchIS3_S5_NSA_INS8_10device_ptrIsEEEESG_SI_NS1_21upper_bound_search_opENS9_16wrapped_functionINS8_6system6detail7generic6detail18binary_search_lessEbEEEE10hipError_tPvRmT1_T2_T3_mmT4_T5_P12ihipStream_tbEUlRKsE_EESV_SZ_S10_mS11_S14_bEUlT_E_NS1_11comp_targetILNS1_3genE8ELNS1_11target_archE1030ELNS1_3gpuE2ELNS1_3repE0EEENS1_30default_config_static_selectorELNS0_4arch9wavefront6targetE1EEEvSY_,"axG",@progbits,_ZN7rocprim17ROCPRIM_400000_NS6detail17trampoline_kernelINS0_14default_configENS1_27upper_bound_config_selectorIslEEZNS1_14transform_implILb0ES3_S5_N6thrust23THRUST_200600_302600_NS6detail15normal_iteratorINS8_7pointerIsNS8_11hip_rocprim5par_tENS8_11use_defaultESE_EEEENSA_INSB_IlSD_SE_SE_EEEEZNS1_13binary_searchIS3_S5_NSA_INS8_10device_ptrIsEEEESG_SI_NS1_21upper_bound_search_opENS9_16wrapped_functionINS8_6system6detail7generic6detail18binary_search_lessEbEEEE10hipError_tPvRmT1_T2_T3_mmT4_T5_P12ihipStream_tbEUlRKsE_EESV_SZ_S10_mS11_S14_bEUlT_E_NS1_11comp_targetILNS1_3genE8ELNS1_11target_archE1030ELNS1_3gpuE2ELNS1_3repE0EEENS1_30default_config_static_selectorELNS0_4arch9wavefront6targetE1EEEvSY_,comdat
	.protected	_ZN7rocprim17ROCPRIM_400000_NS6detail17trampoline_kernelINS0_14default_configENS1_27upper_bound_config_selectorIslEEZNS1_14transform_implILb0ES3_S5_N6thrust23THRUST_200600_302600_NS6detail15normal_iteratorINS8_7pointerIsNS8_11hip_rocprim5par_tENS8_11use_defaultESE_EEEENSA_INSB_IlSD_SE_SE_EEEEZNS1_13binary_searchIS3_S5_NSA_INS8_10device_ptrIsEEEESG_SI_NS1_21upper_bound_search_opENS9_16wrapped_functionINS8_6system6detail7generic6detail18binary_search_lessEbEEEE10hipError_tPvRmT1_T2_T3_mmT4_T5_P12ihipStream_tbEUlRKsE_EESV_SZ_S10_mS11_S14_bEUlT_E_NS1_11comp_targetILNS1_3genE8ELNS1_11target_archE1030ELNS1_3gpuE2ELNS1_3repE0EEENS1_30default_config_static_selectorELNS0_4arch9wavefront6targetE1EEEvSY_ ; -- Begin function _ZN7rocprim17ROCPRIM_400000_NS6detail17trampoline_kernelINS0_14default_configENS1_27upper_bound_config_selectorIslEEZNS1_14transform_implILb0ES3_S5_N6thrust23THRUST_200600_302600_NS6detail15normal_iteratorINS8_7pointerIsNS8_11hip_rocprim5par_tENS8_11use_defaultESE_EEEENSA_INSB_IlSD_SE_SE_EEEEZNS1_13binary_searchIS3_S5_NSA_INS8_10device_ptrIsEEEESG_SI_NS1_21upper_bound_search_opENS9_16wrapped_functionINS8_6system6detail7generic6detail18binary_search_lessEbEEEE10hipError_tPvRmT1_T2_T3_mmT4_T5_P12ihipStream_tbEUlRKsE_EESV_SZ_S10_mS11_S14_bEUlT_E_NS1_11comp_targetILNS1_3genE8ELNS1_11target_archE1030ELNS1_3gpuE2ELNS1_3repE0EEENS1_30default_config_static_selectorELNS0_4arch9wavefront6targetE1EEEvSY_
	.globl	_ZN7rocprim17ROCPRIM_400000_NS6detail17trampoline_kernelINS0_14default_configENS1_27upper_bound_config_selectorIslEEZNS1_14transform_implILb0ES3_S5_N6thrust23THRUST_200600_302600_NS6detail15normal_iteratorINS8_7pointerIsNS8_11hip_rocprim5par_tENS8_11use_defaultESE_EEEENSA_INSB_IlSD_SE_SE_EEEEZNS1_13binary_searchIS3_S5_NSA_INS8_10device_ptrIsEEEESG_SI_NS1_21upper_bound_search_opENS9_16wrapped_functionINS8_6system6detail7generic6detail18binary_search_lessEbEEEE10hipError_tPvRmT1_T2_T3_mmT4_T5_P12ihipStream_tbEUlRKsE_EESV_SZ_S10_mS11_S14_bEUlT_E_NS1_11comp_targetILNS1_3genE8ELNS1_11target_archE1030ELNS1_3gpuE2ELNS1_3repE0EEENS1_30default_config_static_selectorELNS0_4arch9wavefront6targetE1EEEvSY_
	.p2align	8
	.type	_ZN7rocprim17ROCPRIM_400000_NS6detail17trampoline_kernelINS0_14default_configENS1_27upper_bound_config_selectorIslEEZNS1_14transform_implILb0ES3_S5_N6thrust23THRUST_200600_302600_NS6detail15normal_iteratorINS8_7pointerIsNS8_11hip_rocprim5par_tENS8_11use_defaultESE_EEEENSA_INSB_IlSD_SE_SE_EEEEZNS1_13binary_searchIS3_S5_NSA_INS8_10device_ptrIsEEEESG_SI_NS1_21upper_bound_search_opENS9_16wrapped_functionINS8_6system6detail7generic6detail18binary_search_lessEbEEEE10hipError_tPvRmT1_T2_T3_mmT4_T5_P12ihipStream_tbEUlRKsE_EESV_SZ_S10_mS11_S14_bEUlT_E_NS1_11comp_targetILNS1_3genE8ELNS1_11target_archE1030ELNS1_3gpuE2ELNS1_3repE0EEENS1_30default_config_static_selectorELNS0_4arch9wavefront6targetE1EEEvSY_,@function
_ZN7rocprim17ROCPRIM_400000_NS6detail17trampoline_kernelINS0_14default_configENS1_27upper_bound_config_selectorIslEEZNS1_14transform_implILb0ES3_S5_N6thrust23THRUST_200600_302600_NS6detail15normal_iteratorINS8_7pointerIsNS8_11hip_rocprim5par_tENS8_11use_defaultESE_EEEENSA_INSB_IlSD_SE_SE_EEEEZNS1_13binary_searchIS3_S5_NSA_INS8_10device_ptrIsEEEESG_SI_NS1_21upper_bound_search_opENS9_16wrapped_functionINS8_6system6detail7generic6detail18binary_search_lessEbEEEE10hipError_tPvRmT1_T2_T3_mmT4_T5_P12ihipStream_tbEUlRKsE_EESV_SZ_S10_mS11_S14_bEUlT_E_NS1_11comp_targetILNS1_3genE8ELNS1_11target_archE1030ELNS1_3gpuE2ELNS1_3repE0EEENS1_30default_config_static_selectorELNS0_4arch9wavefront6targetE1EEEvSY_: ; @_ZN7rocprim17ROCPRIM_400000_NS6detail17trampoline_kernelINS0_14default_configENS1_27upper_bound_config_selectorIslEEZNS1_14transform_implILb0ES3_S5_N6thrust23THRUST_200600_302600_NS6detail15normal_iteratorINS8_7pointerIsNS8_11hip_rocprim5par_tENS8_11use_defaultESE_EEEENSA_INSB_IlSD_SE_SE_EEEEZNS1_13binary_searchIS3_S5_NSA_INS8_10device_ptrIsEEEESG_SI_NS1_21upper_bound_search_opENS9_16wrapped_functionINS8_6system6detail7generic6detail18binary_search_lessEbEEEE10hipError_tPvRmT1_T2_T3_mmT4_T5_P12ihipStream_tbEUlRKsE_EESV_SZ_S10_mS11_S14_bEUlT_E_NS1_11comp_targetILNS1_3genE8ELNS1_11target_archE1030ELNS1_3gpuE2ELNS1_3repE0EEENS1_30default_config_static_selectorELNS0_4arch9wavefront6targetE1EEEvSY_
; %bb.0:
	.section	.rodata,"a",@progbits
	.p2align	6, 0x0
	.amdhsa_kernel _ZN7rocprim17ROCPRIM_400000_NS6detail17trampoline_kernelINS0_14default_configENS1_27upper_bound_config_selectorIslEEZNS1_14transform_implILb0ES3_S5_N6thrust23THRUST_200600_302600_NS6detail15normal_iteratorINS8_7pointerIsNS8_11hip_rocprim5par_tENS8_11use_defaultESE_EEEENSA_INSB_IlSD_SE_SE_EEEEZNS1_13binary_searchIS3_S5_NSA_INS8_10device_ptrIsEEEESG_SI_NS1_21upper_bound_search_opENS9_16wrapped_functionINS8_6system6detail7generic6detail18binary_search_lessEbEEEE10hipError_tPvRmT1_T2_T3_mmT4_T5_P12ihipStream_tbEUlRKsE_EESV_SZ_S10_mS11_S14_bEUlT_E_NS1_11comp_targetILNS1_3genE8ELNS1_11target_archE1030ELNS1_3gpuE2ELNS1_3repE0EEENS1_30default_config_static_selectorELNS0_4arch9wavefront6targetE1EEEvSY_
		.amdhsa_group_segment_fixed_size 0
		.amdhsa_private_segment_fixed_size 0
		.amdhsa_kernarg_size 56
		.amdhsa_user_sgpr_count 6
		.amdhsa_user_sgpr_private_segment_buffer 1
		.amdhsa_user_sgpr_dispatch_ptr 0
		.amdhsa_user_sgpr_queue_ptr 0
		.amdhsa_user_sgpr_kernarg_segment_ptr 1
		.amdhsa_user_sgpr_dispatch_id 0
		.amdhsa_user_sgpr_flat_scratch_init 0
		.amdhsa_user_sgpr_private_segment_size 0
		.amdhsa_uses_dynamic_stack 0
		.amdhsa_system_sgpr_private_segment_wavefront_offset 0
		.amdhsa_system_sgpr_workgroup_id_x 1
		.amdhsa_system_sgpr_workgroup_id_y 0
		.amdhsa_system_sgpr_workgroup_id_z 0
		.amdhsa_system_sgpr_workgroup_info 0
		.amdhsa_system_vgpr_workitem_id 0
		.amdhsa_next_free_vgpr 1
		.amdhsa_next_free_sgpr 0
		.amdhsa_reserve_vcc 0
		.amdhsa_reserve_flat_scratch 0
		.amdhsa_float_round_mode_32 0
		.amdhsa_float_round_mode_16_64 0
		.amdhsa_float_denorm_mode_32 3
		.amdhsa_float_denorm_mode_16_64 3
		.amdhsa_dx10_clamp 1
		.amdhsa_ieee_mode 1
		.amdhsa_fp16_overflow 0
		.amdhsa_exception_fp_ieee_invalid_op 0
		.amdhsa_exception_fp_denorm_src 0
		.amdhsa_exception_fp_ieee_div_zero 0
		.amdhsa_exception_fp_ieee_overflow 0
		.amdhsa_exception_fp_ieee_underflow 0
		.amdhsa_exception_fp_ieee_inexact 0
		.amdhsa_exception_int_div_zero 0
	.end_amdhsa_kernel
	.section	.text._ZN7rocprim17ROCPRIM_400000_NS6detail17trampoline_kernelINS0_14default_configENS1_27upper_bound_config_selectorIslEEZNS1_14transform_implILb0ES3_S5_N6thrust23THRUST_200600_302600_NS6detail15normal_iteratorINS8_7pointerIsNS8_11hip_rocprim5par_tENS8_11use_defaultESE_EEEENSA_INSB_IlSD_SE_SE_EEEEZNS1_13binary_searchIS3_S5_NSA_INS8_10device_ptrIsEEEESG_SI_NS1_21upper_bound_search_opENS9_16wrapped_functionINS8_6system6detail7generic6detail18binary_search_lessEbEEEE10hipError_tPvRmT1_T2_T3_mmT4_T5_P12ihipStream_tbEUlRKsE_EESV_SZ_S10_mS11_S14_bEUlT_E_NS1_11comp_targetILNS1_3genE8ELNS1_11target_archE1030ELNS1_3gpuE2ELNS1_3repE0EEENS1_30default_config_static_selectorELNS0_4arch9wavefront6targetE1EEEvSY_,"axG",@progbits,_ZN7rocprim17ROCPRIM_400000_NS6detail17trampoline_kernelINS0_14default_configENS1_27upper_bound_config_selectorIslEEZNS1_14transform_implILb0ES3_S5_N6thrust23THRUST_200600_302600_NS6detail15normal_iteratorINS8_7pointerIsNS8_11hip_rocprim5par_tENS8_11use_defaultESE_EEEENSA_INSB_IlSD_SE_SE_EEEEZNS1_13binary_searchIS3_S5_NSA_INS8_10device_ptrIsEEEESG_SI_NS1_21upper_bound_search_opENS9_16wrapped_functionINS8_6system6detail7generic6detail18binary_search_lessEbEEEE10hipError_tPvRmT1_T2_T3_mmT4_T5_P12ihipStream_tbEUlRKsE_EESV_SZ_S10_mS11_S14_bEUlT_E_NS1_11comp_targetILNS1_3genE8ELNS1_11target_archE1030ELNS1_3gpuE2ELNS1_3repE0EEENS1_30default_config_static_selectorELNS0_4arch9wavefront6targetE1EEEvSY_,comdat
.Lfunc_end598:
	.size	_ZN7rocprim17ROCPRIM_400000_NS6detail17trampoline_kernelINS0_14default_configENS1_27upper_bound_config_selectorIslEEZNS1_14transform_implILb0ES3_S5_N6thrust23THRUST_200600_302600_NS6detail15normal_iteratorINS8_7pointerIsNS8_11hip_rocprim5par_tENS8_11use_defaultESE_EEEENSA_INSB_IlSD_SE_SE_EEEEZNS1_13binary_searchIS3_S5_NSA_INS8_10device_ptrIsEEEESG_SI_NS1_21upper_bound_search_opENS9_16wrapped_functionINS8_6system6detail7generic6detail18binary_search_lessEbEEEE10hipError_tPvRmT1_T2_T3_mmT4_T5_P12ihipStream_tbEUlRKsE_EESV_SZ_S10_mS11_S14_bEUlT_E_NS1_11comp_targetILNS1_3genE8ELNS1_11target_archE1030ELNS1_3gpuE2ELNS1_3repE0EEENS1_30default_config_static_selectorELNS0_4arch9wavefront6targetE1EEEvSY_, .Lfunc_end598-_ZN7rocprim17ROCPRIM_400000_NS6detail17trampoline_kernelINS0_14default_configENS1_27upper_bound_config_selectorIslEEZNS1_14transform_implILb0ES3_S5_N6thrust23THRUST_200600_302600_NS6detail15normal_iteratorINS8_7pointerIsNS8_11hip_rocprim5par_tENS8_11use_defaultESE_EEEENSA_INSB_IlSD_SE_SE_EEEEZNS1_13binary_searchIS3_S5_NSA_INS8_10device_ptrIsEEEESG_SI_NS1_21upper_bound_search_opENS9_16wrapped_functionINS8_6system6detail7generic6detail18binary_search_lessEbEEEE10hipError_tPvRmT1_T2_T3_mmT4_T5_P12ihipStream_tbEUlRKsE_EESV_SZ_S10_mS11_S14_bEUlT_E_NS1_11comp_targetILNS1_3genE8ELNS1_11target_archE1030ELNS1_3gpuE2ELNS1_3repE0EEENS1_30default_config_static_selectorELNS0_4arch9wavefront6targetE1EEEvSY_
                                        ; -- End function
	.set _ZN7rocprim17ROCPRIM_400000_NS6detail17trampoline_kernelINS0_14default_configENS1_27upper_bound_config_selectorIslEEZNS1_14transform_implILb0ES3_S5_N6thrust23THRUST_200600_302600_NS6detail15normal_iteratorINS8_7pointerIsNS8_11hip_rocprim5par_tENS8_11use_defaultESE_EEEENSA_INSB_IlSD_SE_SE_EEEEZNS1_13binary_searchIS3_S5_NSA_INS8_10device_ptrIsEEEESG_SI_NS1_21upper_bound_search_opENS9_16wrapped_functionINS8_6system6detail7generic6detail18binary_search_lessEbEEEE10hipError_tPvRmT1_T2_T3_mmT4_T5_P12ihipStream_tbEUlRKsE_EESV_SZ_S10_mS11_S14_bEUlT_E_NS1_11comp_targetILNS1_3genE8ELNS1_11target_archE1030ELNS1_3gpuE2ELNS1_3repE0EEENS1_30default_config_static_selectorELNS0_4arch9wavefront6targetE1EEEvSY_.num_vgpr, 0
	.set _ZN7rocprim17ROCPRIM_400000_NS6detail17trampoline_kernelINS0_14default_configENS1_27upper_bound_config_selectorIslEEZNS1_14transform_implILb0ES3_S5_N6thrust23THRUST_200600_302600_NS6detail15normal_iteratorINS8_7pointerIsNS8_11hip_rocprim5par_tENS8_11use_defaultESE_EEEENSA_INSB_IlSD_SE_SE_EEEEZNS1_13binary_searchIS3_S5_NSA_INS8_10device_ptrIsEEEESG_SI_NS1_21upper_bound_search_opENS9_16wrapped_functionINS8_6system6detail7generic6detail18binary_search_lessEbEEEE10hipError_tPvRmT1_T2_T3_mmT4_T5_P12ihipStream_tbEUlRKsE_EESV_SZ_S10_mS11_S14_bEUlT_E_NS1_11comp_targetILNS1_3genE8ELNS1_11target_archE1030ELNS1_3gpuE2ELNS1_3repE0EEENS1_30default_config_static_selectorELNS0_4arch9wavefront6targetE1EEEvSY_.num_agpr, 0
	.set _ZN7rocprim17ROCPRIM_400000_NS6detail17trampoline_kernelINS0_14default_configENS1_27upper_bound_config_selectorIslEEZNS1_14transform_implILb0ES3_S5_N6thrust23THRUST_200600_302600_NS6detail15normal_iteratorINS8_7pointerIsNS8_11hip_rocprim5par_tENS8_11use_defaultESE_EEEENSA_INSB_IlSD_SE_SE_EEEEZNS1_13binary_searchIS3_S5_NSA_INS8_10device_ptrIsEEEESG_SI_NS1_21upper_bound_search_opENS9_16wrapped_functionINS8_6system6detail7generic6detail18binary_search_lessEbEEEE10hipError_tPvRmT1_T2_T3_mmT4_T5_P12ihipStream_tbEUlRKsE_EESV_SZ_S10_mS11_S14_bEUlT_E_NS1_11comp_targetILNS1_3genE8ELNS1_11target_archE1030ELNS1_3gpuE2ELNS1_3repE0EEENS1_30default_config_static_selectorELNS0_4arch9wavefront6targetE1EEEvSY_.numbered_sgpr, 0
	.set _ZN7rocprim17ROCPRIM_400000_NS6detail17trampoline_kernelINS0_14default_configENS1_27upper_bound_config_selectorIslEEZNS1_14transform_implILb0ES3_S5_N6thrust23THRUST_200600_302600_NS6detail15normal_iteratorINS8_7pointerIsNS8_11hip_rocprim5par_tENS8_11use_defaultESE_EEEENSA_INSB_IlSD_SE_SE_EEEEZNS1_13binary_searchIS3_S5_NSA_INS8_10device_ptrIsEEEESG_SI_NS1_21upper_bound_search_opENS9_16wrapped_functionINS8_6system6detail7generic6detail18binary_search_lessEbEEEE10hipError_tPvRmT1_T2_T3_mmT4_T5_P12ihipStream_tbEUlRKsE_EESV_SZ_S10_mS11_S14_bEUlT_E_NS1_11comp_targetILNS1_3genE8ELNS1_11target_archE1030ELNS1_3gpuE2ELNS1_3repE0EEENS1_30default_config_static_selectorELNS0_4arch9wavefront6targetE1EEEvSY_.num_named_barrier, 0
	.set _ZN7rocprim17ROCPRIM_400000_NS6detail17trampoline_kernelINS0_14default_configENS1_27upper_bound_config_selectorIslEEZNS1_14transform_implILb0ES3_S5_N6thrust23THRUST_200600_302600_NS6detail15normal_iteratorINS8_7pointerIsNS8_11hip_rocprim5par_tENS8_11use_defaultESE_EEEENSA_INSB_IlSD_SE_SE_EEEEZNS1_13binary_searchIS3_S5_NSA_INS8_10device_ptrIsEEEESG_SI_NS1_21upper_bound_search_opENS9_16wrapped_functionINS8_6system6detail7generic6detail18binary_search_lessEbEEEE10hipError_tPvRmT1_T2_T3_mmT4_T5_P12ihipStream_tbEUlRKsE_EESV_SZ_S10_mS11_S14_bEUlT_E_NS1_11comp_targetILNS1_3genE8ELNS1_11target_archE1030ELNS1_3gpuE2ELNS1_3repE0EEENS1_30default_config_static_selectorELNS0_4arch9wavefront6targetE1EEEvSY_.private_seg_size, 0
	.set _ZN7rocprim17ROCPRIM_400000_NS6detail17trampoline_kernelINS0_14default_configENS1_27upper_bound_config_selectorIslEEZNS1_14transform_implILb0ES3_S5_N6thrust23THRUST_200600_302600_NS6detail15normal_iteratorINS8_7pointerIsNS8_11hip_rocprim5par_tENS8_11use_defaultESE_EEEENSA_INSB_IlSD_SE_SE_EEEEZNS1_13binary_searchIS3_S5_NSA_INS8_10device_ptrIsEEEESG_SI_NS1_21upper_bound_search_opENS9_16wrapped_functionINS8_6system6detail7generic6detail18binary_search_lessEbEEEE10hipError_tPvRmT1_T2_T3_mmT4_T5_P12ihipStream_tbEUlRKsE_EESV_SZ_S10_mS11_S14_bEUlT_E_NS1_11comp_targetILNS1_3genE8ELNS1_11target_archE1030ELNS1_3gpuE2ELNS1_3repE0EEENS1_30default_config_static_selectorELNS0_4arch9wavefront6targetE1EEEvSY_.uses_vcc, 0
	.set _ZN7rocprim17ROCPRIM_400000_NS6detail17trampoline_kernelINS0_14default_configENS1_27upper_bound_config_selectorIslEEZNS1_14transform_implILb0ES3_S5_N6thrust23THRUST_200600_302600_NS6detail15normal_iteratorINS8_7pointerIsNS8_11hip_rocprim5par_tENS8_11use_defaultESE_EEEENSA_INSB_IlSD_SE_SE_EEEEZNS1_13binary_searchIS3_S5_NSA_INS8_10device_ptrIsEEEESG_SI_NS1_21upper_bound_search_opENS9_16wrapped_functionINS8_6system6detail7generic6detail18binary_search_lessEbEEEE10hipError_tPvRmT1_T2_T3_mmT4_T5_P12ihipStream_tbEUlRKsE_EESV_SZ_S10_mS11_S14_bEUlT_E_NS1_11comp_targetILNS1_3genE8ELNS1_11target_archE1030ELNS1_3gpuE2ELNS1_3repE0EEENS1_30default_config_static_selectorELNS0_4arch9wavefront6targetE1EEEvSY_.uses_flat_scratch, 0
	.set _ZN7rocprim17ROCPRIM_400000_NS6detail17trampoline_kernelINS0_14default_configENS1_27upper_bound_config_selectorIslEEZNS1_14transform_implILb0ES3_S5_N6thrust23THRUST_200600_302600_NS6detail15normal_iteratorINS8_7pointerIsNS8_11hip_rocprim5par_tENS8_11use_defaultESE_EEEENSA_INSB_IlSD_SE_SE_EEEEZNS1_13binary_searchIS3_S5_NSA_INS8_10device_ptrIsEEEESG_SI_NS1_21upper_bound_search_opENS9_16wrapped_functionINS8_6system6detail7generic6detail18binary_search_lessEbEEEE10hipError_tPvRmT1_T2_T3_mmT4_T5_P12ihipStream_tbEUlRKsE_EESV_SZ_S10_mS11_S14_bEUlT_E_NS1_11comp_targetILNS1_3genE8ELNS1_11target_archE1030ELNS1_3gpuE2ELNS1_3repE0EEENS1_30default_config_static_selectorELNS0_4arch9wavefront6targetE1EEEvSY_.has_dyn_sized_stack, 0
	.set _ZN7rocprim17ROCPRIM_400000_NS6detail17trampoline_kernelINS0_14default_configENS1_27upper_bound_config_selectorIslEEZNS1_14transform_implILb0ES3_S5_N6thrust23THRUST_200600_302600_NS6detail15normal_iteratorINS8_7pointerIsNS8_11hip_rocprim5par_tENS8_11use_defaultESE_EEEENSA_INSB_IlSD_SE_SE_EEEEZNS1_13binary_searchIS3_S5_NSA_INS8_10device_ptrIsEEEESG_SI_NS1_21upper_bound_search_opENS9_16wrapped_functionINS8_6system6detail7generic6detail18binary_search_lessEbEEEE10hipError_tPvRmT1_T2_T3_mmT4_T5_P12ihipStream_tbEUlRKsE_EESV_SZ_S10_mS11_S14_bEUlT_E_NS1_11comp_targetILNS1_3genE8ELNS1_11target_archE1030ELNS1_3gpuE2ELNS1_3repE0EEENS1_30default_config_static_selectorELNS0_4arch9wavefront6targetE1EEEvSY_.has_recursion, 0
	.set _ZN7rocprim17ROCPRIM_400000_NS6detail17trampoline_kernelINS0_14default_configENS1_27upper_bound_config_selectorIslEEZNS1_14transform_implILb0ES3_S5_N6thrust23THRUST_200600_302600_NS6detail15normal_iteratorINS8_7pointerIsNS8_11hip_rocprim5par_tENS8_11use_defaultESE_EEEENSA_INSB_IlSD_SE_SE_EEEEZNS1_13binary_searchIS3_S5_NSA_INS8_10device_ptrIsEEEESG_SI_NS1_21upper_bound_search_opENS9_16wrapped_functionINS8_6system6detail7generic6detail18binary_search_lessEbEEEE10hipError_tPvRmT1_T2_T3_mmT4_T5_P12ihipStream_tbEUlRKsE_EESV_SZ_S10_mS11_S14_bEUlT_E_NS1_11comp_targetILNS1_3genE8ELNS1_11target_archE1030ELNS1_3gpuE2ELNS1_3repE0EEENS1_30default_config_static_selectorELNS0_4arch9wavefront6targetE1EEEvSY_.has_indirect_call, 0
	.section	.AMDGPU.csdata,"",@progbits
; Kernel info:
; codeLenInByte = 0
; TotalNumSgprs: 4
; NumVgprs: 0
; ScratchSize: 0
; MemoryBound: 0
; FloatMode: 240
; IeeeMode: 1
; LDSByteSize: 0 bytes/workgroup (compile time only)
; SGPRBlocks: 0
; VGPRBlocks: 0
; NumSGPRsForWavesPerEU: 4
; NumVGPRsForWavesPerEU: 1
; Occupancy: 10
; WaveLimiterHint : 0
; COMPUTE_PGM_RSRC2:SCRATCH_EN: 0
; COMPUTE_PGM_RSRC2:USER_SGPR: 6
; COMPUTE_PGM_RSRC2:TRAP_HANDLER: 0
; COMPUTE_PGM_RSRC2:TGID_X_EN: 1
; COMPUTE_PGM_RSRC2:TGID_Y_EN: 0
; COMPUTE_PGM_RSRC2:TGID_Z_EN: 0
; COMPUTE_PGM_RSRC2:TIDIG_COMP_CNT: 0
	.section	.text._ZN7rocprim17ROCPRIM_400000_NS6detail17trampoline_kernelINS0_14default_configENS1_27upper_bound_config_selectorIN6thrust23THRUST_200600_302600_NS5tupleIiiNS6_9null_typeES8_S8_S8_S8_S8_S8_S8_EElEEZNS1_14transform_implILb0ES3_SA_NS6_6detail15normal_iteratorINS6_7pointerIS9_NS6_11hip_rocprim5par_tENS6_11use_defaultESH_EEEENSD_INSE_IlSG_SH_SH_EEEEZNS1_13binary_searchIS3_SA_NSD_INS6_10device_ptrIS9_EEEESJ_SL_NS1_21upper_bound_search_opENSC_16wrapped_functionINS6_6system6detail7generic6detail18binary_search_lessEbEEEE10hipError_tPvRmT1_T2_T3_mmT4_T5_P12ihipStream_tbEUlRKS9_E_EESY_S12_S13_mS14_S17_bEUlT_E_NS1_11comp_targetILNS1_3genE0ELNS1_11target_archE4294967295ELNS1_3gpuE0ELNS1_3repE0EEENS1_30default_config_static_selectorELNS0_4arch9wavefront6targetE1EEEvS11_,"axG",@progbits,_ZN7rocprim17ROCPRIM_400000_NS6detail17trampoline_kernelINS0_14default_configENS1_27upper_bound_config_selectorIN6thrust23THRUST_200600_302600_NS5tupleIiiNS6_9null_typeES8_S8_S8_S8_S8_S8_S8_EElEEZNS1_14transform_implILb0ES3_SA_NS6_6detail15normal_iteratorINS6_7pointerIS9_NS6_11hip_rocprim5par_tENS6_11use_defaultESH_EEEENSD_INSE_IlSG_SH_SH_EEEEZNS1_13binary_searchIS3_SA_NSD_INS6_10device_ptrIS9_EEEESJ_SL_NS1_21upper_bound_search_opENSC_16wrapped_functionINS6_6system6detail7generic6detail18binary_search_lessEbEEEE10hipError_tPvRmT1_T2_T3_mmT4_T5_P12ihipStream_tbEUlRKS9_E_EESY_S12_S13_mS14_S17_bEUlT_E_NS1_11comp_targetILNS1_3genE0ELNS1_11target_archE4294967295ELNS1_3gpuE0ELNS1_3repE0EEENS1_30default_config_static_selectorELNS0_4arch9wavefront6targetE1EEEvS11_,comdat
	.protected	_ZN7rocprim17ROCPRIM_400000_NS6detail17trampoline_kernelINS0_14default_configENS1_27upper_bound_config_selectorIN6thrust23THRUST_200600_302600_NS5tupleIiiNS6_9null_typeES8_S8_S8_S8_S8_S8_S8_EElEEZNS1_14transform_implILb0ES3_SA_NS6_6detail15normal_iteratorINS6_7pointerIS9_NS6_11hip_rocprim5par_tENS6_11use_defaultESH_EEEENSD_INSE_IlSG_SH_SH_EEEEZNS1_13binary_searchIS3_SA_NSD_INS6_10device_ptrIS9_EEEESJ_SL_NS1_21upper_bound_search_opENSC_16wrapped_functionINS6_6system6detail7generic6detail18binary_search_lessEbEEEE10hipError_tPvRmT1_T2_T3_mmT4_T5_P12ihipStream_tbEUlRKS9_E_EESY_S12_S13_mS14_S17_bEUlT_E_NS1_11comp_targetILNS1_3genE0ELNS1_11target_archE4294967295ELNS1_3gpuE0ELNS1_3repE0EEENS1_30default_config_static_selectorELNS0_4arch9wavefront6targetE1EEEvS11_ ; -- Begin function _ZN7rocprim17ROCPRIM_400000_NS6detail17trampoline_kernelINS0_14default_configENS1_27upper_bound_config_selectorIN6thrust23THRUST_200600_302600_NS5tupleIiiNS6_9null_typeES8_S8_S8_S8_S8_S8_S8_EElEEZNS1_14transform_implILb0ES3_SA_NS6_6detail15normal_iteratorINS6_7pointerIS9_NS6_11hip_rocprim5par_tENS6_11use_defaultESH_EEEENSD_INSE_IlSG_SH_SH_EEEEZNS1_13binary_searchIS3_SA_NSD_INS6_10device_ptrIS9_EEEESJ_SL_NS1_21upper_bound_search_opENSC_16wrapped_functionINS6_6system6detail7generic6detail18binary_search_lessEbEEEE10hipError_tPvRmT1_T2_T3_mmT4_T5_P12ihipStream_tbEUlRKS9_E_EESY_S12_S13_mS14_S17_bEUlT_E_NS1_11comp_targetILNS1_3genE0ELNS1_11target_archE4294967295ELNS1_3gpuE0ELNS1_3repE0EEENS1_30default_config_static_selectorELNS0_4arch9wavefront6targetE1EEEvS11_
	.globl	_ZN7rocprim17ROCPRIM_400000_NS6detail17trampoline_kernelINS0_14default_configENS1_27upper_bound_config_selectorIN6thrust23THRUST_200600_302600_NS5tupleIiiNS6_9null_typeES8_S8_S8_S8_S8_S8_S8_EElEEZNS1_14transform_implILb0ES3_SA_NS6_6detail15normal_iteratorINS6_7pointerIS9_NS6_11hip_rocprim5par_tENS6_11use_defaultESH_EEEENSD_INSE_IlSG_SH_SH_EEEEZNS1_13binary_searchIS3_SA_NSD_INS6_10device_ptrIS9_EEEESJ_SL_NS1_21upper_bound_search_opENSC_16wrapped_functionINS6_6system6detail7generic6detail18binary_search_lessEbEEEE10hipError_tPvRmT1_T2_T3_mmT4_T5_P12ihipStream_tbEUlRKS9_E_EESY_S12_S13_mS14_S17_bEUlT_E_NS1_11comp_targetILNS1_3genE0ELNS1_11target_archE4294967295ELNS1_3gpuE0ELNS1_3repE0EEENS1_30default_config_static_selectorELNS0_4arch9wavefront6targetE1EEEvS11_
	.p2align	8
	.type	_ZN7rocprim17ROCPRIM_400000_NS6detail17trampoline_kernelINS0_14default_configENS1_27upper_bound_config_selectorIN6thrust23THRUST_200600_302600_NS5tupleIiiNS6_9null_typeES8_S8_S8_S8_S8_S8_S8_EElEEZNS1_14transform_implILb0ES3_SA_NS6_6detail15normal_iteratorINS6_7pointerIS9_NS6_11hip_rocprim5par_tENS6_11use_defaultESH_EEEENSD_INSE_IlSG_SH_SH_EEEEZNS1_13binary_searchIS3_SA_NSD_INS6_10device_ptrIS9_EEEESJ_SL_NS1_21upper_bound_search_opENSC_16wrapped_functionINS6_6system6detail7generic6detail18binary_search_lessEbEEEE10hipError_tPvRmT1_T2_T3_mmT4_T5_P12ihipStream_tbEUlRKS9_E_EESY_S12_S13_mS14_S17_bEUlT_E_NS1_11comp_targetILNS1_3genE0ELNS1_11target_archE4294967295ELNS1_3gpuE0ELNS1_3repE0EEENS1_30default_config_static_selectorELNS0_4arch9wavefront6targetE1EEEvS11_,@function
_ZN7rocprim17ROCPRIM_400000_NS6detail17trampoline_kernelINS0_14default_configENS1_27upper_bound_config_selectorIN6thrust23THRUST_200600_302600_NS5tupleIiiNS6_9null_typeES8_S8_S8_S8_S8_S8_S8_EElEEZNS1_14transform_implILb0ES3_SA_NS6_6detail15normal_iteratorINS6_7pointerIS9_NS6_11hip_rocprim5par_tENS6_11use_defaultESH_EEEENSD_INSE_IlSG_SH_SH_EEEEZNS1_13binary_searchIS3_SA_NSD_INS6_10device_ptrIS9_EEEESJ_SL_NS1_21upper_bound_search_opENSC_16wrapped_functionINS6_6system6detail7generic6detail18binary_search_lessEbEEEE10hipError_tPvRmT1_T2_T3_mmT4_T5_P12ihipStream_tbEUlRKS9_E_EESY_S12_S13_mS14_S17_bEUlT_E_NS1_11comp_targetILNS1_3genE0ELNS1_11target_archE4294967295ELNS1_3gpuE0ELNS1_3repE0EEENS1_30default_config_static_selectorELNS0_4arch9wavefront6targetE1EEEvS11_: ; @_ZN7rocprim17ROCPRIM_400000_NS6detail17trampoline_kernelINS0_14default_configENS1_27upper_bound_config_selectorIN6thrust23THRUST_200600_302600_NS5tupleIiiNS6_9null_typeES8_S8_S8_S8_S8_S8_S8_EElEEZNS1_14transform_implILb0ES3_SA_NS6_6detail15normal_iteratorINS6_7pointerIS9_NS6_11hip_rocprim5par_tENS6_11use_defaultESH_EEEENSD_INSE_IlSG_SH_SH_EEEEZNS1_13binary_searchIS3_SA_NSD_INS6_10device_ptrIS9_EEEESJ_SL_NS1_21upper_bound_search_opENSC_16wrapped_functionINS6_6system6detail7generic6detail18binary_search_lessEbEEEE10hipError_tPvRmT1_T2_T3_mmT4_T5_P12ihipStream_tbEUlRKS9_E_EESY_S12_S13_mS14_S17_bEUlT_E_NS1_11comp_targetILNS1_3genE0ELNS1_11target_archE4294967295ELNS1_3gpuE0ELNS1_3repE0EEENS1_30default_config_static_selectorELNS0_4arch9wavefront6targetE1EEEvS11_
; %bb.0:
	.section	.rodata,"a",@progbits
	.p2align	6, 0x0
	.amdhsa_kernel _ZN7rocprim17ROCPRIM_400000_NS6detail17trampoline_kernelINS0_14default_configENS1_27upper_bound_config_selectorIN6thrust23THRUST_200600_302600_NS5tupleIiiNS6_9null_typeES8_S8_S8_S8_S8_S8_S8_EElEEZNS1_14transform_implILb0ES3_SA_NS6_6detail15normal_iteratorINS6_7pointerIS9_NS6_11hip_rocprim5par_tENS6_11use_defaultESH_EEEENSD_INSE_IlSG_SH_SH_EEEEZNS1_13binary_searchIS3_SA_NSD_INS6_10device_ptrIS9_EEEESJ_SL_NS1_21upper_bound_search_opENSC_16wrapped_functionINS6_6system6detail7generic6detail18binary_search_lessEbEEEE10hipError_tPvRmT1_T2_T3_mmT4_T5_P12ihipStream_tbEUlRKS9_E_EESY_S12_S13_mS14_S17_bEUlT_E_NS1_11comp_targetILNS1_3genE0ELNS1_11target_archE4294967295ELNS1_3gpuE0ELNS1_3repE0EEENS1_30default_config_static_selectorELNS0_4arch9wavefront6targetE1EEEvS11_
		.amdhsa_group_segment_fixed_size 0
		.amdhsa_private_segment_fixed_size 0
		.amdhsa_kernarg_size 56
		.amdhsa_user_sgpr_count 6
		.amdhsa_user_sgpr_private_segment_buffer 1
		.amdhsa_user_sgpr_dispatch_ptr 0
		.amdhsa_user_sgpr_queue_ptr 0
		.amdhsa_user_sgpr_kernarg_segment_ptr 1
		.amdhsa_user_sgpr_dispatch_id 0
		.amdhsa_user_sgpr_flat_scratch_init 0
		.amdhsa_user_sgpr_private_segment_size 0
		.amdhsa_uses_dynamic_stack 0
		.amdhsa_system_sgpr_private_segment_wavefront_offset 0
		.amdhsa_system_sgpr_workgroup_id_x 1
		.amdhsa_system_sgpr_workgroup_id_y 0
		.amdhsa_system_sgpr_workgroup_id_z 0
		.amdhsa_system_sgpr_workgroup_info 0
		.amdhsa_system_vgpr_workitem_id 0
		.amdhsa_next_free_vgpr 1
		.amdhsa_next_free_sgpr 0
		.amdhsa_reserve_vcc 0
		.amdhsa_reserve_flat_scratch 0
		.amdhsa_float_round_mode_32 0
		.amdhsa_float_round_mode_16_64 0
		.amdhsa_float_denorm_mode_32 3
		.amdhsa_float_denorm_mode_16_64 3
		.amdhsa_dx10_clamp 1
		.amdhsa_ieee_mode 1
		.amdhsa_fp16_overflow 0
		.amdhsa_exception_fp_ieee_invalid_op 0
		.amdhsa_exception_fp_denorm_src 0
		.amdhsa_exception_fp_ieee_div_zero 0
		.amdhsa_exception_fp_ieee_overflow 0
		.amdhsa_exception_fp_ieee_underflow 0
		.amdhsa_exception_fp_ieee_inexact 0
		.amdhsa_exception_int_div_zero 0
	.end_amdhsa_kernel
	.section	.text._ZN7rocprim17ROCPRIM_400000_NS6detail17trampoline_kernelINS0_14default_configENS1_27upper_bound_config_selectorIN6thrust23THRUST_200600_302600_NS5tupleIiiNS6_9null_typeES8_S8_S8_S8_S8_S8_S8_EElEEZNS1_14transform_implILb0ES3_SA_NS6_6detail15normal_iteratorINS6_7pointerIS9_NS6_11hip_rocprim5par_tENS6_11use_defaultESH_EEEENSD_INSE_IlSG_SH_SH_EEEEZNS1_13binary_searchIS3_SA_NSD_INS6_10device_ptrIS9_EEEESJ_SL_NS1_21upper_bound_search_opENSC_16wrapped_functionINS6_6system6detail7generic6detail18binary_search_lessEbEEEE10hipError_tPvRmT1_T2_T3_mmT4_T5_P12ihipStream_tbEUlRKS9_E_EESY_S12_S13_mS14_S17_bEUlT_E_NS1_11comp_targetILNS1_3genE0ELNS1_11target_archE4294967295ELNS1_3gpuE0ELNS1_3repE0EEENS1_30default_config_static_selectorELNS0_4arch9wavefront6targetE1EEEvS11_,"axG",@progbits,_ZN7rocprim17ROCPRIM_400000_NS6detail17trampoline_kernelINS0_14default_configENS1_27upper_bound_config_selectorIN6thrust23THRUST_200600_302600_NS5tupleIiiNS6_9null_typeES8_S8_S8_S8_S8_S8_S8_EElEEZNS1_14transform_implILb0ES3_SA_NS6_6detail15normal_iteratorINS6_7pointerIS9_NS6_11hip_rocprim5par_tENS6_11use_defaultESH_EEEENSD_INSE_IlSG_SH_SH_EEEEZNS1_13binary_searchIS3_SA_NSD_INS6_10device_ptrIS9_EEEESJ_SL_NS1_21upper_bound_search_opENSC_16wrapped_functionINS6_6system6detail7generic6detail18binary_search_lessEbEEEE10hipError_tPvRmT1_T2_T3_mmT4_T5_P12ihipStream_tbEUlRKS9_E_EESY_S12_S13_mS14_S17_bEUlT_E_NS1_11comp_targetILNS1_3genE0ELNS1_11target_archE4294967295ELNS1_3gpuE0ELNS1_3repE0EEENS1_30default_config_static_selectorELNS0_4arch9wavefront6targetE1EEEvS11_,comdat
.Lfunc_end599:
	.size	_ZN7rocprim17ROCPRIM_400000_NS6detail17trampoline_kernelINS0_14default_configENS1_27upper_bound_config_selectorIN6thrust23THRUST_200600_302600_NS5tupleIiiNS6_9null_typeES8_S8_S8_S8_S8_S8_S8_EElEEZNS1_14transform_implILb0ES3_SA_NS6_6detail15normal_iteratorINS6_7pointerIS9_NS6_11hip_rocprim5par_tENS6_11use_defaultESH_EEEENSD_INSE_IlSG_SH_SH_EEEEZNS1_13binary_searchIS3_SA_NSD_INS6_10device_ptrIS9_EEEESJ_SL_NS1_21upper_bound_search_opENSC_16wrapped_functionINS6_6system6detail7generic6detail18binary_search_lessEbEEEE10hipError_tPvRmT1_T2_T3_mmT4_T5_P12ihipStream_tbEUlRKS9_E_EESY_S12_S13_mS14_S17_bEUlT_E_NS1_11comp_targetILNS1_3genE0ELNS1_11target_archE4294967295ELNS1_3gpuE0ELNS1_3repE0EEENS1_30default_config_static_selectorELNS0_4arch9wavefront6targetE1EEEvS11_, .Lfunc_end599-_ZN7rocprim17ROCPRIM_400000_NS6detail17trampoline_kernelINS0_14default_configENS1_27upper_bound_config_selectorIN6thrust23THRUST_200600_302600_NS5tupleIiiNS6_9null_typeES8_S8_S8_S8_S8_S8_S8_EElEEZNS1_14transform_implILb0ES3_SA_NS6_6detail15normal_iteratorINS6_7pointerIS9_NS6_11hip_rocprim5par_tENS6_11use_defaultESH_EEEENSD_INSE_IlSG_SH_SH_EEEEZNS1_13binary_searchIS3_SA_NSD_INS6_10device_ptrIS9_EEEESJ_SL_NS1_21upper_bound_search_opENSC_16wrapped_functionINS6_6system6detail7generic6detail18binary_search_lessEbEEEE10hipError_tPvRmT1_T2_T3_mmT4_T5_P12ihipStream_tbEUlRKS9_E_EESY_S12_S13_mS14_S17_bEUlT_E_NS1_11comp_targetILNS1_3genE0ELNS1_11target_archE4294967295ELNS1_3gpuE0ELNS1_3repE0EEENS1_30default_config_static_selectorELNS0_4arch9wavefront6targetE1EEEvS11_
                                        ; -- End function
	.set _ZN7rocprim17ROCPRIM_400000_NS6detail17trampoline_kernelINS0_14default_configENS1_27upper_bound_config_selectorIN6thrust23THRUST_200600_302600_NS5tupleIiiNS6_9null_typeES8_S8_S8_S8_S8_S8_S8_EElEEZNS1_14transform_implILb0ES3_SA_NS6_6detail15normal_iteratorINS6_7pointerIS9_NS6_11hip_rocprim5par_tENS6_11use_defaultESH_EEEENSD_INSE_IlSG_SH_SH_EEEEZNS1_13binary_searchIS3_SA_NSD_INS6_10device_ptrIS9_EEEESJ_SL_NS1_21upper_bound_search_opENSC_16wrapped_functionINS6_6system6detail7generic6detail18binary_search_lessEbEEEE10hipError_tPvRmT1_T2_T3_mmT4_T5_P12ihipStream_tbEUlRKS9_E_EESY_S12_S13_mS14_S17_bEUlT_E_NS1_11comp_targetILNS1_3genE0ELNS1_11target_archE4294967295ELNS1_3gpuE0ELNS1_3repE0EEENS1_30default_config_static_selectorELNS0_4arch9wavefront6targetE1EEEvS11_.num_vgpr, 0
	.set _ZN7rocprim17ROCPRIM_400000_NS6detail17trampoline_kernelINS0_14default_configENS1_27upper_bound_config_selectorIN6thrust23THRUST_200600_302600_NS5tupleIiiNS6_9null_typeES8_S8_S8_S8_S8_S8_S8_EElEEZNS1_14transform_implILb0ES3_SA_NS6_6detail15normal_iteratorINS6_7pointerIS9_NS6_11hip_rocprim5par_tENS6_11use_defaultESH_EEEENSD_INSE_IlSG_SH_SH_EEEEZNS1_13binary_searchIS3_SA_NSD_INS6_10device_ptrIS9_EEEESJ_SL_NS1_21upper_bound_search_opENSC_16wrapped_functionINS6_6system6detail7generic6detail18binary_search_lessEbEEEE10hipError_tPvRmT1_T2_T3_mmT4_T5_P12ihipStream_tbEUlRKS9_E_EESY_S12_S13_mS14_S17_bEUlT_E_NS1_11comp_targetILNS1_3genE0ELNS1_11target_archE4294967295ELNS1_3gpuE0ELNS1_3repE0EEENS1_30default_config_static_selectorELNS0_4arch9wavefront6targetE1EEEvS11_.num_agpr, 0
	.set _ZN7rocprim17ROCPRIM_400000_NS6detail17trampoline_kernelINS0_14default_configENS1_27upper_bound_config_selectorIN6thrust23THRUST_200600_302600_NS5tupleIiiNS6_9null_typeES8_S8_S8_S8_S8_S8_S8_EElEEZNS1_14transform_implILb0ES3_SA_NS6_6detail15normal_iteratorINS6_7pointerIS9_NS6_11hip_rocprim5par_tENS6_11use_defaultESH_EEEENSD_INSE_IlSG_SH_SH_EEEEZNS1_13binary_searchIS3_SA_NSD_INS6_10device_ptrIS9_EEEESJ_SL_NS1_21upper_bound_search_opENSC_16wrapped_functionINS6_6system6detail7generic6detail18binary_search_lessEbEEEE10hipError_tPvRmT1_T2_T3_mmT4_T5_P12ihipStream_tbEUlRKS9_E_EESY_S12_S13_mS14_S17_bEUlT_E_NS1_11comp_targetILNS1_3genE0ELNS1_11target_archE4294967295ELNS1_3gpuE0ELNS1_3repE0EEENS1_30default_config_static_selectorELNS0_4arch9wavefront6targetE1EEEvS11_.numbered_sgpr, 0
	.set _ZN7rocprim17ROCPRIM_400000_NS6detail17trampoline_kernelINS0_14default_configENS1_27upper_bound_config_selectorIN6thrust23THRUST_200600_302600_NS5tupleIiiNS6_9null_typeES8_S8_S8_S8_S8_S8_S8_EElEEZNS1_14transform_implILb0ES3_SA_NS6_6detail15normal_iteratorINS6_7pointerIS9_NS6_11hip_rocprim5par_tENS6_11use_defaultESH_EEEENSD_INSE_IlSG_SH_SH_EEEEZNS1_13binary_searchIS3_SA_NSD_INS6_10device_ptrIS9_EEEESJ_SL_NS1_21upper_bound_search_opENSC_16wrapped_functionINS6_6system6detail7generic6detail18binary_search_lessEbEEEE10hipError_tPvRmT1_T2_T3_mmT4_T5_P12ihipStream_tbEUlRKS9_E_EESY_S12_S13_mS14_S17_bEUlT_E_NS1_11comp_targetILNS1_3genE0ELNS1_11target_archE4294967295ELNS1_3gpuE0ELNS1_3repE0EEENS1_30default_config_static_selectorELNS0_4arch9wavefront6targetE1EEEvS11_.num_named_barrier, 0
	.set _ZN7rocprim17ROCPRIM_400000_NS6detail17trampoline_kernelINS0_14default_configENS1_27upper_bound_config_selectorIN6thrust23THRUST_200600_302600_NS5tupleIiiNS6_9null_typeES8_S8_S8_S8_S8_S8_S8_EElEEZNS1_14transform_implILb0ES3_SA_NS6_6detail15normal_iteratorINS6_7pointerIS9_NS6_11hip_rocprim5par_tENS6_11use_defaultESH_EEEENSD_INSE_IlSG_SH_SH_EEEEZNS1_13binary_searchIS3_SA_NSD_INS6_10device_ptrIS9_EEEESJ_SL_NS1_21upper_bound_search_opENSC_16wrapped_functionINS6_6system6detail7generic6detail18binary_search_lessEbEEEE10hipError_tPvRmT1_T2_T3_mmT4_T5_P12ihipStream_tbEUlRKS9_E_EESY_S12_S13_mS14_S17_bEUlT_E_NS1_11comp_targetILNS1_3genE0ELNS1_11target_archE4294967295ELNS1_3gpuE0ELNS1_3repE0EEENS1_30default_config_static_selectorELNS0_4arch9wavefront6targetE1EEEvS11_.private_seg_size, 0
	.set _ZN7rocprim17ROCPRIM_400000_NS6detail17trampoline_kernelINS0_14default_configENS1_27upper_bound_config_selectorIN6thrust23THRUST_200600_302600_NS5tupleIiiNS6_9null_typeES8_S8_S8_S8_S8_S8_S8_EElEEZNS1_14transform_implILb0ES3_SA_NS6_6detail15normal_iteratorINS6_7pointerIS9_NS6_11hip_rocprim5par_tENS6_11use_defaultESH_EEEENSD_INSE_IlSG_SH_SH_EEEEZNS1_13binary_searchIS3_SA_NSD_INS6_10device_ptrIS9_EEEESJ_SL_NS1_21upper_bound_search_opENSC_16wrapped_functionINS6_6system6detail7generic6detail18binary_search_lessEbEEEE10hipError_tPvRmT1_T2_T3_mmT4_T5_P12ihipStream_tbEUlRKS9_E_EESY_S12_S13_mS14_S17_bEUlT_E_NS1_11comp_targetILNS1_3genE0ELNS1_11target_archE4294967295ELNS1_3gpuE0ELNS1_3repE0EEENS1_30default_config_static_selectorELNS0_4arch9wavefront6targetE1EEEvS11_.uses_vcc, 0
	.set _ZN7rocprim17ROCPRIM_400000_NS6detail17trampoline_kernelINS0_14default_configENS1_27upper_bound_config_selectorIN6thrust23THRUST_200600_302600_NS5tupleIiiNS6_9null_typeES8_S8_S8_S8_S8_S8_S8_EElEEZNS1_14transform_implILb0ES3_SA_NS6_6detail15normal_iteratorINS6_7pointerIS9_NS6_11hip_rocprim5par_tENS6_11use_defaultESH_EEEENSD_INSE_IlSG_SH_SH_EEEEZNS1_13binary_searchIS3_SA_NSD_INS6_10device_ptrIS9_EEEESJ_SL_NS1_21upper_bound_search_opENSC_16wrapped_functionINS6_6system6detail7generic6detail18binary_search_lessEbEEEE10hipError_tPvRmT1_T2_T3_mmT4_T5_P12ihipStream_tbEUlRKS9_E_EESY_S12_S13_mS14_S17_bEUlT_E_NS1_11comp_targetILNS1_3genE0ELNS1_11target_archE4294967295ELNS1_3gpuE0ELNS1_3repE0EEENS1_30default_config_static_selectorELNS0_4arch9wavefront6targetE1EEEvS11_.uses_flat_scratch, 0
	.set _ZN7rocprim17ROCPRIM_400000_NS6detail17trampoline_kernelINS0_14default_configENS1_27upper_bound_config_selectorIN6thrust23THRUST_200600_302600_NS5tupleIiiNS6_9null_typeES8_S8_S8_S8_S8_S8_S8_EElEEZNS1_14transform_implILb0ES3_SA_NS6_6detail15normal_iteratorINS6_7pointerIS9_NS6_11hip_rocprim5par_tENS6_11use_defaultESH_EEEENSD_INSE_IlSG_SH_SH_EEEEZNS1_13binary_searchIS3_SA_NSD_INS6_10device_ptrIS9_EEEESJ_SL_NS1_21upper_bound_search_opENSC_16wrapped_functionINS6_6system6detail7generic6detail18binary_search_lessEbEEEE10hipError_tPvRmT1_T2_T3_mmT4_T5_P12ihipStream_tbEUlRKS9_E_EESY_S12_S13_mS14_S17_bEUlT_E_NS1_11comp_targetILNS1_3genE0ELNS1_11target_archE4294967295ELNS1_3gpuE0ELNS1_3repE0EEENS1_30default_config_static_selectorELNS0_4arch9wavefront6targetE1EEEvS11_.has_dyn_sized_stack, 0
	.set _ZN7rocprim17ROCPRIM_400000_NS6detail17trampoline_kernelINS0_14default_configENS1_27upper_bound_config_selectorIN6thrust23THRUST_200600_302600_NS5tupleIiiNS6_9null_typeES8_S8_S8_S8_S8_S8_S8_EElEEZNS1_14transform_implILb0ES3_SA_NS6_6detail15normal_iteratorINS6_7pointerIS9_NS6_11hip_rocprim5par_tENS6_11use_defaultESH_EEEENSD_INSE_IlSG_SH_SH_EEEEZNS1_13binary_searchIS3_SA_NSD_INS6_10device_ptrIS9_EEEESJ_SL_NS1_21upper_bound_search_opENSC_16wrapped_functionINS6_6system6detail7generic6detail18binary_search_lessEbEEEE10hipError_tPvRmT1_T2_T3_mmT4_T5_P12ihipStream_tbEUlRKS9_E_EESY_S12_S13_mS14_S17_bEUlT_E_NS1_11comp_targetILNS1_3genE0ELNS1_11target_archE4294967295ELNS1_3gpuE0ELNS1_3repE0EEENS1_30default_config_static_selectorELNS0_4arch9wavefront6targetE1EEEvS11_.has_recursion, 0
	.set _ZN7rocprim17ROCPRIM_400000_NS6detail17trampoline_kernelINS0_14default_configENS1_27upper_bound_config_selectorIN6thrust23THRUST_200600_302600_NS5tupleIiiNS6_9null_typeES8_S8_S8_S8_S8_S8_S8_EElEEZNS1_14transform_implILb0ES3_SA_NS6_6detail15normal_iteratorINS6_7pointerIS9_NS6_11hip_rocprim5par_tENS6_11use_defaultESH_EEEENSD_INSE_IlSG_SH_SH_EEEEZNS1_13binary_searchIS3_SA_NSD_INS6_10device_ptrIS9_EEEESJ_SL_NS1_21upper_bound_search_opENSC_16wrapped_functionINS6_6system6detail7generic6detail18binary_search_lessEbEEEE10hipError_tPvRmT1_T2_T3_mmT4_T5_P12ihipStream_tbEUlRKS9_E_EESY_S12_S13_mS14_S17_bEUlT_E_NS1_11comp_targetILNS1_3genE0ELNS1_11target_archE4294967295ELNS1_3gpuE0ELNS1_3repE0EEENS1_30default_config_static_selectorELNS0_4arch9wavefront6targetE1EEEvS11_.has_indirect_call, 0
	.section	.AMDGPU.csdata,"",@progbits
; Kernel info:
; codeLenInByte = 0
; TotalNumSgprs: 4
; NumVgprs: 0
; ScratchSize: 0
; MemoryBound: 0
; FloatMode: 240
; IeeeMode: 1
; LDSByteSize: 0 bytes/workgroup (compile time only)
; SGPRBlocks: 0
; VGPRBlocks: 0
; NumSGPRsForWavesPerEU: 4
; NumVGPRsForWavesPerEU: 1
; Occupancy: 10
; WaveLimiterHint : 0
; COMPUTE_PGM_RSRC2:SCRATCH_EN: 0
; COMPUTE_PGM_RSRC2:USER_SGPR: 6
; COMPUTE_PGM_RSRC2:TRAP_HANDLER: 0
; COMPUTE_PGM_RSRC2:TGID_X_EN: 1
; COMPUTE_PGM_RSRC2:TGID_Y_EN: 0
; COMPUTE_PGM_RSRC2:TGID_Z_EN: 0
; COMPUTE_PGM_RSRC2:TIDIG_COMP_CNT: 0
	.section	.text._ZN7rocprim17ROCPRIM_400000_NS6detail17trampoline_kernelINS0_14default_configENS1_27upper_bound_config_selectorIN6thrust23THRUST_200600_302600_NS5tupleIiiNS6_9null_typeES8_S8_S8_S8_S8_S8_S8_EElEEZNS1_14transform_implILb0ES3_SA_NS6_6detail15normal_iteratorINS6_7pointerIS9_NS6_11hip_rocprim5par_tENS6_11use_defaultESH_EEEENSD_INSE_IlSG_SH_SH_EEEEZNS1_13binary_searchIS3_SA_NSD_INS6_10device_ptrIS9_EEEESJ_SL_NS1_21upper_bound_search_opENSC_16wrapped_functionINS6_6system6detail7generic6detail18binary_search_lessEbEEEE10hipError_tPvRmT1_T2_T3_mmT4_T5_P12ihipStream_tbEUlRKS9_E_EESY_S12_S13_mS14_S17_bEUlT_E_NS1_11comp_targetILNS1_3genE5ELNS1_11target_archE942ELNS1_3gpuE9ELNS1_3repE0EEENS1_30default_config_static_selectorELNS0_4arch9wavefront6targetE1EEEvS11_,"axG",@progbits,_ZN7rocprim17ROCPRIM_400000_NS6detail17trampoline_kernelINS0_14default_configENS1_27upper_bound_config_selectorIN6thrust23THRUST_200600_302600_NS5tupleIiiNS6_9null_typeES8_S8_S8_S8_S8_S8_S8_EElEEZNS1_14transform_implILb0ES3_SA_NS6_6detail15normal_iteratorINS6_7pointerIS9_NS6_11hip_rocprim5par_tENS6_11use_defaultESH_EEEENSD_INSE_IlSG_SH_SH_EEEEZNS1_13binary_searchIS3_SA_NSD_INS6_10device_ptrIS9_EEEESJ_SL_NS1_21upper_bound_search_opENSC_16wrapped_functionINS6_6system6detail7generic6detail18binary_search_lessEbEEEE10hipError_tPvRmT1_T2_T3_mmT4_T5_P12ihipStream_tbEUlRKS9_E_EESY_S12_S13_mS14_S17_bEUlT_E_NS1_11comp_targetILNS1_3genE5ELNS1_11target_archE942ELNS1_3gpuE9ELNS1_3repE0EEENS1_30default_config_static_selectorELNS0_4arch9wavefront6targetE1EEEvS11_,comdat
	.protected	_ZN7rocprim17ROCPRIM_400000_NS6detail17trampoline_kernelINS0_14default_configENS1_27upper_bound_config_selectorIN6thrust23THRUST_200600_302600_NS5tupleIiiNS6_9null_typeES8_S8_S8_S8_S8_S8_S8_EElEEZNS1_14transform_implILb0ES3_SA_NS6_6detail15normal_iteratorINS6_7pointerIS9_NS6_11hip_rocprim5par_tENS6_11use_defaultESH_EEEENSD_INSE_IlSG_SH_SH_EEEEZNS1_13binary_searchIS3_SA_NSD_INS6_10device_ptrIS9_EEEESJ_SL_NS1_21upper_bound_search_opENSC_16wrapped_functionINS6_6system6detail7generic6detail18binary_search_lessEbEEEE10hipError_tPvRmT1_T2_T3_mmT4_T5_P12ihipStream_tbEUlRKS9_E_EESY_S12_S13_mS14_S17_bEUlT_E_NS1_11comp_targetILNS1_3genE5ELNS1_11target_archE942ELNS1_3gpuE9ELNS1_3repE0EEENS1_30default_config_static_selectorELNS0_4arch9wavefront6targetE1EEEvS11_ ; -- Begin function _ZN7rocprim17ROCPRIM_400000_NS6detail17trampoline_kernelINS0_14default_configENS1_27upper_bound_config_selectorIN6thrust23THRUST_200600_302600_NS5tupleIiiNS6_9null_typeES8_S8_S8_S8_S8_S8_S8_EElEEZNS1_14transform_implILb0ES3_SA_NS6_6detail15normal_iteratorINS6_7pointerIS9_NS6_11hip_rocprim5par_tENS6_11use_defaultESH_EEEENSD_INSE_IlSG_SH_SH_EEEEZNS1_13binary_searchIS3_SA_NSD_INS6_10device_ptrIS9_EEEESJ_SL_NS1_21upper_bound_search_opENSC_16wrapped_functionINS6_6system6detail7generic6detail18binary_search_lessEbEEEE10hipError_tPvRmT1_T2_T3_mmT4_T5_P12ihipStream_tbEUlRKS9_E_EESY_S12_S13_mS14_S17_bEUlT_E_NS1_11comp_targetILNS1_3genE5ELNS1_11target_archE942ELNS1_3gpuE9ELNS1_3repE0EEENS1_30default_config_static_selectorELNS0_4arch9wavefront6targetE1EEEvS11_
	.globl	_ZN7rocprim17ROCPRIM_400000_NS6detail17trampoline_kernelINS0_14default_configENS1_27upper_bound_config_selectorIN6thrust23THRUST_200600_302600_NS5tupleIiiNS6_9null_typeES8_S8_S8_S8_S8_S8_S8_EElEEZNS1_14transform_implILb0ES3_SA_NS6_6detail15normal_iteratorINS6_7pointerIS9_NS6_11hip_rocprim5par_tENS6_11use_defaultESH_EEEENSD_INSE_IlSG_SH_SH_EEEEZNS1_13binary_searchIS3_SA_NSD_INS6_10device_ptrIS9_EEEESJ_SL_NS1_21upper_bound_search_opENSC_16wrapped_functionINS6_6system6detail7generic6detail18binary_search_lessEbEEEE10hipError_tPvRmT1_T2_T3_mmT4_T5_P12ihipStream_tbEUlRKS9_E_EESY_S12_S13_mS14_S17_bEUlT_E_NS1_11comp_targetILNS1_3genE5ELNS1_11target_archE942ELNS1_3gpuE9ELNS1_3repE0EEENS1_30default_config_static_selectorELNS0_4arch9wavefront6targetE1EEEvS11_
	.p2align	8
	.type	_ZN7rocprim17ROCPRIM_400000_NS6detail17trampoline_kernelINS0_14default_configENS1_27upper_bound_config_selectorIN6thrust23THRUST_200600_302600_NS5tupleIiiNS6_9null_typeES8_S8_S8_S8_S8_S8_S8_EElEEZNS1_14transform_implILb0ES3_SA_NS6_6detail15normal_iteratorINS6_7pointerIS9_NS6_11hip_rocprim5par_tENS6_11use_defaultESH_EEEENSD_INSE_IlSG_SH_SH_EEEEZNS1_13binary_searchIS3_SA_NSD_INS6_10device_ptrIS9_EEEESJ_SL_NS1_21upper_bound_search_opENSC_16wrapped_functionINS6_6system6detail7generic6detail18binary_search_lessEbEEEE10hipError_tPvRmT1_T2_T3_mmT4_T5_P12ihipStream_tbEUlRKS9_E_EESY_S12_S13_mS14_S17_bEUlT_E_NS1_11comp_targetILNS1_3genE5ELNS1_11target_archE942ELNS1_3gpuE9ELNS1_3repE0EEENS1_30default_config_static_selectorELNS0_4arch9wavefront6targetE1EEEvS11_,@function
_ZN7rocprim17ROCPRIM_400000_NS6detail17trampoline_kernelINS0_14default_configENS1_27upper_bound_config_selectorIN6thrust23THRUST_200600_302600_NS5tupleIiiNS6_9null_typeES8_S8_S8_S8_S8_S8_S8_EElEEZNS1_14transform_implILb0ES3_SA_NS6_6detail15normal_iteratorINS6_7pointerIS9_NS6_11hip_rocprim5par_tENS6_11use_defaultESH_EEEENSD_INSE_IlSG_SH_SH_EEEEZNS1_13binary_searchIS3_SA_NSD_INS6_10device_ptrIS9_EEEESJ_SL_NS1_21upper_bound_search_opENSC_16wrapped_functionINS6_6system6detail7generic6detail18binary_search_lessEbEEEE10hipError_tPvRmT1_T2_T3_mmT4_T5_P12ihipStream_tbEUlRKS9_E_EESY_S12_S13_mS14_S17_bEUlT_E_NS1_11comp_targetILNS1_3genE5ELNS1_11target_archE942ELNS1_3gpuE9ELNS1_3repE0EEENS1_30default_config_static_selectorELNS0_4arch9wavefront6targetE1EEEvS11_: ; @_ZN7rocprim17ROCPRIM_400000_NS6detail17trampoline_kernelINS0_14default_configENS1_27upper_bound_config_selectorIN6thrust23THRUST_200600_302600_NS5tupleIiiNS6_9null_typeES8_S8_S8_S8_S8_S8_S8_EElEEZNS1_14transform_implILb0ES3_SA_NS6_6detail15normal_iteratorINS6_7pointerIS9_NS6_11hip_rocprim5par_tENS6_11use_defaultESH_EEEENSD_INSE_IlSG_SH_SH_EEEEZNS1_13binary_searchIS3_SA_NSD_INS6_10device_ptrIS9_EEEESJ_SL_NS1_21upper_bound_search_opENSC_16wrapped_functionINS6_6system6detail7generic6detail18binary_search_lessEbEEEE10hipError_tPvRmT1_T2_T3_mmT4_T5_P12ihipStream_tbEUlRKS9_E_EESY_S12_S13_mS14_S17_bEUlT_E_NS1_11comp_targetILNS1_3genE5ELNS1_11target_archE942ELNS1_3gpuE9ELNS1_3repE0EEENS1_30default_config_static_selectorELNS0_4arch9wavefront6targetE1EEEvS11_
; %bb.0:
	.section	.rodata,"a",@progbits
	.p2align	6, 0x0
	.amdhsa_kernel _ZN7rocprim17ROCPRIM_400000_NS6detail17trampoline_kernelINS0_14default_configENS1_27upper_bound_config_selectorIN6thrust23THRUST_200600_302600_NS5tupleIiiNS6_9null_typeES8_S8_S8_S8_S8_S8_S8_EElEEZNS1_14transform_implILb0ES3_SA_NS6_6detail15normal_iteratorINS6_7pointerIS9_NS6_11hip_rocprim5par_tENS6_11use_defaultESH_EEEENSD_INSE_IlSG_SH_SH_EEEEZNS1_13binary_searchIS3_SA_NSD_INS6_10device_ptrIS9_EEEESJ_SL_NS1_21upper_bound_search_opENSC_16wrapped_functionINS6_6system6detail7generic6detail18binary_search_lessEbEEEE10hipError_tPvRmT1_T2_T3_mmT4_T5_P12ihipStream_tbEUlRKS9_E_EESY_S12_S13_mS14_S17_bEUlT_E_NS1_11comp_targetILNS1_3genE5ELNS1_11target_archE942ELNS1_3gpuE9ELNS1_3repE0EEENS1_30default_config_static_selectorELNS0_4arch9wavefront6targetE1EEEvS11_
		.amdhsa_group_segment_fixed_size 0
		.amdhsa_private_segment_fixed_size 0
		.amdhsa_kernarg_size 56
		.amdhsa_user_sgpr_count 6
		.amdhsa_user_sgpr_private_segment_buffer 1
		.amdhsa_user_sgpr_dispatch_ptr 0
		.amdhsa_user_sgpr_queue_ptr 0
		.amdhsa_user_sgpr_kernarg_segment_ptr 1
		.amdhsa_user_sgpr_dispatch_id 0
		.amdhsa_user_sgpr_flat_scratch_init 0
		.amdhsa_user_sgpr_private_segment_size 0
		.amdhsa_uses_dynamic_stack 0
		.amdhsa_system_sgpr_private_segment_wavefront_offset 0
		.amdhsa_system_sgpr_workgroup_id_x 1
		.amdhsa_system_sgpr_workgroup_id_y 0
		.amdhsa_system_sgpr_workgroup_id_z 0
		.amdhsa_system_sgpr_workgroup_info 0
		.amdhsa_system_vgpr_workitem_id 0
		.amdhsa_next_free_vgpr 1
		.amdhsa_next_free_sgpr 0
		.amdhsa_reserve_vcc 0
		.amdhsa_reserve_flat_scratch 0
		.amdhsa_float_round_mode_32 0
		.amdhsa_float_round_mode_16_64 0
		.amdhsa_float_denorm_mode_32 3
		.amdhsa_float_denorm_mode_16_64 3
		.amdhsa_dx10_clamp 1
		.amdhsa_ieee_mode 1
		.amdhsa_fp16_overflow 0
		.amdhsa_exception_fp_ieee_invalid_op 0
		.amdhsa_exception_fp_denorm_src 0
		.amdhsa_exception_fp_ieee_div_zero 0
		.amdhsa_exception_fp_ieee_overflow 0
		.amdhsa_exception_fp_ieee_underflow 0
		.amdhsa_exception_fp_ieee_inexact 0
		.amdhsa_exception_int_div_zero 0
	.end_amdhsa_kernel
	.section	.text._ZN7rocprim17ROCPRIM_400000_NS6detail17trampoline_kernelINS0_14default_configENS1_27upper_bound_config_selectorIN6thrust23THRUST_200600_302600_NS5tupleIiiNS6_9null_typeES8_S8_S8_S8_S8_S8_S8_EElEEZNS1_14transform_implILb0ES3_SA_NS6_6detail15normal_iteratorINS6_7pointerIS9_NS6_11hip_rocprim5par_tENS6_11use_defaultESH_EEEENSD_INSE_IlSG_SH_SH_EEEEZNS1_13binary_searchIS3_SA_NSD_INS6_10device_ptrIS9_EEEESJ_SL_NS1_21upper_bound_search_opENSC_16wrapped_functionINS6_6system6detail7generic6detail18binary_search_lessEbEEEE10hipError_tPvRmT1_T2_T3_mmT4_T5_P12ihipStream_tbEUlRKS9_E_EESY_S12_S13_mS14_S17_bEUlT_E_NS1_11comp_targetILNS1_3genE5ELNS1_11target_archE942ELNS1_3gpuE9ELNS1_3repE0EEENS1_30default_config_static_selectorELNS0_4arch9wavefront6targetE1EEEvS11_,"axG",@progbits,_ZN7rocprim17ROCPRIM_400000_NS6detail17trampoline_kernelINS0_14default_configENS1_27upper_bound_config_selectorIN6thrust23THRUST_200600_302600_NS5tupleIiiNS6_9null_typeES8_S8_S8_S8_S8_S8_S8_EElEEZNS1_14transform_implILb0ES3_SA_NS6_6detail15normal_iteratorINS6_7pointerIS9_NS6_11hip_rocprim5par_tENS6_11use_defaultESH_EEEENSD_INSE_IlSG_SH_SH_EEEEZNS1_13binary_searchIS3_SA_NSD_INS6_10device_ptrIS9_EEEESJ_SL_NS1_21upper_bound_search_opENSC_16wrapped_functionINS6_6system6detail7generic6detail18binary_search_lessEbEEEE10hipError_tPvRmT1_T2_T3_mmT4_T5_P12ihipStream_tbEUlRKS9_E_EESY_S12_S13_mS14_S17_bEUlT_E_NS1_11comp_targetILNS1_3genE5ELNS1_11target_archE942ELNS1_3gpuE9ELNS1_3repE0EEENS1_30default_config_static_selectorELNS0_4arch9wavefront6targetE1EEEvS11_,comdat
.Lfunc_end600:
	.size	_ZN7rocprim17ROCPRIM_400000_NS6detail17trampoline_kernelINS0_14default_configENS1_27upper_bound_config_selectorIN6thrust23THRUST_200600_302600_NS5tupleIiiNS6_9null_typeES8_S8_S8_S8_S8_S8_S8_EElEEZNS1_14transform_implILb0ES3_SA_NS6_6detail15normal_iteratorINS6_7pointerIS9_NS6_11hip_rocprim5par_tENS6_11use_defaultESH_EEEENSD_INSE_IlSG_SH_SH_EEEEZNS1_13binary_searchIS3_SA_NSD_INS6_10device_ptrIS9_EEEESJ_SL_NS1_21upper_bound_search_opENSC_16wrapped_functionINS6_6system6detail7generic6detail18binary_search_lessEbEEEE10hipError_tPvRmT1_T2_T3_mmT4_T5_P12ihipStream_tbEUlRKS9_E_EESY_S12_S13_mS14_S17_bEUlT_E_NS1_11comp_targetILNS1_3genE5ELNS1_11target_archE942ELNS1_3gpuE9ELNS1_3repE0EEENS1_30default_config_static_selectorELNS0_4arch9wavefront6targetE1EEEvS11_, .Lfunc_end600-_ZN7rocprim17ROCPRIM_400000_NS6detail17trampoline_kernelINS0_14default_configENS1_27upper_bound_config_selectorIN6thrust23THRUST_200600_302600_NS5tupleIiiNS6_9null_typeES8_S8_S8_S8_S8_S8_S8_EElEEZNS1_14transform_implILb0ES3_SA_NS6_6detail15normal_iteratorINS6_7pointerIS9_NS6_11hip_rocprim5par_tENS6_11use_defaultESH_EEEENSD_INSE_IlSG_SH_SH_EEEEZNS1_13binary_searchIS3_SA_NSD_INS6_10device_ptrIS9_EEEESJ_SL_NS1_21upper_bound_search_opENSC_16wrapped_functionINS6_6system6detail7generic6detail18binary_search_lessEbEEEE10hipError_tPvRmT1_T2_T3_mmT4_T5_P12ihipStream_tbEUlRKS9_E_EESY_S12_S13_mS14_S17_bEUlT_E_NS1_11comp_targetILNS1_3genE5ELNS1_11target_archE942ELNS1_3gpuE9ELNS1_3repE0EEENS1_30default_config_static_selectorELNS0_4arch9wavefront6targetE1EEEvS11_
                                        ; -- End function
	.set _ZN7rocprim17ROCPRIM_400000_NS6detail17trampoline_kernelINS0_14default_configENS1_27upper_bound_config_selectorIN6thrust23THRUST_200600_302600_NS5tupleIiiNS6_9null_typeES8_S8_S8_S8_S8_S8_S8_EElEEZNS1_14transform_implILb0ES3_SA_NS6_6detail15normal_iteratorINS6_7pointerIS9_NS6_11hip_rocprim5par_tENS6_11use_defaultESH_EEEENSD_INSE_IlSG_SH_SH_EEEEZNS1_13binary_searchIS3_SA_NSD_INS6_10device_ptrIS9_EEEESJ_SL_NS1_21upper_bound_search_opENSC_16wrapped_functionINS6_6system6detail7generic6detail18binary_search_lessEbEEEE10hipError_tPvRmT1_T2_T3_mmT4_T5_P12ihipStream_tbEUlRKS9_E_EESY_S12_S13_mS14_S17_bEUlT_E_NS1_11comp_targetILNS1_3genE5ELNS1_11target_archE942ELNS1_3gpuE9ELNS1_3repE0EEENS1_30default_config_static_selectorELNS0_4arch9wavefront6targetE1EEEvS11_.num_vgpr, 0
	.set _ZN7rocprim17ROCPRIM_400000_NS6detail17trampoline_kernelINS0_14default_configENS1_27upper_bound_config_selectorIN6thrust23THRUST_200600_302600_NS5tupleIiiNS6_9null_typeES8_S8_S8_S8_S8_S8_S8_EElEEZNS1_14transform_implILb0ES3_SA_NS6_6detail15normal_iteratorINS6_7pointerIS9_NS6_11hip_rocprim5par_tENS6_11use_defaultESH_EEEENSD_INSE_IlSG_SH_SH_EEEEZNS1_13binary_searchIS3_SA_NSD_INS6_10device_ptrIS9_EEEESJ_SL_NS1_21upper_bound_search_opENSC_16wrapped_functionINS6_6system6detail7generic6detail18binary_search_lessEbEEEE10hipError_tPvRmT1_T2_T3_mmT4_T5_P12ihipStream_tbEUlRKS9_E_EESY_S12_S13_mS14_S17_bEUlT_E_NS1_11comp_targetILNS1_3genE5ELNS1_11target_archE942ELNS1_3gpuE9ELNS1_3repE0EEENS1_30default_config_static_selectorELNS0_4arch9wavefront6targetE1EEEvS11_.num_agpr, 0
	.set _ZN7rocprim17ROCPRIM_400000_NS6detail17trampoline_kernelINS0_14default_configENS1_27upper_bound_config_selectorIN6thrust23THRUST_200600_302600_NS5tupleIiiNS6_9null_typeES8_S8_S8_S8_S8_S8_S8_EElEEZNS1_14transform_implILb0ES3_SA_NS6_6detail15normal_iteratorINS6_7pointerIS9_NS6_11hip_rocprim5par_tENS6_11use_defaultESH_EEEENSD_INSE_IlSG_SH_SH_EEEEZNS1_13binary_searchIS3_SA_NSD_INS6_10device_ptrIS9_EEEESJ_SL_NS1_21upper_bound_search_opENSC_16wrapped_functionINS6_6system6detail7generic6detail18binary_search_lessEbEEEE10hipError_tPvRmT1_T2_T3_mmT4_T5_P12ihipStream_tbEUlRKS9_E_EESY_S12_S13_mS14_S17_bEUlT_E_NS1_11comp_targetILNS1_3genE5ELNS1_11target_archE942ELNS1_3gpuE9ELNS1_3repE0EEENS1_30default_config_static_selectorELNS0_4arch9wavefront6targetE1EEEvS11_.numbered_sgpr, 0
	.set _ZN7rocprim17ROCPRIM_400000_NS6detail17trampoline_kernelINS0_14default_configENS1_27upper_bound_config_selectorIN6thrust23THRUST_200600_302600_NS5tupleIiiNS6_9null_typeES8_S8_S8_S8_S8_S8_S8_EElEEZNS1_14transform_implILb0ES3_SA_NS6_6detail15normal_iteratorINS6_7pointerIS9_NS6_11hip_rocprim5par_tENS6_11use_defaultESH_EEEENSD_INSE_IlSG_SH_SH_EEEEZNS1_13binary_searchIS3_SA_NSD_INS6_10device_ptrIS9_EEEESJ_SL_NS1_21upper_bound_search_opENSC_16wrapped_functionINS6_6system6detail7generic6detail18binary_search_lessEbEEEE10hipError_tPvRmT1_T2_T3_mmT4_T5_P12ihipStream_tbEUlRKS9_E_EESY_S12_S13_mS14_S17_bEUlT_E_NS1_11comp_targetILNS1_3genE5ELNS1_11target_archE942ELNS1_3gpuE9ELNS1_3repE0EEENS1_30default_config_static_selectorELNS0_4arch9wavefront6targetE1EEEvS11_.num_named_barrier, 0
	.set _ZN7rocprim17ROCPRIM_400000_NS6detail17trampoline_kernelINS0_14default_configENS1_27upper_bound_config_selectorIN6thrust23THRUST_200600_302600_NS5tupleIiiNS6_9null_typeES8_S8_S8_S8_S8_S8_S8_EElEEZNS1_14transform_implILb0ES3_SA_NS6_6detail15normal_iteratorINS6_7pointerIS9_NS6_11hip_rocprim5par_tENS6_11use_defaultESH_EEEENSD_INSE_IlSG_SH_SH_EEEEZNS1_13binary_searchIS3_SA_NSD_INS6_10device_ptrIS9_EEEESJ_SL_NS1_21upper_bound_search_opENSC_16wrapped_functionINS6_6system6detail7generic6detail18binary_search_lessEbEEEE10hipError_tPvRmT1_T2_T3_mmT4_T5_P12ihipStream_tbEUlRKS9_E_EESY_S12_S13_mS14_S17_bEUlT_E_NS1_11comp_targetILNS1_3genE5ELNS1_11target_archE942ELNS1_3gpuE9ELNS1_3repE0EEENS1_30default_config_static_selectorELNS0_4arch9wavefront6targetE1EEEvS11_.private_seg_size, 0
	.set _ZN7rocprim17ROCPRIM_400000_NS6detail17trampoline_kernelINS0_14default_configENS1_27upper_bound_config_selectorIN6thrust23THRUST_200600_302600_NS5tupleIiiNS6_9null_typeES8_S8_S8_S8_S8_S8_S8_EElEEZNS1_14transform_implILb0ES3_SA_NS6_6detail15normal_iteratorINS6_7pointerIS9_NS6_11hip_rocprim5par_tENS6_11use_defaultESH_EEEENSD_INSE_IlSG_SH_SH_EEEEZNS1_13binary_searchIS3_SA_NSD_INS6_10device_ptrIS9_EEEESJ_SL_NS1_21upper_bound_search_opENSC_16wrapped_functionINS6_6system6detail7generic6detail18binary_search_lessEbEEEE10hipError_tPvRmT1_T2_T3_mmT4_T5_P12ihipStream_tbEUlRKS9_E_EESY_S12_S13_mS14_S17_bEUlT_E_NS1_11comp_targetILNS1_3genE5ELNS1_11target_archE942ELNS1_3gpuE9ELNS1_3repE0EEENS1_30default_config_static_selectorELNS0_4arch9wavefront6targetE1EEEvS11_.uses_vcc, 0
	.set _ZN7rocprim17ROCPRIM_400000_NS6detail17trampoline_kernelINS0_14default_configENS1_27upper_bound_config_selectorIN6thrust23THRUST_200600_302600_NS5tupleIiiNS6_9null_typeES8_S8_S8_S8_S8_S8_S8_EElEEZNS1_14transform_implILb0ES3_SA_NS6_6detail15normal_iteratorINS6_7pointerIS9_NS6_11hip_rocprim5par_tENS6_11use_defaultESH_EEEENSD_INSE_IlSG_SH_SH_EEEEZNS1_13binary_searchIS3_SA_NSD_INS6_10device_ptrIS9_EEEESJ_SL_NS1_21upper_bound_search_opENSC_16wrapped_functionINS6_6system6detail7generic6detail18binary_search_lessEbEEEE10hipError_tPvRmT1_T2_T3_mmT4_T5_P12ihipStream_tbEUlRKS9_E_EESY_S12_S13_mS14_S17_bEUlT_E_NS1_11comp_targetILNS1_3genE5ELNS1_11target_archE942ELNS1_3gpuE9ELNS1_3repE0EEENS1_30default_config_static_selectorELNS0_4arch9wavefront6targetE1EEEvS11_.uses_flat_scratch, 0
	.set _ZN7rocprim17ROCPRIM_400000_NS6detail17trampoline_kernelINS0_14default_configENS1_27upper_bound_config_selectorIN6thrust23THRUST_200600_302600_NS5tupleIiiNS6_9null_typeES8_S8_S8_S8_S8_S8_S8_EElEEZNS1_14transform_implILb0ES3_SA_NS6_6detail15normal_iteratorINS6_7pointerIS9_NS6_11hip_rocprim5par_tENS6_11use_defaultESH_EEEENSD_INSE_IlSG_SH_SH_EEEEZNS1_13binary_searchIS3_SA_NSD_INS6_10device_ptrIS9_EEEESJ_SL_NS1_21upper_bound_search_opENSC_16wrapped_functionINS6_6system6detail7generic6detail18binary_search_lessEbEEEE10hipError_tPvRmT1_T2_T3_mmT4_T5_P12ihipStream_tbEUlRKS9_E_EESY_S12_S13_mS14_S17_bEUlT_E_NS1_11comp_targetILNS1_3genE5ELNS1_11target_archE942ELNS1_3gpuE9ELNS1_3repE0EEENS1_30default_config_static_selectorELNS0_4arch9wavefront6targetE1EEEvS11_.has_dyn_sized_stack, 0
	.set _ZN7rocprim17ROCPRIM_400000_NS6detail17trampoline_kernelINS0_14default_configENS1_27upper_bound_config_selectorIN6thrust23THRUST_200600_302600_NS5tupleIiiNS6_9null_typeES8_S8_S8_S8_S8_S8_S8_EElEEZNS1_14transform_implILb0ES3_SA_NS6_6detail15normal_iteratorINS6_7pointerIS9_NS6_11hip_rocprim5par_tENS6_11use_defaultESH_EEEENSD_INSE_IlSG_SH_SH_EEEEZNS1_13binary_searchIS3_SA_NSD_INS6_10device_ptrIS9_EEEESJ_SL_NS1_21upper_bound_search_opENSC_16wrapped_functionINS6_6system6detail7generic6detail18binary_search_lessEbEEEE10hipError_tPvRmT1_T2_T3_mmT4_T5_P12ihipStream_tbEUlRKS9_E_EESY_S12_S13_mS14_S17_bEUlT_E_NS1_11comp_targetILNS1_3genE5ELNS1_11target_archE942ELNS1_3gpuE9ELNS1_3repE0EEENS1_30default_config_static_selectorELNS0_4arch9wavefront6targetE1EEEvS11_.has_recursion, 0
	.set _ZN7rocprim17ROCPRIM_400000_NS6detail17trampoline_kernelINS0_14default_configENS1_27upper_bound_config_selectorIN6thrust23THRUST_200600_302600_NS5tupleIiiNS6_9null_typeES8_S8_S8_S8_S8_S8_S8_EElEEZNS1_14transform_implILb0ES3_SA_NS6_6detail15normal_iteratorINS6_7pointerIS9_NS6_11hip_rocprim5par_tENS6_11use_defaultESH_EEEENSD_INSE_IlSG_SH_SH_EEEEZNS1_13binary_searchIS3_SA_NSD_INS6_10device_ptrIS9_EEEESJ_SL_NS1_21upper_bound_search_opENSC_16wrapped_functionINS6_6system6detail7generic6detail18binary_search_lessEbEEEE10hipError_tPvRmT1_T2_T3_mmT4_T5_P12ihipStream_tbEUlRKS9_E_EESY_S12_S13_mS14_S17_bEUlT_E_NS1_11comp_targetILNS1_3genE5ELNS1_11target_archE942ELNS1_3gpuE9ELNS1_3repE0EEENS1_30default_config_static_selectorELNS0_4arch9wavefront6targetE1EEEvS11_.has_indirect_call, 0
	.section	.AMDGPU.csdata,"",@progbits
; Kernel info:
; codeLenInByte = 0
; TotalNumSgprs: 4
; NumVgprs: 0
; ScratchSize: 0
; MemoryBound: 0
; FloatMode: 240
; IeeeMode: 1
; LDSByteSize: 0 bytes/workgroup (compile time only)
; SGPRBlocks: 0
; VGPRBlocks: 0
; NumSGPRsForWavesPerEU: 4
; NumVGPRsForWavesPerEU: 1
; Occupancy: 10
; WaveLimiterHint : 0
; COMPUTE_PGM_RSRC2:SCRATCH_EN: 0
; COMPUTE_PGM_RSRC2:USER_SGPR: 6
; COMPUTE_PGM_RSRC2:TRAP_HANDLER: 0
; COMPUTE_PGM_RSRC2:TGID_X_EN: 1
; COMPUTE_PGM_RSRC2:TGID_Y_EN: 0
; COMPUTE_PGM_RSRC2:TGID_Z_EN: 0
; COMPUTE_PGM_RSRC2:TIDIG_COMP_CNT: 0
	.section	.text._ZN7rocprim17ROCPRIM_400000_NS6detail17trampoline_kernelINS0_14default_configENS1_27upper_bound_config_selectorIN6thrust23THRUST_200600_302600_NS5tupleIiiNS6_9null_typeES8_S8_S8_S8_S8_S8_S8_EElEEZNS1_14transform_implILb0ES3_SA_NS6_6detail15normal_iteratorINS6_7pointerIS9_NS6_11hip_rocprim5par_tENS6_11use_defaultESH_EEEENSD_INSE_IlSG_SH_SH_EEEEZNS1_13binary_searchIS3_SA_NSD_INS6_10device_ptrIS9_EEEESJ_SL_NS1_21upper_bound_search_opENSC_16wrapped_functionINS6_6system6detail7generic6detail18binary_search_lessEbEEEE10hipError_tPvRmT1_T2_T3_mmT4_T5_P12ihipStream_tbEUlRKS9_E_EESY_S12_S13_mS14_S17_bEUlT_E_NS1_11comp_targetILNS1_3genE4ELNS1_11target_archE910ELNS1_3gpuE8ELNS1_3repE0EEENS1_30default_config_static_selectorELNS0_4arch9wavefront6targetE1EEEvS11_,"axG",@progbits,_ZN7rocprim17ROCPRIM_400000_NS6detail17trampoline_kernelINS0_14default_configENS1_27upper_bound_config_selectorIN6thrust23THRUST_200600_302600_NS5tupleIiiNS6_9null_typeES8_S8_S8_S8_S8_S8_S8_EElEEZNS1_14transform_implILb0ES3_SA_NS6_6detail15normal_iteratorINS6_7pointerIS9_NS6_11hip_rocprim5par_tENS6_11use_defaultESH_EEEENSD_INSE_IlSG_SH_SH_EEEEZNS1_13binary_searchIS3_SA_NSD_INS6_10device_ptrIS9_EEEESJ_SL_NS1_21upper_bound_search_opENSC_16wrapped_functionINS6_6system6detail7generic6detail18binary_search_lessEbEEEE10hipError_tPvRmT1_T2_T3_mmT4_T5_P12ihipStream_tbEUlRKS9_E_EESY_S12_S13_mS14_S17_bEUlT_E_NS1_11comp_targetILNS1_3genE4ELNS1_11target_archE910ELNS1_3gpuE8ELNS1_3repE0EEENS1_30default_config_static_selectorELNS0_4arch9wavefront6targetE1EEEvS11_,comdat
	.protected	_ZN7rocprim17ROCPRIM_400000_NS6detail17trampoline_kernelINS0_14default_configENS1_27upper_bound_config_selectorIN6thrust23THRUST_200600_302600_NS5tupleIiiNS6_9null_typeES8_S8_S8_S8_S8_S8_S8_EElEEZNS1_14transform_implILb0ES3_SA_NS6_6detail15normal_iteratorINS6_7pointerIS9_NS6_11hip_rocprim5par_tENS6_11use_defaultESH_EEEENSD_INSE_IlSG_SH_SH_EEEEZNS1_13binary_searchIS3_SA_NSD_INS6_10device_ptrIS9_EEEESJ_SL_NS1_21upper_bound_search_opENSC_16wrapped_functionINS6_6system6detail7generic6detail18binary_search_lessEbEEEE10hipError_tPvRmT1_T2_T3_mmT4_T5_P12ihipStream_tbEUlRKS9_E_EESY_S12_S13_mS14_S17_bEUlT_E_NS1_11comp_targetILNS1_3genE4ELNS1_11target_archE910ELNS1_3gpuE8ELNS1_3repE0EEENS1_30default_config_static_selectorELNS0_4arch9wavefront6targetE1EEEvS11_ ; -- Begin function _ZN7rocprim17ROCPRIM_400000_NS6detail17trampoline_kernelINS0_14default_configENS1_27upper_bound_config_selectorIN6thrust23THRUST_200600_302600_NS5tupleIiiNS6_9null_typeES8_S8_S8_S8_S8_S8_S8_EElEEZNS1_14transform_implILb0ES3_SA_NS6_6detail15normal_iteratorINS6_7pointerIS9_NS6_11hip_rocprim5par_tENS6_11use_defaultESH_EEEENSD_INSE_IlSG_SH_SH_EEEEZNS1_13binary_searchIS3_SA_NSD_INS6_10device_ptrIS9_EEEESJ_SL_NS1_21upper_bound_search_opENSC_16wrapped_functionINS6_6system6detail7generic6detail18binary_search_lessEbEEEE10hipError_tPvRmT1_T2_T3_mmT4_T5_P12ihipStream_tbEUlRKS9_E_EESY_S12_S13_mS14_S17_bEUlT_E_NS1_11comp_targetILNS1_3genE4ELNS1_11target_archE910ELNS1_3gpuE8ELNS1_3repE0EEENS1_30default_config_static_selectorELNS0_4arch9wavefront6targetE1EEEvS11_
	.globl	_ZN7rocprim17ROCPRIM_400000_NS6detail17trampoline_kernelINS0_14default_configENS1_27upper_bound_config_selectorIN6thrust23THRUST_200600_302600_NS5tupleIiiNS6_9null_typeES8_S8_S8_S8_S8_S8_S8_EElEEZNS1_14transform_implILb0ES3_SA_NS6_6detail15normal_iteratorINS6_7pointerIS9_NS6_11hip_rocprim5par_tENS6_11use_defaultESH_EEEENSD_INSE_IlSG_SH_SH_EEEEZNS1_13binary_searchIS3_SA_NSD_INS6_10device_ptrIS9_EEEESJ_SL_NS1_21upper_bound_search_opENSC_16wrapped_functionINS6_6system6detail7generic6detail18binary_search_lessEbEEEE10hipError_tPvRmT1_T2_T3_mmT4_T5_P12ihipStream_tbEUlRKS9_E_EESY_S12_S13_mS14_S17_bEUlT_E_NS1_11comp_targetILNS1_3genE4ELNS1_11target_archE910ELNS1_3gpuE8ELNS1_3repE0EEENS1_30default_config_static_selectorELNS0_4arch9wavefront6targetE1EEEvS11_
	.p2align	8
	.type	_ZN7rocprim17ROCPRIM_400000_NS6detail17trampoline_kernelINS0_14default_configENS1_27upper_bound_config_selectorIN6thrust23THRUST_200600_302600_NS5tupleIiiNS6_9null_typeES8_S8_S8_S8_S8_S8_S8_EElEEZNS1_14transform_implILb0ES3_SA_NS6_6detail15normal_iteratorINS6_7pointerIS9_NS6_11hip_rocprim5par_tENS6_11use_defaultESH_EEEENSD_INSE_IlSG_SH_SH_EEEEZNS1_13binary_searchIS3_SA_NSD_INS6_10device_ptrIS9_EEEESJ_SL_NS1_21upper_bound_search_opENSC_16wrapped_functionINS6_6system6detail7generic6detail18binary_search_lessEbEEEE10hipError_tPvRmT1_T2_T3_mmT4_T5_P12ihipStream_tbEUlRKS9_E_EESY_S12_S13_mS14_S17_bEUlT_E_NS1_11comp_targetILNS1_3genE4ELNS1_11target_archE910ELNS1_3gpuE8ELNS1_3repE0EEENS1_30default_config_static_selectorELNS0_4arch9wavefront6targetE1EEEvS11_,@function
_ZN7rocprim17ROCPRIM_400000_NS6detail17trampoline_kernelINS0_14default_configENS1_27upper_bound_config_selectorIN6thrust23THRUST_200600_302600_NS5tupleIiiNS6_9null_typeES8_S8_S8_S8_S8_S8_S8_EElEEZNS1_14transform_implILb0ES3_SA_NS6_6detail15normal_iteratorINS6_7pointerIS9_NS6_11hip_rocprim5par_tENS6_11use_defaultESH_EEEENSD_INSE_IlSG_SH_SH_EEEEZNS1_13binary_searchIS3_SA_NSD_INS6_10device_ptrIS9_EEEESJ_SL_NS1_21upper_bound_search_opENSC_16wrapped_functionINS6_6system6detail7generic6detail18binary_search_lessEbEEEE10hipError_tPvRmT1_T2_T3_mmT4_T5_P12ihipStream_tbEUlRKS9_E_EESY_S12_S13_mS14_S17_bEUlT_E_NS1_11comp_targetILNS1_3genE4ELNS1_11target_archE910ELNS1_3gpuE8ELNS1_3repE0EEENS1_30default_config_static_selectorELNS0_4arch9wavefront6targetE1EEEvS11_: ; @_ZN7rocprim17ROCPRIM_400000_NS6detail17trampoline_kernelINS0_14default_configENS1_27upper_bound_config_selectorIN6thrust23THRUST_200600_302600_NS5tupleIiiNS6_9null_typeES8_S8_S8_S8_S8_S8_S8_EElEEZNS1_14transform_implILb0ES3_SA_NS6_6detail15normal_iteratorINS6_7pointerIS9_NS6_11hip_rocprim5par_tENS6_11use_defaultESH_EEEENSD_INSE_IlSG_SH_SH_EEEEZNS1_13binary_searchIS3_SA_NSD_INS6_10device_ptrIS9_EEEESJ_SL_NS1_21upper_bound_search_opENSC_16wrapped_functionINS6_6system6detail7generic6detail18binary_search_lessEbEEEE10hipError_tPvRmT1_T2_T3_mmT4_T5_P12ihipStream_tbEUlRKS9_E_EESY_S12_S13_mS14_S17_bEUlT_E_NS1_11comp_targetILNS1_3genE4ELNS1_11target_archE910ELNS1_3gpuE8ELNS1_3repE0EEENS1_30default_config_static_selectorELNS0_4arch9wavefront6targetE1EEEvS11_
; %bb.0:
	.section	.rodata,"a",@progbits
	.p2align	6, 0x0
	.amdhsa_kernel _ZN7rocprim17ROCPRIM_400000_NS6detail17trampoline_kernelINS0_14default_configENS1_27upper_bound_config_selectorIN6thrust23THRUST_200600_302600_NS5tupleIiiNS6_9null_typeES8_S8_S8_S8_S8_S8_S8_EElEEZNS1_14transform_implILb0ES3_SA_NS6_6detail15normal_iteratorINS6_7pointerIS9_NS6_11hip_rocprim5par_tENS6_11use_defaultESH_EEEENSD_INSE_IlSG_SH_SH_EEEEZNS1_13binary_searchIS3_SA_NSD_INS6_10device_ptrIS9_EEEESJ_SL_NS1_21upper_bound_search_opENSC_16wrapped_functionINS6_6system6detail7generic6detail18binary_search_lessEbEEEE10hipError_tPvRmT1_T2_T3_mmT4_T5_P12ihipStream_tbEUlRKS9_E_EESY_S12_S13_mS14_S17_bEUlT_E_NS1_11comp_targetILNS1_3genE4ELNS1_11target_archE910ELNS1_3gpuE8ELNS1_3repE0EEENS1_30default_config_static_selectorELNS0_4arch9wavefront6targetE1EEEvS11_
		.amdhsa_group_segment_fixed_size 0
		.amdhsa_private_segment_fixed_size 0
		.amdhsa_kernarg_size 56
		.amdhsa_user_sgpr_count 6
		.amdhsa_user_sgpr_private_segment_buffer 1
		.amdhsa_user_sgpr_dispatch_ptr 0
		.amdhsa_user_sgpr_queue_ptr 0
		.amdhsa_user_sgpr_kernarg_segment_ptr 1
		.amdhsa_user_sgpr_dispatch_id 0
		.amdhsa_user_sgpr_flat_scratch_init 0
		.amdhsa_user_sgpr_private_segment_size 0
		.amdhsa_uses_dynamic_stack 0
		.amdhsa_system_sgpr_private_segment_wavefront_offset 0
		.amdhsa_system_sgpr_workgroup_id_x 1
		.amdhsa_system_sgpr_workgroup_id_y 0
		.amdhsa_system_sgpr_workgroup_id_z 0
		.amdhsa_system_sgpr_workgroup_info 0
		.amdhsa_system_vgpr_workitem_id 0
		.amdhsa_next_free_vgpr 1
		.amdhsa_next_free_sgpr 0
		.amdhsa_reserve_vcc 0
		.amdhsa_reserve_flat_scratch 0
		.amdhsa_float_round_mode_32 0
		.amdhsa_float_round_mode_16_64 0
		.amdhsa_float_denorm_mode_32 3
		.amdhsa_float_denorm_mode_16_64 3
		.amdhsa_dx10_clamp 1
		.amdhsa_ieee_mode 1
		.amdhsa_fp16_overflow 0
		.amdhsa_exception_fp_ieee_invalid_op 0
		.amdhsa_exception_fp_denorm_src 0
		.amdhsa_exception_fp_ieee_div_zero 0
		.amdhsa_exception_fp_ieee_overflow 0
		.amdhsa_exception_fp_ieee_underflow 0
		.amdhsa_exception_fp_ieee_inexact 0
		.amdhsa_exception_int_div_zero 0
	.end_amdhsa_kernel
	.section	.text._ZN7rocprim17ROCPRIM_400000_NS6detail17trampoline_kernelINS0_14default_configENS1_27upper_bound_config_selectorIN6thrust23THRUST_200600_302600_NS5tupleIiiNS6_9null_typeES8_S8_S8_S8_S8_S8_S8_EElEEZNS1_14transform_implILb0ES3_SA_NS6_6detail15normal_iteratorINS6_7pointerIS9_NS6_11hip_rocprim5par_tENS6_11use_defaultESH_EEEENSD_INSE_IlSG_SH_SH_EEEEZNS1_13binary_searchIS3_SA_NSD_INS6_10device_ptrIS9_EEEESJ_SL_NS1_21upper_bound_search_opENSC_16wrapped_functionINS6_6system6detail7generic6detail18binary_search_lessEbEEEE10hipError_tPvRmT1_T2_T3_mmT4_T5_P12ihipStream_tbEUlRKS9_E_EESY_S12_S13_mS14_S17_bEUlT_E_NS1_11comp_targetILNS1_3genE4ELNS1_11target_archE910ELNS1_3gpuE8ELNS1_3repE0EEENS1_30default_config_static_selectorELNS0_4arch9wavefront6targetE1EEEvS11_,"axG",@progbits,_ZN7rocprim17ROCPRIM_400000_NS6detail17trampoline_kernelINS0_14default_configENS1_27upper_bound_config_selectorIN6thrust23THRUST_200600_302600_NS5tupleIiiNS6_9null_typeES8_S8_S8_S8_S8_S8_S8_EElEEZNS1_14transform_implILb0ES3_SA_NS6_6detail15normal_iteratorINS6_7pointerIS9_NS6_11hip_rocprim5par_tENS6_11use_defaultESH_EEEENSD_INSE_IlSG_SH_SH_EEEEZNS1_13binary_searchIS3_SA_NSD_INS6_10device_ptrIS9_EEEESJ_SL_NS1_21upper_bound_search_opENSC_16wrapped_functionINS6_6system6detail7generic6detail18binary_search_lessEbEEEE10hipError_tPvRmT1_T2_T3_mmT4_T5_P12ihipStream_tbEUlRKS9_E_EESY_S12_S13_mS14_S17_bEUlT_E_NS1_11comp_targetILNS1_3genE4ELNS1_11target_archE910ELNS1_3gpuE8ELNS1_3repE0EEENS1_30default_config_static_selectorELNS0_4arch9wavefront6targetE1EEEvS11_,comdat
.Lfunc_end601:
	.size	_ZN7rocprim17ROCPRIM_400000_NS6detail17trampoline_kernelINS0_14default_configENS1_27upper_bound_config_selectorIN6thrust23THRUST_200600_302600_NS5tupleIiiNS6_9null_typeES8_S8_S8_S8_S8_S8_S8_EElEEZNS1_14transform_implILb0ES3_SA_NS6_6detail15normal_iteratorINS6_7pointerIS9_NS6_11hip_rocprim5par_tENS6_11use_defaultESH_EEEENSD_INSE_IlSG_SH_SH_EEEEZNS1_13binary_searchIS3_SA_NSD_INS6_10device_ptrIS9_EEEESJ_SL_NS1_21upper_bound_search_opENSC_16wrapped_functionINS6_6system6detail7generic6detail18binary_search_lessEbEEEE10hipError_tPvRmT1_T2_T3_mmT4_T5_P12ihipStream_tbEUlRKS9_E_EESY_S12_S13_mS14_S17_bEUlT_E_NS1_11comp_targetILNS1_3genE4ELNS1_11target_archE910ELNS1_3gpuE8ELNS1_3repE0EEENS1_30default_config_static_selectorELNS0_4arch9wavefront6targetE1EEEvS11_, .Lfunc_end601-_ZN7rocprim17ROCPRIM_400000_NS6detail17trampoline_kernelINS0_14default_configENS1_27upper_bound_config_selectorIN6thrust23THRUST_200600_302600_NS5tupleIiiNS6_9null_typeES8_S8_S8_S8_S8_S8_S8_EElEEZNS1_14transform_implILb0ES3_SA_NS6_6detail15normal_iteratorINS6_7pointerIS9_NS6_11hip_rocprim5par_tENS6_11use_defaultESH_EEEENSD_INSE_IlSG_SH_SH_EEEEZNS1_13binary_searchIS3_SA_NSD_INS6_10device_ptrIS9_EEEESJ_SL_NS1_21upper_bound_search_opENSC_16wrapped_functionINS6_6system6detail7generic6detail18binary_search_lessEbEEEE10hipError_tPvRmT1_T2_T3_mmT4_T5_P12ihipStream_tbEUlRKS9_E_EESY_S12_S13_mS14_S17_bEUlT_E_NS1_11comp_targetILNS1_3genE4ELNS1_11target_archE910ELNS1_3gpuE8ELNS1_3repE0EEENS1_30default_config_static_selectorELNS0_4arch9wavefront6targetE1EEEvS11_
                                        ; -- End function
	.set _ZN7rocprim17ROCPRIM_400000_NS6detail17trampoline_kernelINS0_14default_configENS1_27upper_bound_config_selectorIN6thrust23THRUST_200600_302600_NS5tupleIiiNS6_9null_typeES8_S8_S8_S8_S8_S8_S8_EElEEZNS1_14transform_implILb0ES3_SA_NS6_6detail15normal_iteratorINS6_7pointerIS9_NS6_11hip_rocprim5par_tENS6_11use_defaultESH_EEEENSD_INSE_IlSG_SH_SH_EEEEZNS1_13binary_searchIS3_SA_NSD_INS6_10device_ptrIS9_EEEESJ_SL_NS1_21upper_bound_search_opENSC_16wrapped_functionINS6_6system6detail7generic6detail18binary_search_lessEbEEEE10hipError_tPvRmT1_T2_T3_mmT4_T5_P12ihipStream_tbEUlRKS9_E_EESY_S12_S13_mS14_S17_bEUlT_E_NS1_11comp_targetILNS1_3genE4ELNS1_11target_archE910ELNS1_3gpuE8ELNS1_3repE0EEENS1_30default_config_static_selectorELNS0_4arch9wavefront6targetE1EEEvS11_.num_vgpr, 0
	.set _ZN7rocprim17ROCPRIM_400000_NS6detail17trampoline_kernelINS0_14default_configENS1_27upper_bound_config_selectorIN6thrust23THRUST_200600_302600_NS5tupleIiiNS6_9null_typeES8_S8_S8_S8_S8_S8_S8_EElEEZNS1_14transform_implILb0ES3_SA_NS6_6detail15normal_iteratorINS6_7pointerIS9_NS6_11hip_rocprim5par_tENS6_11use_defaultESH_EEEENSD_INSE_IlSG_SH_SH_EEEEZNS1_13binary_searchIS3_SA_NSD_INS6_10device_ptrIS9_EEEESJ_SL_NS1_21upper_bound_search_opENSC_16wrapped_functionINS6_6system6detail7generic6detail18binary_search_lessEbEEEE10hipError_tPvRmT1_T2_T3_mmT4_T5_P12ihipStream_tbEUlRKS9_E_EESY_S12_S13_mS14_S17_bEUlT_E_NS1_11comp_targetILNS1_3genE4ELNS1_11target_archE910ELNS1_3gpuE8ELNS1_3repE0EEENS1_30default_config_static_selectorELNS0_4arch9wavefront6targetE1EEEvS11_.num_agpr, 0
	.set _ZN7rocprim17ROCPRIM_400000_NS6detail17trampoline_kernelINS0_14default_configENS1_27upper_bound_config_selectorIN6thrust23THRUST_200600_302600_NS5tupleIiiNS6_9null_typeES8_S8_S8_S8_S8_S8_S8_EElEEZNS1_14transform_implILb0ES3_SA_NS6_6detail15normal_iteratorINS6_7pointerIS9_NS6_11hip_rocprim5par_tENS6_11use_defaultESH_EEEENSD_INSE_IlSG_SH_SH_EEEEZNS1_13binary_searchIS3_SA_NSD_INS6_10device_ptrIS9_EEEESJ_SL_NS1_21upper_bound_search_opENSC_16wrapped_functionINS6_6system6detail7generic6detail18binary_search_lessEbEEEE10hipError_tPvRmT1_T2_T3_mmT4_T5_P12ihipStream_tbEUlRKS9_E_EESY_S12_S13_mS14_S17_bEUlT_E_NS1_11comp_targetILNS1_3genE4ELNS1_11target_archE910ELNS1_3gpuE8ELNS1_3repE0EEENS1_30default_config_static_selectorELNS0_4arch9wavefront6targetE1EEEvS11_.numbered_sgpr, 0
	.set _ZN7rocprim17ROCPRIM_400000_NS6detail17trampoline_kernelINS0_14default_configENS1_27upper_bound_config_selectorIN6thrust23THRUST_200600_302600_NS5tupleIiiNS6_9null_typeES8_S8_S8_S8_S8_S8_S8_EElEEZNS1_14transform_implILb0ES3_SA_NS6_6detail15normal_iteratorINS6_7pointerIS9_NS6_11hip_rocprim5par_tENS6_11use_defaultESH_EEEENSD_INSE_IlSG_SH_SH_EEEEZNS1_13binary_searchIS3_SA_NSD_INS6_10device_ptrIS9_EEEESJ_SL_NS1_21upper_bound_search_opENSC_16wrapped_functionINS6_6system6detail7generic6detail18binary_search_lessEbEEEE10hipError_tPvRmT1_T2_T3_mmT4_T5_P12ihipStream_tbEUlRKS9_E_EESY_S12_S13_mS14_S17_bEUlT_E_NS1_11comp_targetILNS1_3genE4ELNS1_11target_archE910ELNS1_3gpuE8ELNS1_3repE0EEENS1_30default_config_static_selectorELNS0_4arch9wavefront6targetE1EEEvS11_.num_named_barrier, 0
	.set _ZN7rocprim17ROCPRIM_400000_NS6detail17trampoline_kernelINS0_14default_configENS1_27upper_bound_config_selectorIN6thrust23THRUST_200600_302600_NS5tupleIiiNS6_9null_typeES8_S8_S8_S8_S8_S8_S8_EElEEZNS1_14transform_implILb0ES3_SA_NS6_6detail15normal_iteratorINS6_7pointerIS9_NS6_11hip_rocprim5par_tENS6_11use_defaultESH_EEEENSD_INSE_IlSG_SH_SH_EEEEZNS1_13binary_searchIS3_SA_NSD_INS6_10device_ptrIS9_EEEESJ_SL_NS1_21upper_bound_search_opENSC_16wrapped_functionINS6_6system6detail7generic6detail18binary_search_lessEbEEEE10hipError_tPvRmT1_T2_T3_mmT4_T5_P12ihipStream_tbEUlRKS9_E_EESY_S12_S13_mS14_S17_bEUlT_E_NS1_11comp_targetILNS1_3genE4ELNS1_11target_archE910ELNS1_3gpuE8ELNS1_3repE0EEENS1_30default_config_static_selectorELNS0_4arch9wavefront6targetE1EEEvS11_.private_seg_size, 0
	.set _ZN7rocprim17ROCPRIM_400000_NS6detail17trampoline_kernelINS0_14default_configENS1_27upper_bound_config_selectorIN6thrust23THRUST_200600_302600_NS5tupleIiiNS6_9null_typeES8_S8_S8_S8_S8_S8_S8_EElEEZNS1_14transform_implILb0ES3_SA_NS6_6detail15normal_iteratorINS6_7pointerIS9_NS6_11hip_rocprim5par_tENS6_11use_defaultESH_EEEENSD_INSE_IlSG_SH_SH_EEEEZNS1_13binary_searchIS3_SA_NSD_INS6_10device_ptrIS9_EEEESJ_SL_NS1_21upper_bound_search_opENSC_16wrapped_functionINS6_6system6detail7generic6detail18binary_search_lessEbEEEE10hipError_tPvRmT1_T2_T3_mmT4_T5_P12ihipStream_tbEUlRKS9_E_EESY_S12_S13_mS14_S17_bEUlT_E_NS1_11comp_targetILNS1_3genE4ELNS1_11target_archE910ELNS1_3gpuE8ELNS1_3repE0EEENS1_30default_config_static_selectorELNS0_4arch9wavefront6targetE1EEEvS11_.uses_vcc, 0
	.set _ZN7rocprim17ROCPRIM_400000_NS6detail17trampoline_kernelINS0_14default_configENS1_27upper_bound_config_selectorIN6thrust23THRUST_200600_302600_NS5tupleIiiNS6_9null_typeES8_S8_S8_S8_S8_S8_S8_EElEEZNS1_14transform_implILb0ES3_SA_NS6_6detail15normal_iteratorINS6_7pointerIS9_NS6_11hip_rocprim5par_tENS6_11use_defaultESH_EEEENSD_INSE_IlSG_SH_SH_EEEEZNS1_13binary_searchIS3_SA_NSD_INS6_10device_ptrIS9_EEEESJ_SL_NS1_21upper_bound_search_opENSC_16wrapped_functionINS6_6system6detail7generic6detail18binary_search_lessEbEEEE10hipError_tPvRmT1_T2_T3_mmT4_T5_P12ihipStream_tbEUlRKS9_E_EESY_S12_S13_mS14_S17_bEUlT_E_NS1_11comp_targetILNS1_3genE4ELNS1_11target_archE910ELNS1_3gpuE8ELNS1_3repE0EEENS1_30default_config_static_selectorELNS0_4arch9wavefront6targetE1EEEvS11_.uses_flat_scratch, 0
	.set _ZN7rocprim17ROCPRIM_400000_NS6detail17trampoline_kernelINS0_14default_configENS1_27upper_bound_config_selectorIN6thrust23THRUST_200600_302600_NS5tupleIiiNS6_9null_typeES8_S8_S8_S8_S8_S8_S8_EElEEZNS1_14transform_implILb0ES3_SA_NS6_6detail15normal_iteratorINS6_7pointerIS9_NS6_11hip_rocprim5par_tENS6_11use_defaultESH_EEEENSD_INSE_IlSG_SH_SH_EEEEZNS1_13binary_searchIS3_SA_NSD_INS6_10device_ptrIS9_EEEESJ_SL_NS1_21upper_bound_search_opENSC_16wrapped_functionINS6_6system6detail7generic6detail18binary_search_lessEbEEEE10hipError_tPvRmT1_T2_T3_mmT4_T5_P12ihipStream_tbEUlRKS9_E_EESY_S12_S13_mS14_S17_bEUlT_E_NS1_11comp_targetILNS1_3genE4ELNS1_11target_archE910ELNS1_3gpuE8ELNS1_3repE0EEENS1_30default_config_static_selectorELNS0_4arch9wavefront6targetE1EEEvS11_.has_dyn_sized_stack, 0
	.set _ZN7rocprim17ROCPRIM_400000_NS6detail17trampoline_kernelINS0_14default_configENS1_27upper_bound_config_selectorIN6thrust23THRUST_200600_302600_NS5tupleIiiNS6_9null_typeES8_S8_S8_S8_S8_S8_S8_EElEEZNS1_14transform_implILb0ES3_SA_NS6_6detail15normal_iteratorINS6_7pointerIS9_NS6_11hip_rocprim5par_tENS6_11use_defaultESH_EEEENSD_INSE_IlSG_SH_SH_EEEEZNS1_13binary_searchIS3_SA_NSD_INS6_10device_ptrIS9_EEEESJ_SL_NS1_21upper_bound_search_opENSC_16wrapped_functionINS6_6system6detail7generic6detail18binary_search_lessEbEEEE10hipError_tPvRmT1_T2_T3_mmT4_T5_P12ihipStream_tbEUlRKS9_E_EESY_S12_S13_mS14_S17_bEUlT_E_NS1_11comp_targetILNS1_3genE4ELNS1_11target_archE910ELNS1_3gpuE8ELNS1_3repE0EEENS1_30default_config_static_selectorELNS0_4arch9wavefront6targetE1EEEvS11_.has_recursion, 0
	.set _ZN7rocprim17ROCPRIM_400000_NS6detail17trampoline_kernelINS0_14default_configENS1_27upper_bound_config_selectorIN6thrust23THRUST_200600_302600_NS5tupleIiiNS6_9null_typeES8_S8_S8_S8_S8_S8_S8_EElEEZNS1_14transform_implILb0ES3_SA_NS6_6detail15normal_iteratorINS6_7pointerIS9_NS6_11hip_rocprim5par_tENS6_11use_defaultESH_EEEENSD_INSE_IlSG_SH_SH_EEEEZNS1_13binary_searchIS3_SA_NSD_INS6_10device_ptrIS9_EEEESJ_SL_NS1_21upper_bound_search_opENSC_16wrapped_functionINS6_6system6detail7generic6detail18binary_search_lessEbEEEE10hipError_tPvRmT1_T2_T3_mmT4_T5_P12ihipStream_tbEUlRKS9_E_EESY_S12_S13_mS14_S17_bEUlT_E_NS1_11comp_targetILNS1_3genE4ELNS1_11target_archE910ELNS1_3gpuE8ELNS1_3repE0EEENS1_30default_config_static_selectorELNS0_4arch9wavefront6targetE1EEEvS11_.has_indirect_call, 0
	.section	.AMDGPU.csdata,"",@progbits
; Kernel info:
; codeLenInByte = 0
; TotalNumSgprs: 4
; NumVgprs: 0
; ScratchSize: 0
; MemoryBound: 0
; FloatMode: 240
; IeeeMode: 1
; LDSByteSize: 0 bytes/workgroup (compile time only)
; SGPRBlocks: 0
; VGPRBlocks: 0
; NumSGPRsForWavesPerEU: 4
; NumVGPRsForWavesPerEU: 1
; Occupancy: 10
; WaveLimiterHint : 0
; COMPUTE_PGM_RSRC2:SCRATCH_EN: 0
; COMPUTE_PGM_RSRC2:USER_SGPR: 6
; COMPUTE_PGM_RSRC2:TRAP_HANDLER: 0
; COMPUTE_PGM_RSRC2:TGID_X_EN: 1
; COMPUTE_PGM_RSRC2:TGID_Y_EN: 0
; COMPUTE_PGM_RSRC2:TGID_Z_EN: 0
; COMPUTE_PGM_RSRC2:TIDIG_COMP_CNT: 0
	.section	.text._ZN7rocprim17ROCPRIM_400000_NS6detail17trampoline_kernelINS0_14default_configENS1_27upper_bound_config_selectorIN6thrust23THRUST_200600_302600_NS5tupleIiiNS6_9null_typeES8_S8_S8_S8_S8_S8_S8_EElEEZNS1_14transform_implILb0ES3_SA_NS6_6detail15normal_iteratorINS6_7pointerIS9_NS6_11hip_rocprim5par_tENS6_11use_defaultESH_EEEENSD_INSE_IlSG_SH_SH_EEEEZNS1_13binary_searchIS3_SA_NSD_INS6_10device_ptrIS9_EEEESJ_SL_NS1_21upper_bound_search_opENSC_16wrapped_functionINS6_6system6detail7generic6detail18binary_search_lessEbEEEE10hipError_tPvRmT1_T2_T3_mmT4_T5_P12ihipStream_tbEUlRKS9_E_EESY_S12_S13_mS14_S17_bEUlT_E_NS1_11comp_targetILNS1_3genE3ELNS1_11target_archE908ELNS1_3gpuE7ELNS1_3repE0EEENS1_30default_config_static_selectorELNS0_4arch9wavefront6targetE1EEEvS11_,"axG",@progbits,_ZN7rocprim17ROCPRIM_400000_NS6detail17trampoline_kernelINS0_14default_configENS1_27upper_bound_config_selectorIN6thrust23THRUST_200600_302600_NS5tupleIiiNS6_9null_typeES8_S8_S8_S8_S8_S8_S8_EElEEZNS1_14transform_implILb0ES3_SA_NS6_6detail15normal_iteratorINS6_7pointerIS9_NS6_11hip_rocprim5par_tENS6_11use_defaultESH_EEEENSD_INSE_IlSG_SH_SH_EEEEZNS1_13binary_searchIS3_SA_NSD_INS6_10device_ptrIS9_EEEESJ_SL_NS1_21upper_bound_search_opENSC_16wrapped_functionINS6_6system6detail7generic6detail18binary_search_lessEbEEEE10hipError_tPvRmT1_T2_T3_mmT4_T5_P12ihipStream_tbEUlRKS9_E_EESY_S12_S13_mS14_S17_bEUlT_E_NS1_11comp_targetILNS1_3genE3ELNS1_11target_archE908ELNS1_3gpuE7ELNS1_3repE0EEENS1_30default_config_static_selectorELNS0_4arch9wavefront6targetE1EEEvS11_,comdat
	.protected	_ZN7rocprim17ROCPRIM_400000_NS6detail17trampoline_kernelINS0_14default_configENS1_27upper_bound_config_selectorIN6thrust23THRUST_200600_302600_NS5tupleIiiNS6_9null_typeES8_S8_S8_S8_S8_S8_S8_EElEEZNS1_14transform_implILb0ES3_SA_NS6_6detail15normal_iteratorINS6_7pointerIS9_NS6_11hip_rocprim5par_tENS6_11use_defaultESH_EEEENSD_INSE_IlSG_SH_SH_EEEEZNS1_13binary_searchIS3_SA_NSD_INS6_10device_ptrIS9_EEEESJ_SL_NS1_21upper_bound_search_opENSC_16wrapped_functionINS6_6system6detail7generic6detail18binary_search_lessEbEEEE10hipError_tPvRmT1_T2_T3_mmT4_T5_P12ihipStream_tbEUlRKS9_E_EESY_S12_S13_mS14_S17_bEUlT_E_NS1_11comp_targetILNS1_3genE3ELNS1_11target_archE908ELNS1_3gpuE7ELNS1_3repE0EEENS1_30default_config_static_selectorELNS0_4arch9wavefront6targetE1EEEvS11_ ; -- Begin function _ZN7rocprim17ROCPRIM_400000_NS6detail17trampoline_kernelINS0_14default_configENS1_27upper_bound_config_selectorIN6thrust23THRUST_200600_302600_NS5tupleIiiNS6_9null_typeES8_S8_S8_S8_S8_S8_S8_EElEEZNS1_14transform_implILb0ES3_SA_NS6_6detail15normal_iteratorINS6_7pointerIS9_NS6_11hip_rocprim5par_tENS6_11use_defaultESH_EEEENSD_INSE_IlSG_SH_SH_EEEEZNS1_13binary_searchIS3_SA_NSD_INS6_10device_ptrIS9_EEEESJ_SL_NS1_21upper_bound_search_opENSC_16wrapped_functionINS6_6system6detail7generic6detail18binary_search_lessEbEEEE10hipError_tPvRmT1_T2_T3_mmT4_T5_P12ihipStream_tbEUlRKS9_E_EESY_S12_S13_mS14_S17_bEUlT_E_NS1_11comp_targetILNS1_3genE3ELNS1_11target_archE908ELNS1_3gpuE7ELNS1_3repE0EEENS1_30default_config_static_selectorELNS0_4arch9wavefront6targetE1EEEvS11_
	.globl	_ZN7rocprim17ROCPRIM_400000_NS6detail17trampoline_kernelINS0_14default_configENS1_27upper_bound_config_selectorIN6thrust23THRUST_200600_302600_NS5tupleIiiNS6_9null_typeES8_S8_S8_S8_S8_S8_S8_EElEEZNS1_14transform_implILb0ES3_SA_NS6_6detail15normal_iteratorINS6_7pointerIS9_NS6_11hip_rocprim5par_tENS6_11use_defaultESH_EEEENSD_INSE_IlSG_SH_SH_EEEEZNS1_13binary_searchIS3_SA_NSD_INS6_10device_ptrIS9_EEEESJ_SL_NS1_21upper_bound_search_opENSC_16wrapped_functionINS6_6system6detail7generic6detail18binary_search_lessEbEEEE10hipError_tPvRmT1_T2_T3_mmT4_T5_P12ihipStream_tbEUlRKS9_E_EESY_S12_S13_mS14_S17_bEUlT_E_NS1_11comp_targetILNS1_3genE3ELNS1_11target_archE908ELNS1_3gpuE7ELNS1_3repE0EEENS1_30default_config_static_selectorELNS0_4arch9wavefront6targetE1EEEvS11_
	.p2align	8
	.type	_ZN7rocprim17ROCPRIM_400000_NS6detail17trampoline_kernelINS0_14default_configENS1_27upper_bound_config_selectorIN6thrust23THRUST_200600_302600_NS5tupleIiiNS6_9null_typeES8_S8_S8_S8_S8_S8_S8_EElEEZNS1_14transform_implILb0ES3_SA_NS6_6detail15normal_iteratorINS6_7pointerIS9_NS6_11hip_rocprim5par_tENS6_11use_defaultESH_EEEENSD_INSE_IlSG_SH_SH_EEEEZNS1_13binary_searchIS3_SA_NSD_INS6_10device_ptrIS9_EEEESJ_SL_NS1_21upper_bound_search_opENSC_16wrapped_functionINS6_6system6detail7generic6detail18binary_search_lessEbEEEE10hipError_tPvRmT1_T2_T3_mmT4_T5_P12ihipStream_tbEUlRKS9_E_EESY_S12_S13_mS14_S17_bEUlT_E_NS1_11comp_targetILNS1_3genE3ELNS1_11target_archE908ELNS1_3gpuE7ELNS1_3repE0EEENS1_30default_config_static_selectorELNS0_4arch9wavefront6targetE1EEEvS11_,@function
_ZN7rocprim17ROCPRIM_400000_NS6detail17trampoline_kernelINS0_14default_configENS1_27upper_bound_config_selectorIN6thrust23THRUST_200600_302600_NS5tupleIiiNS6_9null_typeES8_S8_S8_S8_S8_S8_S8_EElEEZNS1_14transform_implILb0ES3_SA_NS6_6detail15normal_iteratorINS6_7pointerIS9_NS6_11hip_rocprim5par_tENS6_11use_defaultESH_EEEENSD_INSE_IlSG_SH_SH_EEEEZNS1_13binary_searchIS3_SA_NSD_INS6_10device_ptrIS9_EEEESJ_SL_NS1_21upper_bound_search_opENSC_16wrapped_functionINS6_6system6detail7generic6detail18binary_search_lessEbEEEE10hipError_tPvRmT1_T2_T3_mmT4_T5_P12ihipStream_tbEUlRKS9_E_EESY_S12_S13_mS14_S17_bEUlT_E_NS1_11comp_targetILNS1_3genE3ELNS1_11target_archE908ELNS1_3gpuE7ELNS1_3repE0EEENS1_30default_config_static_selectorELNS0_4arch9wavefront6targetE1EEEvS11_: ; @_ZN7rocprim17ROCPRIM_400000_NS6detail17trampoline_kernelINS0_14default_configENS1_27upper_bound_config_selectorIN6thrust23THRUST_200600_302600_NS5tupleIiiNS6_9null_typeES8_S8_S8_S8_S8_S8_S8_EElEEZNS1_14transform_implILb0ES3_SA_NS6_6detail15normal_iteratorINS6_7pointerIS9_NS6_11hip_rocprim5par_tENS6_11use_defaultESH_EEEENSD_INSE_IlSG_SH_SH_EEEEZNS1_13binary_searchIS3_SA_NSD_INS6_10device_ptrIS9_EEEESJ_SL_NS1_21upper_bound_search_opENSC_16wrapped_functionINS6_6system6detail7generic6detail18binary_search_lessEbEEEE10hipError_tPvRmT1_T2_T3_mmT4_T5_P12ihipStream_tbEUlRKS9_E_EESY_S12_S13_mS14_S17_bEUlT_E_NS1_11comp_targetILNS1_3genE3ELNS1_11target_archE908ELNS1_3gpuE7ELNS1_3repE0EEENS1_30default_config_static_selectorELNS0_4arch9wavefront6targetE1EEEvS11_
; %bb.0:
	.section	.rodata,"a",@progbits
	.p2align	6, 0x0
	.amdhsa_kernel _ZN7rocprim17ROCPRIM_400000_NS6detail17trampoline_kernelINS0_14default_configENS1_27upper_bound_config_selectorIN6thrust23THRUST_200600_302600_NS5tupleIiiNS6_9null_typeES8_S8_S8_S8_S8_S8_S8_EElEEZNS1_14transform_implILb0ES3_SA_NS6_6detail15normal_iteratorINS6_7pointerIS9_NS6_11hip_rocprim5par_tENS6_11use_defaultESH_EEEENSD_INSE_IlSG_SH_SH_EEEEZNS1_13binary_searchIS3_SA_NSD_INS6_10device_ptrIS9_EEEESJ_SL_NS1_21upper_bound_search_opENSC_16wrapped_functionINS6_6system6detail7generic6detail18binary_search_lessEbEEEE10hipError_tPvRmT1_T2_T3_mmT4_T5_P12ihipStream_tbEUlRKS9_E_EESY_S12_S13_mS14_S17_bEUlT_E_NS1_11comp_targetILNS1_3genE3ELNS1_11target_archE908ELNS1_3gpuE7ELNS1_3repE0EEENS1_30default_config_static_selectorELNS0_4arch9wavefront6targetE1EEEvS11_
		.amdhsa_group_segment_fixed_size 0
		.amdhsa_private_segment_fixed_size 0
		.amdhsa_kernarg_size 56
		.amdhsa_user_sgpr_count 6
		.amdhsa_user_sgpr_private_segment_buffer 1
		.amdhsa_user_sgpr_dispatch_ptr 0
		.amdhsa_user_sgpr_queue_ptr 0
		.amdhsa_user_sgpr_kernarg_segment_ptr 1
		.amdhsa_user_sgpr_dispatch_id 0
		.amdhsa_user_sgpr_flat_scratch_init 0
		.amdhsa_user_sgpr_private_segment_size 0
		.amdhsa_uses_dynamic_stack 0
		.amdhsa_system_sgpr_private_segment_wavefront_offset 0
		.amdhsa_system_sgpr_workgroup_id_x 1
		.amdhsa_system_sgpr_workgroup_id_y 0
		.amdhsa_system_sgpr_workgroup_id_z 0
		.amdhsa_system_sgpr_workgroup_info 0
		.amdhsa_system_vgpr_workitem_id 0
		.amdhsa_next_free_vgpr 1
		.amdhsa_next_free_sgpr 0
		.amdhsa_reserve_vcc 0
		.amdhsa_reserve_flat_scratch 0
		.amdhsa_float_round_mode_32 0
		.amdhsa_float_round_mode_16_64 0
		.amdhsa_float_denorm_mode_32 3
		.amdhsa_float_denorm_mode_16_64 3
		.amdhsa_dx10_clamp 1
		.amdhsa_ieee_mode 1
		.amdhsa_fp16_overflow 0
		.amdhsa_exception_fp_ieee_invalid_op 0
		.amdhsa_exception_fp_denorm_src 0
		.amdhsa_exception_fp_ieee_div_zero 0
		.amdhsa_exception_fp_ieee_overflow 0
		.amdhsa_exception_fp_ieee_underflow 0
		.amdhsa_exception_fp_ieee_inexact 0
		.amdhsa_exception_int_div_zero 0
	.end_amdhsa_kernel
	.section	.text._ZN7rocprim17ROCPRIM_400000_NS6detail17trampoline_kernelINS0_14default_configENS1_27upper_bound_config_selectorIN6thrust23THRUST_200600_302600_NS5tupleIiiNS6_9null_typeES8_S8_S8_S8_S8_S8_S8_EElEEZNS1_14transform_implILb0ES3_SA_NS6_6detail15normal_iteratorINS6_7pointerIS9_NS6_11hip_rocprim5par_tENS6_11use_defaultESH_EEEENSD_INSE_IlSG_SH_SH_EEEEZNS1_13binary_searchIS3_SA_NSD_INS6_10device_ptrIS9_EEEESJ_SL_NS1_21upper_bound_search_opENSC_16wrapped_functionINS6_6system6detail7generic6detail18binary_search_lessEbEEEE10hipError_tPvRmT1_T2_T3_mmT4_T5_P12ihipStream_tbEUlRKS9_E_EESY_S12_S13_mS14_S17_bEUlT_E_NS1_11comp_targetILNS1_3genE3ELNS1_11target_archE908ELNS1_3gpuE7ELNS1_3repE0EEENS1_30default_config_static_selectorELNS0_4arch9wavefront6targetE1EEEvS11_,"axG",@progbits,_ZN7rocprim17ROCPRIM_400000_NS6detail17trampoline_kernelINS0_14default_configENS1_27upper_bound_config_selectorIN6thrust23THRUST_200600_302600_NS5tupleIiiNS6_9null_typeES8_S8_S8_S8_S8_S8_S8_EElEEZNS1_14transform_implILb0ES3_SA_NS6_6detail15normal_iteratorINS6_7pointerIS9_NS6_11hip_rocprim5par_tENS6_11use_defaultESH_EEEENSD_INSE_IlSG_SH_SH_EEEEZNS1_13binary_searchIS3_SA_NSD_INS6_10device_ptrIS9_EEEESJ_SL_NS1_21upper_bound_search_opENSC_16wrapped_functionINS6_6system6detail7generic6detail18binary_search_lessEbEEEE10hipError_tPvRmT1_T2_T3_mmT4_T5_P12ihipStream_tbEUlRKS9_E_EESY_S12_S13_mS14_S17_bEUlT_E_NS1_11comp_targetILNS1_3genE3ELNS1_11target_archE908ELNS1_3gpuE7ELNS1_3repE0EEENS1_30default_config_static_selectorELNS0_4arch9wavefront6targetE1EEEvS11_,comdat
.Lfunc_end602:
	.size	_ZN7rocprim17ROCPRIM_400000_NS6detail17trampoline_kernelINS0_14default_configENS1_27upper_bound_config_selectorIN6thrust23THRUST_200600_302600_NS5tupleIiiNS6_9null_typeES8_S8_S8_S8_S8_S8_S8_EElEEZNS1_14transform_implILb0ES3_SA_NS6_6detail15normal_iteratorINS6_7pointerIS9_NS6_11hip_rocprim5par_tENS6_11use_defaultESH_EEEENSD_INSE_IlSG_SH_SH_EEEEZNS1_13binary_searchIS3_SA_NSD_INS6_10device_ptrIS9_EEEESJ_SL_NS1_21upper_bound_search_opENSC_16wrapped_functionINS6_6system6detail7generic6detail18binary_search_lessEbEEEE10hipError_tPvRmT1_T2_T3_mmT4_T5_P12ihipStream_tbEUlRKS9_E_EESY_S12_S13_mS14_S17_bEUlT_E_NS1_11comp_targetILNS1_3genE3ELNS1_11target_archE908ELNS1_3gpuE7ELNS1_3repE0EEENS1_30default_config_static_selectorELNS0_4arch9wavefront6targetE1EEEvS11_, .Lfunc_end602-_ZN7rocprim17ROCPRIM_400000_NS6detail17trampoline_kernelINS0_14default_configENS1_27upper_bound_config_selectorIN6thrust23THRUST_200600_302600_NS5tupleIiiNS6_9null_typeES8_S8_S8_S8_S8_S8_S8_EElEEZNS1_14transform_implILb0ES3_SA_NS6_6detail15normal_iteratorINS6_7pointerIS9_NS6_11hip_rocprim5par_tENS6_11use_defaultESH_EEEENSD_INSE_IlSG_SH_SH_EEEEZNS1_13binary_searchIS3_SA_NSD_INS6_10device_ptrIS9_EEEESJ_SL_NS1_21upper_bound_search_opENSC_16wrapped_functionINS6_6system6detail7generic6detail18binary_search_lessEbEEEE10hipError_tPvRmT1_T2_T3_mmT4_T5_P12ihipStream_tbEUlRKS9_E_EESY_S12_S13_mS14_S17_bEUlT_E_NS1_11comp_targetILNS1_3genE3ELNS1_11target_archE908ELNS1_3gpuE7ELNS1_3repE0EEENS1_30default_config_static_selectorELNS0_4arch9wavefront6targetE1EEEvS11_
                                        ; -- End function
	.set _ZN7rocprim17ROCPRIM_400000_NS6detail17trampoline_kernelINS0_14default_configENS1_27upper_bound_config_selectorIN6thrust23THRUST_200600_302600_NS5tupleIiiNS6_9null_typeES8_S8_S8_S8_S8_S8_S8_EElEEZNS1_14transform_implILb0ES3_SA_NS6_6detail15normal_iteratorINS6_7pointerIS9_NS6_11hip_rocprim5par_tENS6_11use_defaultESH_EEEENSD_INSE_IlSG_SH_SH_EEEEZNS1_13binary_searchIS3_SA_NSD_INS6_10device_ptrIS9_EEEESJ_SL_NS1_21upper_bound_search_opENSC_16wrapped_functionINS6_6system6detail7generic6detail18binary_search_lessEbEEEE10hipError_tPvRmT1_T2_T3_mmT4_T5_P12ihipStream_tbEUlRKS9_E_EESY_S12_S13_mS14_S17_bEUlT_E_NS1_11comp_targetILNS1_3genE3ELNS1_11target_archE908ELNS1_3gpuE7ELNS1_3repE0EEENS1_30default_config_static_selectorELNS0_4arch9wavefront6targetE1EEEvS11_.num_vgpr, 0
	.set _ZN7rocprim17ROCPRIM_400000_NS6detail17trampoline_kernelINS0_14default_configENS1_27upper_bound_config_selectorIN6thrust23THRUST_200600_302600_NS5tupleIiiNS6_9null_typeES8_S8_S8_S8_S8_S8_S8_EElEEZNS1_14transform_implILb0ES3_SA_NS6_6detail15normal_iteratorINS6_7pointerIS9_NS6_11hip_rocprim5par_tENS6_11use_defaultESH_EEEENSD_INSE_IlSG_SH_SH_EEEEZNS1_13binary_searchIS3_SA_NSD_INS6_10device_ptrIS9_EEEESJ_SL_NS1_21upper_bound_search_opENSC_16wrapped_functionINS6_6system6detail7generic6detail18binary_search_lessEbEEEE10hipError_tPvRmT1_T2_T3_mmT4_T5_P12ihipStream_tbEUlRKS9_E_EESY_S12_S13_mS14_S17_bEUlT_E_NS1_11comp_targetILNS1_3genE3ELNS1_11target_archE908ELNS1_3gpuE7ELNS1_3repE0EEENS1_30default_config_static_selectorELNS0_4arch9wavefront6targetE1EEEvS11_.num_agpr, 0
	.set _ZN7rocprim17ROCPRIM_400000_NS6detail17trampoline_kernelINS0_14default_configENS1_27upper_bound_config_selectorIN6thrust23THRUST_200600_302600_NS5tupleIiiNS6_9null_typeES8_S8_S8_S8_S8_S8_S8_EElEEZNS1_14transform_implILb0ES3_SA_NS6_6detail15normal_iteratorINS6_7pointerIS9_NS6_11hip_rocprim5par_tENS6_11use_defaultESH_EEEENSD_INSE_IlSG_SH_SH_EEEEZNS1_13binary_searchIS3_SA_NSD_INS6_10device_ptrIS9_EEEESJ_SL_NS1_21upper_bound_search_opENSC_16wrapped_functionINS6_6system6detail7generic6detail18binary_search_lessEbEEEE10hipError_tPvRmT1_T2_T3_mmT4_T5_P12ihipStream_tbEUlRKS9_E_EESY_S12_S13_mS14_S17_bEUlT_E_NS1_11comp_targetILNS1_3genE3ELNS1_11target_archE908ELNS1_3gpuE7ELNS1_3repE0EEENS1_30default_config_static_selectorELNS0_4arch9wavefront6targetE1EEEvS11_.numbered_sgpr, 0
	.set _ZN7rocprim17ROCPRIM_400000_NS6detail17trampoline_kernelINS0_14default_configENS1_27upper_bound_config_selectorIN6thrust23THRUST_200600_302600_NS5tupleIiiNS6_9null_typeES8_S8_S8_S8_S8_S8_S8_EElEEZNS1_14transform_implILb0ES3_SA_NS6_6detail15normal_iteratorINS6_7pointerIS9_NS6_11hip_rocprim5par_tENS6_11use_defaultESH_EEEENSD_INSE_IlSG_SH_SH_EEEEZNS1_13binary_searchIS3_SA_NSD_INS6_10device_ptrIS9_EEEESJ_SL_NS1_21upper_bound_search_opENSC_16wrapped_functionINS6_6system6detail7generic6detail18binary_search_lessEbEEEE10hipError_tPvRmT1_T2_T3_mmT4_T5_P12ihipStream_tbEUlRKS9_E_EESY_S12_S13_mS14_S17_bEUlT_E_NS1_11comp_targetILNS1_3genE3ELNS1_11target_archE908ELNS1_3gpuE7ELNS1_3repE0EEENS1_30default_config_static_selectorELNS0_4arch9wavefront6targetE1EEEvS11_.num_named_barrier, 0
	.set _ZN7rocprim17ROCPRIM_400000_NS6detail17trampoline_kernelINS0_14default_configENS1_27upper_bound_config_selectorIN6thrust23THRUST_200600_302600_NS5tupleIiiNS6_9null_typeES8_S8_S8_S8_S8_S8_S8_EElEEZNS1_14transform_implILb0ES3_SA_NS6_6detail15normal_iteratorINS6_7pointerIS9_NS6_11hip_rocprim5par_tENS6_11use_defaultESH_EEEENSD_INSE_IlSG_SH_SH_EEEEZNS1_13binary_searchIS3_SA_NSD_INS6_10device_ptrIS9_EEEESJ_SL_NS1_21upper_bound_search_opENSC_16wrapped_functionINS6_6system6detail7generic6detail18binary_search_lessEbEEEE10hipError_tPvRmT1_T2_T3_mmT4_T5_P12ihipStream_tbEUlRKS9_E_EESY_S12_S13_mS14_S17_bEUlT_E_NS1_11comp_targetILNS1_3genE3ELNS1_11target_archE908ELNS1_3gpuE7ELNS1_3repE0EEENS1_30default_config_static_selectorELNS0_4arch9wavefront6targetE1EEEvS11_.private_seg_size, 0
	.set _ZN7rocprim17ROCPRIM_400000_NS6detail17trampoline_kernelINS0_14default_configENS1_27upper_bound_config_selectorIN6thrust23THRUST_200600_302600_NS5tupleIiiNS6_9null_typeES8_S8_S8_S8_S8_S8_S8_EElEEZNS1_14transform_implILb0ES3_SA_NS6_6detail15normal_iteratorINS6_7pointerIS9_NS6_11hip_rocprim5par_tENS6_11use_defaultESH_EEEENSD_INSE_IlSG_SH_SH_EEEEZNS1_13binary_searchIS3_SA_NSD_INS6_10device_ptrIS9_EEEESJ_SL_NS1_21upper_bound_search_opENSC_16wrapped_functionINS6_6system6detail7generic6detail18binary_search_lessEbEEEE10hipError_tPvRmT1_T2_T3_mmT4_T5_P12ihipStream_tbEUlRKS9_E_EESY_S12_S13_mS14_S17_bEUlT_E_NS1_11comp_targetILNS1_3genE3ELNS1_11target_archE908ELNS1_3gpuE7ELNS1_3repE0EEENS1_30default_config_static_selectorELNS0_4arch9wavefront6targetE1EEEvS11_.uses_vcc, 0
	.set _ZN7rocprim17ROCPRIM_400000_NS6detail17trampoline_kernelINS0_14default_configENS1_27upper_bound_config_selectorIN6thrust23THRUST_200600_302600_NS5tupleIiiNS6_9null_typeES8_S8_S8_S8_S8_S8_S8_EElEEZNS1_14transform_implILb0ES3_SA_NS6_6detail15normal_iteratorINS6_7pointerIS9_NS6_11hip_rocprim5par_tENS6_11use_defaultESH_EEEENSD_INSE_IlSG_SH_SH_EEEEZNS1_13binary_searchIS3_SA_NSD_INS6_10device_ptrIS9_EEEESJ_SL_NS1_21upper_bound_search_opENSC_16wrapped_functionINS6_6system6detail7generic6detail18binary_search_lessEbEEEE10hipError_tPvRmT1_T2_T3_mmT4_T5_P12ihipStream_tbEUlRKS9_E_EESY_S12_S13_mS14_S17_bEUlT_E_NS1_11comp_targetILNS1_3genE3ELNS1_11target_archE908ELNS1_3gpuE7ELNS1_3repE0EEENS1_30default_config_static_selectorELNS0_4arch9wavefront6targetE1EEEvS11_.uses_flat_scratch, 0
	.set _ZN7rocprim17ROCPRIM_400000_NS6detail17trampoline_kernelINS0_14default_configENS1_27upper_bound_config_selectorIN6thrust23THRUST_200600_302600_NS5tupleIiiNS6_9null_typeES8_S8_S8_S8_S8_S8_S8_EElEEZNS1_14transform_implILb0ES3_SA_NS6_6detail15normal_iteratorINS6_7pointerIS9_NS6_11hip_rocprim5par_tENS6_11use_defaultESH_EEEENSD_INSE_IlSG_SH_SH_EEEEZNS1_13binary_searchIS3_SA_NSD_INS6_10device_ptrIS9_EEEESJ_SL_NS1_21upper_bound_search_opENSC_16wrapped_functionINS6_6system6detail7generic6detail18binary_search_lessEbEEEE10hipError_tPvRmT1_T2_T3_mmT4_T5_P12ihipStream_tbEUlRKS9_E_EESY_S12_S13_mS14_S17_bEUlT_E_NS1_11comp_targetILNS1_3genE3ELNS1_11target_archE908ELNS1_3gpuE7ELNS1_3repE0EEENS1_30default_config_static_selectorELNS0_4arch9wavefront6targetE1EEEvS11_.has_dyn_sized_stack, 0
	.set _ZN7rocprim17ROCPRIM_400000_NS6detail17trampoline_kernelINS0_14default_configENS1_27upper_bound_config_selectorIN6thrust23THRUST_200600_302600_NS5tupleIiiNS6_9null_typeES8_S8_S8_S8_S8_S8_S8_EElEEZNS1_14transform_implILb0ES3_SA_NS6_6detail15normal_iteratorINS6_7pointerIS9_NS6_11hip_rocprim5par_tENS6_11use_defaultESH_EEEENSD_INSE_IlSG_SH_SH_EEEEZNS1_13binary_searchIS3_SA_NSD_INS6_10device_ptrIS9_EEEESJ_SL_NS1_21upper_bound_search_opENSC_16wrapped_functionINS6_6system6detail7generic6detail18binary_search_lessEbEEEE10hipError_tPvRmT1_T2_T3_mmT4_T5_P12ihipStream_tbEUlRKS9_E_EESY_S12_S13_mS14_S17_bEUlT_E_NS1_11comp_targetILNS1_3genE3ELNS1_11target_archE908ELNS1_3gpuE7ELNS1_3repE0EEENS1_30default_config_static_selectorELNS0_4arch9wavefront6targetE1EEEvS11_.has_recursion, 0
	.set _ZN7rocprim17ROCPRIM_400000_NS6detail17trampoline_kernelINS0_14default_configENS1_27upper_bound_config_selectorIN6thrust23THRUST_200600_302600_NS5tupleIiiNS6_9null_typeES8_S8_S8_S8_S8_S8_S8_EElEEZNS1_14transform_implILb0ES3_SA_NS6_6detail15normal_iteratorINS6_7pointerIS9_NS6_11hip_rocprim5par_tENS6_11use_defaultESH_EEEENSD_INSE_IlSG_SH_SH_EEEEZNS1_13binary_searchIS3_SA_NSD_INS6_10device_ptrIS9_EEEESJ_SL_NS1_21upper_bound_search_opENSC_16wrapped_functionINS6_6system6detail7generic6detail18binary_search_lessEbEEEE10hipError_tPvRmT1_T2_T3_mmT4_T5_P12ihipStream_tbEUlRKS9_E_EESY_S12_S13_mS14_S17_bEUlT_E_NS1_11comp_targetILNS1_3genE3ELNS1_11target_archE908ELNS1_3gpuE7ELNS1_3repE0EEENS1_30default_config_static_selectorELNS0_4arch9wavefront6targetE1EEEvS11_.has_indirect_call, 0
	.section	.AMDGPU.csdata,"",@progbits
; Kernel info:
; codeLenInByte = 0
; TotalNumSgprs: 4
; NumVgprs: 0
; ScratchSize: 0
; MemoryBound: 0
; FloatMode: 240
; IeeeMode: 1
; LDSByteSize: 0 bytes/workgroup (compile time only)
; SGPRBlocks: 0
; VGPRBlocks: 0
; NumSGPRsForWavesPerEU: 4
; NumVGPRsForWavesPerEU: 1
; Occupancy: 10
; WaveLimiterHint : 0
; COMPUTE_PGM_RSRC2:SCRATCH_EN: 0
; COMPUTE_PGM_RSRC2:USER_SGPR: 6
; COMPUTE_PGM_RSRC2:TRAP_HANDLER: 0
; COMPUTE_PGM_RSRC2:TGID_X_EN: 1
; COMPUTE_PGM_RSRC2:TGID_Y_EN: 0
; COMPUTE_PGM_RSRC2:TGID_Z_EN: 0
; COMPUTE_PGM_RSRC2:TIDIG_COMP_CNT: 0
	.section	.text._ZN7rocprim17ROCPRIM_400000_NS6detail17trampoline_kernelINS0_14default_configENS1_27upper_bound_config_selectorIN6thrust23THRUST_200600_302600_NS5tupleIiiNS6_9null_typeES8_S8_S8_S8_S8_S8_S8_EElEEZNS1_14transform_implILb0ES3_SA_NS6_6detail15normal_iteratorINS6_7pointerIS9_NS6_11hip_rocprim5par_tENS6_11use_defaultESH_EEEENSD_INSE_IlSG_SH_SH_EEEEZNS1_13binary_searchIS3_SA_NSD_INS6_10device_ptrIS9_EEEESJ_SL_NS1_21upper_bound_search_opENSC_16wrapped_functionINS6_6system6detail7generic6detail18binary_search_lessEbEEEE10hipError_tPvRmT1_T2_T3_mmT4_T5_P12ihipStream_tbEUlRKS9_E_EESY_S12_S13_mS14_S17_bEUlT_E_NS1_11comp_targetILNS1_3genE2ELNS1_11target_archE906ELNS1_3gpuE6ELNS1_3repE0EEENS1_30default_config_static_selectorELNS0_4arch9wavefront6targetE1EEEvS11_,"axG",@progbits,_ZN7rocprim17ROCPRIM_400000_NS6detail17trampoline_kernelINS0_14default_configENS1_27upper_bound_config_selectorIN6thrust23THRUST_200600_302600_NS5tupleIiiNS6_9null_typeES8_S8_S8_S8_S8_S8_S8_EElEEZNS1_14transform_implILb0ES3_SA_NS6_6detail15normal_iteratorINS6_7pointerIS9_NS6_11hip_rocprim5par_tENS6_11use_defaultESH_EEEENSD_INSE_IlSG_SH_SH_EEEEZNS1_13binary_searchIS3_SA_NSD_INS6_10device_ptrIS9_EEEESJ_SL_NS1_21upper_bound_search_opENSC_16wrapped_functionINS6_6system6detail7generic6detail18binary_search_lessEbEEEE10hipError_tPvRmT1_T2_T3_mmT4_T5_P12ihipStream_tbEUlRKS9_E_EESY_S12_S13_mS14_S17_bEUlT_E_NS1_11comp_targetILNS1_3genE2ELNS1_11target_archE906ELNS1_3gpuE6ELNS1_3repE0EEENS1_30default_config_static_selectorELNS0_4arch9wavefront6targetE1EEEvS11_,comdat
	.protected	_ZN7rocprim17ROCPRIM_400000_NS6detail17trampoline_kernelINS0_14default_configENS1_27upper_bound_config_selectorIN6thrust23THRUST_200600_302600_NS5tupleIiiNS6_9null_typeES8_S8_S8_S8_S8_S8_S8_EElEEZNS1_14transform_implILb0ES3_SA_NS6_6detail15normal_iteratorINS6_7pointerIS9_NS6_11hip_rocprim5par_tENS6_11use_defaultESH_EEEENSD_INSE_IlSG_SH_SH_EEEEZNS1_13binary_searchIS3_SA_NSD_INS6_10device_ptrIS9_EEEESJ_SL_NS1_21upper_bound_search_opENSC_16wrapped_functionINS6_6system6detail7generic6detail18binary_search_lessEbEEEE10hipError_tPvRmT1_T2_T3_mmT4_T5_P12ihipStream_tbEUlRKS9_E_EESY_S12_S13_mS14_S17_bEUlT_E_NS1_11comp_targetILNS1_3genE2ELNS1_11target_archE906ELNS1_3gpuE6ELNS1_3repE0EEENS1_30default_config_static_selectorELNS0_4arch9wavefront6targetE1EEEvS11_ ; -- Begin function _ZN7rocprim17ROCPRIM_400000_NS6detail17trampoline_kernelINS0_14default_configENS1_27upper_bound_config_selectorIN6thrust23THRUST_200600_302600_NS5tupleIiiNS6_9null_typeES8_S8_S8_S8_S8_S8_S8_EElEEZNS1_14transform_implILb0ES3_SA_NS6_6detail15normal_iteratorINS6_7pointerIS9_NS6_11hip_rocprim5par_tENS6_11use_defaultESH_EEEENSD_INSE_IlSG_SH_SH_EEEEZNS1_13binary_searchIS3_SA_NSD_INS6_10device_ptrIS9_EEEESJ_SL_NS1_21upper_bound_search_opENSC_16wrapped_functionINS6_6system6detail7generic6detail18binary_search_lessEbEEEE10hipError_tPvRmT1_T2_T3_mmT4_T5_P12ihipStream_tbEUlRKS9_E_EESY_S12_S13_mS14_S17_bEUlT_E_NS1_11comp_targetILNS1_3genE2ELNS1_11target_archE906ELNS1_3gpuE6ELNS1_3repE0EEENS1_30default_config_static_selectorELNS0_4arch9wavefront6targetE1EEEvS11_
	.globl	_ZN7rocprim17ROCPRIM_400000_NS6detail17trampoline_kernelINS0_14default_configENS1_27upper_bound_config_selectorIN6thrust23THRUST_200600_302600_NS5tupleIiiNS6_9null_typeES8_S8_S8_S8_S8_S8_S8_EElEEZNS1_14transform_implILb0ES3_SA_NS6_6detail15normal_iteratorINS6_7pointerIS9_NS6_11hip_rocprim5par_tENS6_11use_defaultESH_EEEENSD_INSE_IlSG_SH_SH_EEEEZNS1_13binary_searchIS3_SA_NSD_INS6_10device_ptrIS9_EEEESJ_SL_NS1_21upper_bound_search_opENSC_16wrapped_functionINS6_6system6detail7generic6detail18binary_search_lessEbEEEE10hipError_tPvRmT1_T2_T3_mmT4_T5_P12ihipStream_tbEUlRKS9_E_EESY_S12_S13_mS14_S17_bEUlT_E_NS1_11comp_targetILNS1_3genE2ELNS1_11target_archE906ELNS1_3gpuE6ELNS1_3repE0EEENS1_30default_config_static_selectorELNS0_4arch9wavefront6targetE1EEEvS11_
	.p2align	8
	.type	_ZN7rocprim17ROCPRIM_400000_NS6detail17trampoline_kernelINS0_14default_configENS1_27upper_bound_config_selectorIN6thrust23THRUST_200600_302600_NS5tupleIiiNS6_9null_typeES8_S8_S8_S8_S8_S8_S8_EElEEZNS1_14transform_implILb0ES3_SA_NS6_6detail15normal_iteratorINS6_7pointerIS9_NS6_11hip_rocprim5par_tENS6_11use_defaultESH_EEEENSD_INSE_IlSG_SH_SH_EEEEZNS1_13binary_searchIS3_SA_NSD_INS6_10device_ptrIS9_EEEESJ_SL_NS1_21upper_bound_search_opENSC_16wrapped_functionINS6_6system6detail7generic6detail18binary_search_lessEbEEEE10hipError_tPvRmT1_T2_T3_mmT4_T5_P12ihipStream_tbEUlRKS9_E_EESY_S12_S13_mS14_S17_bEUlT_E_NS1_11comp_targetILNS1_3genE2ELNS1_11target_archE906ELNS1_3gpuE6ELNS1_3repE0EEENS1_30default_config_static_selectorELNS0_4arch9wavefront6targetE1EEEvS11_,@function
_ZN7rocprim17ROCPRIM_400000_NS6detail17trampoline_kernelINS0_14default_configENS1_27upper_bound_config_selectorIN6thrust23THRUST_200600_302600_NS5tupleIiiNS6_9null_typeES8_S8_S8_S8_S8_S8_S8_EElEEZNS1_14transform_implILb0ES3_SA_NS6_6detail15normal_iteratorINS6_7pointerIS9_NS6_11hip_rocprim5par_tENS6_11use_defaultESH_EEEENSD_INSE_IlSG_SH_SH_EEEEZNS1_13binary_searchIS3_SA_NSD_INS6_10device_ptrIS9_EEEESJ_SL_NS1_21upper_bound_search_opENSC_16wrapped_functionINS6_6system6detail7generic6detail18binary_search_lessEbEEEE10hipError_tPvRmT1_T2_T3_mmT4_T5_P12ihipStream_tbEUlRKS9_E_EESY_S12_S13_mS14_S17_bEUlT_E_NS1_11comp_targetILNS1_3genE2ELNS1_11target_archE906ELNS1_3gpuE6ELNS1_3repE0EEENS1_30default_config_static_selectorELNS0_4arch9wavefront6targetE1EEEvS11_: ; @_ZN7rocprim17ROCPRIM_400000_NS6detail17trampoline_kernelINS0_14default_configENS1_27upper_bound_config_selectorIN6thrust23THRUST_200600_302600_NS5tupleIiiNS6_9null_typeES8_S8_S8_S8_S8_S8_S8_EElEEZNS1_14transform_implILb0ES3_SA_NS6_6detail15normal_iteratorINS6_7pointerIS9_NS6_11hip_rocprim5par_tENS6_11use_defaultESH_EEEENSD_INSE_IlSG_SH_SH_EEEEZNS1_13binary_searchIS3_SA_NSD_INS6_10device_ptrIS9_EEEESJ_SL_NS1_21upper_bound_search_opENSC_16wrapped_functionINS6_6system6detail7generic6detail18binary_search_lessEbEEEE10hipError_tPvRmT1_T2_T3_mmT4_T5_P12ihipStream_tbEUlRKS9_E_EESY_S12_S13_mS14_S17_bEUlT_E_NS1_11comp_targetILNS1_3genE2ELNS1_11target_archE906ELNS1_3gpuE6ELNS1_3repE0EEENS1_30default_config_static_selectorELNS0_4arch9wavefront6targetE1EEEvS11_
; %bb.0:
	s_load_dwordx4 s[0:3], s[4:5], 0x0
	s_load_dwordx4 s[8:11], s[4:5], 0x18
	s_load_dwordx2 s[12:13], s[4:5], 0x28
	s_load_dword s7, s[4:5], 0x38
	s_waitcnt lgkmcnt(0)
	s_lshl_b64 s[2:3], s[2:3], 3
	s_add_u32 s14, s0, s2
	s_addc_u32 s15, s1, s3
	s_add_u32 s16, s8, s2
	s_addc_u32 s17, s9, s3
	s_lshl_b32 s8, s6, 8
	s_add_i32 s7, s7, -1
	s_mov_b32 s9, 0
	s_cmp_lg_u32 s6, s7
	s_mov_b64 s[0:1], -1
	s_cbranch_scc0 .LBB603_7
; %bb.1:
	s_cmp_eq_u64 s[12:13], 0
	s_mov_b64 s[6:7], 0
	s_cbranch_scc1 .LBB603_5
; %bb.2:
	s_lshl_b64 s[0:1], s[8:9], 3
	s_add_u32 s0, s14, s0
	s_addc_u32 s1, s15, s1
	v_lshlrev_b32_e32 v1, 3, v0
	v_mov_b32_e32 v2, s1
	v_add_co_u32_e32 v1, vcc, s0, v1
	v_addc_co_u32_e32 v2, vcc, 0, v2, vcc
	flat_load_dwordx2 v[3:4], v[1:2]
	v_mov_b32_e32 v1, 0
	v_mov_b32_e32 v5, s12
	v_mov_b32_e32 v2, 0
	v_mov_b32_e32 v6, s13
	v_mov_b32_e32 v7, s11
.LBB603_3:                              ; =>This Inner Loop Header: Depth=1
	v_sub_co_u32_e32 v8, vcc, v5, v1
	v_subb_co_u32_e32 v9, vcc, v6, v2, vcc
	v_lshrrev_b64 v[10:11], 1, v[8:9]
	v_lshrrev_b64 v[8:9], 6, v[8:9]
	v_add_co_u32_e32 v10, vcc, v10, v1
	v_addc_co_u32_e32 v11, vcc, v11, v2, vcc
	v_add_co_u32_e32 v8, vcc, v10, v8
	v_addc_co_u32_e32 v9, vcc, v11, v9, vcc
	v_lshlrev_b64 v[10:11], 3, v[8:9]
	v_add_co_u32_e32 v10, vcc, s10, v10
	v_addc_co_u32_e32 v11, vcc, v7, v11, vcc
	global_load_dwordx2 v[10:11], v[10:11], off
	v_add_co_u32_e32 v12, vcc, 1, v8
	v_addc_co_u32_e32 v13, vcc, 0, v9, vcc
	s_waitcnt vmcnt(0) lgkmcnt(0)
	v_cmp_ge_i32_e64 s[0:1], v10, v3
	v_cmp_lt_i32_e64 s[2:3], v4, v11
	v_cmp_lt_i32_e32 vcc, v3, v10
	s_and_b64 s[0:1], s[0:1], s[2:3]
	s_or_b64 vcc, vcc, s[0:1]
	v_cndmask_b32_e32 v6, v6, v9, vcc
	v_cndmask_b32_e32 v5, v5, v8, vcc
	v_cndmask_b32_e32 v2, v13, v2, vcc
	v_cndmask_b32_e32 v1, v12, v1, vcc
	v_cmp_ge_u64_e32 vcc, v[1:2], v[5:6]
	s_or_b64 s[6:7], vcc, s[6:7]
	s_andn2_b64 exec, exec, s[6:7]
	s_cbranch_execnz .LBB603_3
; %bb.4:
	s_or_b64 exec, exec, s[6:7]
	s_branch .LBB603_6
.LBB603_5:
	v_mov_b32_e32 v1, 0
	v_mov_b32_e32 v2, 0
.LBB603_6:
	s_lshl_b64 s[0:1], s[8:9], 3
	s_add_u32 s0, s16, s0
	s_addc_u32 s1, s17, s1
	v_lshlrev_b32_e32 v3, 3, v0
	v_mov_b32_e32 v4, s1
	v_add_co_u32_e32 v3, vcc, s0, v3
	v_addc_co_u32_e32 v4, vcc, 0, v4, vcc
	s_mov_b64 s[0:1], 0
	flat_store_dwordx2 v[3:4], v[1:2]
.LBB603_7:
	s_and_b64 vcc, exec, s[0:1]
	s_cbranch_vccz .LBB603_16
; %bb.8:
	s_load_dword s0, s[4:5], 0x10
	v_mov_b32_e32 v2, 0
	v_mov_b32_e32 v1, 0
	s_waitcnt lgkmcnt(0)
	s_sub_i32 s2, s0, s8
	v_cmp_le_u32_e64 s[0:1], s2, v0
	v_cmp_gt_u32_e32 vcc, s2, v0
	s_and_saveexec_b64 s[4:5], vcc
	s_cbranch_execz .LBB603_10
; %bb.9:
	s_lshl_b64 s[2:3], s[8:9], 3
	s_add_u32 s2, s14, s2
	s_addc_u32 s3, s15, s3
	v_lshlrev_b32_e32 v1, 3, v0
	v_mov_b32_e32 v2, s3
	v_add_co_u32_e64 v1, s[2:3], s2, v1
	v_addc_co_u32_e64 v2, s[2:3], 0, v2, s[2:3]
	flat_load_dwordx2 v[1:2], v[1:2]
.LBB603_10:
	s_or_b64 exec, exec, s[4:5]
	s_cmp_lg_u64 s[12:13], 0
	s_cselect_b64 s[2:3], -1, 0
	s_xor_b64 s[0:1], s[0:1], -1
	v_mov_b32_e32 v3, 0
	s_mov_b64 s[6:7], 0
	v_mov_b32_e32 v4, 0
	s_and_b64 s[0:1], s[0:1], s[2:3]
	s_and_saveexec_b64 s[14:15], s[0:1]
	s_cbranch_execz .LBB603_14
; %bb.11:
	v_mov_b32_e32 v3, 0
	v_mov_b32_e32 v5, s12
	;; [unrolled: 1-line block ×5, first 2 shown]
.LBB603_12:                             ; =>This Inner Loop Header: Depth=1
	v_sub_co_u32_e64 v8, s[0:1], v5, v3
	v_subb_co_u32_e64 v9, s[0:1], v6, v4, s[0:1]
	v_lshrrev_b64 v[10:11], 1, v[8:9]
	v_lshrrev_b64 v[8:9], 6, v[8:9]
	v_add_co_u32_e64 v10, s[0:1], v10, v3
	v_addc_co_u32_e64 v11, s[0:1], v11, v4, s[0:1]
	v_add_co_u32_e64 v8, s[0:1], v10, v8
	v_addc_co_u32_e64 v9, s[0:1], v11, v9, s[0:1]
	v_lshlrev_b64 v[10:11], 3, v[8:9]
	v_add_co_u32_e64 v10, s[0:1], s10, v10
	v_addc_co_u32_e64 v11, s[0:1], v7, v11, s[0:1]
	global_load_dwordx2 v[10:11], v[10:11], off
	v_add_co_u32_e64 v12, s[0:1], 1, v8
	v_addc_co_u32_e64 v13, s[0:1], 0, v9, s[0:1]
	s_waitcnt vmcnt(0) lgkmcnt(0)
	v_cmp_ge_i32_e64 s[2:3], v10, v1
	v_cmp_lt_i32_e64 s[4:5], v2, v11
	v_cmp_lt_i32_e64 s[0:1], v1, v10
	s_and_b64 s[2:3], s[2:3], s[4:5]
	s_or_b64 s[0:1], s[0:1], s[2:3]
	v_cndmask_b32_e64 v6, v6, v9, s[0:1]
	v_cndmask_b32_e64 v5, v5, v8, s[0:1]
	;; [unrolled: 1-line block ×4, first 2 shown]
	v_cmp_ge_u64_e64 s[0:1], v[3:4], v[5:6]
	s_or_b64 s[6:7], s[0:1], s[6:7]
	s_andn2_b64 exec, exec, s[6:7]
	s_cbranch_execnz .LBB603_12
; %bb.13:
	s_or_b64 exec, exec, s[6:7]
.LBB603_14:
	s_or_b64 exec, exec, s[14:15]
	s_and_saveexec_b64 s[0:1], vcc
	s_cbranch_execz .LBB603_16
; %bb.15:
	s_lshl_b64 s[0:1], s[8:9], 3
	s_add_u32 s0, s16, s0
	s_addc_u32 s1, s17, s1
	v_lshlrev_b32_e32 v0, 3, v0
	s_waitcnt vmcnt(0) lgkmcnt(0)
	v_mov_b32_e32 v1, s1
	v_add_co_u32_e32 v0, vcc, s0, v0
	v_addc_co_u32_e32 v1, vcc, 0, v1, vcc
	flat_store_dwordx2 v[0:1], v[3:4]
.LBB603_16:
	s_endpgm
	.section	.rodata,"a",@progbits
	.p2align	6, 0x0
	.amdhsa_kernel _ZN7rocprim17ROCPRIM_400000_NS6detail17trampoline_kernelINS0_14default_configENS1_27upper_bound_config_selectorIN6thrust23THRUST_200600_302600_NS5tupleIiiNS6_9null_typeES8_S8_S8_S8_S8_S8_S8_EElEEZNS1_14transform_implILb0ES3_SA_NS6_6detail15normal_iteratorINS6_7pointerIS9_NS6_11hip_rocprim5par_tENS6_11use_defaultESH_EEEENSD_INSE_IlSG_SH_SH_EEEEZNS1_13binary_searchIS3_SA_NSD_INS6_10device_ptrIS9_EEEESJ_SL_NS1_21upper_bound_search_opENSC_16wrapped_functionINS6_6system6detail7generic6detail18binary_search_lessEbEEEE10hipError_tPvRmT1_T2_T3_mmT4_T5_P12ihipStream_tbEUlRKS9_E_EESY_S12_S13_mS14_S17_bEUlT_E_NS1_11comp_targetILNS1_3genE2ELNS1_11target_archE906ELNS1_3gpuE6ELNS1_3repE0EEENS1_30default_config_static_selectorELNS0_4arch9wavefront6targetE1EEEvS11_
		.amdhsa_group_segment_fixed_size 0
		.amdhsa_private_segment_fixed_size 0
		.amdhsa_kernarg_size 312
		.amdhsa_user_sgpr_count 6
		.amdhsa_user_sgpr_private_segment_buffer 1
		.amdhsa_user_sgpr_dispatch_ptr 0
		.amdhsa_user_sgpr_queue_ptr 0
		.amdhsa_user_sgpr_kernarg_segment_ptr 1
		.amdhsa_user_sgpr_dispatch_id 0
		.amdhsa_user_sgpr_flat_scratch_init 0
		.amdhsa_user_sgpr_private_segment_size 0
		.amdhsa_uses_dynamic_stack 0
		.amdhsa_system_sgpr_private_segment_wavefront_offset 0
		.amdhsa_system_sgpr_workgroup_id_x 1
		.amdhsa_system_sgpr_workgroup_id_y 0
		.amdhsa_system_sgpr_workgroup_id_z 0
		.amdhsa_system_sgpr_workgroup_info 0
		.amdhsa_system_vgpr_workitem_id 0
		.amdhsa_next_free_vgpr 14
		.amdhsa_next_free_sgpr 18
		.amdhsa_reserve_vcc 1
		.amdhsa_reserve_flat_scratch 0
		.amdhsa_float_round_mode_32 0
		.amdhsa_float_round_mode_16_64 0
		.amdhsa_float_denorm_mode_32 3
		.amdhsa_float_denorm_mode_16_64 3
		.amdhsa_dx10_clamp 1
		.amdhsa_ieee_mode 1
		.amdhsa_fp16_overflow 0
		.amdhsa_exception_fp_ieee_invalid_op 0
		.amdhsa_exception_fp_denorm_src 0
		.amdhsa_exception_fp_ieee_div_zero 0
		.amdhsa_exception_fp_ieee_overflow 0
		.amdhsa_exception_fp_ieee_underflow 0
		.amdhsa_exception_fp_ieee_inexact 0
		.amdhsa_exception_int_div_zero 0
	.end_amdhsa_kernel
	.section	.text._ZN7rocprim17ROCPRIM_400000_NS6detail17trampoline_kernelINS0_14default_configENS1_27upper_bound_config_selectorIN6thrust23THRUST_200600_302600_NS5tupleIiiNS6_9null_typeES8_S8_S8_S8_S8_S8_S8_EElEEZNS1_14transform_implILb0ES3_SA_NS6_6detail15normal_iteratorINS6_7pointerIS9_NS6_11hip_rocprim5par_tENS6_11use_defaultESH_EEEENSD_INSE_IlSG_SH_SH_EEEEZNS1_13binary_searchIS3_SA_NSD_INS6_10device_ptrIS9_EEEESJ_SL_NS1_21upper_bound_search_opENSC_16wrapped_functionINS6_6system6detail7generic6detail18binary_search_lessEbEEEE10hipError_tPvRmT1_T2_T3_mmT4_T5_P12ihipStream_tbEUlRKS9_E_EESY_S12_S13_mS14_S17_bEUlT_E_NS1_11comp_targetILNS1_3genE2ELNS1_11target_archE906ELNS1_3gpuE6ELNS1_3repE0EEENS1_30default_config_static_selectorELNS0_4arch9wavefront6targetE1EEEvS11_,"axG",@progbits,_ZN7rocprim17ROCPRIM_400000_NS6detail17trampoline_kernelINS0_14default_configENS1_27upper_bound_config_selectorIN6thrust23THRUST_200600_302600_NS5tupleIiiNS6_9null_typeES8_S8_S8_S8_S8_S8_S8_EElEEZNS1_14transform_implILb0ES3_SA_NS6_6detail15normal_iteratorINS6_7pointerIS9_NS6_11hip_rocprim5par_tENS6_11use_defaultESH_EEEENSD_INSE_IlSG_SH_SH_EEEEZNS1_13binary_searchIS3_SA_NSD_INS6_10device_ptrIS9_EEEESJ_SL_NS1_21upper_bound_search_opENSC_16wrapped_functionINS6_6system6detail7generic6detail18binary_search_lessEbEEEE10hipError_tPvRmT1_T2_T3_mmT4_T5_P12ihipStream_tbEUlRKS9_E_EESY_S12_S13_mS14_S17_bEUlT_E_NS1_11comp_targetILNS1_3genE2ELNS1_11target_archE906ELNS1_3gpuE6ELNS1_3repE0EEENS1_30default_config_static_selectorELNS0_4arch9wavefront6targetE1EEEvS11_,comdat
.Lfunc_end603:
	.size	_ZN7rocprim17ROCPRIM_400000_NS6detail17trampoline_kernelINS0_14default_configENS1_27upper_bound_config_selectorIN6thrust23THRUST_200600_302600_NS5tupleIiiNS6_9null_typeES8_S8_S8_S8_S8_S8_S8_EElEEZNS1_14transform_implILb0ES3_SA_NS6_6detail15normal_iteratorINS6_7pointerIS9_NS6_11hip_rocprim5par_tENS6_11use_defaultESH_EEEENSD_INSE_IlSG_SH_SH_EEEEZNS1_13binary_searchIS3_SA_NSD_INS6_10device_ptrIS9_EEEESJ_SL_NS1_21upper_bound_search_opENSC_16wrapped_functionINS6_6system6detail7generic6detail18binary_search_lessEbEEEE10hipError_tPvRmT1_T2_T3_mmT4_T5_P12ihipStream_tbEUlRKS9_E_EESY_S12_S13_mS14_S17_bEUlT_E_NS1_11comp_targetILNS1_3genE2ELNS1_11target_archE906ELNS1_3gpuE6ELNS1_3repE0EEENS1_30default_config_static_selectorELNS0_4arch9wavefront6targetE1EEEvS11_, .Lfunc_end603-_ZN7rocprim17ROCPRIM_400000_NS6detail17trampoline_kernelINS0_14default_configENS1_27upper_bound_config_selectorIN6thrust23THRUST_200600_302600_NS5tupleIiiNS6_9null_typeES8_S8_S8_S8_S8_S8_S8_EElEEZNS1_14transform_implILb0ES3_SA_NS6_6detail15normal_iteratorINS6_7pointerIS9_NS6_11hip_rocprim5par_tENS6_11use_defaultESH_EEEENSD_INSE_IlSG_SH_SH_EEEEZNS1_13binary_searchIS3_SA_NSD_INS6_10device_ptrIS9_EEEESJ_SL_NS1_21upper_bound_search_opENSC_16wrapped_functionINS6_6system6detail7generic6detail18binary_search_lessEbEEEE10hipError_tPvRmT1_T2_T3_mmT4_T5_P12ihipStream_tbEUlRKS9_E_EESY_S12_S13_mS14_S17_bEUlT_E_NS1_11comp_targetILNS1_3genE2ELNS1_11target_archE906ELNS1_3gpuE6ELNS1_3repE0EEENS1_30default_config_static_selectorELNS0_4arch9wavefront6targetE1EEEvS11_
                                        ; -- End function
	.set _ZN7rocprim17ROCPRIM_400000_NS6detail17trampoline_kernelINS0_14default_configENS1_27upper_bound_config_selectorIN6thrust23THRUST_200600_302600_NS5tupleIiiNS6_9null_typeES8_S8_S8_S8_S8_S8_S8_EElEEZNS1_14transform_implILb0ES3_SA_NS6_6detail15normal_iteratorINS6_7pointerIS9_NS6_11hip_rocprim5par_tENS6_11use_defaultESH_EEEENSD_INSE_IlSG_SH_SH_EEEEZNS1_13binary_searchIS3_SA_NSD_INS6_10device_ptrIS9_EEEESJ_SL_NS1_21upper_bound_search_opENSC_16wrapped_functionINS6_6system6detail7generic6detail18binary_search_lessEbEEEE10hipError_tPvRmT1_T2_T3_mmT4_T5_P12ihipStream_tbEUlRKS9_E_EESY_S12_S13_mS14_S17_bEUlT_E_NS1_11comp_targetILNS1_3genE2ELNS1_11target_archE906ELNS1_3gpuE6ELNS1_3repE0EEENS1_30default_config_static_selectorELNS0_4arch9wavefront6targetE1EEEvS11_.num_vgpr, 14
	.set _ZN7rocprim17ROCPRIM_400000_NS6detail17trampoline_kernelINS0_14default_configENS1_27upper_bound_config_selectorIN6thrust23THRUST_200600_302600_NS5tupleIiiNS6_9null_typeES8_S8_S8_S8_S8_S8_S8_EElEEZNS1_14transform_implILb0ES3_SA_NS6_6detail15normal_iteratorINS6_7pointerIS9_NS6_11hip_rocprim5par_tENS6_11use_defaultESH_EEEENSD_INSE_IlSG_SH_SH_EEEEZNS1_13binary_searchIS3_SA_NSD_INS6_10device_ptrIS9_EEEESJ_SL_NS1_21upper_bound_search_opENSC_16wrapped_functionINS6_6system6detail7generic6detail18binary_search_lessEbEEEE10hipError_tPvRmT1_T2_T3_mmT4_T5_P12ihipStream_tbEUlRKS9_E_EESY_S12_S13_mS14_S17_bEUlT_E_NS1_11comp_targetILNS1_3genE2ELNS1_11target_archE906ELNS1_3gpuE6ELNS1_3repE0EEENS1_30default_config_static_selectorELNS0_4arch9wavefront6targetE1EEEvS11_.num_agpr, 0
	.set _ZN7rocprim17ROCPRIM_400000_NS6detail17trampoline_kernelINS0_14default_configENS1_27upper_bound_config_selectorIN6thrust23THRUST_200600_302600_NS5tupleIiiNS6_9null_typeES8_S8_S8_S8_S8_S8_S8_EElEEZNS1_14transform_implILb0ES3_SA_NS6_6detail15normal_iteratorINS6_7pointerIS9_NS6_11hip_rocprim5par_tENS6_11use_defaultESH_EEEENSD_INSE_IlSG_SH_SH_EEEEZNS1_13binary_searchIS3_SA_NSD_INS6_10device_ptrIS9_EEEESJ_SL_NS1_21upper_bound_search_opENSC_16wrapped_functionINS6_6system6detail7generic6detail18binary_search_lessEbEEEE10hipError_tPvRmT1_T2_T3_mmT4_T5_P12ihipStream_tbEUlRKS9_E_EESY_S12_S13_mS14_S17_bEUlT_E_NS1_11comp_targetILNS1_3genE2ELNS1_11target_archE906ELNS1_3gpuE6ELNS1_3repE0EEENS1_30default_config_static_selectorELNS0_4arch9wavefront6targetE1EEEvS11_.numbered_sgpr, 18
	.set _ZN7rocprim17ROCPRIM_400000_NS6detail17trampoline_kernelINS0_14default_configENS1_27upper_bound_config_selectorIN6thrust23THRUST_200600_302600_NS5tupleIiiNS6_9null_typeES8_S8_S8_S8_S8_S8_S8_EElEEZNS1_14transform_implILb0ES3_SA_NS6_6detail15normal_iteratorINS6_7pointerIS9_NS6_11hip_rocprim5par_tENS6_11use_defaultESH_EEEENSD_INSE_IlSG_SH_SH_EEEEZNS1_13binary_searchIS3_SA_NSD_INS6_10device_ptrIS9_EEEESJ_SL_NS1_21upper_bound_search_opENSC_16wrapped_functionINS6_6system6detail7generic6detail18binary_search_lessEbEEEE10hipError_tPvRmT1_T2_T3_mmT4_T5_P12ihipStream_tbEUlRKS9_E_EESY_S12_S13_mS14_S17_bEUlT_E_NS1_11comp_targetILNS1_3genE2ELNS1_11target_archE906ELNS1_3gpuE6ELNS1_3repE0EEENS1_30default_config_static_selectorELNS0_4arch9wavefront6targetE1EEEvS11_.num_named_barrier, 0
	.set _ZN7rocprim17ROCPRIM_400000_NS6detail17trampoline_kernelINS0_14default_configENS1_27upper_bound_config_selectorIN6thrust23THRUST_200600_302600_NS5tupleIiiNS6_9null_typeES8_S8_S8_S8_S8_S8_S8_EElEEZNS1_14transform_implILb0ES3_SA_NS6_6detail15normal_iteratorINS6_7pointerIS9_NS6_11hip_rocprim5par_tENS6_11use_defaultESH_EEEENSD_INSE_IlSG_SH_SH_EEEEZNS1_13binary_searchIS3_SA_NSD_INS6_10device_ptrIS9_EEEESJ_SL_NS1_21upper_bound_search_opENSC_16wrapped_functionINS6_6system6detail7generic6detail18binary_search_lessEbEEEE10hipError_tPvRmT1_T2_T3_mmT4_T5_P12ihipStream_tbEUlRKS9_E_EESY_S12_S13_mS14_S17_bEUlT_E_NS1_11comp_targetILNS1_3genE2ELNS1_11target_archE906ELNS1_3gpuE6ELNS1_3repE0EEENS1_30default_config_static_selectorELNS0_4arch9wavefront6targetE1EEEvS11_.private_seg_size, 0
	.set _ZN7rocprim17ROCPRIM_400000_NS6detail17trampoline_kernelINS0_14default_configENS1_27upper_bound_config_selectorIN6thrust23THRUST_200600_302600_NS5tupleIiiNS6_9null_typeES8_S8_S8_S8_S8_S8_S8_EElEEZNS1_14transform_implILb0ES3_SA_NS6_6detail15normal_iteratorINS6_7pointerIS9_NS6_11hip_rocprim5par_tENS6_11use_defaultESH_EEEENSD_INSE_IlSG_SH_SH_EEEEZNS1_13binary_searchIS3_SA_NSD_INS6_10device_ptrIS9_EEEESJ_SL_NS1_21upper_bound_search_opENSC_16wrapped_functionINS6_6system6detail7generic6detail18binary_search_lessEbEEEE10hipError_tPvRmT1_T2_T3_mmT4_T5_P12ihipStream_tbEUlRKS9_E_EESY_S12_S13_mS14_S17_bEUlT_E_NS1_11comp_targetILNS1_3genE2ELNS1_11target_archE906ELNS1_3gpuE6ELNS1_3repE0EEENS1_30default_config_static_selectorELNS0_4arch9wavefront6targetE1EEEvS11_.uses_vcc, 1
	.set _ZN7rocprim17ROCPRIM_400000_NS6detail17trampoline_kernelINS0_14default_configENS1_27upper_bound_config_selectorIN6thrust23THRUST_200600_302600_NS5tupleIiiNS6_9null_typeES8_S8_S8_S8_S8_S8_S8_EElEEZNS1_14transform_implILb0ES3_SA_NS6_6detail15normal_iteratorINS6_7pointerIS9_NS6_11hip_rocprim5par_tENS6_11use_defaultESH_EEEENSD_INSE_IlSG_SH_SH_EEEEZNS1_13binary_searchIS3_SA_NSD_INS6_10device_ptrIS9_EEEESJ_SL_NS1_21upper_bound_search_opENSC_16wrapped_functionINS6_6system6detail7generic6detail18binary_search_lessEbEEEE10hipError_tPvRmT1_T2_T3_mmT4_T5_P12ihipStream_tbEUlRKS9_E_EESY_S12_S13_mS14_S17_bEUlT_E_NS1_11comp_targetILNS1_3genE2ELNS1_11target_archE906ELNS1_3gpuE6ELNS1_3repE0EEENS1_30default_config_static_selectorELNS0_4arch9wavefront6targetE1EEEvS11_.uses_flat_scratch, 0
	.set _ZN7rocprim17ROCPRIM_400000_NS6detail17trampoline_kernelINS0_14default_configENS1_27upper_bound_config_selectorIN6thrust23THRUST_200600_302600_NS5tupleIiiNS6_9null_typeES8_S8_S8_S8_S8_S8_S8_EElEEZNS1_14transform_implILb0ES3_SA_NS6_6detail15normal_iteratorINS6_7pointerIS9_NS6_11hip_rocprim5par_tENS6_11use_defaultESH_EEEENSD_INSE_IlSG_SH_SH_EEEEZNS1_13binary_searchIS3_SA_NSD_INS6_10device_ptrIS9_EEEESJ_SL_NS1_21upper_bound_search_opENSC_16wrapped_functionINS6_6system6detail7generic6detail18binary_search_lessEbEEEE10hipError_tPvRmT1_T2_T3_mmT4_T5_P12ihipStream_tbEUlRKS9_E_EESY_S12_S13_mS14_S17_bEUlT_E_NS1_11comp_targetILNS1_3genE2ELNS1_11target_archE906ELNS1_3gpuE6ELNS1_3repE0EEENS1_30default_config_static_selectorELNS0_4arch9wavefront6targetE1EEEvS11_.has_dyn_sized_stack, 0
	.set _ZN7rocprim17ROCPRIM_400000_NS6detail17trampoline_kernelINS0_14default_configENS1_27upper_bound_config_selectorIN6thrust23THRUST_200600_302600_NS5tupleIiiNS6_9null_typeES8_S8_S8_S8_S8_S8_S8_EElEEZNS1_14transform_implILb0ES3_SA_NS6_6detail15normal_iteratorINS6_7pointerIS9_NS6_11hip_rocprim5par_tENS6_11use_defaultESH_EEEENSD_INSE_IlSG_SH_SH_EEEEZNS1_13binary_searchIS3_SA_NSD_INS6_10device_ptrIS9_EEEESJ_SL_NS1_21upper_bound_search_opENSC_16wrapped_functionINS6_6system6detail7generic6detail18binary_search_lessEbEEEE10hipError_tPvRmT1_T2_T3_mmT4_T5_P12ihipStream_tbEUlRKS9_E_EESY_S12_S13_mS14_S17_bEUlT_E_NS1_11comp_targetILNS1_3genE2ELNS1_11target_archE906ELNS1_3gpuE6ELNS1_3repE0EEENS1_30default_config_static_selectorELNS0_4arch9wavefront6targetE1EEEvS11_.has_recursion, 0
	.set _ZN7rocprim17ROCPRIM_400000_NS6detail17trampoline_kernelINS0_14default_configENS1_27upper_bound_config_selectorIN6thrust23THRUST_200600_302600_NS5tupleIiiNS6_9null_typeES8_S8_S8_S8_S8_S8_S8_EElEEZNS1_14transform_implILb0ES3_SA_NS6_6detail15normal_iteratorINS6_7pointerIS9_NS6_11hip_rocprim5par_tENS6_11use_defaultESH_EEEENSD_INSE_IlSG_SH_SH_EEEEZNS1_13binary_searchIS3_SA_NSD_INS6_10device_ptrIS9_EEEESJ_SL_NS1_21upper_bound_search_opENSC_16wrapped_functionINS6_6system6detail7generic6detail18binary_search_lessEbEEEE10hipError_tPvRmT1_T2_T3_mmT4_T5_P12ihipStream_tbEUlRKS9_E_EESY_S12_S13_mS14_S17_bEUlT_E_NS1_11comp_targetILNS1_3genE2ELNS1_11target_archE906ELNS1_3gpuE6ELNS1_3repE0EEENS1_30default_config_static_selectorELNS0_4arch9wavefront6targetE1EEEvS11_.has_indirect_call, 0
	.section	.AMDGPU.csdata,"",@progbits
; Kernel info:
; codeLenInByte = 756
; TotalNumSgprs: 22
; NumVgprs: 14
; ScratchSize: 0
; MemoryBound: 0
; FloatMode: 240
; IeeeMode: 1
; LDSByteSize: 0 bytes/workgroup (compile time only)
; SGPRBlocks: 2
; VGPRBlocks: 3
; NumSGPRsForWavesPerEU: 22
; NumVGPRsForWavesPerEU: 14
; Occupancy: 10
; WaveLimiterHint : 0
; COMPUTE_PGM_RSRC2:SCRATCH_EN: 0
; COMPUTE_PGM_RSRC2:USER_SGPR: 6
; COMPUTE_PGM_RSRC2:TRAP_HANDLER: 0
; COMPUTE_PGM_RSRC2:TGID_X_EN: 1
; COMPUTE_PGM_RSRC2:TGID_Y_EN: 0
; COMPUTE_PGM_RSRC2:TGID_Z_EN: 0
; COMPUTE_PGM_RSRC2:TIDIG_COMP_CNT: 0
	.section	.text._ZN7rocprim17ROCPRIM_400000_NS6detail17trampoline_kernelINS0_14default_configENS1_27upper_bound_config_selectorIN6thrust23THRUST_200600_302600_NS5tupleIiiNS6_9null_typeES8_S8_S8_S8_S8_S8_S8_EElEEZNS1_14transform_implILb0ES3_SA_NS6_6detail15normal_iteratorINS6_7pointerIS9_NS6_11hip_rocprim5par_tENS6_11use_defaultESH_EEEENSD_INSE_IlSG_SH_SH_EEEEZNS1_13binary_searchIS3_SA_NSD_INS6_10device_ptrIS9_EEEESJ_SL_NS1_21upper_bound_search_opENSC_16wrapped_functionINS6_6system6detail7generic6detail18binary_search_lessEbEEEE10hipError_tPvRmT1_T2_T3_mmT4_T5_P12ihipStream_tbEUlRKS9_E_EESY_S12_S13_mS14_S17_bEUlT_E_NS1_11comp_targetILNS1_3genE10ELNS1_11target_archE1201ELNS1_3gpuE5ELNS1_3repE0EEENS1_30default_config_static_selectorELNS0_4arch9wavefront6targetE1EEEvS11_,"axG",@progbits,_ZN7rocprim17ROCPRIM_400000_NS6detail17trampoline_kernelINS0_14default_configENS1_27upper_bound_config_selectorIN6thrust23THRUST_200600_302600_NS5tupleIiiNS6_9null_typeES8_S8_S8_S8_S8_S8_S8_EElEEZNS1_14transform_implILb0ES3_SA_NS6_6detail15normal_iteratorINS6_7pointerIS9_NS6_11hip_rocprim5par_tENS6_11use_defaultESH_EEEENSD_INSE_IlSG_SH_SH_EEEEZNS1_13binary_searchIS3_SA_NSD_INS6_10device_ptrIS9_EEEESJ_SL_NS1_21upper_bound_search_opENSC_16wrapped_functionINS6_6system6detail7generic6detail18binary_search_lessEbEEEE10hipError_tPvRmT1_T2_T3_mmT4_T5_P12ihipStream_tbEUlRKS9_E_EESY_S12_S13_mS14_S17_bEUlT_E_NS1_11comp_targetILNS1_3genE10ELNS1_11target_archE1201ELNS1_3gpuE5ELNS1_3repE0EEENS1_30default_config_static_selectorELNS0_4arch9wavefront6targetE1EEEvS11_,comdat
	.protected	_ZN7rocprim17ROCPRIM_400000_NS6detail17trampoline_kernelINS0_14default_configENS1_27upper_bound_config_selectorIN6thrust23THRUST_200600_302600_NS5tupleIiiNS6_9null_typeES8_S8_S8_S8_S8_S8_S8_EElEEZNS1_14transform_implILb0ES3_SA_NS6_6detail15normal_iteratorINS6_7pointerIS9_NS6_11hip_rocprim5par_tENS6_11use_defaultESH_EEEENSD_INSE_IlSG_SH_SH_EEEEZNS1_13binary_searchIS3_SA_NSD_INS6_10device_ptrIS9_EEEESJ_SL_NS1_21upper_bound_search_opENSC_16wrapped_functionINS6_6system6detail7generic6detail18binary_search_lessEbEEEE10hipError_tPvRmT1_T2_T3_mmT4_T5_P12ihipStream_tbEUlRKS9_E_EESY_S12_S13_mS14_S17_bEUlT_E_NS1_11comp_targetILNS1_3genE10ELNS1_11target_archE1201ELNS1_3gpuE5ELNS1_3repE0EEENS1_30default_config_static_selectorELNS0_4arch9wavefront6targetE1EEEvS11_ ; -- Begin function _ZN7rocprim17ROCPRIM_400000_NS6detail17trampoline_kernelINS0_14default_configENS1_27upper_bound_config_selectorIN6thrust23THRUST_200600_302600_NS5tupleIiiNS6_9null_typeES8_S8_S8_S8_S8_S8_S8_EElEEZNS1_14transform_implILb0ES3_SA_NS6_6detail15normal_iteratorINS6_7pointerIS9_NS6_11hip_rocprim5par_tENS6_11use_defaultESH_EEEENSD_INSE_IlSG_SH_SH_EEEEZNS1_13binary_searchIS3_SA_NSD_INS6_10device_ptrIS9_EEEESJ_SL_NS1_21upper_bound_search_opENSC_16wrapped_functionINS6_6system6detail7generic6detail18binary_search_lessEbEEEE10hipError_tPvRmT1_T2_T3_mmT4_T5_P12ihipStream_tbEUlRKS9_E_EESY_S12_S13_mS14_S17_bEUlT_E_NS1_11comp_targetILNS1_3genE10ELNS1_11target_archE1201ELNS1_3gpuE5ELNS1_3repE0EEENS1_30default_config_static_selectorELNS0_4arch9wavefront6targetE1EEEvS11_
	.globl	_ZN7rocprim17ROCPRIM_400000_NS6detail17trampoline_kernelINS0_14default_configENS1_27upper_bound_config_selectorIN6thrust23THRUST_200600_302600_NS5tupleIiiNS6_9null_typeES8_S8_S8_S8_S8_S8_S8_EElEEZNS1_14transform_implILb0ES3_SA_NS6_6detail15normal_iteratorINS6_7pointerIS9_NS6_11hip_rocprim5par_tENS6_11use_defaultESH_EEEENSD_INSE_IlSG_SH_SH_EEEEZNS1_13binary_searchIS3_SA_NSD_INS6_10device_ptrIS9_EEEESJ_SL_NS1_21upper_bound_search_opENSC_16wrapped_functionINS6_6system6detail7generic6detail18binary_search_lessEbEEEE10hipError_tPvRmT1_T2_T3_mmT4_T5_P12ihipStream_tbEUlRKS9_E_EESY_S12_S13_mS14_S17_bEUlT_E_NS1_11comp_targetILNS1_3genE10ELNS1_11target_archE1201ELNS1_3gpuE5ELNS1_3repE0EEENS1_30default_config_static_selectorELNS0_4arch9wavefront6targetE1EEEvS11_
	.p2align	8
	.type	_ZN7rocprim17ROCPRIM_400000_NS6detail17trampoline_kernelINS0_14default_configENS1_27upper_bound_config_selectorIN6thrust23THRUST_200600_302600_NS5tupleIiiNS6_9null_typeES8_S8_S8_S8_S8_S8_S8_EElEEZNS1_14transform_implILb0ES3_SA_NS6_6detail15normal_iteratorINS6_7pointerIS9_NS6_11hip_rocprim5par_tENS6_11use_defaultESH_EEEENSD_INSE_IlSG_SH_SH_EEEEZNS1_13binary_searchIS3_SA_NSD_INS6_10device_ptrIS9_EEEESJ_SL_NS1_21upper_bound_search_opENSC_16wrapped_functionINS6_6system6detail7generic6detail18binary_search_lessEbEEEE10hipError_tPvRmT1_T2_T3_mmT4_T5_P12ihipStream_tbEUlRKS9_E_EESY_S12_S13_mS14_S17_bEUlT_E_NS1_11comp_targetILNS1_3genE10ELNS1_11target_archE1201ELNS1_3gpuE5ELNS1_3repE0EEENS1_30default_config_static_selectorELNS0_4arch9wavefront6targetE1EEEvS11_,@function
_ZN7rocprim17ROCPRIM_400000_NS6detail17trampoline_kernelINS0_14default_configENS1_27upper_bound_config_selectorIN6thrust23THRUST_200600_302600_NS5tupleIiiNS6_9null_typeES8_S8_S8_S8_S8_S8_S8_EElEEZNS1_14transform_implILb0ES3_SA_NS6_6detail15normal_iteratorINS6_7pointerIS9_NS6_11hip_rocprim5par_tENS6_11use_defaultESH_EEEENSD_INSE_IlSG_SH_SH_EEEEZNS1_13binary_searchIS3_SA_NSD_INS6_10device_ptrIS9_EEEESJ_SL_NS1_21upper_bound_search_opENSC_16wrapped_functionINS6_6system6detail7generic6detail18binary_search_lessEbEEEE10hipError_tPvRmT1_T2_T3_mmT4_T5_P12ihipStream_tbEUlRKS9_E_EESY_S12_S13_mS14_S17_bEUlT_E_NS1_11comp_targetILNS1_3genE10ELNS1_11target_archE1201ELNS1_3gpuE5ELNS1_3repE0EEENS1_30default_config_static_selectorELNS0_4arch9wavefront6targetE1EEEvS11_: ; @_ZN7rocprim17ROCPRIM_400000_NS6detail17trampoline_kernelINS0_14default_configENS1_27upper_bound_config_selectorIN6thrust23THRUST_200600_302600_NS5tupleIiiNS6_9null_typeES8_S8_S8_S8_S8_S8_S8_EElEEZNS1_14transform_implILb0ES3_SA_NS6_6detail15normal_iteratorINS6_7pointerIS9_NS6_11hip_rocprim5par_tENS6_11use_defaultESH_EEEENSD_INSE_IlSG_SH_SH_EEEEZNS1_13binary_searchIS3_SA_NSD_INS6_10device_ptrIS9_EEEESJ_SL_NS1_21upper_bound_search_opENSC_16wrapped_functionINS6_6system6detail7generic6detail18binary_search_lessEbEEEE10hipError_tPvRmT1_T2_T3_mmT4_T5_P12ihipStream_tbEUlRKS9_E_EESY_S12_S13_mS14_S17_bEUlT_E_NS1_11comp_targetILNS1_3genE10ELNS1_11target_archE1201ELNS1_3gpuE5ELNS1_3repE0EEENS1_30default_config_static_selectorELNS0_4arch9wavefront6targetE1EEEvS11_
; %bb.0:
	.section	.rodata,"a",@progbits
	.p2align	6, 0x0
	.amdhsa_kernel _ZN7rocprim17ROCPRIM_400000_NS6detail17trampoline_kernelINS0_14default_configENS1_27upper_bound_config_selectorIN6thrust23THRUST_200600_302600_NS5tupleIiiNS6_9null_typeES8_S8_S8_S8_S8_S8_S8_EElEEZNS1_14transform_implILb0ES3_SA_NS6_6detail15normal_iteratorINS6_7pointerIS9_NS6_11hip_rocprim5par_tENS6_11use_defaultESH_EEEENSD_INSE_IlSG_SH_SH_EEEEZNS1_13binary_searchIS3_SA_NSD_INS6_10device_ptrIS9_EEEESJ_SL_NS1_21upper_bound_search_opENSC_16wrapped_functionINS6_6system6detail7generic6detail18binary_search_lessEbEEEE10hipError_tPvRmT1_T2_T3_mmT4_T5_P12ihipStream_tbEUlRKS9_E_EESY_S12_S13_mS14_S17_bEUlT_E_NS1_11comp_targetILNS1_3genE10ELNS1_11target_archE1201ELNS1_3gpuE5ELNS1_3repE0EEENS1_30default_config_static_selectorELNS0_4arch9wavefront6targetE1EEEvS11_
		.amdhsa_group_segment_fixed_size 0
		.amdhsa_private_segment_fixed_size 0
		.amdhsa_kernarg_size 56
		.amdhsa_user_sgpr_count 6
		.amdhsa_user_sgpr_private_segment_buffer 1
		.amdhsa_user_sgpr_dispatch_ptr 0
		.amdhsa_user_sgpr_queue_ptr 0
		.amdhsa_user_sgpr_kernarg_segment_ptr 1
		.amdhsa_user_sgpr_dispatch_id 0
		.amdhsa_user_sgpr_flat_scratch_init 0
		.amdhsa_user_sgpr_private_segment_size 0
		.amdhsa_uses_dynamic_stack 0
		.amdhsa_system_sgpr_private_segment_wavefront_offset 0
		.amdhsa_system_sgpr_workgroup_id_x 1
		.amdhsa_system_sgpr_workgroup_id_y 0
		.amdhsa_system_sgpr_workgroup_id_z 0
		.amdhsa_system_sgpr_workgroup_info 0
		.amdhsa_system_vgpr_workitem_id 0
		.amdhsa_next_free_vgpr 1
		.amdhsa_next_free_sgpr 0
		.amdhsa_reserve_vcc 0
		.amdhsa_reserve_flat_scratch 0
		.amdhsa_float_round_mode_32 0
		.amdhsa_float_round_mode_16_64 0
		.amdhsa_float_denorm_mode_32 3
		.amdhsa_float_denorm_mode_16_64 3
		.amdhsa_dx10_clamp 1
		.amdhsa_ieee_mode 1
		.amdhsa_fp16_overflow 0
		.amdhsa_exception_fp_ieee_invalid_op 0
		.amdhsa_exception_fp_denorm_src 0
		.amdhsa_exception_fp_ieee_div_zero 0
		.amdhsa_exception_fp_ieee_overflow 0
		.amdhsa_exception_fp_ieee_underflow 0
		.amdhsa_exception_fp_ieee_inexact 0
		.amdhsa_exception_int_div_zero 0
	.end_amdhsa_kernel
	.section	.text._ZN7rocprim17ROCPRIM_400000_NS6detail17trampoline_kernelINS0_14default_configENS1_27upper_bound_config_selectorIN6thrust23THRUST_200600_302600_NS5tupleIiiNS6_9null_typeES8_S8_S8_S8_S8_S8_S8_EElEEZNS1_14transform_implILb0ES3_SA_NS6_6detail15normal_iteratorINS6_7pointerIS9_NS6_11hip_rocprim5par_tENS6_11use_defaultESH_EEEENSD_INSE_IlSG_SH_SH_EEEEZNS1_13binary_searchIS3_SA_NSD_INS6_10device_ptrIS9_EEEESJ_SL_NS1_21upper_bound_search_opENSC_16wrapped_functionINS6_6system6detail7generic6detail18binary_search_lessEbEEEE10hipError_tPvRmT1_T2_T3_mmT4_T5_P12ihipStream_tbEUlRKS9_E_EESY_S12_S13_mS14_S17_bEUlT_E_NS1_11comp_targetILNS1_3genE10ELNS1_11target_archE1201ELNS1_3gpuE5ELNS1_3repE0EEENS1_30default_config_static_selectorELNS0_4arch9wavefront6targetE1EEEvS11_,"axG",@progbits,_ZN7rocprim17ROCPRIM_400000_NS6detail17trampoline_kernelINS0_14default_configENS1_27upper_bound_config_selectorIN6thrust23THRUST_200600_302600_NS5tupleIiiNS6_9null_typeES8_S8_S8_S8_S8_S8_S8_EElEEZNS1_14transform_implILb0ES3_SA_NS6_6detail15normal_iteratorINS6_7pointerIS9_NS6_11hip_rocprim5par_tENS6_11use_defaultESH_EEEENSD_INSE_IlSG_SH_SH_EEEEZNS1_13binary_searchIS3_SA_NSD_INS6_10device_ptrIS9_EEEESJ_SL_NS1_21upper_bound_search_opENSC_16wrapped_functionINS6_6system6detail7generic6detail18binary_search_lessEbEEEE10hipError_tPvRmT1_T2_T3_mmT4_T5_P12ihipStream_tbEUlRKS9_E_EESY_S12_S13_mS14_S17_bEUlT_E_NS1_11comp_targetILNS1_3genE10ELNS1_11target_archE1201ELNS1_3gpuE5ELNS1_3repE0EEENS1_30default_config_static_selectorELNS0_4arch9wavefront6targetE1EEEvS11_,comdat
.Lfunc_end604:
	.size	_ZN7rocprim17ROCPRIM_400000_NS6detail17trampoline_kernelINS0_14default_configENS1_27upper_bound_config_selectorIN6thrust23THRUST_200600_302600_NS5tupleIiiNS6_9null_typeES8_S8_S8_S8_S8_S8_S8_EElEEZNS1_14transform_implILb0ES3_SA_NS6_6detail15normal_iteratorINS6_7pointerIS9_NS6_11hip_rocprim5par_tENS6_11use_defaultESH_EEEENSD_INSE_IlSG_SH_SH_EEEEZNS1_13binary_searchIS3_SA_NSD_INS6_10device_ptrIS9_EEEESJ_SL_NS1_21upper_bound_search_opENSC_16wrapped_functionINS6_6system6detail7generic6detail18binary_search_lessEbEEEE10hipError_tPvRmT1_T2_T3_mmT4_T5_P12ihipStream_tbEUlRKS9_E_EESY_S12_S13_mS14_S17_bEUlT_E_NS1_11comp_targetILNS1_3genE10ELNS1_11target_archE1201ELNS1_3gpuE5ELNS1_3repE0EEENS1_30default_config_static_selectorELNS0_4arch9wavefront6targetE1EEEvS11_, .Lfunc_end604-_ZN7rocprim17ROCPRIM_400000_NS6detail17trampoline_kernelINS0_14default_configENS1_27upper_bound_config_selectorIN6thrust23THRUST_200600_302600_NS5tupleIiiNS6_9null_typeES8_S8_S8_S8_S8_S8_S8_EElEEZNS1_14transform_implILb0ES3_SA_NS6_6detail15normal_iteratorINS6_7pointerIS9_NS6_11hip_rocprim5par_tENS6_11use_defaultESH_EEEENSD_INSE_IlSG_SH_SH_EEEEZNS1_13binary_searchIS3_SA_NSD_INS6_10device_ptrIS9_EEEESJ_SL_NS1_21upper_bound_search_opENSC_16wrapped_functionINS6_6system6detail7generic6detail18binary_search_lessEbEEEE10hipError_tPvRmT1_T2_T3_mmT4_T5_P12ihipStream_tbEUlRKS9_E_EESY_S12_S13_mS14_S17_bEUlT_E_NS1_11comp_targetILNS1_3genE10ELNS1_11target_archE1201ELNS1_3gpuE5ELNS1_3repE0EEENS1_30default_config_static_selectorELNS0_4arch9wavefront6targetE1EEEvS11_
                                        ; -- End function
	.set _ZN7rocprim17ROCPRIM_400000_NS6detail17trampoline_kernelINS0_14default_configENS1_27upper_bound_config_selectorIN6thrust23THRUST_200600_302600_NS5tupleIiiNS6_9null_typeES8_S8_S8_S8_S8_S8_S8_EElEEZNS1_14transform_implILb0ES3_SA_NS6_6detail15normal_iteratorINS6_7pointerIS9_NS6_11hip_rocprim5par_tENS6_11use_defaultESH_EEEENSD_INSE_IlSG_SH_SH_EEEEZNS1_13binary_searchIS3_SA_NSD_INS6_10device_ptrIS9_EEEESJ_SL_NS1_21upper_bound_search_opENSC_16wrapped_functionINS6_6system6detail7generic6detail18binary_search_lessEbEEEE10hipError_tPvRmT1_T2_T3_mmT4_T5_P12ihipStream_tbEUlRKS9_E_EESY_S12_S13_mS14_S17_bEUlT_E_NS1_11comp_targetILNS1_3genE10ELNS1_11target_archE1201ELNS1_3gpuE5ELNS1_3repE0EEENS1_30default_config_static_selectorELNS0_4arch9wavefront6targetE1EEEvS11_.num_vgpr, 0
	.set _ZN7rocprim17ROCPRIM_400000_NS6detail17trampoline_kernelINS0_14default_configENS1_27upper_bound_config_selectorIN6thrust23THRUST_200600_302600_NS5tupleIiiNS6_9null_typeES8_S8_S8_S8_S8_S8_S8_EElEEZNS1_14transform_implILb0ES3_SA_NS6_6detail15normal_iteratorINS6_7pointerIS9_NS6_11hip_rocprim5par_tENS6_11use_defaultESH_EEEENSD_INSE_IlSG_SH_SH_EEEEZNS1_13binary_searchIS3_SA_NSD_INS6_10device_ptrIS9_EEEESJ_SL_NS1_21upper_bound_search_opENSC_16wrapped_functionINS6_6system6detail7generic6detail18binary_search_lessEbEEEE10hipError_tPvRmT1_T2_T3_mmT4_T5_P12ihipStream_tbEUlRKS9_E_EESY_S12_S13_mS14_S17_bEUlT_E_NS1_11comp_targetILNS1_3genE10ELNS1_11target_archE1201ELNS1_3gpuE5ELNS1_3repE0EEENS1_30default_config_static_selectorELNS0_4arch9wavefront6targetE1EEEvS11_.num_agpr, 0
	.set _ZN7rocprim17ROCPRIM_400000_NS6detail17trampoline_kernelINS0_14default_configENS1_27upper_bound_config_selectorIN6thrust23THRUST_200600_302600_NS5tupleIiiNS6_9null_typeES8_S8_S8_S8_S8_S8_S8_EElEEZNS1_14transform_implILb0ES3_SA_NS6_6detail15normal_iteratorINS6_7pointerIS9_NS6_11hip_rocprim5par_tENS6_11use_defaultESH_EEEENSD_INSE_IlSG_SH_SH_EEEEZNS1_13binary_searchIS3_SA_NSD_INS6_10device_ptrIS9_EEEESJ_SL_NS1_21upper_bound_search_opENSC_16wrapped_functionINS6_6system6detail7generic6detail18binary_search_lessEbEEEE10hipError_tPvRmT1_T2_T3_mmT4_T5_P12ihipStream_tbEUlRKS9_E_EESY_S12_S13_mS14_S17_bEUlT_E_NS1_11comp_targetILNS1_3genE10ELNS1_11target_archE1201ELNS1_3gpuE5ELNS1_3repE0EEENS1_30default_config_static_selectorELNS0_4arch9wavefront6targetE1EEEvS11_.numbered_sgpr, 0
	.set _ZN7rocprim17ROCPRIM_400000_NS6detail17trampoline_kernelINS0_14default_configENS1_27upper_bound_config_selectorIN6thrust23THRUST_200600_302600_NS5tupleIiiNS6_9null_typeES8_S8_S8_S8_S8_S8_S8_EElEEZNS1_14transform_implILb0ES3_SA_NS6_6detail15normal_iteratorINS6_7pointerIS9_NS6_11hip_rocprim5par_tENS6_11use_defaultESH_EEEENSD_INSE_IlSG_SH_SH_EEEEZNS1_13binary_searchIS3_SA_NSD_INS6_10device_ptrIS9_EEEESJ_SL_NS1_21upper_bound_search_opENSC_16wrapped_functionINS6_6system6detail7generic6detail18binary_search_lessEbEEEE10hipError_tPvRmT1_T2_T3_mmT4_T5_P12ihipStream_tbEUlRKS9_E_EESY_S12_S13_mS14_S17_bEUlT_E_NS1_11comp_targetILNS1_3genE10ELNS1_11target_archE1201ELNS1_3gpuE5ELNS1_3repE0EEENS1_30default_config_static_selectorELNS0_4arch9wavefront6targetE1EEEvS11_.num_named_barrier, 0
	.set _ZN7rocprim17ROCPRIM_400000_NS6detail17trampoline_kernelINS0_14default_configENS1_27upper_bound_config_selectorIN6thrust23THRUST_200600_302600_NS5tupleIiiNS6_9null_typeES8_S8_S8_S8_S8_S8_S8_EElEEZNS1_14transform_implILb0ES3_SA_NS6_6detail15normal_iteratorINS6_7pointerIS9_NS6_11hip_rocprim5par_tENS6_11use_defaultESH_EEEENSD_INSE_IlSG_SH_SH_EEEEZNS1_13binary_searchIS3_SA_NSD_INS6_10device_ptrIS9_EEEESJ_SL_NS1_21upper_bound_search_opENSC_16wrapped_functionINS6_6system6detail7generic6detail18binary_search_lessEbEEEE10hipError_tPvRmT1_T2_T3_mmT4_T5_P12ihipStream_tbEUlRKS9_E_EESY_S12_S13_mS14_S17_bEUlT_E_NS1_11comp_targetILNS1_3genE10ELNS1_11target_archE1201ELNS1_3gpuE5ELNS1_3repE0EEENS1_30default_config_static_selectorELNS0_4arch9wavefront6targetE1EEEvS11_.private_seg_size, 0
	.set _ZN7rocprim17ROCPRIM_400000_NS6detail17trampoline_kernelINS0_14default_configENS1_27upper_bound_config_selectorIN6thrust23THRUST_200600_302600_NS5tupleIiiNS6_9null_typeES8_S8_S8_S8_S8_S8_S8_EElEEZNS1_14transform_implILb0ES3_SA_NS6_6detail15normal_iteratorINS6_7pointerIS9_NS6_11hip_rocprim5par_tENS6_11use_defaultESH_EEEENSD_INSE_IlSG_SH_SH_EEEEZNS1_13binary_searchIS3_SA_NSD_INS6_10device_ptrIS9_EEEESJ_SL_NS1_21upper_bound_search_opENSC_16wrapped_functionINS6_6system6detail7generic6detail18binary_search_lessEbEEEE10hipError_tPvRmT1_T2_T3_mmT4_T5_P12ihipStream_tbEUlRKS9_E_EESY_S12_S13_mS14_S17_bEUlT_E_NS1_11comp_targetILNS1_3genE10ELNS1_11target_archE1201ELNS1_3gpuE5ELNS1_3repE0EEENS1_30default_config_static_selectorELNS0_4arch9wavefront6targetE1EEEvS11_.uses_vcc, 0
	.set _ZN7rocprim17ROCPRIM_400000_NS6detail17trampoline_kernelINS0_14default_configENS1_27upper_bound_config_selectorIN6thrust23THRUST_200600_302600_NS5tupleIiiNS6_9null_typeES8_S8_S8_S8_S8_S8_S8_EElEEZNS1_14transform_implILb0ES3_SA_NS6_6detail15normal_iteratorINS6_7pointerIS9_NS6_11hip_rocprim5par_tENS6_11use_defaultESH_EEEENSD_INSE_IlSG_SH_SH_EEEEZNS1_13binary_searchIS3_SA_NSD_INS6_10device_ptrIS9_EEEESJ_SL_NS1_21upper_bound_search_opENSC_16wrapped_functionINS6_6system6detail7generic6detail18binary_search_lessEbEEEE10hipError_tPvRmT1_T2_T3_mmT4_T5_P12ihipStream_tbEUlRKS9_E_EESY_S12_S13_mS14_S17_bEUlT_E_NS1_11comp_targetILNS1_3genE10ELNS1_11target_archE1201ELNS1_3gpuE5ELNS1_3repE0EEENS1_30default_config_static_selectorELNS0_4arch9wavefront6targetE1EEEvS11_.uses_flat_scratch, 0
	.set _ZN7rocprim17ROCPRIM_400000_NS6detail17trampoline_kernelINS0_14default_configENS1_27upper_bound_config_selectorIN6thrust23THRUST_200600_302600_NS5tupleIiiNS6_9null_typeES8_S8_S8_S8_S8_S8_S8_EElEEZNS1_14transform_implILb0ES3_SA_NS6_6detail15normal_iteratorINS6_7pointerIS9_NS6_11hip_rocprim5par_tENS6_11use_defaultESH_EEEENSD_INSE_IlSG_SH_SH_EEEEZNS1_13binary_searchIS3_SA_NSD_INS6_10device_ptrIS9_EEEESJ_SL_NS1_21upper_bound_search_opENSC_16wrapped_functionINS6_6system6detail7generic6detail18binary_search_lessEbEEEE10hipError_tPvRmT1_T2_T3_mmT4_T5_P12ihipStream_tbEUlRKS9_E_EESY_S12_S13_mS14_S17_bEUlT_E_NS1_11comp_targetILNS1_3genE10ELNS1_11target_archE1201ELNS1_3gpuE5ELNS1_3repE0EEENS1_30default_config_static_selectorELNS0_4arch9wavefront6targetE1EEEvS11_.has_dyn_sized_stack, 0
	.set _ZN7rocprim17ROCPRIM_400000_NS6detail17trampoline_kernelINS0_14default_configENS1_27upper_bound_config_selectorIN6thrust23THRUST_200600_302600_NS5tupleIiiNS6_9null_typeES8_S8_S8_S8_S8_S8_S8_EElEEZNS1_14transform_implILb0ES3_SA_NS6_6detail15normal_iteratorINS6_7pointerIS9_NS6_11hip_rocprim5par_tENS6_11use_defaultESH_EEEENSD_INSE_IlSG_SH_SH_EEEEZNS1_13binary_searchIS3_SA_NSD_INS6_10device_ptrIS9_EEEESJ_SL_NS1_21upper_bound_search_opENSC_16wrapped_functionINS6_6system6detail7generic6detail18binary_search_lessEbEEEE10hipError_tPvRmT1_T2_T3_mmT4_T5_P12ihipStream_tbEUlRKS9_E_EESY_S12_S13_mS14_S17_bEUlT_E_NS1_11comp_targetILNS1_3genE10ELNS1_11target_archE1201ELNS1_3gpuE5ELNS1_3repE0EEENS1_30default_config_static_selectorELNS0_4arch9wavefront6targetE1EEEvS11_.has_recursion, 0
	.set _ZN7rocprim17ROCPRIM_400000_NS6detail17trampoline_kernelINS0_14default_configENS1_27upper_bound_config_selectorIN6thrust23THRUST_200600_302600_NS5tupleIiiNS6_9null_typeES8_S8_S8_S8_S8_S8_S8_EElEEZNS1_14transform_implILb0ES3_SA_NS6_6detail15normal_iteratorINS6_7pointerIS9_NS6_11hip_rocprim5par_tENS6_11use_defaultESH_EEEENSD_INSE_IlSG_SH_SH_EEEEZNS1_13binary_searchIS3_SA_NSD_INS6_10device_ptrIS9_EEEESJ_SL_NS1_21upper_bound_search_opENSC_16wrapped_functionINS6_6system6detail7generic6detail18binary_search_lessEbEEEE10hipError_tPvRmT1_T2_T3_mmT4_T5_P12ihipStream_tbEUlRKS9_E_EESY_S12_S13_mS14_S17_bEUlT_E_NS1_11comp_targetILNS1_3genE10ELNS1_11target_archE1201ELNS1_3gpuE5ELNS1_3repE0EEENS1_30default_config_static_selectorELNS0_4arch9wavefront6targetE1EEEvS11_.has_indirect_call, 0
	.section	.AMDGPU.csdata,"",@progbits
; Kernel info:
; codeLenInByte = 0
; TotalNumSgprs: 4
; NumVgprs: 0
; ScratchSize: 0
; MemoryBound: 0
; FloatMode: 240
; IeeeMode: 1
; LDSByteSize: 0 bytes/workgroup (compile time only)
; SGPRBlocks: 0
; VGPRBlocks: 0
; NumSGPRsForWavesPerEU: 4
; NumVGPRsForWavesPerEU: 1
; Occupancy: 10
; WaveLimiterHint : 0
; COMPUTE_PGM_RSRC2:SCRATCH_EN: 0
; COMPUTE_PGM_RSRC2:USER_SGPR: 6
; COMPUTE_PGM_RSRC2:TRAP_HANDLER: 0
; COMPUTE_PGM_RSRC2:TGID_X_EN: 1
; COMPUTE_PGM_RSRC2:TGID_Y_EN: 0
; COMPUTE_PGM_RSRC2:TGID_Z_EN: 0
; COMPUTE_PGM_RSRC2:TIDIG_COMP_CNT: 0
	.section	.text._ZN7rocprim17ROCPRIM_400000_NS6detail17trampoline_kernelINS0_14default_configENS1_27upper_bound_config_selectorIN6thrust23THRUST_200600_302600_NS5tupleIiiNS6_9null_typeES8_S8_S8_S8_S8_S8_S8_EElEEZNS1_14transform_implILb0ES3_SA_NS6_6detail15normal_iteratorINS6_7pointerIS9_NS6_11hip_rocprim5par_tENS6_11use_defaultESH_EEEENSD_INSE_IlSG_SH_SH_EEEEZNS1_13binary_searchIS3_SA_NSD_INS6_10device_ptrIS9_EEEESJ_SL_NS1_21upper_bound_search_opENSC_16wrapped_functionINS6_6system6detail7generic6detail18binary_search_lessEbEEEE10hipError_tPvRmT1_T2_T3_mmT4_T5_P12ihipStream_tbEUlRKS9_E_EESY_S12_S13_mS14_S17_bEUlT_E_NS1_11comp_targetILNS1_3genE10ELNS1_11target_archE1200ELNS1_3gpuE4ELNS1_3repE0EEENS1_30default_config_static_selectorELNS0_4arch9wavefront6targetE1EEEvS11_,"axG",@progbits,_ZN7rocprim17ROCPRIM_400000_NS6detail17trampoline_kernelINS0_14default_configENS1_27upper_bound_config_selectorIN6thrust23THRUST_200600_302600_NS5tupleIiiNS6_9null_typeES8_S8_S8_S8_S8_S8_S8_EElEEZNS1_14transform_implILb0ES3_SA_NS6_6detail15normal_iteratorINS6_7pointerIS9_NS6_11hip_rocprim5par_tENS6_11use_defaultESH_EEEENSD_INSE_IlSG_SH_SH_EEEEZNS1_13binary_searchIS3_SA_NSD_INS6_10device_ptrIS9_EEEESJ_SL_NS1_21upper_bound_search_opENSC_16wrapped_functionINS6_6system6detail7generic6detail18binary_search_lessEbEEEE10hipError_tPvRmT1_T2_T3_mmT4_T5_P12ihipStream_tbEUlRKS9_E_EESY_S12_S13_mS14_S17_bEUlT_E_NS1_11comp_targetILNS1_3genE10ELNS1_11target_archE1200ELNS1_3gpuE4ELNS1_3repE0EEENS1_30default_config_static_selectorELNS0_4arch9wavefront6targetE1EEEvS11_,comdat
	.protected	_ZN7rocprim17ROCPRIM_400000_NS6detail17trampoline_kernelINS0_14default_configENS1_27upper_bound_config_selectorIN6thrust23THRUST_200600_302600_NS5tupleIiiNS6_9null_typeES8_S8_S8_S8_S8_S8_S8_EElEEZNS1_14transform_implILb0ES3_SA_NS6_6detail15normal_iteratorINS6_7pointerIS9_NS6_11hip_rocprim5par_tENS6_11use_defaultESH_EEEENSD_INSE_IlSG_SH_SH_EEEEZNS1_13binary_searchIS3_SA_NSD_INS6_10device_ptrIS9_EEEESJ_SL_NS1_21upper_bound_search_opENSC_16wrapped_functionINS6_6system6detail7generic6detail18binary_search_lessEbEEEE10hipError_tPvRmT1_T2_T3_mmT4_T5_P12ihipStream_tbEUlRKS9_E_EESY_S12_S13_mS14_S17_bEUlT_E_NS1_11comp_targetILNS1_3genE10ELNS1_11target_archE1200ELNS1_3gpuE4ELNS1_3repE0EEENS1_30default_config_static_selectorELNS0_4arch9wavefront6targetE1EEEvS11_ ; -- Begin function _ZN7rocprim17ROCPRIM_400000_NS6detail17trampoline_kernelINS0_14default_configENS1_27upper_bound_config_selectorIN6thrust23THRUST_200600_302600_NS5tupleIiiNS6_9null_typeES8_S8_S8_S8_S8_S8_S8_EElEEZNS1_14transform_implILb0ES3_SA_NS6_6detail15normal_iteratorINS6_7pointerIS9_NS6_11hip_rocprim5par_tENS6_11use_defaultESH_EEEENSD_INSE_IlSG_SH_SH_EEEEZNS1_13binary_searchIS3_SA_NSD_INS6_10device_ptrIS9_EEEESJ_SL_NS1_21upper_bound_search_opENSC_16wrapped_functionINS6_6system6detail7generic6detail18binary_search_lessEbEEEE10hipError_tPvRmT1_T2_T3_mmT4_T5_P12ihipStream_tbEUlRKS9_E_EESY_S12_S13_mS14_S17_bEUlT_E_NS1_11comp_targetILNS1_3genE10ELNS1_11target_archE1200ELNS1_3gpuE4ELNS1_3repE0EEENS1_30default_config_static_selectorELNS0_4arch9wavefront6targetE1EEEvS11_
	.globl	_ZN7rocprim17ROCPRIM_400000_NS6detail17trampoline_kernelINS0_14default_configENS1_27upper_bound_config_selectorIN6thrust23THRUST_200600_302600_NS5tupleIiiNS6_9null_typeES8_S8_S8_S8_S8_S8_S8_EElEEZNS1_14transform_implILb0ES3_SA_NS6_6detail15normal_iteratorINS6_7pointerIS9_NS6_11hip_rocprim5par_tENS6_11use_defaultESH_EEEENSD_INSE_IlSG_SH_SH_EEEEZNS1_13binary_searchIS3_SA_NSD_INS6_10device_ptrIS9_EEEESJ_SL_NS1_21upper_bound_search_opENSC_16wrapped_functionINS6_6system6detail7generic6detail18binary_search_lessEbEEEE10hipError_tPvRmT1_T2_T3_mmT4_T5_P12ihipStream_tbEUlRKS9_E_EESY_S12_S13_mS14_S17_bEUlT_E_NS1_11comp_targetILNS1_3genE10ELNS1_11target_archE1200ELNS1_3gpuE4ELNS1_3repE0EEENS1_30default_config_static_selectorELNS0_4arch9wavefront6targetE1EEEvS11_
	.p2align	8
	.type	_ZN7rocprim17ROCPRIM_400000_NS6detail17trampoline_kernelINS0_14default_configENS1_27upper_bound_config_selectorIN6thrust23THRUST_200600_302600_NS5tupleIiiNS6_9null_typeES8_S8_S8_S8_S8_S8_S8_EElEEZNS1_14transform_implILb0ES3_SA_NS6_6detail15normal_iteratorINS6_7pointerIS9_NS6_11hip_rocprim5par_tENS6_11use_defaultESH_EEEENSD_INSE_IlSG_SH_SH_EEEEZNS1_13binary_searchIS3_SA_NSD_INS6_10device_ptrIS9_EEEESJ_SL_NS1_21upper_bound_search_opENSC_16wrapped_functionINS6_6system6detail7generic6detail18binary_search_lessEbEEEE10hipError_tPvRmT1_T2_T3_mmT4_T5_P12ihipStream_tbEUlRKS9_E_EESY_S12_S13_mS14_S17_bEUlT_E_NS1_11comp_targetILNS1_3genE10ELNS1_11target_archE1200ELNS1_3gpuE4ELNS1_3repE0EEENS1_30default_config_static_selectorELNS0_4arch9wavefront6targetE1EEEvS11_,@function
_ZN7rocprim17ROCPRIM_400000_NS6detail17trampoline_kernelINS0_14default_configENS1_27upper_bound_config_selectorIN6thrust23THRUST_200600_302600_NS5tupleIiiNS6_9null_typeES8_S8_S8_S8_S8_S8_S8_EElEEZNS1_14transform_implILb0ES3_SA_NS6_6detail15normal_iteratorINS6_7pointerIS9_NS6_11hip_rocprim5par_tENS6_11use_defaultESH_EEEENSD_INSE_IlSG_SH_SH_EEEEZNS1_13binary_searchIS3_SA_NSD_INS6_10device_ptrIS9_EEEESJ_SL_NS1_21upper_bound_search_opENSC_16wrapped_functionINS6_6system6detail7generic6detail18binary_search_lessEbEEEE10hipError_tPvRmT1_T2_T3_mmT4_T5_P12ihipStream_tbEUlRKS9_E_EESY_S12_S13_mS14_S17_bEUlT_E_NS1_11comp_targetILNS1_3genE10ELNS1_11target_archE1200ELNS1_3gpuE4ELNS1_3repE0EEENS1_30default_config_static_selectorELNS0_4arch9wavefront6targetE1EEEvS11_: ; @_ZN7rocprim17ROCPRIM_400000_NS6detail17trampoline_kernelINS0_14default_configENS1_27upper_bound_config_selectorIN6thrust23THRUST_200600_302600_NS5tupleIiiNS6_9null_typeES8_S8_S8_S8_S8_S8_S8_EElEEZNS1_14transform_implILb0ES3_SA_NS6_6detail15normal_iteratorINS6_7pointerIS9_NS6_11hip_rocprim5par_tENS6_11use_defaultESH_EEEENSD_INSE_IlSG_SH_SH_EEEEZNS1_13binary_searchIS3_SA_NSD_INS6_10device_ptrIS9_EEEESJ_SL_NS1_21upper_bound_search_opENSC_16wrapped_functionINS6_6system6detail7generic6detail18binary_search_lessEbEEEE10hipError_tPvRmT1_T2_T3_mmT4_T5_P12ihipStream_tbEUlRKS9_E_EESY_S12_S13_mS14_S17_bEUlT_E_NS1_11comp_targetILNS1_3genE10ELNS1_11target_archE1200ELNS1_3gpuE4ELNS1_3repE0EEENS1_30default_config_static_selectorELNS0_4arch9wavefront6targetE1EEEvS11_
; %bb.0:
	.section	.rodata,"a",@progbits
	.p2align	6, 0x0
	.amdhsa_kernel _ZN7rocprim17ROCPRIM_400000_NS6detail17trampoline_kernelINS0_14default_configENS1_27upper_bound_config_selectorIN6thrust23THRUST_200600_302600_NS5tupleIiiNS6_9null_typeES8_S8_S8_S8_S8_S8_S8_EElEEZNS1_14transform_implILb0ES3_SA_NS6_6detail15normal_iteratorINS6_7pointerIS9_NS6_11hip_rocprim5par_tENS6_11use_defaultESH_EEEENSD_INSE_IlSG_SH_SH_EEEEZNS1_13binary_searchIS3_SA_NSD_INS6_10device_ptrIS9_EEEESJ_SL_NS1_21upper_bound_search_opENSC_16wrapped_functionINS6_6system6detail7generic6detail18binary_search_lessEbEEEE10hipError_tPvRmT1_T2_T3_mmT4_T5_P12ihipStream_tbEUlRKS9_E_EESY_S12_S13_mS14_S17_bEUlT_E_NS1_11comp_targetILNS1_3genE10ELNS1_11target_archE1200ELNS1_3gpuE4ELNS1_3repE0EEENS1_30default_config_static_selectorELNS0_4arch9wavefront6targetE1EEEvS11_
		.amdhsa_group_segment_fixed_size 0
		.amdhsa_private_segment_fixed_size 0
		.amdhsa_kernarg_size 56
		.amdhsa_user_sgpr_count 6
		.amdhsa_user_sgpr_private_segment_buffer 1
		.amdhsa_user_sgpr_dispatch_ptr 0
		.amdhsa_user_sgpr_queue_ptr 0
		.amdhsa_user_sgpr_kernarg_segment_ptr 1
		.amdhsa_user_sgpr_dispatch_id 0
		.amdhsa_user_sgpr_flat_scratch_init 0
		.amdhsa_user_sgpr_private_segment_size 0
		.amdhsa_uses_dynamic_stack 0
		.amdhsa_system_sgpr_private_segment_wavefront_offset 0
		.amdhsa_system_sgpr_workgroup_id_x 1
		.amdhsa_system_sgpr_workgroup_id_y 0
		.amdhsa_system_sgpr_workgroup_id_z 0
		.amdhsa_system_sgpr_workgroup_info 0
		.amdhsa_system_vgpr_workitem_id 0
		.amdhsa_next_free_vgpr 1
		.amdhsa_next_free_sgpr 0
		.amdhsa_reserve_vcc 0
		.amdhsa_reserve_flat_scratch 0
		.amdhsa_float_round_mode_32 0
		.amdhsa_float_round_mode_16_64 0
		.amdhsa_float_denorm_mode_32 3
		.amdhsa_float_denorm_mode_16_64 3
		.amdhsa_dx10_clamp 1
		.amdhsa_ieee_mode 1
		.amdhsa_fp16_overflow 0
		.amdhsa_exception_fp_ieee_invalid_op 0
		.amdhsa_exception_fp_denorm_src 0
		.amdhsa_exception_fp_ieee_div_zero 0
		.amdhsa_exception_fp_ieee_overflow 0
		.amdhsa_exception_fp_ieee_underflow 0
		.amdhsa_exception_fp_ieee_inexact 0
		.amdhsa_exception_int_div_zero 0
	.end_amdhsa_kernel
	.section	.text._ZN7rocprim17ROCPRIM_400000_NS6detail17trampoline_kernelINS0_14default_configENS1_27upper_bound_config_selectorIN6thrust23THRUST_200600_302600_NS5tupleIiiNS6_9null_typeES8_S8_S8_S8_S8_S8_S8_EElEEZNS1_14transform_implILb0ES3_SA_NS6_6detail15normal_iteratorINS6_7pointerIS9_NS6_11hip_rocprim5par_tENS6_11use_defaultESH_EEEENSD_INSE_IlSG_SH_SH_EEEEZNS1_13binary_searchIS3_SA_NSD_INS6_10device_ptrIS9_EEEESJ_SL_NS1_21upper_bound_search_opENSC_16wrapped_functionINS6_6system6detail7generic6detail18binary_search_lessEbEEEE10hipError_tPvRmT1_T2_T3_mmT4_T5_P12ihipStream_tbEUlRKS9_E_EESY_S12_S13_mS14_S17_bEUlT_E_NS1_11comp_targetILNS1_3genE10ELNS1_11target_archE1200ELNS1_3gpuE4ELNS1_3repE0EEENS1_30default_config_static_selectorELNS0_4arch9wavefront6targetE1EEEvS11_,"axG",@progbits,_ZN7rocprim17ROCPRIM_400000_NS6detail17trampoline_kernelINS0_14default_configENS1_27upper_bound_config_selectorIN6thrust23THRUST_200600_302600_NS5tupleIiiNS6_9null_typeES8_S8_S8_S8_S8_S8_S8_EElEEZNS1_14transform_implILb0ES3_SA_NS6_6detail15normal_iteratorINS6_7pointerIS9_NS6_11hip_rocprim5par_tENS6_11use_defaultESH_EEEENSD_INSE_IlSG_SH_SH_EEEEZNS1_13binary_searchIS3_SA_NSD_INS6_10device_ptrIS9_EEEESJ_SL_NS1_21upper_bound_search_opENSC_16wrapped_functionINS6_6system6detail7generic6detail18binary_search_lessEbEEEE10hipError_tPvRmT1_T2_T3_mmT4_T5_P12ihipStream_tbEUlRKS9_E_EESY_S12_S13_mS14_S17_bEUlT_E_NS1_11comp_targetILNS1_3genE10ELNS1_11target_archE1200ELNS1_3gpuE4ELNS1_3repE0EEENS1_30default_config_static_selectorELNS0_4arch9wavefront6targetE1EEEvS11_,comdat
.Lfunc_end605:
	.size	_ZN7rocprim17ROCPRIM_400000_NS6detail17trampoline_kernelINS0_14default_configENS1_27upper_bound_config_selectorIN6thrust23THRUST_200600_302600_NS5tupleIiiNS6_9null_typeES8_S8_S8_S8_S8_S8_S8_EElEEZNS1_14transform_implILb0ES3_SA_NS6_6detail15normal_iteratorINS6_7pointerIS9_NS6_11hip_rocprim5par_tENS6_11use_defaultESH_EEEENSD_INSE_IlSG_SH_SH_EEEEZNS1_13binary_searchIS3_SA_NSD_INS6_10device_ptrIS9_EEEESJ_SL_NS1_21upper_bound_search_opENSC_16wrapped_functionINS6_6system6detail7generic6detail18binary_search_lessEbEEEE10hipError_tPvRmT1_T2_T3_mmT4_T5_P12ihipStream_tbEUlRKS9_E_EESY_S12_S13_mS14_S17_bEUlT_E_NS1_11comp_targetILNS1_3genE10ELNS1_11target_archE1200ELNS1_3gpuE4ELNS1_3repE0EEENS1_30default_config_static_selectorELNS0_4arch9wavefront6targetE1EEEvS11_, .Lfunc_end605-_ZN7rocprim17ROCPRIM_400000_NS6detail17trampoline_kernelINS0_14default_configENS1_27upper_bound_config_selectorIN6thrust23THRUST_200600_302600_NS5tupleIiiNS6_9null_typeES8_S8_S8_S8_S8_S8_S8_EElEEZNS1_14transform_implILb0ES3_SA_NS6_6detail15normal_iteratorINS6_7pointerIS9_NS6_11hip_rocprim5par_tENS6_11use_defaultESH_EEEENSD_INSE_IlSG_SH_SH_EEEEZNS1_13binary_searchIS3_SA_NSD_INS6_10device_ptrIS9_EEEESJ_SL_NS1_21upper_bound_search_opENSC_16wrapped_functionINS6_6system6detail7generic6detail18binary_search_lessEbEEEE10hipError_tPvRmT1_T2_T3_mmT4_T5_P12ihipStream_tbEUlRKS9_E_EESY_S12_S13_mS14_S17_bEUlT_E_NS1_11comp_targetILNS1_3genE10ELNS1_11target_archE1200ELNS1_3gpuE4ELNS1_3repE0EEENS1_30default_config_static_selectorELNS0_4arch9wavefront6targetE1EEEvS11_
                                        ; -- End function
	.set _ZN7rocprim17ROCPRIM_400000_NS6detail17trampoline_kernelINS0_14default_configENS1_27upper_bound_config_selectorIN6thrust23THRUST_200600_302600_NS5tupleIiiNS6_9null_typeES8_S8_S8_S8_S8_S8_S8_EElEEZNS1_14transform_implILb0ES3_SA_NS6_6detail15normal_iteratorINS6_7pointerIS9_NS6_11hip_rocprim5par_tENS6_11use_defaultESH_EEEENSD_INSE_IlSG_SH_SH_EEEEZNS1_13binary_searchIS3_SA_NSD_INS6_10device_ptrIS9_EEEESJ_SL_NS1_21upper_bound_search_opENSC_16wrapped_functionINS6_6system6detail7generic6detail18binary_search_lessEbEEEE10hipError_tPvRmT1_T2_T3_mmT4_T5_P12ihipStream_tbEUlRKS9_E_EESY_S12_S13_mS14_S17_bEUlT_E_NS1_11comp_targetILNS1_3genE10ELNS1_11target_archE1200ELNS1_3gpuE4ELNS1_3repE0EEENS1_30default_config_static_selectorELNS0_4arch9wavefront6targetE1EEEvS11_.num_vgpr, 0
	.set _ZN7rocprim17ROCPRIM_400000_NS6detail17trampoline_kernelINS0_14default_configENS1_27upper_bound_config_selectorIN6thrust23THRUST_200600_302600_NS5tupleIiiNS6_9null_typeES8_S8_S8_S8_S8_S8_S8_EElEEZNS1_14transform_implILb0ES3_SA_NS6_6detail15normal_iteratorINS6_7pointerIS9_NS6_11hip_rocprim5par_tENS6_11use_defaultESH_EEEENSD_INSE_IlSG_SH_SH_EEEEZNS1_13binary_searchIS3_SA_NSD_INS6_10device_ptrIS9_EEEESJ_SL_NS1_21upper_bound_search_opENSC_16wrapped_functionINS6_6system6detail7generic6detail18binary_search_lessEbEEEE10hipError_tPvRmT1_T2_T3_mmT4_T5_P12ihipStream_tbEUlRKS9_E_EESY_S12_S13_mS14_S17_bEUlT_E_NS1_11comp_targetILNS1_3genE10ELNS1_11target_archE1200ELNS1_3gpuE4ELNS1_3repE0EEENS1_30default_config_static_selectorELNS0_4arch9wavefront6targetE1EEEvS11_.num_agpr, 0
	.set _ZN7rocprim17ROCPRIM_400000_NS6detail17trampoline_kernelINS0_14default_configENS1_27upper_bound_config_selectorIN6thrust23THRUST_200600_302600_NS5tupleIiiNS6_9null_typeES8_S8_S8_S8_S8_S8_S8_EElEEZNS1_14transform_implILb0ES3_SA_NS6_6detail15normal_iteratorINS6_7pointerIS9_NS6_11hip_rocprim5par_tENS6_11use_defaultESH_EEEENSD_INSE_IlSG_SH_SH_EEEEZNS1_13binary_searchIS3_SA_NSD_INS6_10device_ptrIS9_EEEESJ_SL_NS1_21upper_bound_search_opENSC_16wrapped_functionINS6_6system6detail7generic6detail18binary_search_lessEbEEEE10hipError_tPvRmT1_T2_T3_mmT4_T5_P12ihipStream_tbEUlRKS9_E_EESY_S12_S13_mS14_S17_bEUlT_E_NS1_11comp_targetILNS1_3genE10ELNS1_11target_archE1200ELNS1_3gpuE4ELNS1_3repE0EEENS1_30default_config_static_selectorELNS0_4arch9wavefront6targetE1EEEvS11_.numbered_sgpr, 0
	.set _ZN7rocprim17ROCPRIM_400000_NS6detail17trampoline_kernelINS0_14default_configENS1_27upper_bound_config_selectorIN6thrust23THRUST_200600_302600_NS5tupleIiiNS6_9null_typeES8_S8_S8_S8_S8_S8_S8_EElEEZNS1_14transform_implILb0ES3_SA_NS6_6detail15normal_iteratorINS6_7pointerIS9_NS6_11hip_rocprim5par_tENS6_11use_defaultESH_EEEENSD_INSE_IlSG_SH_SH_EEEEZNS1_13binary_searchIS3_SA_NSD_INS6_10device_ptrIS9_EEEESJ_SL_NS1_21upper_bound_search_opENSC_16wrapped_functionINS6_6system6detail7generic6detail18binary_search_lessEbEEEE10hipError_tPvRmT1_T2_T3_mmT4_T5_P12ihipStream_tbEUlRKS9_E_EESY_S12_S13_mS14_S17_bEUlT_E_NS1_11comp_targetILNS1_3genE10ELNS1_11target_archE1200ELNS1_3gpuE4ELNS1_3repE0EEENS1_30default_config_static_selectorELNS0_4arch9wavefront6targetE1EEEvS11_.num_named_barrier, 0
	.set _ZN7rocprim17ROCPRIM_400000_NS6detail17trampoline_kernelINS0_14default_configENS1_27upper_bound_config_selectorIN6thrust23THRUST_200600_302600_NS5tupleIiiNS6_9null_typeES8_S8_S8_S8_S8_S8_S8_EElEEZNS1_14transform_implILb0ES3_SA_NS6_6detail15normal_iteratorINS6_7pointerIS9_NS6_11hip_rocprim5par_tENS6_11use_defaultESH_EEEENSD_INSE_IlSG_SH_SH_EEEEZNS1_13binary_searchIS3_SA_NSD_INS6_10device_ptrIS9_EEEESJ_SL_NS1_21upper_bound_search_opENSC_16wrapped_functionINS6_6system6detail7generic6detail18binary_search_lessEbEEEE10hipError_tPvRmT1_T2_T3_mmT4_T5_P12ihipStream_tbEUlRKS9_E_EESY_S12_S13_mS14_S17_bEUlT_E_NS1_11comp_targetILNS1_3genE10ELNS1_11target_archE1200ELNS1_3gpuE4ELNS1_3repE0EEENS1_30default_config_static_selectorELNS0_4arch9wavefront6targetE1EEEvS11_.private_seg_size, 0
	.set _ZN7rocprim17ROCPRIM_400000_NS6detail17trampoline_kernelINS0_14default_configENS1_27upper_bound_config_selectorIN6thrust23THRUST_200600_302600_NS5tupleIiiNS6_9null_typeES8_S8_S8_S8_S8_S8_S8_EElEEZNS1_14transform_implILb0ES3_SA_NS6_6detail15normal_iteratorINS6_7pointerIS9_NS6_11hip_rocprim5par_tENS6_11use_defaultESH_EEEENSD_INSE_IlSG_SH_SH_EEEEZNS1_13binary_searchIS3_SA_NSD_INS6_10device_ptrIS9_EEEESJ_SL_NS1_21upper_bound_search_opENSC_16wrapped_functionINS6_6system6detail7generic6detail18binary_search_lessEbEEEE10hipError_tPvRmT1_T2_T3_mmT4_T5_P12ihipStream_tbEUlRKS9_E_EESY_S12_S13_mS14_S17_bEUlT_E_NS1_11comp_targetILNS1_3genE10ELNS1_11target_archE1200ELNS1_3gpuE4ELNS1_3repE0EEENS1_30default_config_static_selectorELNS0_4arch9wavefront6targetE1EEEvS11_.uses_vcc, 0
	.set _ZN7rocprim17ROCPRIM_400000_NS6detail17trampoline_kernelINS0_14default_configENS1_27upper_bound_config_selectorIN6thrust23THRUST_200600_302600_NS5tupleIiiNS6_9null_typeES8_S8_S8_S8_S8_S8_S8_EElEEZNS1_14transform_implILb0ES3_SA_NS6_6detail15normal_iteratorINS6_7pointerIS9_NS6_11hip_rocprim5par_tENS6_11use_defaultESH_EEEENSD_INSE_IlSG_SH_SH_EEEEZNS1_13binary_searchIS3_SA_NSD_INS6_10device_ptrIS9_EEEESJ_SL_NS1_21upper_bound_search_opENSC_16wrapped_functionINS6_6system6detail7generic6detail18binary_search_lessEbEEEE10hipError_tPvRmT1_T2_T3_mmT4_T5_P12ihipStream_tbEUlRKS9_E_EESY_S12_S13_mS14_S17_bEUlT_E_NS1_11comp_targetILNS1_3genE10ELNS1_11target_archE1200ELNS1_3gpuE4ELNS1_3repE0EEENS1_30default_config_static_selectorELNS0_4arch9wavefront6targetE1EEEvS11_.uses_flat_scratch, 0
	.set _ZN7rocprim17ROCPRIM_400000_NS6detail17trampoline_kernelINS0_14default_configENS1_27upper_bound_config_selectorIN6thrust23THRUST_200600_302600_NS5tupleIiiNS6_9null_typeES8_S8_S8_S8_S8_S8_S8_EElEEZNS1_14transform_implILb0ES3_SA_NS6_6detail15normal_iteratorINS6_7pointerIS9_NS6_11hip_rocprim5par_tENS6_11use_defaultESH_EEEENSD_INSE_IlSG_SH_SH_EEEEZNS1_13binary_searchIS3_SA_NSD_INS6_10device_ptrIS9_EEEESJ_SL_NS1_21upper_bound_search_opENSC_16wrapped_functionINS6_6system6detail7generic6detail18binary_search_lessEbEEEE10hipError_tPvRmT1_T2_T3_mmT4_T5_P12ihipStream_tbEUlRKS9_E_EESY_S12_S13_mS14_S17_bEUlT_E_NS1_11comp_targetILNS1_3genE10ELNS1_11target_archE1200ELNS1_3gpuE4ELNS1_3repE0EEENS1_30default_config_static_selectorELNS0_4arch9wavefront6targetE1EEEvS11_.has_dyn_sized_stack, 0
	.set _ZN7rocprim17ROCPRIM_400000_NS6detail17trampoline_kernelINS0_14default_configENS1_27upper_bound_config_selectorIN6thrust23THRUST_200600_302600_NS5tupleIiiNS6_9null_typeES8_S8_S8_S8_S8_S8_S8_EElEEZNS1_14transform_implILb0ES3_SA_NS6_6detail15normal_iteratorINS6_7pointerIS9_NS6_11hip_rocprim5par_tENS6_11use_defaultESH_EEEENSD_INSE_IlSG_SH_SH_EEEEZNS1_13binary_searchIS3_SA_NSD_INS6_10device_ptrIS9_EEEESJ_SL_NS1_21upper_bound_search_opENSC_16wrapped_functionINS6_6system6detail7generic6detail18binary_search_lessEbEEEE10hipError_tPvRmT1_T2_T3_mmT4_T5_P12ihipStream_tbEUlRKS9_E_EESY_S12_S13_mS14_S17_bEUlT_E_NS1_11comp_targetILNS1_3genE10ELNS1_11target_archE1200ELNS1_3gpuE4ELNS1_3repE0EEENS1_30default_config_static_selectorELNS0_4arch9wavefront6targetE1EEEvS11_.has_recursion, 0
	.set _ZN7rocprim17ROCPRIM_400000_NS6detail17trampoline_kernelINS0_14default_configENS1_27upper_bound_config_selectorIN6thrust23THRUST_200600_302600_NS5tupleIiiNS6_9null_typeES8_S8_S8_S8_S8_S8_S8_EElEEZNS1_14transform_implILb0ES3_SA_NS6_6detail15normal_iteratorINS6_7pointerIS9_NS6_11hip_rocprim5par_tENS6_11use_defaultESH_EEEENSD_INSE_IlSG_SH_SH_EEEEZNS1_13binary_searchIS3_SA_NSD_INS6_10device_ptrIS9_EEEESJ_SL_NS1_21upper_bound_search_opENSC_16wrapped_functionINS6_6system6detail7generic6detail18binary_search_lessEbEEEE10hipError_tPvRmT1_T2_T3_mmT4_T5_P12ihipStream_tbEUlRKS9_E_EESY_S12_S13_mS14_S17_bEUlT_E_NS1_11comp_targetILNS1_3genE10ELNS1_11target_archE1200ELNS1_3gpuE4ELNS1_3repE0EEENS1_30default_config_static_selectorELNS0_4arch9wavefront6targetE1EEEvS11_.has_indirect_call, 0
	.section	.AMDGPU.csdata,"",@progbits
; Kernel info:
; codeLenInByte = 0
; TotalNumSgprs: 4
; NumVgprs: 0
; ScratchSize: 0
; MemoryBound: 0
; FloatMode: 240
; IeeeMode: 1
; LDSByteSize: 0 bytes/workgroup (compile time only)
; SGPRBlocks: 0
; VGPRBlocks: 0
; NumSGPRsForWavesPerEU: 4
; NumVGPRsForWavesPerEU: 1
; Occupancy: 10
; WaveLimiterHint : 0
; COMPUTE_PGM_RSRC2:SCRATCH_EN: 0
; COMPUTE_PGM_RSRC2:USER_SGPR: 6
; COMPUTE_PGM_RSRC2:TRAP_HANDLER: 0
; COMPUTE_PGM_RSRC2:TGID_X_EN: 1
; COMPUTE_PGM_RSRC2:TGID_Y_EN: 0
; COMPUTE_PGM_RSRC2:TGID_Z_EN: 0
; COMPUTE_PGM_RSRC2:TIDIG_COMP_CNT: 0
	.section	.text._ZN7rocprim17ROCPRIM_400000_NS6detail17trampoline_kernelINS0_14default_configENS1_27upper_bound_config_selectorIN6thrust23THRUST_200600_302600_NS5tupleIiiNS6_9null_typeES8_S8_S8_S8_S8_S8_S8_EElEEZNS1_14transform_implILb0ES3_SA_NS6_6detail15normal_iteratorINS6_7pointerIS9_NS6_11hip_rocprim5par_tENS6_11use_defaultESH_EEEENSD_INSE_IlSG_SH_SH_EEEEZNS1_13binary_searchIS3_SA_NSD_INS6_10device_ptrIS9_EEEESJ_SL_NS1_21upper_bound_search_opENSC_16wrapped_functionINS6_6system6detail7generic6detail18binary_search_lessEbEEEE10hipError_tPvRmT1_T2_T3_mmT4_T5_P12ihipStream_tbEUlRKS9_E_EESY_S12_S13_mS14_S17_bEUlT_E_NS1_11comp_targetILNS1_3genE9ELNS1_11target_archE1100ELNS1_3gpuE3ELNS1_3repE0EEENS1_30default_config_static_selectorELNS0_4arch9wavefront6targetE1EEEvS11_,"axG",@progbits,_ZN7rocprim17ROCPRIM_400000_NS6detail17trampoline_kernelINS0_14default_configENS1_27upper_bound_config_selectorIN6thrust23THRUST_200600_302600_NS5tupleIiiNS6_9null_typeES8_S8_S8_S8_S8_S8_S8_EElEEZNS1_14transform_implILb0ES3_SA_NS6_6detail15normal_iteratorINS6_7pointerIS9_NS6_11hip_rocprim5par_tENS6_11use_defaultESH_EEEENSD_INSE_IlSG_SH_SH_EEEEZNS1_13binary_searchIS3_SA_NSD_INS6_10device_ptrIS9_EEEESJ_SL_NS1_21upper_bound_search_opENSC_16wrapped_functionINS6_6system6detail7generic6detail18binary_search_lessEbEEEE10hipError_tPvRmT1_T2_T3_mmT4_T5_P12ihipStream_tbEUlRKS9_E_EESY_S12_S13_mS14_S17_bEUlT_E_NS1_11comp_targetILNS1_3genE9ELNS1_11target_archE1100ELNS1_3gpuE3ELNS1_3repE0EEENS1_30default_config_static_selectorELNS0_4arch9wavefront6targetE1EEEvS11_,comdat
	.protected	_ZN7rocprim17ROCPRIM_400000_NS6detail17trampoline_kernelINS0_14default_configENS1_27upper_bound_config_selectorIN6thrust23THRUST_200600_302600_NS5tupleIiiNS6_9null_typeES8_S8_S8_S8_S8_S8_S8_EElEEZNS1_14transform_implILb0ES3_SA_NS6_6detail15normal_iteratorINS6_7pointerIS9_NS6_11hip_rocprim5par_tENS6_11use_defaultESH_EEEENSD_INSE_IlSG_SH_SH_EEEEZNS1_13binary_searchIS3_SA_NSD_INS6_10device_ptrIS9_EEEESJ_SL_NS1_21upper_bound_search_opENSC_16wrapped_functionINS6_6system6detail7generic6detail18binary_search_lessEbEEEE10hipError_tPvRmT1_T2_T3_mmT4_T5_P12ihipStream_tbEUlRKS9_E_EESY_S12_S13_mS14_S17_bEUlT_E_NS1_11comp_targetILNS1_3genE9ELNS1_11target_archE1100ELNS1_3gpuE3ELNS1_3repE0EEENS1_30default_config_static_selectorELNS0_4arch9wavefront6targetE1EEEvS11_ ; -- Begin function _ZN7rocprim17ROCPRIM_400000_NS6detail17trampoline_kernelINS0_14default_configENS1_27upper_bound_config_selectorIN6thrust23THRUST_200600_302600_NS5tupleIiiNS6_9null_typeES8_S8_S8_S8_S8_S8_S8_EElEEZNS1_14transform_implILb0ES3_SA_NS6_6detail15normal_iteratorINS6_7pointerIS9_NS6_11hip_rocprim5par_tENS6_11use_defaultESH_EEEENSD_INSE_IlSG_SH_SH_EEEEZNS1_13binary_searchIS3_SA_NSD_INS6_10device_ptrIS9_EEEESJ_SL_NS1_21upper_bound_search_opENSC_16wrapped_functionINS6_6system6detail7generic6detail18binary_search_lessEbEEEE10hipError_tPvRmT1_T2_T3_mmT4_T5_P12ihipStream_tbEUlRKS9_E_EESY_S12_S13_mS14_S17_bEUlT_E_NS1_11comp_targetILNS1_3genE9ELNS1_11target_archE1100ELNS1_3gpuE3ELNS1_3repE0EEENS1_30default_config_static_selectorELNS0_4arch9wavefront6targetE1EEEvS11_
	.globl	_ZN7rocprim17ROCPRIM_400000_NS6detail17trampoline_kernelINS0_14default_configENS1_27upper_bound_config_selectorIN6thrust23THRUST_200600_302600_NS5tupleIiiNS6_9null_typeES8_S8_S8_S8_S8_S8_S8_EElEEZNS1_14transform_implILb0ES3_SA_NS6_6detail15normal_iteratorINS6_7pointerIS9_NS6_11hip_rocprim5par_tENS6_11use_defaultESH_EEEENSD_INSE_IlSG_SH_SH_EEEEZNS1_13binary_searchIS3_SA_NSD_INS6_10device_ptrIS9_EEEESJ_SL_NS1_21upper_bound_search_opENSC_16wrapped_functionINS6_6system6detail7generic6detail18binary_search_lessEbEEEE10hipError_tPvRmT1_T2_T3_mmT4_T5_P12ihipStream_tbEUlRKS9_E_EESY_S12_S13_mS14_S17_bEUlT_E_NS1_11comp_targetILNS1_3genE9ELNS1_11target_archE1100ELNS1_3gpuE3ELNS1_3repE0EEENS1_30default_config_static_selectorELNS0_4arch9wavefront6targetE1EEEvS11_
	.p2align	8
	.type	_ZN7rocprim17ROCPRIM_400000_NS6detail17trampoline_kernelINS0_14default_configENS1_27upper_bound_config_selectorIN6thrust23THRUST_200600_302600_NS5tupleIiiNS6_9null_typeES8_S8_S8_S8_S8_S8_S8_EElEEZNS1_14transform_implILb0ES3_SA_NS6_6detail15normal_iteratorINS6_7pointerIS9_NS6_11hip_rocprim5par_tENS6_11use_defaultESH_EEEENSD_INSE_IlSG_SH_SH_EEEEZNS1_13binary_searchIS3_SA_NSD_INS6_10device_ptrIS9_EEEESJ_SL_NS1_21upper_bound_search_opENSC_16wrapped_functionINS6_6system6detail7generic6detail18binary_search_lessEbEEEE10hipError_tPvRmT1_T2_T3_mmT4_T5_P12ihipStream_tbEUlRKS9_E_EESY_S12_S13_mS14_S17_bEUlT_E_NS1_11comp_targetILNS1_3genE9ELNS1_11target_archE1100ELNS1_3gpuE3ELNS1_3repE0EEENS1_30default_config_static_selectorELNS0_4arch9wavefront6targetE1EEEvS11_,@function
_ZN7rocprim17ROCPRIM_400000_NS6detail17trampoline_kernelINS0_14default_configENS1_27upper_bound_config_selectorIN6thrust23THRUST_200600_302600_NS5tupleIiiNS6_9null_typeES8_S8_S8_S8_S8_S8_S8_EElEEZNS1_14transform_implILb0ES3_SA_NS6_6detail15normal_iteratorINS6_7pointerIS9_NS6_11hip_rocprim5par_tENS6_11use_defaultESH_EEEENSD_INSE_IlSG_SH_SH_EEEEZNS1_13binary_searchIS3_SA_NSD_INS6_10device_ptrIS9_EEEESJ_SL_NS1_21upper_bound_search_opENSC_16wrapped_functionINS6_6system6detail7generic6detail18binary_search_lessEbEEEE10hipError_tPvRmT1_T2_T3_mmT4_T5_P12ihipStream_tbEUlRKS9_E_EESY_S12_S13_mS14_S17_bEUlT_E_NS1_11comp_targetILNS1_3genE9ELNS1_11target_archE1100ELNS1_3gpuE3ELNS1_3repE0EEENS1_30default_config_static_selectorELNS0_4arch9wavefront6targetE1EEEvS11_: ; @_ZN7rocprim17ROCPRIM_400000_NS6detail17trampoline_kernelINS0_14default_configENS1_27upper_bound_config_selectorIN6thrust23THRUST_200600_302600_NS5tupleIiiNS6_9null_typeES8_S8_S8_S8_S8_S8_S8_EElEEZNS1_14transform_implILb0ES3_SA_NS6_6detail15normal_iteratorINS6_7pointerIS9_NS6_11hip_rocprim5par_tENS6_11use_defaultESH_EEEENSD_INSE_IlSG_SH_SH_EEEEZNS1_13binary_searchIS3_SA_NSD_INS6_10device_ptrIS9_EEEESJ_SL_NS1_21upper_bound_search_opENSC_16wrapped_functionINS6_6system6detail7generic6detail18binary_search_lessEbEEEE10hipError_tPvRmT1_T2_T3_mmT4_T5_P12ihipStream_tbEUlRKS9_E_EESY_S12_S13_mS14_S17_bEUlT_E_NS1_11comp_targetILNS1_3genE9ELNS1_11target_archE1100ELNS1_3gpuE3ELNS1_3repE0EEENS1_30default_config_static_selectorELNS0_4arch9wavefront6targetE1EEEvS11_
; %bb.0:
	.section	.rodata,"a",@progbits
	.p2align	6, 0x0
	.amdhsa_kernel _ZN7rocprim17ROCPRIM_400000_NS6detail17trampoline_kernelINS0_14default_configENS1_27upper_bound_config_selectorIN6thrust23THRUST_200600_302600_NS5tupleIiiNS6_9null_typeES8_S8_S8_S8_S8_S8_S8_EElEEZNS1_14transform_implILb0ES3_SA_NS6_6detail15normal_iteratorINS6_7pointerIS9_NS6_11hip_rocprim5par_tENS6_11use_defaultESH_EEEENSD_INSE_IlSG_SH_SH_EEEEZNS1_13binary_searchIS3_SA_NSD_INS6_10device_ptrIS9_EEEESJ_SL_NS1_21upper_bound_search_opENSC_16wrapped_functionINS6_6system6detail7generic6detail18binary_search_lessEbEEEE10hipError_tPvRmT1_T2_T3_mmT4_T5_P12ihipStream_tbEUlRKS9_E_EESY_S12_S13_mS14_S17_bEUlT_E_NS1_11comp_targetILNS1_3genE9ELNS1_11target_archE1100ELNS1_3gpuE3ELNS1_3repE0EEENS1_30default_config_static_selectorELNS0_4arch9wavefront6targetE1EEEvS11_
		.amdhsa_group_segment_fixed_size 0
		.amdhsa_private_segment_fixed_size 0
		.amdhsa_kernarg_size 56
		.amdhsa_user_sgpr_count 6
		.amdhsa_user_sgpr_private_segment_buffer 1
		.amdhsa_user_sgpr_dispatch_ptr 0
		.amdhsa_user_sgpr_queue_ptr 0
		.amdhsa_user_sgpr_kernarg_segment_ptr 1
		.amdhsa_user_sgpr_dispatch_id 0
		.amdhsa_user_sgpr_flat_scratch_init 0
		.amdhsa_user_sgpr_private_segment_size 0
		.amdhsa_uses_dynamic_stack 0
		.amdhsa_system_sgpr_private_segment_wavefront_offset 0
		.amdhsa_system_sgpr_workgroup_id_x 1
		.amdhsa_system_sgpr_workgroup_id_y 0
		.amdhsa_system_sgpr_workgroup_id_z 0
		.amdhsa_system_sgpr_workgroup_info 0
		.amdhsa_system_vgpr_workitem_id 0
		.amdhsa_next_free_vgpr 1
		.amdhsa_next_free_sgpr 0
		.amdhsa_reserve_vcc 0
		.amdhsa_reserve_flat_scratch 0
		.amdhsa_float_round_mode_32 0
		.amdhsa_float_round_mode_16_64 0
		.amdhsa_float_denorm_mode_32 3
		.amdhsa_float_denorm_mode_16_64 3
		.amdhsa_dx10_clamp 1
		.amdhsa_ieee_mode 1
		.amdhsa_fp16_overflow 0
		.amdhsa_exception_fp_ieee_invalid_op 0
		.amdhsa_exception_fp_denorm_src 0
		.amdhsa_exception_fp_ieee_div_zero 0
		.amdhsa_exception_fp_ieee_overflow 0
		.amdhsa_exception_fp_ieee_underflow 0
		.amdhsa_exception_fp_ieee_inexact 0
		.amdhsa_exception_int_div_zero 0
	.end_amdhsa_kernel
	.section	.text._ZN7rocprim17ROCPRIM_400000_NS6detail17trampoline_kernelINS0_14default_configENS1_27upper_bound_config_selectorIN6thrust23THRUST_200600_302600_NS5tupleIiiNS6_9null_typeES8_S8_S8_S8_S8_S8_S8_EElEEZNS1_14transform_implILb0ES3_SA_NS6_6detail15normal_iteratorINS6_7pointerIS9_NS6_11hip_rocprim5par_tENS6_11use_defaultESH_EEEENSD_INSE_IlSG_SH_SH_EEEEZNS1_13binary_searchIS3_SA_NSD_INS6_10device_ptrIS9_EEEESJ_SL_NS1_21upper_bound_search_opENSC_16wrapped_functionINS6_6system6detail7generic6detail18binary_search_lessEbEEEE10hipError_tPvRmT1_T2_T3_mmT4_T5_P12ihipStream_tbEUlRKS9_E_EESY_S12_S13_mS14_S17_bEUlT_E_NS1_11comp_targetILNS1_3genE9ELNS1_11target_archE1100ELNS1_3gpuE3ELNS1_3repE0EEENS1_30default_config_static_selectorELNS0_4arch9wavefront6targetE1EEEvS11_,"axG",@progbits,_ZN7rocprim17ROCPRIM_400000_NS6detail17trampoline_kernelINS0_14default_configENS1_27upper_bound_config_selectorIN6thrust23THRUST_200600_302600_NS5tupleIiiNS6_9null_typeES8_S8_S8_S8_S8_S8_S8_EElEEZNS1_14transform_implILb0ES3_SA_NS6_6detail15normal_iteratorINS6_7pointerIS9_NS6_11hip_rocprim5par_tENS6_11use_defaultESH_EEEENSD_INSE_IlSG_SH_SH_EEEEZNS1_13binary_searchIS3_SA_NSD_INS6_10device_ptrIS9_EEEESJ_SL_NS1_21upper_bound_search_opENSC_16wrapped_functionINS6_6system6detail7generic6detail18binary_search_lessEbEEEE10hipError_tPvRmT1_T2_T3_mmT4_T5_P12ihipStream_tbEUlRKS9_E_EESY_S12_S13_mS14_S17_bEUlT_E_NS1_11comp_targetILNS1_3genE9ELNS1_11target_archE1100ELNS1_3gpuE3ELNS1_3repE0EEENS1_30default_config_static_selectorELNS0_4arch9wavefront6targetE1EEEvS11_,comdat
.Lfunc_end606:
	.size	_ZN7rocprim17ROCPRIM_400000_NS6detail17trampoline_kernelINS0_14default_configENS1_27upper_bound_config_selectorIN6thrust23THRUST_200600_302600_NS5tupleIiiNS6_9null_typeES8_S8_S8_S8_S8_S8_S8_EElEEZNS1_14transform_implILb0ES3_SA_NS6_6detail15normal_iteratorINS6_7pointerIS9_NS6_11hip_rocprim5par_tENS6_11use_defaultESH_EEEENSD_INSE_IlSG_SH_SH_EEEEZNS1_13binary_searchIS3_SA_NSD_INS6_10device_ptrIS9_EEEESJ_SL_NS1_21upper_bound_search_opENSC_16wrapped_functionINS6_6system6detail7generic6detail18binary_search_lessEbEEEE10hipError_tPvRmT1_T2_T3_mmT4_T5_P12ihipStream_tbEUlRKS9_E_EESY_S12_S13_mS14_S17_bEUlT_E_NS1_11comp_targetILNS1_3genE9ELNS1_11target_archE1100ELNS1_3gpuE3ELNS1_3repE0EEENS1_30default_config_static_selectorELNS0_4arch9wavefront6targetE1EEEvS11_, .Lfunc_end606-_ZN7rocprim17ROCPRIM_400000_NS6detail17trampoline_kernelINS0_14default_configENS1_27upper_bound_config_selectorIN6thrust23THRUST_200600_302600_NS5tupleIiiNS6_9null_typeES8_S8_S8_S8_S8_S8_S8_EElEEZNS1_14transform_implILb0ES3_SA_NS6_6detail15normal_iteratorINS6_7pointerIS9_NS6_11hip_rocprim5par_tENS6_11use_defaultESH_EEEENSD_INSE_IlSG_SH_SH_EEEEZNS1_13binary_searchIS3_SA_NSD_INS6_10device_ptrIS9_EEEESJ_SL_NS1_21upper_bound_search_opENSC_16wrapped_functionINS6_6system6detail7generic6detail18binary_search_lessEbEEEE10hipError_tPvRmT1_T2_T3_mmT4_T5_P12ihipStream_tbEUlRKS9_E_EESY_S12_S13_mS14_S17_bEUlT_E_NS1_11comp_targetILNS1_3genE9ELNS1_11target_archE1100ELNS1_3gpuE3ELNS1_3repE0EEENS1_30default_config_static_selectorELNS0_4arch9wavefront6targetE1EEEvS11_
                                        ; -- End function
	.set _ZN7rocprim17ROCPRIM_400000_NS6detail17trampoline_kernelINS0_14default_configENS1_27upper_bound_config_selectorIN6thrust23THRUST_200600_302600_NS5tupleIiiNS6_9null_typeES8_S8_S8_S8_S8_S8_S8_EElEEZNS1_14transform_implILb0ES3_SA_NS6_6detail15normal_iteratorINS6_7pointerIS9_NS6_11hip_rocprim5par_tENS6_11use_defaultESH_EEEENSD_INSE_IlSG_SH_SH_EEEEZNS1_13binary_searchIS3_SA_NSD_INS6_10device_ptrIS9_EEEESJ_SL_NS1_21upper_bound_search_opENSC_16wrapped_functionINS6_6system6detail7generic6detail18binary_search_lessEbEEEE10hipError_tPvRmT1_T2_T3_mmT4_T5_P12ihipStream_tbEUlRKS9_E_EESY_S12_S13_mS14_S17_bEUlT_E_NS1_11comp_targetILNS1_3genE9ELNS1_11target_archE1100ELNS1_3gpuE3ELNS1_3repE0EEENS1_30default_config_static_selectorELNS0_4arch9wavefront6targetE1EEEvS11_.num_vgpr, 0
	.set _ZN7rocprim17ROCPRIM_400000_NS6detail17trampoline_kernelINS0_14default_configENS1_27upper_bound_config_selectorIN6thrust23THRUST_200600_302600_NS5tupleIiiNS6_9null_typeES8_S8_S8_S8_S8_S8_S8_EElEEZNS1_14transform_implILb0ES3_SA_NS6_6detail15normal_iteratorINS6_7pointerIS9_NS6_11hip_rocprim5par_tENS6_11use_defaultESH_EEEENSD_INSE_IlSG_SH_SH_EEEEZNS1_13binary_searchIS3_SA_NSD_INS6_10device_ptrIS9_EEEESJ_SL_NS1_21upper_bound_search_opENSC_16wrapped_functionINS6_6system6detail7generic6detail18binary_search_lessEbEEEE10hipError_tPvRmT1_T2_T3_mmT4_T5_P12ihipStream_tbEUlRKS9_E_EESY_S12_S13_mS14_S17_bEUlT_E_NS1_11comp_targetILNS1_3genE9ELNS1_11target_archE1100ELNS1_3gpuE3ELNS1_3repE0EEENS1_30default_config_static_selectorELNS0_4arch9wavefront6targetE1EEEvS11_.num_agpr, 0
	.set _ZN7rocprim17ROCPRIM_400000_NS6detail17trampoline_kernelINS0_14default_configENS1_27upper_bound_config_selectorIN6thrust23THRUST_200600_302600_NS5tupleIiiNS6_9null_typeES8_S8_S8_S8_S8_S8_S8_EElEEZNS1_14transform_implILb0ES3_SA_NS6_6detail15normal_iteratorINS6_7pointerIS9_NS6_11hip_rocprim5par_tENS6_11use_defaultESH_EEEENSD_INSE_IlSG_SH_SH_EEEEZNS1_13binary_searchIS3_SA_NSD_INS6_10device_ptrIS9_EEEESJ_SL_NS1_21upper_bound_search_opENSC_16wrapped_functionINS6_6system6detail7generic6detail18binary_search_lessEbEEEE10hipError_tPvRmT1_T2_T3_mmT4_T5_P12ihipStream_tbEUlRKS9_E_EESY_S12_S13_mS14_S17_bEUlT_E_NS1_11comp_targetILNS1_3genE9ELNS1_11target_archE1100ELNS1_3gpuE3ELNS1_3repE0EEENS1_30default_config_static_selectorELNS0_4arch9wavefront6targetE1EEEvS11_.numbered_sgpr, 0
	.set _ZN7rocprim17ROCPRIM_400000_NS6detail17trampoline_kernelINS0_14default_configENS1_27upper_bound_config_selectorIN6thrust23THRUST_200600_302600_NS5tupleIiiNS6_9null_typeES8_S8_S8_S8_S8_S8_S8_EElEEZNS1_14transform_implILb0ES3_SA_NS6_6detail15normal_iteratorINS6_7pointerIS9_NS6_11hip_rocprim5par_tENS6_11use_defaultESH_EEEENSD_INSE_IlSG_SH_SH_EEEEZNS1_13binary_searchIS3_SA_NSD_INS6_10device_ptrIS9_EEEESJ_SL_NS1_21upper_bound_search_opENSC_16wrapped_functionINS6_6system6detail7generic6detail18binary_search_lessEbEEEE10hipError_tPvRmT1_T2_T3_mmT4_T5_P12ihipStream_tbEUlRKS9_E_EESY_S12_S13_mS14_S17_bEUlT_E_NS1_11comp_targetILNS1_3genE9ELNS1_11target_archE1100ELNS1_3gpuE3ELNS1_3repE0EEENS1_30default_config_static_selectorELNS0_4arch9wavefront6targetE1EEEvS11_.num_named_barrier, 0
	.set _ZN7rocprim17ROCPRIM_400000_NS6detail17trampoline_kernelINS0_14default_configENS1_27upper_bound_config_selectorIN6thrust23THRUST_200600_302600_NS5tupleIiiNS6_9null_typeES8_S8_S8_S8_S8_S8_S8_EElEEZNS1_14transform_implILb0ES3_SA_NS6_6detail15normal_iteratorINS6_7pointerIS9_NS6_11hip_rocprim5par_tENS6_11use_defaultESH_EEEENSD_INSE_IlSG_SH_SH_EEEEZNS1_13binary_searchIS3_SA_NSD_INS6_10device_ptrIS9_EEEESJ_SL_NS1_21upper_bound_search_opENSC_16wrapped_functionINS6_6system6detail7generic6detail18binary_search_lessEbEEEE10hipError_tPvRmT1_T2_T3_mmT4_T5_P12ihipStream_tbEUlRKS9_E_EESY_S12_S13_mS14_S17_bEUlT_E_NS1_11comp_targetILNS1_3genE9ELNS1_11target_archE1100ELNS1_3gpuE3ELNS1_3repE0EEENS1_30default_config_static_selectorELNS0_4arch9wavefront6targetE1EEEvS11_.private_seg_size, 0
	.set _ZN7rocprim17ROCPRIM_400000_NS6detail17trampoline_kernelINS0_14default_configENS1_27upper_bound_config_selectorIN6thrust23THRUST_200600_302600_NS5tupleIiiNS6_9null_typeES8_S8_S8_S8_S8_S8_S8_EElEEZNS1_14transform_implILb0ES3_SA_NS6_6detail15normal_iteratorINS6_7pointerIS9_NS6_11hip_rocprim5par_tENS6_11use_defaultESH_EEEENSD_INSE_IlSG_SH_SH_EEEEZNS1_13binary_searchIS3_SA_NSD_INS6_10device_ptrIS9_EEEESJ_SL_NS1_21upper_bound_search_opENSC_16wrapped_functionINS6_6system6detail7generic6detail18binary_search_lessEbEEEE10hipError_tPvRmT1_T2_T3_mmT4_T5_P12ihipStream_tbEUlRKS9_E_EESY_S12_S13_mS14_S17_bEUlT_E_NS1_11comp_targetILNS1_3genE9ELNS1_11target_archE1100ELNS1_3gpuE3ELNS1_3repE0EEENS1_30default_config_static_selectorELNS0_4arch9wavefront6targetE1EEEvS11_.uses_vcc, 0
	.set _ZN7rocprim17ROCPRIM_400000_NS6detail17trampoline_kernelINS0_14default_configENS1_27upper_bound_config_selectorIN6thrust23THRUST_200600_302600_NS5tupleIiiNS6_9null_typeES8_S8_S8_S8_S8_S8_S8_EElEEZNS1_14transform_implILb0ES3_SA_NS6_6detail15normal_iteratorINS6_7pointerIS9_NS6_11hip_rocprim5par_tENS6_11use_defaultESH_EEEENSD_INSE_IlSG_SH_SH_EEEEZNS1_13binary_searchIS3_SA_NSD_INS6_10device_ptrIS9_EEEESJ_SL_NS1_21upper_bound_search_opENSC_16wrapped_functionINS6_6system6detail7generic6detail18binary_search_lessEbEEEE10hipError_tPvRmT1_T2_T3_mmT4_T5_P12ihipStream_tbEUlRKS9_E_EESY_S12_S13_mS14_S17_bEUlT_E_NS1_11comp_targetILNS1_3genE9ELNS1_11target_archE1100ELNS1_3gpuE3ELNS1_3repE0EEENS1_30default_config_static_selectorELNS0_4arch9wavefront6targetE1EEEvS11_.uses_flat_scratch, 0
	.set _ZN7rocprim17ROCPRIM_400000_NS6detail17trampoline_kernelINS0_14default_configENS1_27upper_bound_config_selectorIN6thrust23THRUST_200600_302600_NS5tupleIiiNS6_9null_typeES8_S8_S8_S8_S8_S8_S8_EElEEZNS1_14transform_implILb0ES3_SA_NS6_6detail15normal_iteratorINS6_7pointerIS9_NS6_11hip_rocprim5par_tENS6_11use_defaultESH_EEEENSD_INSE_IlSG_SH_SH_EEEEZNS1_13binary_searchIS3_SA_NSD_INS6_10device_ptrIS9_EEEESJ_SL_NS1_21upper_bound_search_opENSC_16wrapped_functionINS6_6system6detail7generic6detail18binary_search_lessEbEEEE10hipError_tPvRmT1_T2_T3_mmT4_T5_P12ihipStream_tbEUlRKS9_E_EESY_S12_S13_mS14_S17_bEUlT_E_NS1_11comp_targetILNS1_3genE9ELNS1_11target_archE1100ELNS1_3gpuE3ELNS1_3repE0EEENS1_30default_config_static_selectorELNS0_4arch9wavefront6targetE1EEEvS11_.has_dyn_sized_stack, 0
	.set _ZN7rocprim17ROCPRIM_400000_NS6detail17trampoline_kernelINS0_14default_configENS1_27upper_bound_config_selectorIN6thrust23THRUST_200600_302600_NS5tupleIiiNS6_9null_typeES8_S8_S8_S8_S8_S8_S8_EElEEZNS1_14transform_implILb0ES3_SA_NS6_6detail15normal_iteratorINS6_7pointerIS9_NS6_11hip_rocprim5par_tENS6_11use_defaultESH_EEEENSD_INSE_IlSG_SH_SH_EEEEZNS1_13binary_searchIS3_SA_NSD_INS6_10device_ptrIS9_EEEESJ_SL_NS1_21upper_bound_search_opENSC_16wrapped_functionINS6_6system6detail7generic6detail18binary_search_lessEbEEEE10hipError_tPvRmT1_T2_T3_mmT4_T5_P12ihipStream_tbEUlRKS9_E_EESY_S12_S13_mS14_S17_bEUlT_E_NS1_11comp_targetILNS1_3genE9ELNS1_11target_archE1100ELNS1_3gpuE3ELNS1_3repE0EEENS1_30default_config_static_selectorELNS0_4arch9wavefront6targetE1EEEvS11_.has_recursion, 0
	.set _ZN7rocprim17ROCPRIM_400000_NS6detail17trampoline_kernelINS0_14default_configENS1_27upper_bound_config_selectorIN6thrust23THRUST_200600_302600_NS5tupleIiiNS6_9null_typeES8_S8_S8_S8_S8_S8_S8_EElEEZNS1_14transform_implILb0ES3_SA_NS6_6detail15normal_iteratorINS6_7pointerIS9_NS6_11hip_rocprim5par_tENS6_11use_defaultESH_EEEENSD_INSE_IlSG_SH_SH_EEEEZNS1_13binary_searchIS3_SA_NSD_INS6_10device_ptrIS9_EEEESJ_SL_NS1_21upper_bound_search_opENSC_16wrapped_functionINS6_6system6detail7generic6detail18binary_search_lessEbEEEE10hipError_tPvRmT1_T2_T3_mmT4_T5_P12ihipStream_tbEUlRKS9_E_EESY_S12_S13_mS14_S17_bEUlT_E_NS1_11comp_targetILNS1_3genE9ELNS1_11target_archE1100ELNS1_3gpuE3ELNS1_3repE0EEENS1_30default_config_static_selectorELNS0_4arch9wavefront6targetE1EEEvS11_.has_indirect_call, 0
	.section	.AMDGPU.csdata,"",@progbits
; Kernel info:
; codeLenInByte = 0
; TotalNumSgprs: 4
; NumVgprs: 0
; ScratchSize: 0
; MemoryBound: 0
; FloatMode: 240
; IeeeMode: 1
; LDSByteSize: 0 bytes/workgroup (compile time only)
; SGPRBlocks: 0
; VGPRBlocks: 0
; NumSGPRsForWavesPerEU: 4
; NumVGPRsForWavesPerEU: 1
; Occupancy: 10
; WaveLimiterHint : 0
; COMPUTE_PGM_RSRC2:SCRATCH_EN: 0
; COMPUTE_PGM_RSRC2:USER_SGPR: 6
; COMPUTE_PGM_RSRC2:TRAP_HANDLER: 0
; COMPUTE_PGM_RSRC2:TGID_X_EN: 1
; COMPUTE_PGM_RSRC2:TGID_Y_EN: 0
; COMPUTE_PGM_RSRC2:TGID_Z_EN: 0
; COMPUTE_PGM_RSRC2:TIDIG_COMP_CNT: 0
	.section	.text._ZN7rocprim17ROCPRIM_400000_NS6detail17trampoline_kernelINS0_14default_configENS1_27upper_bound_config_selectorIN6thrust23THRUST_200600_302600_NS5tupleIiiNS6_9null_typeES8_S8_S8_S8_S8_S8_S8_EElEEZNS1_14transform_implILb0ES3_SA_NS6_6detail15normal_iteratorINS6_7pointerIS9_NS6_11hip_rocprim5par_tENS6_11use_defaultESH_EEEENSD_INSE_IlSG_SH_SH_EEEEZNS1_13binary_searchIS3_SA_NSD_INS6_10device_ptrIS9_EEEESJ_SL_NS1_21upper_bound_search_opENSC_16wrapped_functionINS6_6system6detail7generic6detail18binary_search_lessEbEEEE10hipError_tPvRmT1_T2_T3_mmT4_T5_P12ihipStream_tbEUlRKS9_E_EESY_S12_S13_mS14_S17_bEUlT_E_NS1_11comp_targetILNS1_3genE8ELNS1_11target_archE1030ELNS1_3gpuE2ELNS1_3repE0EEENS1_30default_config_static_selectorELNS0_4arch9wavefront6targetE1EEEvS11_,"axG",@progbits,_ZN7rocprim17ROCPRIM_400000_NS6detail17trampoline_kernelINS0_14default_configENS1_27upper_bound_config_selectorIN6thrust23THRUST_200600_302600_NS5tupleIiiNS6_9null_typeES8_S8_S8_S8_S8_S8_S8_EElEEZNS1_14transform_implILb0ES3_SA_NS6_6detail15normal_iteratorINS6_7pointerIS9_NS6_11hip_rocprim5par_tENS6_11use_defaultESH_EEEENSD_INSE_IlSG_SH_SH_EEEEZNS1_13binary_searchIS3_SA_NSD_INS6_10device_ptrIS9_EEEESJ_SL_NS1_21upper_bound_search_opENSC_16wrapped_functionINS6_6system6detail7generic6detail18binary_search_lessEbEEEE10hipError_tPvRmT1_T2_T3_mmT4_T5_P12ihipStream_tbEUlRKS9_E_EESY_S12_S13_mS14_S17_bEUlT_E_NS1_11comp_targetILNS1_3genE8ELNS1_11target_archE1030ELNS1_3gpuE2ELNS1_3repE0EEENS1_30default_config_static_selectorELNS0_4arch9wavefront6targetE1EEEvS11_,comdat
	.protected	_ZN7rocprim17ROCPRIM_400000_NS6detail17trampoline_kernelINS0_14default_configENS1_27upper_bound_config_selectorIN6thrust23THRUST_200600_302600_NS5tupleIiiNS6_9null_typeES8_S8_S8_S8_S8_S8_S8_EElEEZNS1_14transform_implILb0ES3_SA_NS6_6detail15normal_iteratorINS6_7pointerIS9_NS6_11hip_rocprim5par_tENS6_11use_defaultESH_EEEENSD_INSE_IlSG_SH_SH_EEEEZNS1_13binary_searchIS3_SA_NSD_INS6_10device_ptrIS9_EEEESJ_SL_NS1_21upper_bound_search_opENSC_16wrapped_functionINS6_6system6detail7generic6detail18binary_search_lessEbEEEE10hipError_tPvRmT1_T2_T3_mmT4_T5_P12ihipStream_tbEUlRKS9_E_EESY_S12_S13_mS14_S17_bEUlT_E_NS1_11comp_targetILNS1_3genE8ELNS1_11target_archE1030ELNS1_3gpuE2ELNS1_3repE0EEENS1_30default_config_static_selectorELNS0_4arch9wavefront6targetE1EEEvS11_ ; -- Begin function _ZN7rocprim17ROCPRIM_400000_NS6detail17trampoline_kernelINS0_14default_configENS1_27upper_bound_config_selectorIN6thrust23THRUST_200600_302600_NS5tupleIiiNS6_9null_typeES8_S8_S8_S8_S8_S8_S8_EElEEZNS1_14transform_implILb0ES3_SA_NS6_6detail15normal_iteratorINS6_7pointerIS9_NS6_11hip_rocprim5par_tENS6_11use_defaultESH_EEEENSD_INSE_IlSG_SH_SH_EEEEZNS1_13binary_searchIS3_SA_NSD_INS6_10device_ptrIS9_EEEESJ_SL_NS1_21upper_bound_search_opENSC_16wrapped_functionINS6_6system6detail7generic6detail18binary_search_lessEbEEEE10hipError_tPvRmT1_T2_T3_mmT4_T5_P12ihipStream_tbEUlRKS9_E_EESY_S12_S13_mS14_S17_bEUlT_E_NS1_11comp_targetILNS1_3genE8ELNS1_11target_archE1030ELNS1_3gpuE2ELNS1_3repE0EEENS1_30default_config_static_selectorELNS0_4arch9wavefront6targetE1EEEvS11_
	.globl	_ZN7rocprim17ROCPRIM_400000_NS6detail17trampoline_kernelINS0_14default_configENS1_27upper_bound_config_selectorIN6thrust23THRUST_200600_302600_NS5tupleIiiNS6_9null_typeES8_S8_S8_S8_S8_S8_S8_EElEEZNS1_14transform_implILb0ES3_SA_NS6_6detail15normal_iteratorINS6_7pointerIS9_NS6_11hip_rocprim5par_tENS6_11use_defaultESH_EEEENSD_INSE_IlSG_SH_SH_EEEEZNS1_13binary_searchIS3_SA_NSD_INS6_10device_ptrIS9_EEEESJ_SL_NS1_21upper_bound_search_opENSC_16wrapped_functionINS6_6system6detail7generic6detail18binary_search_lessEbEEEE10hipError_tPvRmT1_T2_T3_mmT4_T5_P12ihipStream_tbEUlRKS9_E_EESY_S12_S13_mS14_S17_bEUlT_E_NS1_11comp_targetILNS1_3genE8ELNS1_11target_archE1030ELNS1_3gpuE2ELNS1_3repE0EEENS1_30default_config_static_selectorELNS0_4arch9wavefront6targetE1EEEvS11_
	.p2align	8
	.type	_ZN7rocprim17ROCPRIM_400000_NS6detail17trampoline_kernelINS0_14default_configENS1_27upper_bound_config_selectorIN6thrust23THRUST_200600_302600_NS5tupleIiiNS6_9null_typeES8_S8_S8_S8_S8_S8_S8_EElEEZNS1_14transform_implILb0ES3_SA_NS6_6detail15normal_iteratorINS6_7pointerIS9_NS6_11hip_rocprim5par_tENS6_11use_defaultESH_EEEENSD_INSE_IlSG_SH_SH_EEEEZNS1_13binary_searchIS3_SA_NSD_INS6_10device_ptrIS9_EEEESJ_SL_NS1_21upper_bound_search_opENSC_16wrapped_functionINS6_6system6detail7generic6detail18binary_search_lessEbEEEE10hipError_tPvRmT1_T2_T3_mmT4_T5_P12ihipStream_tbEUlRKS9_E_EESY_S12_S13_mS14_S17_bEUlT_E_NS1_11comp_targetILNS1_3genE8ELNS1_11target_archE1030ELNS1_3gpuE2ELNS1_3repE0EEENS1_30default_config_static_selectorELNS0_4arch9wavefront6targetE1EEEvS11_,@function
_ZN7rocprim17ROCPRIM_400000_NS6detail17trampoline_kernelINS0_14default_configENS1_27upper_bound_config_selectorIN6thrust23THRUST_200600_302600_NS5tupleIiiNS6_9null_typeES8_S8_S8_S8_S8_S8_S8_EElEEZNS1_14transform_implILb0ES3_SA_NS6_6detail15normal_iteratorINS6_7pointerIS9_NS6_11hip_rocprim5par_tENS6_11use_defaultESH_EEEENSD_INSE_IlSG_SH_SH_EEEEZNS1_13binary_searchIS3_SA_NSD_INS6_10device_ptrIS9_EEEESJ_SL_NS1_21upper_bound_search_opENSC_16wrapped_functionINS6_6system6detail7generic6detail18binary_search_lessEbEEEE10hipError_tPvRmT1_T2_T3_mmT4_T5_P12ihipStream_tbEUlRKS9_E_EESY_S12_S13_mS14_S17_bEUlT_E_NS1_11comp_targetILNS1_3genE8ELNS1_11target_archE1030ELNS1_3gpuE2ELNS1_3repE0EEENS1_30default_config_static_selectorELNS0_4arch9wavefront6targetE1EEEvS11_: ; @_ZN7rocprim17ROCPRIM_400000_NS6detail17trampoline_kernelINS0_14default_configENS1_27upper_bound_config_selectorIN6thrust23THRUST_200600_302600_NS5tupleIiiNS6_9null_typeES8_S8_S8_S8_S8_S8_S8_EElEEZNS1_14transform_implILb0ES3_SA_NS6_6detail15normal_iteratorINS6_7pointerIS9_NS6_11hip_rocprim5par_tENS6_11use_defaultESH_EEEENSD_INSE_IlSG_SH_SH_EEEEZNS1_13binary_searchIS3_SA_NSD_INS6_10device_ptrIS9_EEEESJ_SL_NS1_21upper_bound_search_opENSC_16wrapped_functionINS6_6system6detail7generic6detail18binary_search_lessEbEEEE10hipError_tPvRmT1_T2_T3_mmT4_T5_P12ihipStream_tbEUlRKS9_E_EESY_S12_S13_mS14_S17_bEUlT_E_NS1_11comp_targetILNS1_3genE8ELNS1_11target_archE1030ELNS1_3gpuE2ELNS1_3repE0EEENS1_30default_config_static_selectorELNS0_4arch9wavefront6targetE1EEEvS11_
; %bb.0:
	.section	.rodata,"a",@progbits
	.p2align	6, 0x0
	.amdhsa_kernel _ZN7rocprim17ROCPRIM_400000_NS6detail17trampoline_kernelINS0_14default_configENS1_27upper_bound_config_selectorIN6thrust23THRUST_200600_302600_NS5tupleIiiNS6_9null_typeES8_S8_S8_S8_S8_S8_S8_EElEEZNS1_14transform_implILb0ES3_SA_NS6_6detail15normal_iteratorINS6_7pointerIS9_NS6_11hip_rocprim5par_tENS6_11use_defaultESH_EEEENSD_INSE_IlSG_SH_SH_EEEEZNS1_13binary_searchIS3_SA_NSD_INS6_10device_ptrIS9_EEEESJ_SL_NS1_21upper_bound_search_opENSC_16wrapped_functionINS6_6system6detail7generic6detail18binary_search_lessEbEEEE10hipError_tPvRmT1_T2_T3_mmT4_T5_P12ihipStream_tbEUlRKS9_E_EESY_S12_S13_mS14_S17_bEUlT_E_NS1_11comp_targetILNS1_3genE8ELNS1_11target_archE1030ELNS1_3gpuE2ELNS1_3repE0EEENS1_30default_config_static_selectorELNS0_4arch9wavefront6targetE1EEEvS11_
		.amdhsa_group_segment_fixed_size 0
		.amdhsa_private_segment_fixed_size 0
		.amdhsa_kernarg_size 56
		.amdhsa_user_sgpr_count 6
		.amdhsa_user_sgpr_private_segment_buffer 1
		.amdhsa_user_sgpr_dispatch_ptr 0
		.amdhsa_user_sgpr_queue_ptr 0
		.amdhsa_user_sgpr_kernarg_segment_ptr 1
		.amdhsa_user_sgpr_dispatch_id 0
		.amdhsa_user_sgpr_flat_scratch_init 0
		.amdhsa_user_sgpr_private_segment_size 0
		.amdhsa_uses_dynamic_stack 0
		.amdhsa_system_sgpr_private_segment_wavefront_offset 0
		.amdhsa_system_sgpr_workgroup_id_x 1
		.amdhsa_system_sgpr_workgroup_id_y 0
		.amdhsa_system_sgpr_workgroup_id_z 0
		.amdhsa_system_sgpr_workgroup_info 0
		.amdhsa_system_vgpr_workitem_id 0
		.amdhsa_next_free_vgpr 1
		.amdhsa_next_free_sgpr 0
		.amdhsa_reserve_vcc 0
		.amdhsa_reserve_flat_scratch 0
		.amdhsa_float_round_mode_32 0
		.amdhsa_float_round_mode_16_64 0
		.amdhsa_float_denorm_mode_32 3
		.amdhsa_float_denorm_mode_16_64 3
		.amdhsa_dx10_clamp 1
		.amdhsa_ieee_mode 1
		.amdhsa_fp16_overflow 0
		.amdhsa_exception_fp_ieee_invalid_op 0
		.amdhsa_exception_fp_denorm_src 0
		.amdhsa_exception_fp_ieee_div_zero 0
		.amdhsa_exception_fp_ieee_overflow 0
		.amdhsa_exception_fp_ieee_underflow 0
		.amdhsa_exception_fp_ieee_inexact 0
		.amdhsa_exception_int_div_zero 0
	.end_amdhsa_kernel
	.section	.text._ZN7rocprim17ROCPRIM_400000_NS6detail17trampoline_kernelINS0_14default_configENS1_27upper_bound_config_selectorIN6thrust23THRUST_200600_302600_NS5tupleIiiNS6_9null_typeES8_S8_S8_S8_S8_S8_S8_EElEEZNS1_14transform_implILb0ES3_SA_NS6_6detail15normal_iteratorINS6_7pointerIS9_NS6_11hip_rocprim5par_tENS6_11use_defaultESH_EEEENSD_INSE_IlSG_SH_SH_EEEEZNS1_13binary_searchIS3_SA_NSD_INS6_10device_ptrIS9_EEEESJ_SL_NS1_21upper_bound_search_opENSC_16wrapped_functionINS6_6system6detail7generic6detail18binary_search_lessEbEEEE10hipError_tPvRmT1_T2_T3_mmT4_T5_P12ihipStream_tbEUlRKS9_E_EESY_S12_S13_mS14_S17_bEUlT_E_NS1_11comp_targetILNS1_3genE8ELNS1_11target_archE1030ELNS1_3gpuE2ELNS1_3repE0EEENS1_30default_config_static_selectorELNS0_4arch9wavefront6targetE1EEEvS11_,"axG",@progbits,_ZN7rocprim17ROCPRIM_400000_NS6detail17trampoline_kernelINS0_14default_configENS1_27upper_bound_config_selectorIN6thrust23THRUST_200600_302600_NS5tupleIiiNS6_9null_typeES8_S8_S8_S8_S8_S8_S8_EElEEZNS1_14transform_implILb0ES3_SA_NS6_6detail15normal_iteratorINS6_7pointerIS9_NS6_11hip_rocprim5par_tENS6_11use_defaultESH_EEEENSD_INSE_IlSG_SH_SH_EEEEZNS1_13binary_searchIS3_SA_NSD_INS6_10device_ptrIS9_EEEESJ_SL_NS1_21upper_bound_search_opENSC_16wrapped_functionINS6_6system6detail7generic6detail18binary_search_lessEbEEEE10hipError_tPvRmT1_T2_T3_mmT4_T5_P12ihipStream_tbEUlRKS9_E_EESY_S12_S13_mS14_S17_bEUlT_E_NS1_11comp_targetILNS1_3genE8ELNS1_11target_archE1030ELNS1_3gpuE2ELNS1_3repE0EEENS1_30default_config_static_selectorELNS0_4arch9wavefront6targetE1EEEvS11_,comdat
.Lfunc_end607:
	.size	_ZN7rocprim17ROCPRIM_400000_NS6detail17trampoline_kernelINS0_14default_configENS1_27upper_bound_config_selectorIN6thrust23THRUST_200600_302600_NS5tupleIiiNS6_9null_typeES8_S8_S8_S8_S8_S8_S8_EElEEZNS1_14transform_implILb0ES3_SA_NS6_6detail15normal_iteratorINS6_7pointerIS9_NS6_11hip_rocprim5par_tENS6_11use_defaultESH_EEEENSD_INSE_IlSG_SH_SH_EEEEZNS1_13binary_searchIS3_SA_NSD_INS6_10device_ptrIS9_EEEESJ_SL_NS1_21upper_bound_search_opENSC_16wrapped_functionINS6_6system6detail7generic6detail18binary_search_lessEbEEEE10hipError_tPvRmT1_T2_T3_mmT4_T5_P12ihipStream_tbEUlRKS9_E_EESY_S12_S13_mS14_S17_bEUlT_E_NS1_11comp_targetILNS1_3genE8ELNS1_11target_archE1030ELNS1_3gpuE2ELNS1_3repE0EEENS1_30default_config_static_selectorELNS0_4arch9wavefront6targetE1EEEvS11_, .Lfunc_end607-_ZN7rocprim17ROCPRIM_400000_NS6detail17trampoline_kernelINS0_14default_configENS1_27upper_bound_config_selectorIN6thrust23THRUST_200600_302600_NS5tupleIiiNS6_9null_typeES8_S8_S8_S8_S8_S8_S8_EElEEZNS1_14transform_implILb0ES3_SA_NS6_6detail15normal_iteratorINS6_7pointerIS9_NS6_11hip_rocprim5par_tENS6_11use_defaultESH_EEEENSD_INSE_IlSG_SH_SH_EEEEZNS1_13binary_searchIS3_SA_NSD_INS6_10device_ptrIS9_EEEESJ_SL_NS1_21upper_bound_search_opENSC_16wrapped_functionINS6_6system6detail7generic6detail18binary_search_lessEbEEEE10hipError_tPvRmT1_T2_T3_mmT4_T5_P12ihipStream_tbEUlRKS9_E_EESY_S12_S13_mS14_S17_bEUlT_E_NS1_11comp_targetILNS1_3genE8ELNS1_11target_archE1030ELNS1_3gpuE2ELNS1_3repE0EEENS1_30default_config_static_selectorELNS0_4arch9wavefront6targetE1EEEvS11_
                                        ; -- End function
	.set _ZN7rocprim17ROCPRIM_400000_NS6detail17trampoline_kernelINS0_14default_configENS1_27upper_bound_config_selectorIN6thrust23THRUST_200600_302600_NS5tupleIiiNS6_9null_typeES8_S8_S8_S8_S8_S8_S8_EElEEZNS1_14transform_implILb0ES3_SA_NS6_6detail15normal_iteratorINS6_7pointerIS9_NS6_11hip_rocprim5par_tENS6_11use_defaultESH_EEEENSD_INSE_IlSG_SH_SH_EEEEZNS1_13binary_searchIS3_SA_NSD_INS6_10device_ptrIS9_EEEESJ_SL_NS1_21upper_bound_search_opENSC_16wrapped_functionINS6_6system6detail7generic6detail18binary_search_lessEbEEEE10hipError_tPvRmT1_T2_T3_mmT4_T5_P12ihipStream_tbEUlRKS9_E_EESY_S12_S13_mS14_S17_bEUlT_E_NS1_11comp_targetILNS1_3genE8ELNS1_11target_archE1030ELNS1_3gpuE2ELNS1_3repE0EEENS1_30default_config_static_selectorELNS0_4arch9wavefront6targetE1EEEvS11_.num_vgpr, 0
	.set _ZN7rocprim17ROCPRIM_400000_NS6detail17trampoline_kernelINS0_14default_configENS1_27upper_bound_config_selectorIN6thrust23THRUST_200600_302600_NS5tupleIiiNS6_9null_typeES8_S8_S8_S8_S8_S8_S8_EElEEZNS1_14transform_implILb0ES3_SA_NS6_6detail15normal_iteratorINS6_7pointerIS9_NS6_11hip_rocprim5par_tENS6_11use_defaultESH_EEEENSD_INSE_IlSG_SH_SH_EEEEZNS1_13binary_searchIS3_SA_NSD_INS6_10device_ptrIS9_EEEESJ_SL_NS1_21upper_bound_search_opENSC_16wrapped_functionINS6_6system6detail7generic6detail18binary_search_lessEbEEEE10hipError_tPvRmT1_T2_T3_mmT4_T5_P12ihipStream_tbEUlRKS9_E_EESY_S12_S13_mS14_S17_bEUlT_E_NS1_11comp_targetILNS1_3genE8ELNS1_11target_archE1030ELNS1_3gpuE2ELNS1_3repE0EEENS1_30default_config_static_selectorELNS0_4arch9wavefront6targetE1EEEvS11_.num_agpr, 0
	.set _ZN7rocprim17ROCPRIM_400000_NS6detail17trampoline_kernelINS0_14default_configENS1_27upper_bound_config_selectorIN6thrust23THRUST_200600_302600_NS5tupleIiiNS6_9null_typeES8_S8_S8_S8_S8_S8_S8_EElEEZNS1_14transform_implILb0ES3_SA_NS6_6detail15normal_iteratorINS6_7pointerIS9_NS6_11hip_rocprim5par_tENS6_11use_defaultESH_EEEENSD_INSE_IlSG_SH_SH_EEEEZNS1_13binary_searchIS3_SA_NSD_INS6_10device_ptrIS9_EEEESJ_SL_NS1_21upper_bound_search_opENSC_16wrapped_functionINS6_6system6detail7generic6detail18binary_search_lessEbEEEE10hipError_tPvRmT1_T2_T3_mmT4_T5_P12ihipStream_tbEUlRKS9_E_EESY_S12_S13_mS14_S17_bEUlT_E_NS1_11comp_targetILNS1_3genE8ELNS1_11target_archE1030ELNS1_3gpuE2ELNS1_3repE0EEENS1_30default_config_static_selectorELNS0_4arch9wavefront6targetE1EEEvS11_.numbered_sgpr, 0
	.set _ZN7rocprim17ROCPRIM_400000_NS6detail17trampoline_kernelINS0_14default_configENS1_27upper_bound_config_selectorIN6thrust23THRUST_200600_302600_NS5tupleIiiNS6_9null_typeES8_S8_S8_S8_S8_S8_S8_EElEEZNS1_14transform_implILb0ES3_SA_NS6_6detail15normal_iteratorINS6_7pointerIS9_NS6_11hip_rocprim5par_tENS6_11use_defaultESH_EEEENSD_INSE_IlSG_SH_SH_EEEEZNS1_13binary_searchIS3_SA_NSD_INS6_10device_ptrIS9_EEEESJ_SL_NS1_21upper_bound_search_opENSC_16wrapped_functionINS6_6system6detail7generic6detail18binary_search_lessEbEEEE10hipError_tPvRmT1_T2_T3_mmT4_T5_P12ihipStream_tbEUlRKS9_E_EESY_S12_S13_mS14_S17_bEUlT_E_NS1_11comp_targetILNS1_3genE8ELNS1_11target_archE1030ELNS1_3gpuE2ELNS1_3repE0EEENS1_30default_config_static_selectorELNS0_4arch9wavefront6targetE1EEEvS11_.num_named_barrier, 0
	.set _ZN7rocprim17ROCPRIM_400000_NS6detail17trampoline_kernelINS0_14default_configENS1_27upper_bound_config_selectorIN6thrust23THRUST_200600_302600_NS5tupleIiiNS6_9null_typeES8_S8_S8_S8_S8_S8_S8_EElEEZNS1_14transform_implILb0ES3_SA_NS6_6detail15normal_iteratorINS6_7pointerIS9_NS6_11hip_rocprim5par_tENS6_11use_defaultESH_EEEENSD_INSE_IlSG_SH_SH_EEEEZNS1_13binary_searchIS3_SA_NSD_INS6_10device_ptrIS9_EEEESJ_SL_NS1_21upper_bound_search_opENSC_16wrapped_functionINS6_6system6detail7generic6detail18binary_search_lessEbEEEE10hipError_tPvRmT1_T2_T3_mmT4_T5_P12ihipStream_tbEUlRKS9_E_EESY_S12_S13_mS14_S17_bEUlT_E_NS1_11comp_targetILNS1_3genE8ELNS1_11target_archE1030ELNS1_3gpuE2ELNS1_3repE0EEENS1_30default_config_static_selectorELNS0_4arch9wavefront6targetE1EEEvS11_.private_seg_size, 0
	.set _ZN7rocprim17ROCPRIM_400000_NS6detail17trampoline_kernelINS0_14default_configENS1_27upper_bound_config_selectorIN6thrust23THRUST_200600_302600_NS5tupleIiiNS6_9null_typeES8_S8_S8_S8_S8_S8_S8_EElEEZNS1_14transform_implILb0ES3_SA_NS6_6detail15normal_iteratorINS6_7pointerIS9_NS6_11hip_rocprim5par_tENS6_11use_defaultESH_EEEENSD_INSE_IlSG_SH_SH_EEEEZNS1_13binary_searchIS3_SA_NSD_INS6_10device_ptrIS9_EEEESJ_SL_NS1_21upper_bound_search_opENSC_16wrapped_functionINS6_6system6detail7generic6detail18binary_search_lessEbEEEE10hipError_tPvRmT1_T2_T3_mmT4_T5_P12ihipStream_tbEUlRKS9_E_EESY_S12_S13_mS14_S17_bEUlT_E_NS1_11comp_targetILNS1_3genE8ELNS1_11target_archE1030ELNS1_3gpuE2ELNS1_3repE0EEENS1_30default_config_static_selectorELNS0_4arch9wavefront6targetE1EEEvS11_.uses_vcc, 0
	.set _ZN7rocprim17ROCPRIM_400000_NS6detail17trampoline_kernelINS0_14default_configENS1_27upper_bound_config_selectorIN6thrust23THRUST_200600_302600_NS5tupleIiiNS6_9null_typeES8_S8_S8_S8_S8_S8_S8_EElEEZNS1_14transform_implILb0ES3_SA_NS6_6detail15normal_iteratorINS6_7pointerIS9_NS6_11hip_rocprim5par_tENS6_11use_defaultESH_EEEENSD_INSE_IlSG_SH_SH_EEEEZNS1_13binary_searchIS3_SA_NSD_INS6_10device_ptrIS9_EEEESJ_SL_NS1_21upper_bound_search_opENSC_16wrapped_functionINS6_6system6detail7generic6detail18binary_search_lessEbEEEE10hipError_tPvRmT1_T2_T3_mmT4_T5_P12ihipStream_tbEUlRKS9_E_EESY_S12_S13_mS14_S17_bEUlT_E_NS1_11comp_targetILNS1_3genE8ELNS1_11target_archE1030ELNS1_3gpuE2ELNS1_3repE0EEENS1_30default_config_static_selectorELNS0_4arch9wavefront6targetE1EEEvS11_.uses_flat_scratch, 0
	.set _ZN7rocprim17ROCPRIM_400000_NS6detail17trampoline_kernelINS0_14default_configENS1_27upper_bound_config_selectorIN6thrust23THRUST_200600_302600_NS5tupleIiiNS6_9null_typeES8_S8_S8_S8_S8_S8_S8_EElEEZNS1_14transform_implILb0ES3_SA_NS6_6detail15normal_iteratorINS6_7pointerIS9_NS6_11hip_rocprim5par_tENS6_11use_defaultESH_EEEENSD_INSE_IlSG_SH_SH_EEEEZNS1_13binary_searchIS3_SA_NSD_INS6_10device_ptrIS9_EEEESJ_SL_NS1_21upper_bound_search_opENSC_16wrapped_functionINS6_6system6detail7generic6detail18binary_search_lessEbEEEE10hipError_tPvRmT1_T2_T3_mmT4_T5_P12ihipStream_tbEUlRKS9_E_EESY_S12_S13_mS14_S17_bEUlT_E_NS1_11comp_targetILNS1_3genE8ELNS1_11target_archE1030ELNS1_3gpuE2ELNS1_3repE0EEENS1_30default_config_static_selectorELNS0_4arch9wavefront6targetE1EEEvS11_.has_dyn_sized_stack, 0
	.set _ZN7rocprim17ROCPRIM_400000_NS6detail17trampoline_kernelINS0_14default_configENS1_27upper_bound_config_selectorIN6thrust23THRUST_200600_302600_NS5tupleIiiNS6_9null_typeES8_S8_S8_S8_S8_S8_S8_EElEEZNS1_14transform_implILb0ES3_SA_NS6_6detail15normal_iteratorINS6_7pointerIS9_NS6_11hip_rocprim5par_tENS6_11use_defaultESH_EEEENSD_INSE_IlSG_SH_SH_EEEEZNS1_13binary_searchIS3_SA_NSD_INS6_10device_ptrIS9_EEEESJ_SL_NS1_21upper_bound_search_opENSC_16wrapped_functionINS6_6system6detail7generic6detail18binary_search_lessEbEEEE10hipError_tPvRmT1_T2_T3_mmT4_T5_P12ihipStream_tbEUlRKS9_E_EESY_S12_S13_mS14_S17_bEUlT_E_NS1_11comp_targetILNS1_3genE8ELNS1_11target_archE1030ELNS1_3gpuE2ELNS1_3repE0EEENS1_30default_config_static_selectorELNS0_4arch9wavefront6targetE1EEEvS11_.has_recursion, 0
	.set _ZN7rocprim17ROCPRIM_400000_NS6detail17trampoline_kernelINS0_14default_configENS1_27upper_bound_config_selectorIN6thrust23THRUST_200600_302600_NS5tupleIiiNS6_9null_typeES8_S8_S8_S8_S8_S8_S8_EElEEZNS1_14transform_implILb0ES3_SA_NS6_6detail15normal_iteratorINS6_7pointerIS9_NS6_11hip_rocprim5par_tENS6_11use_defaultESH_EEEENSD_INSE_IlSG_SH_SH_EEEEZNS1_13binary_searchIS3_SA_NSD_INS6_10device_ptrIS9_EEEESJ_SL_NS1_21upper_bound_search_opENSC_16wrapped_functionINS6_6system6detail7generic6detail18binary_search_lessEbEEEE10hipError_tPvRmT1_T2_T3_mmT4_T5_P12ihipStream_tbEUlRKS9_E_EESY_S12_S13_mS14_S17_bEUlT_E_NS1_11comp_targetILNS1_3genE8ELNS1_11target_archE1030ELNS1_3gpuE2ELNS1_3repE0EEENS1_30default_config_static_selectorELNS0_4arch9wavefront6targetE1EEEvS11_.has_indirect_call, 0
	.section	.AMDGPU.csdata,"",@progbits
; Kernel info:
; codeLenInByte = 0
; TotalNumSgprs: 4
; NumVgprs: 0
; ScratchSize: 0
; MemoryBound: 0
; FloatMode: 240
; IeeeMode: 1
; LDSByteSize: 0 bytes/workgroup (compile time only)
; SGPRBlocks: 0
; VGPRBlocks: 0
; NumSGPRsForWavesPerEU: 4
; NumVGPRsForWavesPerEU: 1
; Occupancy: 10
; WaveLimiterHint : 0
; COMPUTE_PGM_RSRC2:SCRATCH_EN: 0
; COMPUTE_PGM_RSRC2:USER_SGPR: 6
; COMPUTE_PGM_RSRC2:TRAP_HANDLER: 0
; COMPUTE_PGM_RSRC2:TGID_X_EN: 1
; COMPUTE_PGM_RSRC2:TGID_Y_EN: 0
; COMPUTE_PGM_RSRC2:TGID_Z_EN: 0
; COMPUTE_PGM_RSRC2:TIDIG_COMP_CNT: 0
	.section	.text._ZN7rocprim17ROCPRIM_400000_NS6detail17trampoline_kernelINS0_14default_configENS1_27upper_bound_config_selectorIiiEEZNS1_14transform_implILb0ES3_S5_N6thrust23THRUST_200600_302600_NS6detail15normal_iteratorINS8_10device_ptrIiEEEESD_ZNS1_13binary_searchIS3_S5_SD_SD_SD_NS1_21upper_bound_search_opENS9_16wrapped_functionINS0_4lessIvEEbEEEE10hipError_tPvRmT1_T2_T3_mmT4_T5_P12ihipStream_tbEUlRKiE_EESK_SO_SP_mSQ_ST_bEUlT_E_NS1_11comp_targetILNS1_3genE0ELNS1_11target_archE4294967295ELNS1_3gpuE0ELNS1_3repE0EEENS1_30default_config_static_selectorELNS0_4arch9wavefront6targetE1EEEvSN_,"axG",@progbits,_ZN7rocprim17ROCPRIM_400000_NS6detail17trampoline_kernelINS0_14default_configENS1_27upper_bound_config_selectorIiiEEZNS1_14transform_implILb0ES3_S5_N6thrust23THRUST_200600_302600_NS6detail15normal_iteratorINS8_10device_ptrIiEEEESD_ZNS1_13binary_searchIS3_S5_SD_SD_SD_NS1_21upper_bound_search_opENS9_16wrapped_functionINS0_4lessIvEEbEEEE10hipError_tPvRmT1_T2_T3_mmT4_T5_P12ihipStream_tbEUlRKiE_EESK_SO_SP_mSQ_ST_bEUlT_E_NS1_11comp_targetILNS1_3genE0ELNS1_11target_archE4294967295ELNS1_3gpuE0ELNS1_3repE0EEENS1_30default_config_static_selectorELNS0_4arch9wavefront6targetE1EEEvSN_,comdat
	.protected	_ZN7rocprim17ROCPRIM_400000_NS6detail17trampoline_kernelINS0_14default_configENS1_27upper_bound_config_selectorIiiEEZNS1_14transform_implILb0ES3_S5_N6thrust23THRUST_200600_302600_NS6detail15normal_iteratorINS8_10device_ptrIiEEEESD_ZNS1_13binary_searchIS3_S5_SD_SD_SD_NS1_21upper_bound_search_opENS9_16wrapped_functionINS0_4lessIvEEbEEEE10hipError_tPvRmT1_T2_T3_mmT4_T5_P12ihipStream_tbEUlRKiE_EESK_SO_SP_mSQ_ST_bEUlT_E_NS1_11comp_targetILNS1_3genE0ELNS1_11target_archE4294967295ELNS1_3gpuE0ELNS1_3repE0EEENS1_30default_config_static_selectorELNS0_4arch9wavefront6targetE1EEEvSN_ ; -- Begin function _ZN7rocprim17ROCPRIM_400000_NS6detail17trampoline_kernelINS0_14default_configENS1_27upper_bound_config_selectorIiiEEZNS1_14transform_implILb0ES3_S5_N6thrust23THRUST_200600_302600_NS6detail15normal_iteratorINS8_10device_ptrIiEEEESD_ZNS1_13binary_searchIS3_S5_SD_SD_SD_NS1_21upper_bound_search_opENS9_16wrapped_functionINS0_4lessIvEEbEEEE10hipError_tPvRmT1_T2_T3_mmT4_T5_P12ihipStream_tbEUlRKiE_EESK_SO_SP_mSQ_ST_bEUlT_E_NS1_11comp_targetILNS1_3genE0ELNS1_11target_archE4294967295ELNS1_3gpuE0ELNS1_3repE0EEENS1_30default_config_static_selectorELNS0_4arch9wavefront6targetE1EEEvSN_
	.globl	_ZN7rocprim17ROCPRIM_400000_NS6detail17trampoline_kernelINS0_14default_configENS1_27upper_bound_config_selectorIiiEEZNS1_14transform_implILb0ES3_S5_N6thrust23THRUST_200600_302600_NS6detail15normal_iteratorINS8_10device_ptrIiEEEESD_ZNS1_13binary_searchIS3_S5_SD_SD_SD_NS1_21upper_bound_search_opENS9_16wrapped_functionINS0_4lessIvEEbEEEE10hipError_tPvRmT1_T2_T3_mmT4_T5_P12ihipStream_tbEUlRKiE_EESK_SO_SP_mSQ_ST_bEUlT_E_NS1_11comp_targetILNS1_3genE0ELNS1_11target_archE4294967295ELNS1_3gpuE0ELNS1_3repE0EEENS1_30default_config_static_selectorELNS0_4arch9wavefront6targetE1EEEvSN_
	.p2align	8
	.type	_ZN7rocprim17ROCPRIM_400000_NS6detail17trampoline_kernelINS0_14default_configENS1_27upper_bound_config_selectorIiiEEZNS1_14transform_implILb0ES3_S5_N6thrust23THRUST_200600_302600_NS6detail15normal_iteratorINS8_10device_ptrIiEEEESD_ZNS1_13binary_searchIS3_S5_SD_SD_SD_NS1_21upper_bound_search_opENS9_16wrapped_functionINS0_4lessIvEEbEEEE10hipError_tPvRmT1_T2_T3_mmT4_T5_P12ihipStream_tbEUlRKiE_EESK_SO_SP_mSQ_ST_bEUlT_E_NS1_11comp_targetILNS1_3genE0ELNS1_11target_archE4294967295ELNS1_3gpuE0ELNS1_3repE0EEENS1_30default_config_static_selectorELNS0_4arch9wavefront6targetE1EEEvSN_,@function
_ZN7rocprim17ROCPRIM_400000_NS6detail17trampoline_kernelINS0_14default_configENS1_27upper_bound_config_selectorIiiEEZNS1_14transform_implILb0ES3_S5_N6thrust23THRUST_200600_302600_NS6detail15normal_iteratorINS8_10device_ptrIiEEEESD_ZNS1_13binary_searchIS3_S5_SD_SD_SD_NS1_21upper_bound_search_opENS9_16wrapped_functionINS0_4lessIvEEbEEEE10hipError_tPvRmT1_T2_T3_mmT4_T5_P12ihipStream_tbEUlRKiE_EESK_SO_SP_mSQ_ST_bEUlT_E_NS1_11comp_targetILNS1_3genE0ELNS1_11target_archE4294967295ELNS1_3gpuE0ELNS1_3repE0EEENS1_30default_config_static_selectorELNS0_4arch9wavefront6targetE1EEEvSN_: ; @_ZN7rocprim17ROCPRIM_400000_NS6detail17trampoline_kernelINS0_14default_configENS1_27upper_bound_config_selectorIiiEEZNS1_14transform_implILb0ES3_S5_N6thrust23THRUST_200600_302600_NS6detail15normal_iteratorINS8_10device_ptrIiEEEESD_ZNS1_13binary_searchIS3_S5_SD_SD_SD_NS1_21upper_bound_search_opENS9_16wrapped_functionINS0_4lessIvEEbEEEE10hipError_tPvRmT1_T2_T3_mmT4_T5_P12ihipStream_tbEUlRKiE_EESK_SO_SP_mSQ_ST_bEUlT_E_NS1_11comp_targetILNS1_3genE0ELNS1_11target_archE4294967295ELNS1_3gpuE0ELNS1_3repE0EEENS1_30default_config_static_selectorELNS0_4arch9wavefront6targetE1EEEvSN_
; %bb.0:
	.section	.rodata,"a",@progbits
	.p2align	6, 0x0
	.amdhsa_kernel _ZN7rocprim17ROCPRIM_400000_NS6detail17trampoline_kernelINS0_14default_configENS1_27upper_bound_config_selectorIiiEEZNS1_14transform_implILb0ES3_S5_N6thrust23THRUST_200600_302600_NS6detail15normal_iteratorINS8_10device_ptrIiEEEESD_ZNS1_13binary_searchIS3_S5_SD_SD_SD_NS1_21upper_bound_search_opENS9_16wrapped_functionINS0_4lessIvEEbEEEE10hipError_tPvRmT1_T2_T3_mmT4_T5_P12ihipStream_tbEUlRKiE_EESK_SO_SP_mSQ_ST_bEUlT_E_NS1_11comp_targetILNS1_3genE0ELNS1_11target_archE4294967295ELNS1_3gpuE0ELNS1_3repE0EEENS1_30default_config_static_selectorELNS0_4arch9wavefront6targetE1EEEvSN_
		.amdhsa_group_segment_fixed_size 0
		.amdhsa_private_segment_fixed_size 0
		.amdhsa_kernarg_size 56
		.amdhsa_user_sgpr_count 6
		.amdhsa_user_sgpr_private_segment_buffer 1
		.amdhsa_user_sgpr_dispatch_ptr 0
		.amdhsa_user_sgpr_queue_ptr 0
		.amdhsa_user_sgpr_kernarg_segment_ptr 1
		.amdhsa_user_sgpr_dispatch_id 0
		.amdhsa_user_sgpr_flat_scratch_init 0
		.amdhsa_user_sgpr_private_segment_size 0
		.amdhsa_uses_dynamic_stack 0
		.amdhsa_system_sgpr_private_segment_wavefront_offset 0
		.amdhsa_system_sgpr_workgroup_id_x 1
		.amdhsa_system_sgpr_workgroup_id_y 0
		.amdhsa_system_sgpr_workgroup_id_z 0
		.amdhsa_system_sgpr_workgroup_info 0
		.amdhsa_system_vgpr_workitem_id 0
		.amdhsa_next_free_vgpr 1
		.amdhsa_next_free_sgpr 0
		.amdhsa_reserve_vcc 0
		.amdhsa_reserve_flat_scratch 0
		.amdhsa_float_round_mode_32 0
		.amdhsa_float_round_mode_16_64 0
		.amdhsa_float_denorm_mode_32 3
		.amdhsa_float_denorm_mode_16_64 3
		.amdhsa_dx10_clamp 1
		.amdhsa_ieee_mode 1
		.amdhsa_fp16_overflow 0
		.amdhsa_exception_fp_ieee_invalid_op 0
		.amdhsa_exception_fp_denorm_src 0
		.amdhsa_exception_fp_ieee_div_zero 0
		.amdhsa_exception_fp_ieee_overflow 0
		.amdhsa_exception_fp_ieee_underflow 0
		.amdhsa_exception_fp_ieee_inexact 0
		.amdhsa_exception_int_div_zero 0
	.end_amdhsa_kernel
	.section	.text._ZN7rocprim17ROCPRIM_400000_NS6detail17trampoline_kernelINS0_14default_configENS1_27upper_bound_config_selectorIiiEEZNS1_14transform_implILb0ES3_S5_N6thrust23THRUST_200600_302600_NS6detail15normal_iteratorINS8_10device_ptrIiEEEESD_ZNS1_13binary_searchIS3_S5_SD_SD_SD_NS1_21upper_bound_search_opENS9_16wrapped_functionINS0_4lessIvEEbEEEE10hipError_tPvRmT1_T2_T3_mmT4_T5_P12ihipStream_tbEUlRKiE_EESK_SO_SP_mSQ_ST_bEUlT_E_NS1_11comp_targetILNS1_3genE0ELNS1_11target_archE4294967295ELNS1_3gpuE0ELNS1_3repE0EEENS1_30default_config_static_selectorELNS0_4arch9wavefront6targetE1EEEvSN_,"axG",@progbits,_ZN7rocprim17ROCPRIM_400000_NS6detail17trampoline_kernelINS0_14default_configENS1_27upper_bound_config_selectorIiiEEZNS1_14transform_implILb0ES3_S5_N6thrust23THRUST_200600_302600_NS6detail15normal_iteratorINS8_10device_ptrIiEEEESD_ZNS1_13binary_searchIS3_S5_SD_SD_SD_NS1_21upper_bound_search_opENS9_16wrapped_functionINS0_4lessIvEEbEEEE10hipError_tPvRmT1_T2_T3_mmT4_T5_P12ihipStream_tbEUlRKiE_EESK_SO_SP_mSQ_ST_bEUlT_E_NS1_11comp_targetILNS1_3genE0ELNS1_11target_archE4294967295ELNS1_3gpuE0ELNS1_3repE0EEENS1_30default_config_static_selectorELNS0_4arch9wavefront6targetE1EEEvSN_,comdat
.Lfunc_end608:
	.size	_ZN7rocprim17ROCPRIM_400000_NS6detail17trampoline_kernelINS0_14default_configENS1_27upper_bound_config_selectorIiiEEZNS1_14transform_implILb0ES3_S5_N6thrust23THRUST_200600_302600_NS6detail15normal_iteratorINS8_10device_ptrIiEEEESD_ZNS1_13binary_searchIS3_S5_SD_SD_SD_NS1_21upper_bound_search_opENS9_16wrapped_functionINS0_4lessIvEEbEEEE10hipError_tPvRmT1_T2_T3_mmT4_T5_P12ihipStream_tbEUlRKiE_EESK_SO_SP_mSQ_ST_bEUlT_E_NS1_11comp_targetILNS1_3genE0ELNS1_11target_archE4294967295ELNS1_3gpuE0ELNS1_3repE0EEENS1_30default_config_static_selectorELNS0_4arch9wavefront6targetE1EEEvSN_, .Lfunc_end608-_ZN7rocprim17ROCPRIM_400000_NS6detail17trampoline_kernelINS0_14default_configENS1_27upper_bound_config_selectorIiiEEZNS1_14transform_implILb0ES3_S5_N6thrust23THRUST_200600_302600_NS6detail15normal_iteratorINS8_10device_ptrIiEEEESD_ZNS1_13binary_searchIS3_S5_SD_SD_SD_NS1_21upper_bound_search_opENS9_16wrapped_functionINS0_4lessIvEEbEEEE10hipError_tPvRmT1_T2_T3_mmT4_T5_P12ihipStream_tbEUlRKiE_EESK_SO_SP_mSQ_ST_bEUlT_E_NS1_11comp_targetILNS1_3genE0ELNS1_11target_archE4294967295ELNS1_3gpuE0ELNS1_3repE0EEENS1_30default_config_static_selectorELNS0_4arch9wavefront6targetE1EEEvSN_
                                        ; -- End function
	.set _ZN7rocprim17ROCPRIM_400000_NS6detail17trampoline_kernelINS0_14default_configENS1_27upper_bound_config_selectorIiiEEZNS1_14transform_implILb0ES3_S5_N6thrust23THRUST_200600_302600_NS6detail15normal_iteratorINS8_10device_ptrIiEEEESD_ZNS1_13binary_searchIS3_S5_SD_SD_SD_NS1_21upper_bound_search_opENS9_16wrapped_functionINS0_4lessIvEEbEEEE10hipError_tPvRmT1_T2_T3_mmT4_T5_P12ihipStream_tbEUlRKiE_EESK_SO_SP_mSQ_ST_bEUlT_E_NS1_11comp_targetILNS1_3genE0ELNS1_11target_archE4294967295ELNS1_3gpuE0ELNS1_3repE0EEENS1_30default_config_static_selectorELNS0_4arch9wavefront6targetE1EEEvSN_.num_vgpr, 0
	.set _ZN7rocprim17ROCPRIM_400000_NS6detail17trampoline_kernelINS0_14default_configENS1_27upper_bound_config_selectorIiiEEZNS1_14transform_implILb0ES3_S5_N6thrust23THRUST_200600_302600_NS6detail15normal_iteratorINS8_10device_ptrIiEEEESD_ZNS1_13binary_searchIS3_S5_SD_SD_SD_NS1_21upper_bound_search_opENS9_16wrapped_functionINS0_4lessIvEEbEEEE10hipError_tPvRmT1_T2_T3_mmT4_T5_P12ihipStream_tbEUlRKiE_EESK_SO_SP_mSQ_ST_bEUlT_E_NS1_11comp_targetILNS1_3genE0ELNS1_11target_archE4294967295ELNS1_3gpuE0ELNS1_3repE0EEENS1_30default_config_static_selectorELNS0_4arch9wavefront6targetE1EEEvSN_.num_agpr, 0
	.set _ZN7rocprim17ROCPRIM_400000_NS6detail17trampoline_kernelINS0_14default_configENS1_27upper_bound_config_selectorIiiEEZNS1_14transform_implILb0ES3_S5_N6thrust23THRUST_200600_302600_NS6detail15normal_iteratorINS8_10device_ptrIiEEEESD_ZNS1_13binary_searchIS3_S5_SD_SD_SD_NS1_21upper_bound_search_opENS9_16wrapped_functionINS0_4lessIvEEbEEEE10hipError_tPvRmT1_T2_T3_mmT4_T5_P12ihipStream_tbEUlRKiE_EESK_SO_SP_mSQ_ST_bEUlT_E_NS1_11comp_targetILNS1_3genE0ELNS1_11target_archE4294967295ELNS1_3gpuE0ELNS1_3repE0EEENS1_30default_config_static_selectorELNS0_4arch9wavefront6targetE1EEEvSN_.numbered_sgpr, 0
	.set _ZN7rocprim17ROCPRIM_400000_NS6detail17trampoline_kernelINS0_14default_configENS1_27upper_bound_config_selectorIiiEEZNS1_14transform_implILb0ES3_S5_N6thrust23THRUST_200600_302600_NS6detail15normal_iteratorINS8_10device_ptrIiEEEESD_ZNS1_13binary_searchIS3_S5_SD_SD_SD_NS1_21upper_bound_search_opENS9_16wrapped_functionINS0_4lessIvEEbEEEE10hipError_tPvRmT1_T2_T3_mmT4_T5_P12ihipStream_tbEUlRKiE_EESK_SO_SP_mSQ_ST_bEUlT_E_NS1_11comp_targetILNS1_3genE0ELNS1_11target_archE4294967295ELNS1_3gpuE0ELNS1_3repE0EEENS1_30default_config_static_selectorELNS0_4arch9wavefront6targetE1EEEvSN_.num_named_barrier, 0
	.set _ZN7rocprim17ROCPRIM_400000_NS6detail17trampoline_kernelINS0_14default_configENS1_27upper_bound_config_selectorIiiEEZNS1_14transform_implILb0ES3_S5_N6thrust23THRUST_200600_302600_NS6detail15normal_iteratorINS8_10device_ptrIiEEEESD_ZNS1_13binary_searchIS3_S5_SD_SD_SD_NS1_21upper_bound_search_opENS9_16wrapped_functionINS0_4lessIvEEbEEEE10hipError_tPvRmT1_T2_T3_mmT4_T5_P12ihipStream_tbEUlRKiE_EESK_SO_SP_mSQ_ST_bEUlT_E_NS1_11comp_targetILNS1_3genE0ELNS1_11target_archE4294967295ELNS1_3gpuE0ELNS1_3repE0EEENS1_30default_config_static_selectorELNS0_4arch9wavefront6targetE1EEEvSN_.private_seg_size, 0
	.set _ZN7rocprim17ROCPRIM_400000_NS6detail17trampoline_kernelINS0_14default_configENS1_27upper_bound_config_selectorIiiEEZNS1_14transform_implILb0ES3_S5_N6thrust23THRUST_200600_302600_NS6detail15normal_iteratorINS8_10device_ptrIiEEEESD_ZNS1_13binary_searchIS3_S5_SD_SD_SD_NS1_21upper_bound_search_opENS9_16wrapped_functionINS0_4lessIvEEbEEEE10hipError_tPvRmT1_T2_T3_mmT4_T5_P12ihipStream_tbEUlRKiE_EESK_SO_SP_mSQ_ST_bEUlT_E_NS1_11comp_targetILNS1_3genE0ELNS1_11target_archE4294967295ELNS1_3gpuE0ELNS1_3repE0EEENS1_30default_config_static_selectorELNS0_4arch9wavefront6targetE1EEEvSN_.uses_vcc, 0
	.set _ZN7rocprim17ROCPRIM_400000_NS6detail17trampoline_kernelINS0_14default_configENS1_27upper_bound_config_selectorIiiEEZNS1_14transform_implILb0ES3_S5_N6thrust23THRUST_200600_302600_NS6detail15normal_iteratorINS8_10device_ptrIiEEEESD_ZNS1_13binary_searchIS3_S5_SD_SD_SD_NS1_21upper_bound_search_opENS9_16wrapped_functionINS0_4lessIvEEbEEEE10hipError_tPvRmT1_T2_T3_mmT4_T5_P12ihipStream_tbEUlRKiE_EESK_SO_SP_mSQ_ST_bEUlT_E_NS1_11comp_targetILNS1_3genE0ELNS1_11target_archE4294967295ELNS1_3gpuE0ELNS1_3repE0EEENS1_30default_config_static_selectorELNS0_4arch9wavefront6targetE1EEEvSN_.uses_flat_scratch, 0
	.set _ZN7rocprim17ROCPRIM_400000_NS6detail17trampoline_kernelINS0_14default_configENS1_27upper_bound_config_selectorIiiEEZNS1_14transform_implILb0ES3_S5_N6thrust23THRUST_200600_302600_NS6detail15normal_iteratorINS8_10device_ptrIiEEEESD_ZNS1_13binary_searchIS3_S5_SD_SD_SD_NS1_21upper_bound_search_opENS9_16wrapped_functionINS0_4lessIvEEbEEEE10hipError_tPvRmT1_T2_T3_mmT4_T5_P12ihipStream_tbEUlRKiE_EESK_SO_SP_mSQ_ST_bEUlT_E_NS1_11comp_targetILNS1_3genE0ELNS1_11target_archE4294967295ELNS1_3gpuE0ELNS1_3repE0EEENS1_30default_config_static_selectorELNS0_4arch9wavefront6targetE1EEEvSN_.has_dyn_sized_stack, 0
	.set _ZN7rocprim17ROCPRIM_400000_NS6detail17trampoline_kernelINS0_14default_configENS1_27upper_bound_config_selectorIiiEEZNS1_14transform_implILb0ES3_S5_N6thrust23THRUST_200600_302600_NS6detail15normal_iteratorINS8_10device_ptrIiEEEESD_ZNS1_13binary_searchIS3_S5_SD_SD_SD_NS1_21upper_bound_search_opENS9_16wrapped_functionINS0_4lessIvEEbEEEE10hipError_tPvRmT1_T2_T3_mmT4_T5_P12ihipStream_tbEUlRKiE_EESK_SO_SP_mSQ_ST_bEUlT_E_NS1_11comp_targetILNS1_3genE0ELNS1_11target_archE4294967295ELNS1_3gpuE0ELNS1_3repE0EEENS1_30default_config_static_selectorELNS0_4arch9wavefront6targetE1EEEvSN_.has_recursion, 0
	.set _ZN7rocprim17ROCPRIM_400000_NS6detail17trampoline_kernelINS0_14default_configENS1_27upper_bound_config_selectorIiiEEZNS1_14transform_implILb0ES3_S5_N6thrust23THRUST_200600_302600_NS6detail15normal_iteratorINS8_10device_ptrIiEEEESD_ZNS1_13binary_searchIS3_S5_SD_SD_SD_NS1_21upper_bound_search_opENS9_16wrapped_functionINS0_4lessIvEEbEEEE10hipError_tPvRmT1_T2_T3_mmT4_T5_P12ihipStream_tbEUlRKiE_EESK_SO_SP_mSQ_ST_bEUlT_E_NS1_11comp_targetILNS1_3genE0ELNS1_11target_archE4294967295ELNS1_3gpuE0ELNS1_3repE0EEENS1_30default_config_static_selectorELNS0_4arch9wavefront6targetE1EEEvSN_.has_indirect_call, 0
	.section	.AMDGPU.csdata,"",@progbits
; Kernel info:
; codeLenInByte = 0
; TotalNumSgprs: 4
; NumVgprs: 0
; ScratchSize: 0
; MemoryBound: 0
; FloatMode: 240
; IeeeMode: 1
; LDSByteSize: 0 bytes/workgroup (compile time only)
; SGPRBlocks: 0
; VGPRBlocks: 0
; NumSGPRsForWavesPerEU: 4
; NumVGPRsForWavesPerEU: 1
; Occupancy: 10
; WaveLimiterHint : 0
; COMPUTE_PGM_RSRC2:SCRATCH_EN: 0
; COMPUTE_PGM_RSRC2:USER_SGPR: 6
; COMPUTE_PGM_RSRC2:TRAP_HANDLER: 0
; COMPUTE_PGM_RSRC2:TGID_X_EN: 1
; COMPUTE_PGM_RSRC2:TGID_Y_EN: 0
; COMPUTE_PGM_RSRC2:TGID_Z_EN: 0
; COMPUTE_PGM_RSRC2:TIDIG_COMP_CNT: 0
	.section	.text._ZN7rocprim17ROCPRIM_400000_NS6detail17trampoline_kernelINS0_14default_configENS1_27upper_bound_config_selectorIiiEEZNS1_14transform_implILb0ES3_S5_N6thrust23THRUST_200600_302600_NS6detail15normal_iteratorINS8_10device_ptrIiEEEESD_ZNS1_13binary_searchIS3_S5_SD_SD_SD_NS1_21upper_bound_search_opENS9_16wrapped_functionINS0_4lessIvEEbEEEE10hipError_tPvRmT1_T2_T3_mmT4_T5_P12ihipStream_tbEUlRKiE_EESK_SO_SP_mSQ_ST_bEUlT_E_NS1_11comp_targetILNS1_3genE5ELNS1_11target_archE942ELNS1_3gpuE9ELNS1_3repE0EEENS1_30default_config_static_selectorELNS0_4arch9wavefront6targetE1EEEvSN_,"axG",@progbits,_ZN7rocprim17ROCPRIM_400000_NS6detail17trampoline_kernelINS0_14default_configENS1_27upper_bound_config_selectorIiiEEZNS1_14transform_implILb0ES3_S5_N6thrust23THRUST_200600_302600_NS6detail15normal_iteratorINS8_10device_ptrIiEEEESD_ZNS1_13binary_searchIS3_S5_SD_SD_SD_NS1_21upper_bound_search_opENS9_16wrapped_functionINS0_4lessIvEEbEEEE10hipError_tPvRmT1_T2_T3_mmT4_T5_P12ihipStream_tbEUlRKiE_EESK_SO_SP_mSQ_ST_bEUlT_E_NS1_11comp_targetILNS1_3genE5ELNS1_11target_archE942ELNS1_3gpuE9ELNS1_3repE0EEENS1_30default_config_static_selectorELNS0_4arch9wavefront6targetE1EEEvSN_,comdat
	.protected	_ZN7rocprim17ROCPRIM_400000_NS6detail17trampoline_kernelINS0_14default_configENS1_27upper_bound_config_selectorIiiEEZNS1_14transform_implILb0ES3_S5_N6thrust23THRUST_200600_302600_NS6detail15normal_iteratorINS8_10device_ptrIiEEEESD_ZNS1_13binary_searchIS3_S5_SD_SD_SD_NS1_21upper_bound_search_opENS9_16wrapped_functionINS0_4lessIvEEbEEEE10hipError_tPvRmT1_T2_T3_mmT4_T5_P12ihipStream_tbEUlRKiE_EESK_SO_SP_mSQ_ST_bEUlT_E_NS1_11comp_targetILNS1_3genE5ELNS1_11target_archE942ELNS1_3gpuE9ELNS1_3repE0EEENS1_30default_config_static_selectorELNS0_4arch9wavefront6targetE1EEEvSN_ ; -- Begin function _ZN7rocprim17ROCPRIM_400000_NS6detail17trampoline_kernelINS0_14default_configENS1_27upper_bound_config_selectorIiiEEZNS1_14transform_implILb0ES3_S5_N6thrust23THRUST_200600_302600_NS6detail15normal_iteratorINS8_10device_ptrIiEEEESD_ZNS1_13binary_searchIS3_S5_SD_SD_SD_NS1_21upper_bound_search_opENS9_16wrapped_functionINS0_4lessIvEEbEEEE10hipError_tPvRmT1_T2_T3_mmT4_T5_P12ihipStream_tbEUlRKiE_EESK_SO_SP_mSQ_ST_bEUlT_E_NS1_11comp_targetILNS1_3genE5ELNS1_11target_archE942ELNS1_3gpuE9ELNS1_3repE0EEENS1_30default_config_static_selectorELNS0_4arch9wavefront6targetE1EEEvSN_
	.globl	_ZN7rocprim17ROCPRIM_400000_NS6detail17trampoline_kernelINS0_14default_configENS1_27upper_bound_config_selectorIiiEEZNS1_14transform_implILb0ES3_S5_N6thrust23THRUST_200600_302600_NS6detail15normal_iteratorINS8_10device_ptrIiEEEESD_ZNS1_13binary_searchIS3_S5_SD_SD_SD_NS1_21upper_bound_search_opENS9_16wrapped_functionINS0_4lessIvEEbEEEE10hipError_tPvRmT1_T2_T3_mmT4_T5_P12ihipStream_tbEUlRKiE_EESK_SO_SP_mSQ_ST_bEUlT_E_NS1_11comp_targetILNS1_3genE5ELNS1_11target_archE942ELNS1_3gpuE9ELNS1_3repE0EEENS1_30default_config_static_selectorELNS0_4arch9wavefront6targetE1EEEvSN_
	.p2align	8
	.type	_ZN7rocprim17ROCPRIM_400000_NS6detail17trampoline_kernelINS0_14default_configENS1_27upper_bound_config_selectorIiiEEZNS1_14transform_implILb0ES3_S5_N6thrust23THRUST_200600_302600_NS6detail15normal_iteratorINS8_10device_ptrIiEEEESD_ZNS1_13binary_searchIS3_S5_SD_SD_SD_NS1_21upper_bound_search_opENS9_16wrapped_functionINS0_4lessIvEEbEEEE10hipError_tPvRmT1_T2_T3_mmT4_T5_P12ihipStream_tbEUlRKiE_EESK_SO_SP_mSQ_ST_bEUlT_E_NS1_11comp_targetILNS1_3genE5ELNS1_11target_archE942ELNS1_3gpuE9ELNS1_3repE0EEENS1_30default_config_static_selectorELNS0_4arch9wavefront6targetE1EEEvSN_,@function
_ZN7rocprim17ROCPRIM_400000_NS6detail17trampoline_kernelINS0_14default_configENS1_27upper_bound_config_selectorIiiEEZNS1_14transform_implILb0ES3_S5_N6thrust23THRUST_200600_302600_NS6detail15normal_iteratorINS8_10device_ptrIiEEEESD_ZNS1_13binary_searchIS3_S5_SD_SD_SD_NS1_21upper_bound_search_opENS9_16wrapped_functionINS0_4lessIvEEbEEEE10hipError_tPvRmT1_T2_T3_mmT4_T5_P12ihipStream_tbEUlRKiE_EESK_SO_SP_mSQ_ST_bEUlT_E_NS1_11comp_targetILNS1_3genE5ELNS1_11target_archE942ELNS1_3gpuE9ELNS1_3repE0EEENS1_30default_config_static_selectorELNS0_4arch9wavefront6targetE1EEEvSN_: ; @_ZN7rocprim17ROCPRIM_400000_NS6detail17trampoline_kernelINS0_14default_configENS1_27upper_bound_config_selectorIiiEEZNS1_14transform_implILb0ES3_S5_N6thrust23THRUST_200600_302600_NS6detail15normal_iteratorINS8_10device_ptrIiEEEESD_ZNS1_13binary_searchIS3_S5_SD_SD_SD_NS1_21upper_bound_search_opENS9_16wrapped_functionINS0_4lessIvEEbEEEE10hipError_tPvRmT1_T2_T3_mmT4_T5_P12ihipStream_tbEUlRKiE_EESK_SO_SP_mSQ_ST_bEUlT_E_NS1_11comp_targetILNS1_3genE5ELNS1_11target_archE942ELNS1_3gpuE9ELNS1_3repE0EEENS1_30default_config_static_selectorELNS0_4arch9wavefront6targetE1EEEvSN_
; %bb.0:
	.section	.rodata,"a",@progbits
	.p2align	6, 0x0
	.amdhsa_kernel _ZN7rocprim17ROCPRIM_400000_NS6detail17trampoline_kernelINS0_14default_configENS1_27upper_bound_config_selectorIiiEEZNS1_14transform_implILb0ES3_S5_N6thrust23THRUST_200600_302600_NS6detail15normal_iteratorINS8_10device_ptrIiEEEESD_ZNS1_13binary_searchIS3_S5_SD_SD_SD_NS1_21upper_bound_search_opENS9_16wrapped_functionINS0_4lessIvEEbEEEE10hipError_tPvRmT1_T2_T3_mmT4_T5_P12ihipStream_tbEUlRKiE_EESK_SO_SP_mSQ_ST_bEUlT_E_NS1_11comp_targetILNS1_3genE5ELNS1_11target_archE942ELNS1_3gpuE9ELNS1_3repE0EEENS1_30default_config_static_selectorELNS0_4arch9wavefront6targetE1EEEvSN_
		.amdhsa_group_segment_fixed_size 0
		.amdhsa_private_segment_fixed_size 0
		.amdhsa_kernarg_size 56
		.amdhsa_user_sgpr_count 6
		.amdhsa_user_sgpr_private_segment_buffer 1
		.amdhsa_user_sgpr_dispatch_ptr 0
		.amdhsa_user_sgpr_queue_ptr 0
		.amdhsa_user_sgpr_kernarg_segment_ptr 1
		.amdhsa_user_sgpr_dispatch_id 0
		.amdhsa_user_sgpr_flat_scratch_init 0
		.amdhsa_user_sgpr_private_segment_size 0
		.amdhsa_uses_dynamic_stack 0
		.amdhsa_system_sgpr_private_segment_wavefront_offset 0
		.amdhsa_system_sgpr_workgroup_id_x 1
		.amdhsa_system_sgpr_workgroup_id_y 0
		.amdhsa_system_sgpr_workgroup_id_z 0
		.amdhsa_system_sgpr_workgroup_info 0
		.amdhsa_system_vgpr_workitem_id 0
		.amdhsa_next_free_vgpr 1
		.amdhsa_next_free_sgpr 0
		.amdhsa_reserve_vcc 0
		.amdhsa_reserve_flat_scratch 0
		.amdhsa_float_round_mode_32 0
		.amdhsa_float_round_mode_16_64 0
		.amdhsa_float_denorm_mode_32 3
		.amdhsa_float_denorm_mode_16_64 3
		.amdhsa_dx10_clamp 1
		.amdhsa_ieee_mode 1
		.amdhsa_fp16_overflow 0
		.amdhsa_exception_fp_ieee_invalid_op 0
		.amdhsa_exception_fp_denorm_src 0
		.amdhsa_exception_fp_ieee_div_zero 0
		.amdhsa_exception_fp_ieee_overflow 0
		.amdhsa_exception_fp_ieee_underflow 0
		.amdhsa_exception_fp_ieee_inexact 0
		.amdhsa_exception_int_div_zero 0
	.end_amdhsa_kernel
	.section	.text._ZN7rocprim17ROCPRIM_400000_NS6detail17trampoline_kernelINS0_14default_configENS1_27upper_bound_config_selectorIiiEEZNS1_14transform_implILb0ES3_S5_N6thrust23THRUST_200600_302600_NS6detail15normal_iteratorINS8_10device_ptrIiEEEESD_ZNS1_13binary_searchIS3_S5_SD_SD_SD_NS1_21upper_bound_search_opENS9_16wrapped_functionINS0_4lessIvEEbEEEE10hipError_tPvRmT1_T2_T3_mmT4_T5_P12ihipStream_tbEUlRKiE_EESK_SO_SP_mSQ_ST_bEUlT_E_NS1_11comp_targetILNS1_3genE5ELNS1_11target_archE942ELNS1_3gpuE9ELNS1_3repE0EEENS1_30default_config_static_selectorELNS0_4arch9wavefront6targetE1EEEvSN_,"axG",@progbits,_ZN7rocprim17ROCPRIM_400000_NS6detail17trampoline_kernelINS0_14default_configENS1_27upper_bound_config_selectorIiiEEZNS1_14transform_implILb0ES3_S5_N6thrust23THRUST_200600_302600_NS6detail15normal_iteratorINS8_10device_ptrIiEEEESD_ZNS1_13binary_searchIS3_S5_SD_SD_SD_NS1_21upper_bound_search_opENS9_16wrapped_functionINS0_4lessIvEEbEEEE10hipError_tPvRmT1_T2_T3_mmT4_T5_P12ihipStream_tbEUlRKiE_EESK_SO_SP_mSQ_ST_bEUlT_E_NS1_11comp_targetILNS1_3genE5ELNS1_11target_archE942ELNS1_3gpuE9ELNS1_3repE0EEENS1_30default_config_static_selectorELNS0_4arch9wavefront6targetE1EEEvSN_,comdat
.Lfunc_end609:
	.size	_ZN7rocprim17ROCPRIM_400000_NS6detail17trampoline_kernelINS0_14default_configENS1_27upper_bound_config_selectorIiiEEZNS1_14transform_implILb0ES3_S5_N6thrust23THRUST_200600_302600_NS6detail15normal_iteratorINS8_10device_ptrIiEEEESD_ZNS1_13binary_searchIS3_S5_SD_SD_SD_NS1_21upper_bound_search_opENS9_16wrapped_functionINS0_4lessIvEEbEEEE10hipError_tPvRmT1_T2_T3_mmT4_T5_P12ihipStream_tbEUlRKiE_EESK_SO_SP_mSQ_ST_bEUlT_E_NS1_11comp_targetILNS1_3genE5ELNS1_11target_archE942ELNS1_3gpuE9ELNS1_3repE0EEENS1_30default_config_static_selectorELNS0_4arch9wavefront6targetE1EEEvSN_, .Lfunc_end609-_ZN7rocprim17ROCPRIM_400000_NS6detail17trampoline_kernelINS0_14default_configENS1_27upper_bound_config_selectorIiiEEZNS1_14transform_implILb0ES3_S5_N6thrust23THRUST_200600_302600_NS6detail15normal_iteratorINS8_10device_ptrIiEEEESD_ZNS1_13binary_searchIS3_S5_SD_SD_SD_NS1_21upper_bound_search_opENS9_16wrapped_functionINS0_4lessIvEEbEEEE10hipError_tPvRmT1_T2_T3_mmT4_T5_P12ihipStream_tbEUlRKiE_EESK_SO_SP_mSQ_ST_bEUlT_E_NS1_11comp_targetILNS1_3genE5ELNS1_11target_archE942ELNS1_3gpuE9ELNS1_3repE0EEENS1_30default_config_static_selectorELNS0_4arch9wavefront6targetE1EEEvSN_
                                        ; -- End function
	.set _ZN7rocprim17ROCPRIM_400000_NS6detail17trampoline_kernelINS0_14default_configENS1_27upper_bound_config_selectorIiiEEZNS1_14transform_implILb0ES3_S5_N6thrust23THRUST_200600_302600_NS6detail15normal_iteratorINS8_10device_ptrIiEEEESD_ZNS1_13binary_searchIS3_S5_SD_SD_SD_NS1_21upper_bound_search_opENS9_16wrapped_functionINS0_4lessIvEEbEEEE10hipError_tPvRmT1_T2_T3_mmT4_T5_P12ihipStream_tbEUlRKiE_EESK_SO_SP_mSQ_ST_bEUlT_E_NS1_11comp_targetILNS1_3genE5ELNS1_11target_archE942ELNS1_3gpuE9ELNS1_3repE0EEENS1_30default_config_static_selectorELNS0_4arch9wavefront6targetE1EEEvSN_.num_vgpr, 0
	.set _ZN7rocprim17ROCPRIM_400000_NS6detail17trampoline_kernelINS0_14default_configENS1_27upper_bound_config_selectorIiiEEZNS1_14transform_implILb0ES3_S5_N6thrust23THRUST_200600_302600_NS6detail15normal_iteratorINS8_10device_ptrIiEEEESD_ZNS1_13binary_searchIS3_S5_SD_SD_SD_NS1_21upper_bound_search_opENS9_16wrapped_functionINS0_4lessIvEEbEEEE10hipError_tPvRmT1_T2_T3_mmT4_T5_P12ihipStream_tbEUlRKiE_EESK_SO_SP_mSQ_ST_bEUlT_E_NS1_11comp_targetILNS1_3genE5ELNS1_11target_archE942ELNS1_3gpuE9ELNS1_3repE0EEENS1_30default_config_static_selectorELNS0_4arch9wavefront6targetE1EEEvSN_.num_agpr, 0
	.set _ZN7rocprim17ROCPRIM_400000_NS6detail17trampoline_kernelINS0_14default_configENS1_27upper_bound_config_selectorIiiEEZNS1_14transform_implILb0ES3_S5_N6thrust23THRUST_200600_302600_NS6detail15normal_iteratorINS8_10device_ptrIiEEEESD_ZNS1_13binary_searchIS3_S5_SD_SD_SD_NS1_21upper_bound_search_opENS9_16wrapped_functionINS0_4lessIvEEbEEEE10hipError_tPvRmT1_T2_T3_mmT4_T5_P12ihipStream_tbEUlRKiE_EESK_SO_SP_mSQ_ST_bEUlT_E_NS1_11comp_targetILNS1_3genE5ELNS1_11target_archE942ELNS1_3gpuE9ELNS1_3repE0EEENS1_30default_config_static_selectorELNS0_4arch9wavefront6targetE1EEEvSN_.numbered_sgpr, 0
	.set _ZN7rocprim17ROCPRIM_400000_NS6detail17trampoline_kernelINS0_14default_configENS1_27upper_bound_config_selectorIiiEEZNS1_14transform_implILb0ES3_S5_N6thrust23THRUST_200600_302600_NS6detail15normal_iteratorINS8_10device_ptrIiEEEESD_ZNS1_13binary_searchIS3_S5_SD_SD_SD_NS1_21upper_bound_search_opENS9_16wrapped_functionINS0_4lessIvEEbEEEE10hipError_tPvRmT1_T2_T3_mmT4_T5_P12ihipStream_tbEUlRKiE_EESK_SO_SP_mSQ_ST_bEUlT_E_NS1_11comp_targetILNS1_3genE5ELNS1_11target_archE942ELNS1_3gpuE9ELNS1_3repE0EEENS1_30default_config_static_selectorELNS0_4arch9wavefront6targetE1EEEvSN_.num_named_barrier, 0
	.set _ZN7rocprim17ROCPRIM_400000_NS6detail17trampoline_kernelINS0_14default_configENS1_27upper_bound_config_selectorIiiEEZNS1_14transform_implILb0ES3_S5_N6thrust23THRUST_200600_302600_NS6detail15normal_iteratorINS8_10device_ptrIiEEEESD_ZNS1_13binary_searchIS3_S5_SD_SD_SD_NS1_21upper_bound_search_opENS9_16wrapped_functionINS0_4lessIvEEbEEEE10hipError_tPvRmT1_T2_T3_mmT4_T5_P12ihipStream_tbEUlRKiE_EESK_SO_SP_mSQ_ST_bEUlT_E_NS1_11comp_targetILNS1_3genE5ELNS1_11target_archE942ELNS1_3gpuE9ELNS1_3repE0EEENS1_30default_config_static_selectorELNS0_4arch9wavefront6targetE1EEEvSN_.private_seg_size, 0
	.set _ZN7rocprim17ROCPRIM_400000_NS6detail17trampoline_kernelINS0_14default_configENS1_27upper_bound_config_selectorIiiEEZNS1_14transform_implILb0ES3_S5_N6thrust23THRUST_200600_302600_NS6detail15normal_iteratorINS8_10device_ptrIiEEEESD_ZNS1_13binary_searchIS3_S5_SD_SD_SD_NS1_21upper_bound_search_opENS9_16wrapped_functionINS0_4lessIvEEbEEEE10hipError_tPvRmT1_T2_T3_mmT4_T5_P12ihipStream_tbEUlRKiE_EESK_SO_SP_mSQ_ST_bEUlT_E_NS1_11comp_targetILNS1_3genE5ELNS1_11target_archE942ELNS1_3gpuE9ELNS1_3repE0EEENS1_30default_config_static_selectorELNS0_4arch9wavefront6targetE1EEEvSN_.uses_vcc, 0
	.set _ZN7rocprim17ROCPRIM_400000_NS6detail17trampoline_kernelINS0_14default_configENS1_27upper_bound_config_selectorIiiEEZNS1_14transform_implILb0ES3_S5_N6thrust23THRUST_200600_302600_NS6detail15normal_iteratorINS8_10device_ptrIiEEEESD_ZNS1_13binary_searchIS3_S5_SD_SD_SD_NS1_21upper_bound_search_opENS9_16wrapped_functionINS0_4lessIvEEbEEEE10hipError_tPvRmT1_T2_T3_mmT4_T5_P12ihipStream_tbEUlRKiE_EESK_SO_SP_mSQ_ST_bEUlT_E_NS1_11comp_targetILNS1_3genE5ELNS1_11target_archE942ELNS1_3gpuE9ELNS1_3repE0EEENS1_30default_config_static_selectorELNS0_4arch9wavefront6targetE1EEEvSN_.uses_flat_scratch, 0
	.set _ZN7rocprim17ROCPRIM_400000_NS6detail17trampoline_kernelINS0_14default_configENS1_27upper_bound_config_selectorIiiEEZNS1_14transform_implILb0ES3_S5_N6thrust23THRUST_200600_302600_NS6detail15normal_iteratorINS8_10device_ptrIiEEEESD_ZNS1_13binary_searchIS3_S5_SD_SD_SD_NS1_21upper_bound_search_opENS9_16wrapped_functionINS0_4lessIvEEbEEEE10hipError_tPvRmT1_T2_T3_mmT4_T5_P12ihipStream_tbEUlRKiE_EESK_SO_SP_mSQ_ST_bEUlT_E_NS1_11comp_targetILNS1_3genE5ELNS1_11target_archE942ELNS1_3gpuE9ELNS1_3repE0EEENS1_30default_config_static_selectorELNS0_4arch9wavefront6targetE1EEEvSN_.has_dyn_sized_stack, 0
	.set _ZN7rocprim17ROCPRIM_400000_NS6detail17trampoline_kernelINS0_14default_configENS1_27upper_bound_config_selectorIiiEEZNS1_14transform_implILb0ES3_S5_N6thrust23THRUST_200600_302600_NS6detail15normal_iteratorINS8_10device_ptrIiEEEESD_ZNS1_13binary_searchIS3_S5_SD_SD_SD_NS1_21upper_bound_search_opENS9_16wrapped_functionINS0_4lessIvEEbEEEE10hipError_tPvRmT1_T2_T3_mmT4_T5_P12ihipStream_tbEUlRKiE_EESK_SO_SP_mSQ_ST_bEUlT_E_NS1_11comp_targetILNS1_3genE5ELNS1_11target_archE942ELNS1_3gpuE9ELNS1_3repE0EEENS1_30default_config_static_selectorELNS0_4arch9wavefront6targetE1EEEvSN_.has_recursion, 0
	.set _ZN7rocprim17ROCPRIM_400000_NS6detail17trampoline_kernelINS0_14default_configENS1_27upper_bound_config_selectorIiiEEZNS1_14transform_implILb0ES3_S5_N6thrust23THRUST_200600_302600_NS6detail15normal_iteratorINS8_10device_ptrIiEEEESD_ZNS1_13binary_searchIS3_S5_SD_SD_SD_NS1_21upper_bound_search_opENS9_16wrapped_functionINS0_4lessIvEEbEEEE10hipError_tPvRmT1_T2_T3_mmT4_T5_P12ihipStream_tbEUlRKiE_EESK_SO_SP_mSQ_ST_bEUlT_E_NS1_11comp_targetILNS1_3genE5ELNS1_11target_archE942ELNS1_3gpuE9ELNS1_3repE0EEENS1_30default_config_static_selectorELNS0_4arch9wavefront6targetE1EEEvSN_.has_indirect_call, 0
	.section	.AMDGPU.csdata,"",@progbits
; Kernel info:
; codeLenInByte = 0
; TotalNumSgprs: 4
; NumVgprs: 0
; ScratchSize: 0
; MemoryBound: 0
; FloatMode: 240
; IeeeMode: 1
; LDSByteSize: 0 bytes/workgroup (compile time only)
; SGPRBlocks: 0
; VGPRBlocks: 0
; NumSGPRsForWavesPerEU: 4
; NumVGPRsForWavesPerEU: 1
; Occupancy: 10
; WaveLimiterHint : 0
; COMPUTE_PGM_RSRC2:SCRATCH_EN: 0
; COMPUTE_PGM_RSRC2:USER_SGPR: 6
; COMPUTE_PGM_RSRC2:TRAP_HANDLER: 0
; COMPUTE_PGM_RSRC2:TGID_X_EN: 1
; COMPUTE_PGM_RSRC2:TGID_Y_EN: 0
; COMPUTE_PGM_RSRC2:TGID_Z_EN: 0
; COMPUTE_PGM_RSRC2:TIDIG_COMP_CNT: 0
	.section	.text._ZN7rocprim17ROCPRIM_400000_NS6detail17trampoline_kernelINS0_14default_configENS1_27upper_bound_config_selectorIiiEEZNS1_14transform_implILb0ES3_S5_N6thrust23THRUST_200600_302600_NS6detail15normal_iteratorINS8_10device_ptrIiEEEESD_ZNS1_13binary_searchIS3_S5_SD_SD_SD_NS1_21upper_bound_search_opENS9_16wrapped_functionINS0_4lessIvEEbEEEE10hipError_tPvRmT1_T2_T3_mmT4_T5_P12ihipStream_tbEUlRKiE_EESK_SO_SP_mSQ_ST_bEUlT_E_NS1_11comp_targetILNS1_3genE4ELNS1_11target_archE910ELNS1_3gpuE8ELNS1_3repE0EEENS1_30default_config_static_selectorELNS0_4arch9wavefront6targetE1EEEvSN_,"axG",@progbits,_ZN7rocprim17ROCPRIM_400000_NS6detail17trampoline_kernelINS0_14default_configENS1_27upper_bound_config_selectorIiiEEZNS1_14transform_implILb0ES3_S5_N6thrust23THRUST_200600_302600_NS6detail15normal_iteratorINS8_10device_ptrIiEEEESD_ZNS1_13binary_searchIS3_S5_SD_SD_SD_NS1_21upper_bound_search_opENS9_16wrapped_functionINS0_4lessIvEEbEEEE10hipError_tPvRmT1_T2_T3_mmT4_T5_P12ihipStream_tbEUlRKiE_EESK_SO_SP_mSQ_ST_bEUlT_E_NS1_11comp_targetILNS1_3genE4ELNS1_11target_archE910ELNS1_3gpuE8ELNS1_3repE0EEENS1_30default_config_static_selectorELNS0_4arch9wavefront6targetE1EEEvSN_,comdat
	.protected	_ZN7rocprim17ROCPRIM_400000_NS6detail17trampoline_kernelINS0_14default_configENS1_27upper_bound_config_selectorIiiEEZNS1_14transform_implILb0ES3_S5_N6thrust23THRUST_200600_302600_NS6detail15normal_iteratorINS8_10device_ptrIiEEEESD_ZNS1_13binary_searchIS3_S5_SD_SD_SD_NS1_21upper_bound_search_opENS9_16wrapped_functionINS0_4lessIvEEbEEEE10hipError_tPvRmT1_T2_T3_mmT4_T5_P12ihipStream_tbEUlRKiE_EESK_SO_SP_mSQ_ST_bEUlT_E_NS1_11comp_targetILNS1_3genE4ELNS1_11target_archE910ELNS1_3gpuE8ELNS1_3repE0EEENS1_30default_config_static_selectorELNS0_4arch9wavefront6targetE1EEEvSN_ ; -- Begin function _ZN7rocprim17ROCPRIM_400000_NS6detail17trampoline_kernelINS0_14default_configENS1_27upper_bound_config_selectorIiiEEZNS1_14transform_implILb0ES3_S5_N6thrust23THRUST_200600_302600_NS6detail15normal_iteratorINS8_10device_ptrIiEEEESD_ZNS1_13binary_searchIS3_S5_SD_SD_SD_NS1_21upper_bound_search_opENS9_16wrapped_functionINS0_4lessIvEEbEEEE10hipError_tPvRmT1_T2_T3_mmT4_T5_P12ihipStream_tbEUlRKiE_EESK_SO_SP_mSQ_ST_bEUlT_E_NS1_11comp_targetILNS1_3genE4ELNS1_11target_archE910ELNS1_3gpuE8ELNS1_3repE0EEENS1_30default_config_static_selectorELNS0_4arch9wavefront6targetE1EEEvSN_
	.globl	_ZN7rocprim17ROCPRIM_400000_NS6detail17trampoline_kernelINS0_14default_configENS1_27upper_bound_config_selectorIiiEEZNS1_14transform_implILb0ES3_S5_N6thrust23THRUST_200600_302600_NS6detail15normal_iteratorINS8_10device_ptrIiEEEESD_ZNS1_13binary_searchIS3_S5_SD_SD_SD_NS1_21upper_bound_search_opENS9_16wrapped_functionINS0_4lessIvEEbEEEE10hipError_tPvRmT1_T2_T3_mmT4_T5_P12ihipStream_tbEUlRKiE_EESK_SO_SP_mSQ_ST_bEUlT_E_NS1_11comp_targetILNS1_3genE4ELNS1_11target_archE910ELNS1_3gpuE8ELNS1_3repE0EEENS1_30default_config_static_selectorELNS0_4arch9wavefront6targetE1EEEvSN_
	.p2align	8
	.type	_ZN7rocprim17ROCPRIM_400000_NS6detail17trampoline_kernelINS0_14default_configENS1_27upper_bound_config_selectorIiiEEZNS1_14transform_implILb0ES3_S5_N6thrust23THRUST_200600_302600_NS6detail15normal_iteratorINS8_10device_ptrIiEEEESD_ZNS1_13binary_searchIS3_S5_SD_SD_SD_NS1_21upper_bound_search_opENS9_16wrapped_functionINS0_4lessIvEEbEEEE10hipError_tPvRmT1_T2_T3_mmT4_T5_P12ihipStream_tbEUlRKiE_EESK_SO_SP_mSQ_ST_bEUlT_E_NS1_11comp_targetILNS1_3genE4ELNS1_11target_archE910ELNS1_3gpuE8ELNS1_3repE0EEENS1_30default_config_static_selectorELNS0_4arch9wavefront6targetE1EEEvSN_,@function
_ZN7rocprim17ROCPRIM_400000_NS6detail17trampoline_kernelINS0_14default_configENS1_27upper_bound_config_selectorIiiEEZNS1_14transform_implILb0ES3_S5_N6thrust23THRUST_200600_302600_NS6detail15normal_iteratorINS8_10device_ptrIiEEEESD_ZNS1_13binary_searchIS3_S5_SD_SD_SD_NS1_21upper_bound_search_opENS9_16wrapped_functionINS0_4lessIvEEbEEEE10hipError_tPvRmT1_T2_T3_mmT4_T5_P12ihipStream_tbEUlRKiE_EESK_SO_SP_mSQ_ST_bEUlT_E_NS1_11comp_targetILNS1_3genE4ELNS1_11target_archE910ELNS1_3gpuE8ELNS1_3repE0EEENS1_30default_config_static_selectorELNS0_4arch9wavefront6targetE1EEEvSN_: ; @_ZN7rocprim17ROCPRIM_400000_NS6detail17trampoline_kernelINS0_14default_configENS1_27upper_bound_config_selectorIiiEEZNS1_14transform_implILb0ES3_S5_N6thrust23THRUST_200600_302600_NS6detail15normal_iteratorINS8_10device_ptrIiEEEESD_ZNS1_13binary_searchIS3_S5_SD_SD_SD_NS1_21upper_bound_search_opENS9_16wrapped_functionINS0_4lessIvEEbEEEE10hipError_tPvRmT1_T2_T3_mmT4_T5_P12ihipStream_tbEUlRKiE_EESK_SO_SP_mSQ_ST_bEUlT_E_NS1_11comp_targetILNS1_3genE4ELNS1_11target_archE910ELNS1_3gpuE8ELNS1_3repE0EEENS1_30default_config_static_selectorELNS0_4arch9wavefront6targetE1EEEvSN_
; %bb.0:
	.section	.rodata,"a",@progbits
	.p2align	6, 0x0
	.amdhsa_kernel _ZN7rocprim17ROCPRIM_400000_NS6detail17trampoline_kernelINS0_14default_configENS1_27upper_bound_config_selectorIiiEEZNS1_14transform_implILb0ES3_S5_N6thrust23THRUST_200600_302600_NS6detail15normal_iteratorINS8_10device_ptrIiEEEESD_ZNS1_13binary_searchIS3_S5_SD_SD_SD_NS1_21upper_bound_search_opENS9_16wrapped_functionINS0_4lessIvEEbEEEE10hipError_tPvRmT1_T2_T3_mmT4_T5_P12ihipStream_tbEUlRKiE_EESK_SO_SP_mSQ_ST_bEUlT_E_NS1_11comp_targetILNS1_3genE4ELNS1_11target_archE910ELNS1_3gpuE8ELNS1_3repE0EEENS1_30default_config_static_selectorELNS0_4arch9wavefront6targetE1EEEvSN_
		.amdhsa_group_segment_fixed_size 0
		.amdhsa_private_segment_fixed_size 0
		.amdhsa_kernarg_size 56
		.amdhsa_user_sgpr_count 6
		.amdhsa_user_sgpr_private_segment_buffer 1
		.amdhsa_user_sgpr_dispatch_ptr 0
		.amdhsa_user_sgpr_queue_ptr 0
		.amdhsa_user_sgpr_kernarg_segment_ptr 1
		.amdhsa_user_sgpr_dispatch_id 0
		.amdhsa_user_sgpr_flat_scratch_init 0
		.amdhsa_user_sgpr_private_segment_size 0
		.amdhsa_uses_dynamic_stack 0
		.amdhsa_system_sgpr_private_segment_wavefront_offset 0
		.amdhsa_system_sgpr_workgroup_id_x 1
		.amdhsa_system_sgpr_workgroup_id_y 0
		.amdhsa_system_sgpr_workgroup_id_z 0
		.amdhsa_system_sgpr_workgroup_info 0
		.amdhsa_system_vgpr_workitem_id 0
		.amdhsa_next_free_vgpr 1
		.amdhsa_next_free_sgpr 0
		.amdhsa_reserve_vcc 0
		.amdhsa_reserve_flat_scratch 0
		.amdhsa_float_round_mode_32 0
		.amdhsa_float_round_mode_16_64 0
		.amdhsa_float_denorm_mode_32 3
		.amdhsa_float_denorm_mode_16_64 3
		.amdhsa_dx10_clamp 1
		.amdhsa_ieee_mode 1
		.amdhsa_fp16_overflow 0
		.amdhsa_exception_fp_ieee_invalid_op 0
		.amdhsa_exception_fp_denorm_src 0
		.amdhsa_exception_fp_ieee_div_zero 0
		.amdhsa_exception_fp_ieee_overflow 0
		.amdhsa_exception_fp_ieee_underflow 0
		.amdhsa_exception_fp_ieee_inexact 0
		.amdhsa_exception_int_div_zero 0
	.end_amdhsa_kernel
	.section	.text._ZN7rocprim17ROCPRIM_400000_NS6detail17trampoline_kernelINS0_14default_configENS1_27upper_bound_config_selectorIiiEEZNS1_14transform_implILb0ES3_S5_N6thrust23THRUST_200600_302600_NS6detail15normal_iteratorINS8_10device_ptrIiEEEESD_ZNS1_13binary_searchIS3_S5_SD_SD_SD_NS1_21upper_bound_search_opENS9_16wrapped_functionINS0_4lessIvEEbEEEE10hipError_tPvRmT1_T2_T3_mmT4_T5_P12ihipStream_tbEUlRKiE_EESK_SO_SP_mSQ_ST_bEUlT_E_NS1_11comp_targetILNS1_3genE4ELNS1_11target_archE910ELNS1_3gpuE8ELNS1_3repE0EEENS1_30default_config_static_selectorELNS0_4arch9wavefront6targetE1EEEvSN_,"axG",@progbits,_ZN7rocprim17ROCPRIM_400000_NS6detail17trampoline_kernelINS0_14default_configENS1_27upper_bound_config_selectorIiiEEZNS1_14transform_implILb0ES3_S5_N6thrust23THRUST_200600_302600_NS6detail15normal_iteratorINS8_10device_ptrIiEEEESD_ZNS1_13binary_searchIS3_S5_SD_SD_SD_NS1_21upper_bound_search_opENS9_16wrapped_functionINS0_4lessIvEEbEEEE10hipError_tPvRmT1_T2_T3_mmT4_T5_P12ihipStream_tbEUlRKiE_EESK_SO_SP_mSQ_ST_bEUlT_E_NS1_11comp_targetILNS1_3genE4ELNS1_11target_archE910ELNS1_3gpuE8ELNS1_3repE0EEENS1_30default_config_static_selectorELNS0_4arch9wavefront6targetE1EEEvSN_,comdat
.Lfunc_end610:
	.size	_ZN7rocprim17ROCPRIM_400000_NS6detail17trampoline_kernelINS0_14default_configENS1_27upper_bound_config_selectorIiiEEZNS1_14transform_implILb0ES3_S5_N6thrust23THRUST_200600_302600_NS6detail15normal_iteratorINS8_10device_ptrIiEEEESD_ZNS1_13binary_searchIS3_S5_SD_SD_SD_NS1_21upper_bound_search_opENS9_16wrapped_functionINS0_4lessIvEEbEEEE10hipError_tPvRmT1_T2_T3_mmT4_T5_P12ihipStream_tbEUlRKiE_EESK_SO_SP_mSQ_ST_bEUlT_E_NS1_11comp_targetILNS1_3genE4ELNS1_11target_archE910ELNS1_3gpuE8ELNS1_3repE0EEENS1_30default_config_static_selectorELNS0_4arch9wavefront6targetE1EEEvSN_, .Lfunc_end610-_ZN7rocprim17ROCPRIM_400000_NS6detail17trampoline_kernelINS0_14default_configENS1_27upper_bound_config_selectorIiiEEZNS1_14transform_implILb0ES3_S5_N6thrust23THRUST_200600_302600_NS6detail15normal_iteratorINS8_10device_ptrIiEEEESD_ZNS1_13binary_searchIS3_S5_SD_SD_SD_NS1_21upper_bound_search_opENS9_16wrapped_functionINS0_4lessIvEEbEEEE10hipError_tPvRmT1_T2_T3_mmT4_T5_P12ihipStream_tbEUlRKiE_EESK_SO_SP_mSQ_ST_bEUlT_E_NS1_11comp_targetILNS1_3genE4ELNS1_11target_archE910ELNS1_3gpuE8ELNS1_3repE0EEENS1_30default_config_static_selectorELNS0_4arch9wavefront6targetE1EEEvSN_
                                        ; -- End function
	.set _ZN7rocprim17ROCPRIM_400000_NS6detail17trampoline_kernelINS0_14default_configENS1_27upper_bound_config_selectorIiiEEZNS1_14transform_implILb0ES3_S5_N6thrust23THRUST_200600_302600_NS6detail15normal_iteratorINS8_10device_ptrIiEEEESD_ZNS1_13binary_searchIS3_S5_SD_SD_SD_NS1_21upper_bound_search_opENS9_16wrapped_functionINS0_4lessIvEEbEEEE10hipError_tPvRmT1_T2_T3_mmT4_T5_P12ihipStream_tbEUlRKiE_EESK_SO_SP_mSQ_ST_bEUlT_E_NS1_11comp_targetILNS1_3genE4ELNS1_11target_archE910ELNS1_3gpuE8ELNS1_3repE0EEENS1_30default_config_static_selectorELNS0_4arch9wavefront6targetE1EEEvSN_.num_vgpr, 0
	.set _ZN7rocprim17ROCPRIM_400000_NS6detail17trampoline_kernelINS0_14default_configENS1_27upper_bound_config_selectorIiiEEZNS1_14transform_implILb0ES3_S5_N6thrust23THRUST_200600_302600_NS6detail15normal_iteratorINS8_10device_ptrIiEEEESD_ZNS1_13binary_searchIS3_S5_SD_SD_SD_NS1_21upper_bound_search_opENS9_16wrapped_functionINS0_4lessIvEEbEEEE10hipError_tPvRmT1_T2_T3_mmT4_T5_P12ihipStream_tbEUlRKiE_EESK_SO_SP_mSQ_ST_bEUlT_E_NS1_11comp_targetILNS1_3genE4ELNS1_11target_archE910ELNS1_3gpuE8ELNS1_3repE0EEENS1_30default_config_static_selectorELNS0_4arch9wavefront6targetE1EEEvSN_.num_agpr, 0
	.set _ZN7rocprim17ROCPRIM_400000_NS6detail17trampoline_kernelINS0_14default_configENS1_27upper_bound_config_selectorIiiEEZNS1_14transform_implILb0ES3_S5_N6thrust23THRUST_200600_302600_NS6detail15normal_iteratorINS8_10device_ptrIiEEEESD_ZNS1_13binary_searchIS3_S5_SD_SD_SD_NS1_21upper_bound_search_opENS9_16wrapped_functionINS0_4lessIvEEbEEEE10hipError_tPvRmT1_T2_T3_mmT4_T5_P12ihipStream_tbEUlRKiE_EESK_SO_SP_mSQ_ST_bEUlT_E_NS1_11comp_targetILNS1_3genE4ELNS1_11target_archE910ELNS1_3gpuE8ELNS1_3repE0EEENS1_30default_config_static_selectorELNS0_4arch9wavefront6targetE1EEEvSN_.numbered_sgpr, 0
	.set _ZN7rocprim17ROCPRIM_400000_NS6detail17trampoline_kernelINS0_14default_configENS1_27upper_bound_config_selectorIiiEEZNS1_14transform_implILb0ES3_S5_N6thrust23THRUST_200600_302600_NS6detail15normal_iteratorINS8_10device_ptrIiEEEESD_ZNS1_13binary_searchIS3_S5_SD_SD_SD_NS1_21upper_bound_search_opENS9_16wrapped_functionINS0_4lessIvEEbEEEE10hipError_tPvRmT1_T2_T3_mmT4_T5_P12ihipStream_tbEUlRKiE_EESK_SO_SP_mSQ_ST_bEUlT_E_NS1_11comp_targetILNS1_3genE4ELNS1_11target_archE910ELNS1_3gpuE8ELNS1_3repE0EEENS1_30default_config_static_selectorELNS0_4arch9wavefront6targetE1EEEvSN_.num_named_barrier, 0
	.set _ZN7rocprim17ROCPRIM_400000_NS6detail17trampoline_kernelINS0_14default_configENS1_27upper_bound_config_selectorIiiEEZNS1_14transform_implILb0ES3_S5_N6thrust23THRUST_200600_302600_NS6detail15normal_iteratorINS8_10device_ptrIiEEEESD_ZNS1_13binary_searchIS3_S5_SD_SD_SD_NS1_21upper_bound_search_opENS9_16wrapped_functionINS0_4lessIvEEbEEEE10hipError_tPvRmT1_T2_T3_mmT4_T5_P12ihipStream_tbEUlRKiE_EESK_SO_SP_mSQ_ST_bEUlT_E_NS1_11comp_targetILNS1_3genE4ELNS1_11target_archE910ELNS1_3gpuE8ELNS1_3repE0EEENS1_30default_config_static_selectorELNS0_4arch9wavefront6targetE1EEEvSN_.private_seg_size, 0
	.set _ZN7rocprim17ROCPRIM_400000_NS6detail17trampoline_kernelINS0_14default_configENS1_27upper_bound_config_selectorIiiEEZNS1_14transform_implILb0ES3_S5_N6thrust23THRUST_200600_302600_NS6detail15normal_iteratorINS8_10device_ptrIiEEEESD_ZNS1_13binary_searchIS3_S5_SD_SD_SD_NS1_21upper_bound_search_opENS9_16wrapped_functionINS0_4lessIvEEbEEEE10hipError_tPvRmT1_T2_T3_mmT4_T5_P12ihipStream_tbEUlRKiE_EESK_SO_SP_mSQ_ST_bEUlT_E_NS1_11comp_targetILNS1_3genE4ELNS1_11target_archE910ELNS1_3gpuE8ELNS1_3repE0EEENS1_30default_config_static_selectorELNS0_4arch9wavefront6targetE1EEEvSN_.uses_vcc, 0
	.set _ZN7rocprim17ROCPRIM_400000_NS6detail17trampoline_kernelINS0_14default_configENS1_27upper_bound_config_selectorIiiEEZNS1_14transform_implILb0ES3_S5_N6thrust23THRUST_200600_302600_NS6detail15normal_iteratorINS8_10device_ptrIiEEEESD_ZNS1_13binary_searchIS3_S5_SD_SD_SD_NS1_21upper_bound_search_opENS9_16wrapped_functionINS0_4lessIvEEbEEEE10hipError_tPvRmT1_T2_T3_mmT4_T5_P12ihipStream_tbEUlRKiE_EESK_SO_SP_mSQ_ST_bEUlT_E_NS1_11comp_targetILNS1_3genE4ELNS1_11target_archE910ELNS1_3gpuE8ELNS1_3repE0EEENS1_30default_config_static_selectorELNS0_4arch9wavefront6targetE1EEEvSN_.uses_flat_scratch, 0
	.set _ZN7rocprim17ROCPRIM_400000_NS6detail17trampoline_kernelINS0_14default_configENS1_27upper_bound_config_selectorIiiEEZNS1_14transform_implILb0ES3_S5_N6thrust23THRUST_200600_302600_NS6detail15normal_iteratorINS8_10device_ptrIiEEEESD_ZNS1_13binary_searchIS3_S5_SD_SD_SD_NS1_21upper_bound_search_opENS9_16wrapped_functionINS0_4lessIvEEbEEEE10hipError_tPvRmT1_T2_T3_mmT4_T5_P12ihipStream_tbEUlRKiE_EESK_SO_SP_mSQ_ST_bEUlT_E_NS1_11comp_targetILNS1_3genE4ELNS1_11target_archE910ELNS1_3gpuE8ELNS1_3repE0EEENS1_30default_config_static_selectorELNS0_4arch9wavefront6targetE1EEEvSN_.has_dyn_sized_stack, 0
	.set _ZN7rocprim17ROCPRIM_400000_NS6detail17trampoline_kernelINS0_14default_configENS1_27upper_bound_config_selectorIiiEEZNS1_14transform_implILb0ES3_S5_N6thrust23THRUST_200600_302600_NS6detail15normal_iteratorINS8_10device_ptrIiEEEESD_ZNS1_13binary_searchIS3_S5_SD_SD_SD_NS1_21upper_bound_search_opENS9_16wrapped_functionINS0_4lessIvEEbEEEE10hipError_tPvRmT1_T2_T3_mmT4_T5_P12ihipStream_tbEUlRKiE_EESK_SO_SP_mSQ_ST_bEUlT_E_NS1_11comp_targetILNS1_3genE4ELNS1_11target_archE910ELNS1_3gpuE8ELNS1_3repE0EEENS1_30default_config_static_selectorELNS0_4arch9wavefront6targetE1EEEvSN_.has_recursion, 0
	.set _ZN7rocprim17ROCPRIM_400000_NS6detail17trampoline_kernelINS0_14default_configENS1_27upper_bound_config_selectorIiiEEZNS1_14transform_implILb0ES3_S5_N6thrust23THRUST_200600_302600_NS6detail15normal_iteratorINS8_10device_ptrIiEEEESD_ZNS1_13binary_searchIS3_S5_SD_SD_SD_NS1_21upper_bound_search_opENS9_16wrapped_functionINS0_4lessIvEEbEEEE10hipError_tPvRmT1_T2_T3_mmT4_T5_P12ihipStream_tbEUlRKiE_EESK_SO_SP_mSQ_ST_bEUlT_E_NS1_11comp_targetILNS1_3genE4ELNS1_11target_archE910ELNS1_3gpuE8ELNS1_3repE0EEENS1_30default_config_static_selectorELNS0_4arch9wavefront6targetE1EEEvSN_.has_indirect_call, 0
	.section	.AMDGPU.csdata,"",@progbits
; Kernel info:
; codeLenInByte = 0
; TotalNumSgprs: 4
; NumVgprs: 0
; ScratchSize: 0
; MemoryBound: 0
; FloatMode: 240
; IeeeMode: 1
; LDSByteSize: 0 bytes/workgroup (compile time only)
; SGPRBlocks: 0
; VGPRBlocks: 0
; NumSGPRsForWavesPerEU: 4
; NumVGPRsForWavesPerEU: 1
; Occupancy: 10
; WaveLimiterHint : 0
; COMPUTE_PGM_RSRC2:SCRATCH_EN: 0
; COMPUTE_PGM_RSRC2:USER_SGPR: 6
; COMPUTE_PGM_RSRC2:TRAP_HANDLER: 0
; COMPUTE_PGM_RSRC2:TGID_X_EN: 1
; COMPUTE_PGM_RSRC2:TGID_Y_EN: 0
; COMPUTE_PGM_RSRC2:TGID_Z_EN: 0
; COMPUTE_PGM_RSRC2:TIDIG_COMP_CNT: 0
	.section	.text._ZN7rocprim17ROCPRIM_400000_NS6detail17trampoline_kernelINS0_14default_configENS1_27upper_bound_config_selectorIiiEEZNS1_14transform_implILb0ES3_S5_N6thrust23THRUST_200600_302600_NS6detail15normal_iteratorINS8_10device_ptrIiEEEESD_ZNS1_13binary_searchIS3_S5_SD_SD_SD_NS1_21upper_bound_search_opENS9_16wrapped_functionINS0_4lessIvEEbEEEE10hipError_tPvRmT1_T2_T3_mmT4_T5_P12ihipStream_tbEUlRKiE_EESK_SO_SP_mSQ_ST_bEUlT_E_NS1_11comp_targetILNS1_3genE3ELNS1_11target_archE908ELNS1_3gpuE7ELNS1_3repE0EEENS1_30default_config_static_selectorELNS0_4arch9wavefront6targetE1EEEvSN_,"axG",@progbits,_ZN7rocprim17ROCPRIM_400000_NS6detail17trampoline_kernelINS0_14default_configENS1_27upper_bound_config_selectorIiiEEZNS1_14transform_implILb0ES3_S5_N6thrust23THRUST_200600_302600_NS6detail15normal_iteratorINS8_10device_ptrIiEEEESD_ZNS1_13binary_searchIS3_S5_SD_SD_SD_NS1_21upper_bound_search_opENS9_16wrapped_functionINS0_4lessIvEEbEEEE10hipError_tPvRmT1_T2_T3_mmT4_T5_P12ihipStream_tbEUlRKiE_EESK_SO_SP_mSQ_ST_bEUlT_E_NS1_11comp_targetILNS1_3genE3ELNS1_11target_archE908ELNS1_3gpuE7ELNS1_3repE0EEENS1_30default_config_static_selectorELNS0_4arch9wavefront6targetE1EEEvSN_,comdat
	.protected	_ZN7rocprim17ROCPRIM_400000_NS6detail17trampoline_kernelINS0_14default_configENS1_27upper_bound_config_selectorIiiEEZNS1_14transform_implILb0ES3_S5_N6thrust23THRUST_200600_302600_NS6detail15normal_iteratorINS8_10device_ptrIiEEEESD_ZNS1_13binary_searchIS3_S5_SD_SD_SD_NS1_21upper_bound_search_opENS9_16wrapped_functionINS0_4lessIvEEbEEEE10hipError_tPvRmT1_T2_T3_mmT4_T5_P12ihipStream_tbEUlRKiE_EESK_SO_SP_mSQ_ST_bEUlT_E_NS1_11comp_targetILNS1_3genE3ELNS1_11target_archE908ELNS1_3gpuE7ELNS1_3repE0EEENS1_30default_config_static_selectorELNS0_4arch9wavefront6targetE1EEEvSN_ ; -- Begin function _ZN7rocprim17ROCPRIM_400000_NS6detail17trampoline_kernelINS0_14default_configENS1_27upper_bound_config_selectorIiiEEZNS1_14transform_implILb0ES3_S5_N6thrust23THRUST_200600_302600_NS6detail15normal_iteratorINS8_10device_ptrIiEEEESD_ZNS1_13binary_searchIS3_S5_SD_SD_SD_NS1_21upper_bound_search_opENS9_16wrapped_functionINS0_4lessIvEEbEEEE10hipError_tPvRmT1_T2_T3_mmT4_T5_P12ihipStream_tbEUlRKiE_EESK_SO_SP_mSQ_ST_bEUlT_E_NS1_11comp_targetILNS1_3genE3ELNS1_11target_archE908ELNS1_3gpuE7ELNS1_3repE0EEENS1_30default_config_static_selectorELNS0_4arch9wavefront6targetE1EEEvSN_
	.globl	_ZN7rocprim17ROCPRIM_400000_NS6detail17trampoline_kernelINS0_14default_configENS1_27upper_bound_config_selectorIiiEEZNS1_14transform_implILb0ES3_S5_N6thrust23THRUST_200600_302600_NS6detail15normal_iteratorINS8_10device_ptrIiEEEESD_ZNS1_13binary_searchIS3_S5_SD_SD_SD_NS1_21upper_bound_search_opENS9_16wrapped_functionINS0_4lessIvEEbEEEE10hipError_tPvRmT1_T2_T3_mmT4_T5_P12ihipStream_tbEUlRKiE_EESK_SO_SP_mSQ_ST_bEUlT_E_NS1_11comp_targetILNS1_3genE3ELNS1_11target_archE908ELNS1_3gpuE7ELNS1_3repE0EEENS1_30default_config_static_selectorELNS0_4arch9wavefront6targetE1EEEvSN_
	.p2align	8
	.type	_ZN7rocprim17ROCPRIM_400000_NS6detail17trampoline_kernelINS0_14default_configENS1_27upper_bound_config_selectorIiiEEZNS1_14transform_implILb0ES3_S5_N6thrust23THRUST_200600_302600_NS6detail15normal_iteratorINS8_10device_ptrIiEEEESD_ZNS1_13binary_searchIS3_S5_SD_SD_SD_NS1_21upper_bound_search_opENS9_16wrapped_functionINS0_4lessIvEEbEEEE10hipError_tPvRmT1_T2_T3_mmT4_T5_P12ihipStream_tbEUlRKiE_EESK_SO_SP_mSQ_ST_bEUlT_E_NS1_11comp_targetILNS1_3genE3ELNS1_11target_archE908ELNS1_3gpuE7ELNS1_3repE0EEENS1_30default_config_static_selectorELNS0_4arch9wavefront6targetE1EEEvSN_,@function
_ZN7rocprim17ROCPRIM_400000_NS6detail17trampoline_kernelINS0_14default_configENS1_27upper_bound_config_selectorIiiEEZNS1_14transform_implILb0ES3_S5_N6thrust23THRUST_200600_302600_NS6detail15normal_iteratorINS8_10device_ptrIiEEEESD_ZNS1_13binary_searchIS3_S5_SD_SD_SD_NS1_21upper_bound_search_opENS9_16wrapped_functionINS0_4lessIvEEbEEEE10hipError_tPvRmT1_T2_T3_mmT4_T5_P12ihipStream_tbEUlRKiE_EESK_SO_SP_mSQ_ST_bEUlT_E_NS1_11comp_targetILNS1_3genE3ELNS1_11target_archE908ELNS1_3gpuE7ELNS1_3repE0EEENS1_30default_config_static_selectorELNS0_4arch9wavefront6targetE1EEEvSN_: ; @_ZN7rocprim17ROCPRIM_400000_NS6detail17trampoline_kernelINS0_14default_configENS1_27upper_bound_config_selectorIiiEEZNS1_14transform_implILb0ES3_S5_N6thrust23THRUST_200600_302600_NS6detail15normal_iteratorINS8_10device_ptrIiEEEESD_ZNS1_13binary_searchIS3_S5_SD_SD_SD_NS1_21upper_bound_search_opENS9_16wrapped_functionINS0_4lessIvEEbEEEE10hipError_tPvRmT1_T2_T3_mmT4_T5_P12ihipStream_tbEUlRKiE_EESK_SO_SP_mSQ_ST_bEUlT_E_NS1_11comp_targetILNS1_3genE3ELNS1_11target_archE908ELNS1_3gpuE7ELNS1_3repE0EEENS1_30default_config_static_selectorELNS0_4arch9wavefront6targetE1EEEvSN_
; %bb.0:
	.section	.rodata,"a",@progbits
	.p2align	6, 0x0
	.amdhsa_kernel _ZN7rocprim17ROCPRIM_400000_NS6detail17trampoline_kernelINS0_14default_configENS1_27upper_bound_config_selectorIiiEEZNS1_14transform_implILb0ES3_S5_N6thrust23THRUST_200600_302600_NS6detail15normal_iteratorINS8_10device_ptrIiEEEESD_ZNS1_13binary_searchIS3_S5_SD_SD_SD_NS1_21upper_bound_search_opENS9_16wrapped_functionINS0_4lessIvEEbEEEE10hipError_tPvRmT1_T2_T3_mmT4_T5_P12ihipStream_tbEUlRKiE_EESK_SO_SP_mSQ_ST_bEUlT_E_NS1_11comp_targetILNS1_3genE3ELNS1_11target_archE908ELNS1_3gpuE7ELNS1_3repE0EEENS1_30default_config_static_selectorELNS0_4arch9wavefront6targetE1EEEvSN_
		.amdhsa_group_segment_fixed_size 0
		.amdhsa_private_segment_fixed_size 0
		.amdhsa_kernarg_size 56
		.amdhsa_user_sgpr_count 6
		.amdhsa_user_sgpr_private_segment_buffer 1
		.amdhsa_user_sgpr_dispatch_ptr 0
		.amdhsa_user_sgpr_queue_ptr 0
		.amdhsa_user_sgpr_kernarg_segment_ptr 1
		.amdhsa_user_sgpr_dispatch_id 0
		.amdhsa_user_sgpr_flat_scratch_init 0
		.amdhsa_user_sgpr_private_segment_size 0
		.amdhsa_uses_dynamic_stack 0
		.amdhsa_system_sgpr_private_segment_wavefront_offset 0
		.amdhsa_system_sgpr_workgroup_id_x 1
		.amdhsa_system_sgpr_workgroup_id_y 0
		.amdhsa_system_sgpr_workgroup_id_z 0
		.amdhsa_system_sgpr_workgroup_info 0
		.amdhsa_system_vgpr_workitem_id 0
		.amdhsa_next_free_vgpr 1
		.amdhsa_next_free_sgpr 0
		.amdhsa_reserve_vcc 0
		.amdhsa_reserve_flat_scratch 0
		.amdhsa_float_round_mode_32 0
		.amdhsa_float_round_mode_16_64 0
		.amdhsa_float_denorm_mode_32 3
		.amdhsa_float_denorm_mode_16_64 3
		.amdhsa_dx10_clamp 1
		.amdhsa_ieee_mode 1
		.amdhsa_fp16_overflow 0
		.amdhsa_exception_fp_ieee_invalid_op 0
		.amdhsa_exception_fp_denorm_src 0
		.amdhsa_exception_fp_ieee_div_zero 0
		.amdhsa_exception_fp_ieee_overflow 0
		.amdhsa_exception_fp_ieee_underflow 0
		.amdhsa_exception_fp_ieee_inexact 0
		.amdhsa_exception_int_div_zero 0
	.end_amdhsa_kernel
	.section	.text._ZN7rocprim17ROCPRIM_400000_NS6detail17trampoline_kernelINS0_14default_configENS1_27upper_bound_config_selectorIiiEEZNS1_14transform_implILb0ES3_S5_N6thrust23THRUST_200600_302600_NS6detail15normal_iteratorINS8_10device_ptrIiEEEESD_ZNS1_13binary_searchIS3_S5_SD_SD_SD_NS1_21upper_bound_search_opENS9_16wrapped_functionINS0_4lessIvEEbEEEE10hipError_tPvRmT1_T2_T3_mmT4_T5_P12ihipStream_tbEUlRKiE_EESK_SO_SP_mSQ_ST_bEUlT_E_NS1_11comp_targetILNS1_3genE3ELNS1_11target_archE908ELNS1_3gpuE7ELNS1_3repE0EEENS1_30default_config_static_selectorELNS0_4arch9wavefront6targetE1EEEvSN_,"axG",@progbits,_ZN7rocprim17ROCPRIM_400000_NS6detail17trampoline_kernelINS0_14default_configENS1_27upper_bound_config_selectorIiiEEZNS1_14transform_implILb0ES3_S5_N6thrust23THRUST_200600_302600_NS6detail15normal_iteratorINS8_10device_ptrIiEEEESD_ZNS1_13binary_searchIS3_S5_SD_SD_SD_NS1_21upper_bound_search_opENS9_16wrapped_functionINS0_4lessIvEEbEEEE10hipError_tPvRmT1_T2_T3_mmT4_T5_P12ihipStream_tbEUlRKiE_EESK_SO_SP_mSQ_ST_bEUlT_E_NS1_11comp_targetILNS1_3genE3ELNS1_11target_archE908ELNS1_3gpuE7ELNS1_3repE0EEENS1_30default_config_static_selectorELNS0_4arch9wavefront6targetE1EEEvSN_,comdat
.Lfunc_end611:
	.size	_ZN7rocprim17ROCPRIM_400000_NS6detail17trampoline_kernelINS0_14default_configENS1_27upper_bound_config_selectorIiiEEZNS1_14transform_implILb0ES3_S5_N6thrust23THRUST_200600_302600_NS6detail15normal_iteratorINS8_10device_ptrIiEEEESD_ZNS1_13binary_searchIS3_S5_SD_SD_SD_NS1_21upper_bound_search_opENS9_16wrapped_functionINS0_4lessIvEEbEEEE10hipError_tPvRmT1_T2_T3_mmT4_T5_P12ihipStream_tbEUlRKiE_EESK_SO_SP_mSQ_ST_bEUlT_E_NS1_11comp_targetILNS1_3genE3ELNS1_11target_archE908ELNS1_3gpuE7ELNS1_3repE0EEENS1_30default_config_static_selectorELNS0_4arch9wavefront6targetE1EEEvSN_, .Lfunc_end611-_ZN7rocprim17ROCPRIM_400000_NS6detail17trampoline_kernelINS0_14default_configENS1_27upper_bound_config_selectorIiiEEZNS1_14transform_implILb0ES3_S5_N6thrust23THRUST_200600_302600_NS6detail15normal_iteratorINS8_10device_ptrIiEEEESD_ZNS1_13binary_searchIS3_S5_SD_SD_SD_NS1_21upper_bound_search_opENS9_16wrapped_functionINS0_4lessIvEEbEEEE10hipError_tPvRmT1_T2_T3_mmT4_T5_P12ihipStream_tbEUlRKiE_EESK_SO_SP_mSQ_ST_bEUlT_E_NS1_11comp_targetILNS1_3genE3ELNS1_11target_archE908ELNS1_3gpuE7ELNS1_3repE0EEENS1_30default_config_static_selectorELNS0_4arch9wavefront6targetE1EEEvSN_
                                        ; -- End function
	.set _ZN7rocprim17ROCPRIM_400000_NS6detail17trampoline_kernelINS0_14default_configENS1_27upper_bound_config_selectorIiiEEZNS1_14transform_implILb0ES3_S5_N6thrust23THRUST_200600_302600_NS6detail15normal_iteratorINS8_10device_ptrIiEEEESD_ZNS1_13binary_searchIS3_S5_SD_SD_SD_NS1_21upper_bound_search_opENS9_16wrapped_functionINS0_4lessIvEEbEEEE10hipError_tPvRmT1_T2_T3_mmT4_T5_P12ihipStream_tbEUlRKiE_EESK_SO_SP_mSQ_ST_bEUlT_E_NS1_11comp_targetILNS1_3genE3ELNS1_11target_archE908ELNS1_3gpuE7ELNS1_3repE0EEENS1_30default_config_static_selectorELNS0_4arch9wavefront6targetE1EEEvSN_.num_vgpr, 0
	.set _ZN7rocprim17ROCPRIM_400000_NS6detail17trampoline_kernelINS0_14default_configENS1_27upper_bound_config_selectorIiiEEZNS1_14transform_implILb0ES3_S5_N6thrust23THRUST_200600_302600_NS6detail15normal_iteratorINS8_10device_ptrIiEEEESD_ZNS1_13binary_searchIS3_S5_SD_SD_SD_NS1_21upper_bound_search_opENS9_16wrapped_functionINS0_4lessIvEEbEEEE10hipError_tPvRmT1_T2_T3_mmT4_T5_P12ihipStream_tbEUlRKiE_EESK_SO_SP_mSQ_ST_bEUlT_E_NS1_11comp_targetILNS1_3genE3ELNS1_11target_archE908ELNS1_3gpuE7ELNS1_3repE0EEENS1_30default_config_static_selectorELNS0_4arch9wavefront6targetE1EEEvSN_.num_agpr, 0
	.set _ZN7rocprim17ROCPRIM_400000_NS6detail17trampoline_kernelINS0_14default_configENS1_27upper_bound_config_selectorIiiEEZNS1_14transform_implILb0ES3_S5_N6thrust23THRUST_200600_302600_NS6detail15normal_iteratorINS8_10device_ptrIiEEEESD_ZNS1_13binary_searchIS3_S5_SD_SD_SD_NS1_21upper_bound_search_opENS9_16wrapped_functionINS0_4lessIvEEbEEEE10hipError_tPvRmT1_T2_T3_mmT4_T5_P12ihipStream_tbEUlRKiE_EESK_SO_SP_mSQ_ST_bEUlT_E_NS1_11comp_targetILNS1_3genE3ELNS1_11target_archE908ELNS1_3gpuE7ELNS1_3repE0EEENS1_30default_config_static_selectorELNS0_4arch9wavefront6targetE1EEEvSN_.numbered_sgpr, 0
	.set _ZN7rocprim17ROCPRIM_400000_NS6detail17trampoline_kernelINS0_14default_configENS1_27upper_bound_config_selectorIiiEEZNS1_14transform_implILb0ES3_S5_N6thrust23THRUST_200600_302600_NS6detail15normal_iteratorINS8_10device_ptrIiEEEESD_ZNS1_13binary_searchIS3_S5_SD_SD_SD_NS1_21upper_bound_search_opENS9_16wrapped_functionINS0_4lessIvEEbEEEE10hipError_tPvRmT1_T2_T3_mmT4_T5_P12ihipStream_tbEUlRKiE_EESK_SO_SP_mSQ_ST_bEUlT_E_NS1_11comp_targetILNS1_3genE3ELNS1_11target_archE908ELNS1_3gpuE7ELNS1_3repE0EEENS1_30default_config_static_selectorELNS0_4arch9wavefront6targetE1EEEvSN_.num_named_barrier, 0
	.set _ZN7rocprim17ROCPRIM_400000_NS6detail17trampoline_kernelINS0_14default_configENS1_27upper_bound_config_selectorIiiEEZNS1_14transform_implILb0ES3_S5_N6thrust23THRUST_200600_302600_NS6detail15normal_iteratorINS8_10device_ptrIiEEEESD_ZNS1_13binary_searchIS3_S5_SD_SD_SD_NS1_21upper_bound_search_opENS9_16wrapped_functionINS0_4lessIvEEbEEEE10hipError_tPvRmT1_T2_T3_mmT4_T5_P12ihipStream_tbEUlRKiE_EESK_SO_SP_mSQ_ST_bEUlT_E_NS1_11comp_targetILNS1_3genE3ELNS1_11target_archE908ELNS1_3gpuE7ELNS1_3repE0EEENS1_30default_config_static_selectorELNS0_4arch9wavefront6targetE1EEEvSN_.private_seg_size, 0
	.set _ZN7rocprim17ROCPRIM_400000_NS6detail17trampoline_kernelINS0_14default_configENS1_27upper_bound_config_selectorIiiEEZNS1_14transform_implILb0ES3_S5_N6thrust23THRUST_200600_302600_NS6detail15normal_iteratorINS8_10device_ptrIiEEEESD_ZNS1_13binary_searchIS3_S5_SD_SD_SD_NS1_21upper_bound_search_opENS9_16wrapped_functionINS0_4lessIvEEbEEEE10hipError_tPvRmT1_T2_T3_mmT4_T5_P12ihipStream_tbEUlRKiE_EESK_SO_SP_mSQ_ST_bEUlT_E_NS1_11comp_targetILNS1_3genE3ELNS1_11target_archE908ELNS1_3gpuE7ELNS1_3repE0EEENS1_30default_config_static_selectorELNS0_4arch9wavefront6targetE1EEEvSN_.uses_vcc, 0
	.set _ZN7rocprim17ROCPRIM_400000_NS6detail17trampoline_kernelINS0_14default_configENS1_27upper_bound_config_selectorIiiEEZNS1_14transform_implILb0ES3_S5_N6thrust23THRUST_200600_302600_NS6detail15normal_iteratorINS8_10device_ptrIiEEEESD_ZNS1_13binary_searchIS3_S5_SD_SD_SD_NS1_21upper_bound_search_opENS9_16wrapped_functionINS0_4lessIvEEbEEEE10hipError_tPvRmT1_T2_T3_mmT4_T5_P12ihipStream_tbEUlRKiE_EESK_SO_SP_mSQ_ST_bEUlT_E_NS1_11comp_targetILNS1_3genE3ELNS1_11target_archE908ELNS1_3gpuE7ELNS1_3repE0EEENS1_30default_config_static_selectorELNS0_4arch9wavefront6targetE1EEEvSN_.uses_flat_scratch, 0
	.set _ZN7rocprim17ROCPRIM_400000_NS6detail17trampoline_kernelINS0_14default_configENS1_27upper_bound_config_selectorIiiEEZNS1_14transform_implILb0ES3_S5_N6thrust23THRUST_200600_302600_NS6detail15normal_iteratorINS8_10device_ptrIiEEEESD_ZNS1_13binary_searchIS3_S5_SD_SD_SD_NS1_21upper_bound_search_opENS9_16wrapped_functionINS0_4lessIvEEbEEEE10hipError_tPvRmT1_T2_T3_mmT4_T5_P12ihipStream_tbEUlRKiE_EESK_SO_SP_mSQ_ST_bEUlT_E_NS1_11comp_targetILNS1_3genE3ELNS1_11target_archE908ELNS1_3gpuE7ELNS1_3repE0EEENS1_30default_config_static_selectorELNS0_4arch9wavefront6targetE1EEEvSN_.has_dyn_sized_stack, 0
	.set _ZN7rocprim17ROCPRIM_400000_NS6detail17trampoline_kernelINS0_14default_configENS1_27upper_bound_config_selectorIiiEEZNS1_14transform_implILb0ES3_S5_N6thrust23THRUST_200600_302600_NS6detail15normal_iteratorINS8_10device_ptrIiEEEESD_ZNS1_13binary_searchIS3_S5_SD_SD_SD_NS1_21upper_bound_search_opENS9_16wrapped_functionINS0_4lessIvEEbEEEE10hipError_tPvRmT1_T2_T3_mmT4_T5_P12ihipStream_tbEUlRKiE_EESK_SO_SP_mSQ_ST_bEUlT_E_NS1_11comp_targetILNS1_3genE3ELNS1_11target_archE908ELNS1_3gpuE7ELNS1_3repE0EEENS1_30default_config_static_selectorELNS0_4arch9wavefront6targetE1EEEvSN_.has_recursion, 0
	.set _ZN7rocprim17ROCPRIM_400000_NS6detail17trampoline_kernelINS0_14default_configENS1_27upper_bound_config_selectorIiiEEZNS1_14transform_implILb0ES3_S5_N6thrust23THRUST_200600_302600_NS6detail15normal_iteratorINS8_10device_ptrIiEEEESD_ZNS1_13binary_searchIS3_S5_SD_SD_SD_NS1_21upper_bound_search_opENS9_16wrapped_functionINS0_4lessIvEEbEEEE10hipError_tPvRmT1_T2_T3_mmT4_T5_P12ihipStream_tbEUlRKiE_EESK_SO_SP_mSQ_ST_bEUlT_E_NS1_11comp_targetILNS1_3genE3ELNS1_11target_archE908ELNS1_3gpuE7ELNS1_3repE0EEENS1_30default_config_static_selectorELNS0_4arch9wavefront6targetE1EEEvSN_.has_indirect_call, 0
	.section	.AMDGPU.csdata,"",@progbits
; Kernel info:
; codeLenInByte = 0
; TotalNumSgprs: 4
; NumVgprs: 0
; ScratchSize: 0
; MemoryBound: 0
; FloatMode: 240
; IeeeMode: 1
; LDSByteSize: 0 bytes/workgroup (compile time only)
; SGPRBlocks: 0
; VGPRBlocks: 0
; NumSGPRsForWavesPerEU: 4
; NumVGPRsForWavesPerEU: 1
; Occupancy: 10
; WaveLimiterHint : 0
; COMPUTE_PGM_RSRC2:SCRATCH_EN: 0
; COMPUTE_PGM_RSRC2:USER_SGPR: 6
; COMPUTE_PGM_RSRC2:TRAP_HANDLER: 0
; COMPUTE_PGM_RSRC2:TGID_X_EN: 1
; COMPUTE_PGM_RSRC2:TGID_Y_EN: 0
; COMPUTE_PGM_RSRC2:TGID_Z_EN: 0
; COMPUTE_PGM_RSRC2:TIDIG_COMP_CNT: 0
	.section	.text._ZN7rocprim17ROCPRIM_400000_NS6detail17trampoline_kernelINS0_14default_configENS1_27upper_bound_config_selectorIiiEEZNS1_14transform_implILb0ES3_S5_N6thrust23THRUST_200600_302600_NS6detail15normal_iteratorINS8_10device_ptrIiEEEESD_ZNS1_13binary_searchIS3_S5_SD_SD_SD_NS1_21upper_bound_search_opENS9_16wrapped_functionINS0_4lessIvEEbEEEE10hipError_tPvRmT1_T2_T3_mmT4_T5_P12ihipStream_tbEUlRKiE_EESK_SO_SP_mSQ_ST_bEUlT_E_NS1_11comp_targetILNS1_3genE2ELNS1_11target_archE906ELNS1_3gpuE6ELNS1_3repE0EEENS1_30default_config_static_selectorELNS0_4arch9wavefront6targetE1EEEvSN_,"axG",@progbits,_ZN7rocprim17ROCPRIM_400000_NS6detail17trampoline_kernelINS0_14default_configENS1_27upper_bound_config_selectorIiiEEZNS1_14transform_implILb0ES3_S5_N6thrust23THRUST_200600_302600_NS6detail15normal_iteratorINS8_10device_ptrIiEEEESD_ZNS1_13binary_searchIS3_S5_SD_SD_SD_NS1_21upper_bound_search_opENS9_16wrapped_functionINS0_4lessIvEEbEEEE10hipError_tPvRmT1_T2_T3_mmT4_T5_P12ihipStream_tbEUlRKiE_EESK_SO_SP_mSQ_ST_bEUlT_E_NS1_11comp_targetILNS1_3genE2ELNS1_11target_archE906ELNS1_3gpuE6ELNS1_3repE0EEENS1_30default_config_static_selectorELNS0_4arch9wavefront6targetE1EEEvSN_,comdat
	.protected	_ZN7rocprim17ROCPRIM_400000_NS6detail17trampoline_kernelINS0_14default_configENS1_27upper_bound_config_selectorIiiEEZNS1_14transform_implILb0ES3_S5_N6thrust23THRUST_200600_302600_NS6detail15normal_iteratorINS8_10device_ptrIiEEEESD_ZNS1_13binary_searchIS3_S5_SD_SD_SD_NS1_21upper_bound_search_opENS9_16wrapped_functionINS0_4lessIvEEbEEEE10hipError_tPvRmT1_T2_T3_mmT4_T5_P12ihipStream_tbEUlRKiE_EESK_SO_SP_mSQ_ST_bEUlT_E_NS1_11comp_targetILNS1_3genE2ELNS1_11target_archE906ELNS1_3gpuE6ELNS1_3repE0EEENS1_30default_config_static_selectorELNS0_4arch9wavefront6targetE1EEEvSN_ ; -- Begin function _ZN7rocprim17ROCPRIM_400000_NS6detail17trampoline_kernelINS0_14default_configENS1_27upper_bound_config_selectorIiiEEZNS1_14transform_implILb0ES3_S5_N6thrust23THRUST_200600_302600_NS6detail15normal_iteratorINS8_10device_ptrIiEEEESD_ZNS1_13binary_searchIS3_S5_SD_SD_SD_NS1_21upper_bound_search_opENS9_16wrapped_functionINS0_4lessIvEEbEEEE10hipError_tPvRmT1_T2_T3_mmT4_T5_P12ihipStream_tbEUlRKiE_EESK_SO_SP_mSQ_ST_bEUlT_E_NS1_11comp_targetILNS1_3genE2ELNS1_11target_archE906ELNS1_3gpuE6ELNS1_3repE0EEENS1_30default_config_static_selectorELNS0_4arch9wavefront6targetE1EEEvSN_
	.globl	_ZN7rocprim17ROCPRIM_400000_NS6detail17trampoline_kernelINS0_14default_configENS1_27upper_bound_config_selectorIiiEEZNS1_14transform_implILb0ES3_S5_N6thrust23THRUST_200600_302600_NS6detail15normal_iteratorINS8_10device_ptrIiEEEESD_ZNS1_13binary_searchIS3_S5_SD_SD_SD_NS1_21upper_bound_search_opENS9_16wrapped_functionINS0_4lessIvEEbEEEE10hipError_tPvRmT1_T2_T3_mmT4_T5_P12ihipStream_tbEUlRKiE_EESK_SO_SP_mSQ_ST_bEUlT_E_NS1_11comp_targetILNS1_3genE2ELNS1_11target_archE906ELNS1_3gpuE6ELNS1_3repE0EEENS1_30default_config_static_selectorELNS0_4arch9wavefront6targetE1EEEvSN_
	.p2align	8
	.type	_ZN7rocprim17ROCPRIM_400000_NS6detail17trampoline_kernelINS0_14default_configENS1_27upper_bound_config_selectorIiiEEZNS1_14transform_implILb0ES3_S5_N6thrust23THRUST_200600_302600_NS6detail15normal_iteratorINS8_10device_ptrIiEEEESD_ZNS1_13binary_searchIS3_S5_SD_SD_SD_NS1_21upper_bound_search_opENS9_16wrapped_functionINS0_4lessIvEEbEEEE10hipError_tPvRmT1_T2_T3_mmT4_T5_P12ihipStream_tbEUlRKiE_EESK_SO_SP_mSQ_ST_bEUlT_E_NS1_11comp_targetILNS1_3genE2ELNS1_11target_archE906ELNS1_3gpuE6ELNS1_3repE0EEENS1_30default_config_static_selectorELNS0_4arch9wavefront6targetE1EEEvSN_,@function
_ZN7rocprim17ROCPRIM_400000_NS6detail17trampoline_kernelINS0_14default_configENS1_27upper_bound_config_selectorIiiEEZNS1_14transform_implILb0ES3_S5_N6thrust23THRUST_200600_302600_NS6detail15normal_iteratorINS8_10device_ptrIiEEEESD_ZNS1_13binary_searchIS3_S5_SD_SD_SD_NS1_21upper_bound_search_opENS9_16wrapped_functionINS0_4lessIvEEbEEEE10hipError_tPvRmT1_T2_T3_mmT4_T5_P12ihipStream_tbEUlRKiE_EESK_SO_SP_mSQ_ST_bEUlT_E_NS1_11comp_targetILNS1_3genE2ELNS1_11target_archE906ELNS1_3gpuE6ELNS1_3repE0EEENS1_30default_config_static_selectorELNS0_4arch9wavefront6targetE1EEEvSN_: ; @_ZN7rocprim17ROCPRIM_400000_NS6detail17trampoline_kernelINS0_14default_configENS1_27upper_bound_config_selectorIiiEEZNS1_14transform_implILb0ES3_S5_N6thrust23THRUST_200600_302600_NS6detail15normal_iteratorINS8_10device_ptrIiEEEESD_ZNS1_13binary_searchIS3_S5_SD_SD_SD_NS1_21upper_bound_search_opENS9_16wrapped_functionINS0_4lessIvEEbEEEE10hipError_tPvRmT1_T2_T3_mmT4_T5_P12ihipStream_tbEUlRKiE_EESK_SO_SP_mSQ_ST_bEUlT_E_NS1_11comp_targetILNS1_3genE2ELNS1_11target_archE906ELNS1_3gpuE6ELNS1_3repE0EEENS1_30default_config_static_selectorELNS0_4arch9wavefront6targetE1EEEvSN_
; %bb.0:
	s_load_dwordx4 s[16:19], s[4:5], 0x0
	s_load_dwordx4 s[0:3], s[4:5], 0x18
	s_load_dwordx2 s[12:13], s[4:5], 0x28
	s_load_dword s7, s[4:5], 0x38
	s_mov_b32 s11, 0
	s_waitcnt lgkmcnt(0)
	s_lshl_b64 s[8:9], s[18:19], 2
	s_add_u32 s16, s16, s8
	s_addc_u32 s17, s17, s9
	s_lshl_b32 s10, s6, 8
	s_add_i32 s7, s7, -1
	s_cmp_lg_u32 s6, s7
	s_cbranch_scc0 .LBB612_6
; %bb.1:
	v_mov_b32_e32 v1, 0
	s_mov_b64 s[14:15], 0
	s_cmp_eq_u64 s[12:13], 0
	v_mov_b32_e32 v2, v1
	s_cbranch_scc1 .LBB612_5
; %bb.2:
	s_lshl_b64 s[6:7], s[10:11], 2
	s_add_u32 s6, s16, s6
	s_addc_u32 s7, s17, s7
	v_lshlrev_b32_e32 v2, 2, v0
	v_mov_b32_e32 v3, s7
	v_add_co_u32_e32 v2, vcc, s6, v2
	v_addc_co_u32_e32 v3, vcc, 0, v3, vcc
	flat_load_dword v6, v[2:3]
	v_mov_b32_e32 v2, 0
	v_mov_b32_e32 v4, s12
	s_mov_b64 s[6:7], 0
	v_mov_b32_e32 v3, 0
	v_mov_b32_e32 v5, s13
	;; [unrolled: 1-line block ×3, first 2 shown]
.LBB612_3:                              ; =>This Inner Loop Header: Depth=1
	v_sub_co_u32_e32 v8, vcc, v4, v2
	v_subb_co_u32_e32 v9, vcc, v5, v3, vcc
	v_lshrrev_b64 v[10:11], 1, v[8:9]
	v_lshrrev_b64 v[8:9], 6, v[8:9]
	v_add_co_u32_e32 v10, vcc, v10, v2
	v_addc_co_u32_e32 v11, vcc, v11, v3, vcc
	v_add_co_u32_e32 v8, vcc, v10, v8
	v_addc_co_u32_e32 v9, vcc, v11, v9, vcc
	v_lshlrev_b64 v[10:11], 2, v[8:9]
	v_add_co_u32_e32 v10, vcc, s2, v10
	v_addc_co_u32_e32 v11, vcc, v7, v11, vcc
	global_load_dword v10, v[10:11], off
	v_add_co_u32_e32 v11, vcc, 1, v8
	v_addc_co_u32_e32 v12, vcc, 0, v9, vcc
	s_waitcnt vmcnt(0) lgkmcnt(0)
	v_cmp_lt_i32_e32 vcc, v6, v10
	v_cndmask_b32_e32 v5, v5, v9, vcc
	v_cndmask_b32_e32 v4, v4, v8, vcc
	;; [unrolled: 1-line block ×4, first 2 shown]
	v_cmp_ge_u64_e32 vcc, v[2:3], v[4:5]
	s_or_b64 s[6:7], vcc, s[6:7]
	s_andn2_b64 exec, exec, s[6:7]
	s_cbranch_execnz .LBB612_3
; %bb.4:
	s_or_b64 exec, exec, s[6:7]
.LBB612_5:
	s_mov_b64 s[6:7], -1
	s_andn2_b64 vcc, exec, s[14:15]
	s_cbranch_vccz .LBB612_7
	s_branch .LBB612_14
.LBB612_6:
	s_mov_b64 s[6:7], 0
                                        ; implicit-def: $vgpr2
.LBB612_7:
	s_load_dword s4, s[4:5], 0x10
                                        ; implicit-def: $vgpr2
	s_waitcnt lgkmcnt(0)
	s_sub_i32 s4, s4, s10
	v_cmp_gt_u32_e32 vcc, s4, v0
	s_and_saveexec_b64 s[4:5], vcc
	s_cbranch_execz .LBB612_13
; %bb.8:
	v_mov_b32_e32 v1, 0
	s_mov_b64 s[14:15], 0
	s_cmp_eq_u64 s[12:13], 0
	v_mov_b32_e32 v2, v1
	s_cbranch_scc1 .LBB612_12
; %bb.9:
	s_lshl_b64 s[18:19], s[10:11], 2
	s_add_u32 s16, s16, s18
	s_addc_u32 s17, s17, s19
	v_lshlrev_b32_e32 v2, 2, v0
	v_mov_b32_e32 v3, s17
	v_add_co_u32_e32 v2, vcc, s16, v2
	v_addc_co_u32_e32 v3, vcc, 0, v3, vcc
	flat_load_dword v6, v[2:3]
	v_mov_b32_e32 v2, 0
	v_mov_b32_e32 v4, s12
	;; [unrolled: 1-line block ×5, first 2 shown]
.LBB612_10:                             ; =>This Inner Loop Header: Depth=1
	v_sub_co_u32_e32 v8, vcc, v4, v2
	v_subb_co_u32_e32 v9, vcc, v5, v3, vcc
	v_lshrrev_b64 v[10:11], 1, v[8:9]
	v_lshrrev_b64 v[8:9], 6, v[8:9]
	v_add_co_u32_e32 v10, vcc, v10, v2
	v_addc_co_u32_e32 v11, vcc, v11, v3, vcc
	v_add_co_u32_e32 v8, vcc, v10, v8
	v_addc_co_u32_e32 v9, vcc, v11, v9, vcc
	v_lshlrev_b64 v[10:11], 2, v[8:9]
	v_add_co_u32_e32 v10, vcc, s2, v10
	v_addc_co_u32_e32 v11, vcc, v7, v11, vcc
	global_load_dword v10, v[10:11], off
	v_add_co_u32_e32 v11, vcc, 1, v8
	v_addc_co_u32_e32 v12, vcc, 0, v9, vcc
	s_waitcnt vmcnt(0) lgkmcnt(0)
	v_cmp_lt_i32_e32 vcc, v6, v10
	v_cndmask_b32_e32 v5, v5, v9, vcc
	v_cndmask_b32_e32 v4, v4, v8, vcc
	;; [unrolled: 1-line block ×4, first 2 shown]
	v_cmp_ge_u64_e32 vcc, v[2:3], v[4:5]
	s_or_b64 s[14:15], vcc, s[14:15]
	s_andn2_b64 exec, exec, s[14:15]
	s_cbranch_execnz .LBB612_10
; %bb.11:
	s_or_b64 exec, exec, s[14:15]
.LBB612_12:
	s_or_b64 s[6:7], s[6:7], exec
.LBB612_13:
	s_or_b64 exec, exec, s[4:5]
.LBB612_14:
	s_and_saveexec_b64 s[2:3], s[6:7]
	s_cbranch_execnz .LBB612_16
; %bb.15:
	s_endpgm
.LBB612_16:
	s_add_u32 s2, s0, s8
	s_addc_u32 s3, s1, s9
	s_lshl_b64 s[0:1], s[10:11], 2
	s_add_u32 s0, s2, s0
	v_lshlrev_b64 v[0:1], 2, v[0:1]
	s_addc_u32 s1, s3, s1
	v_mov_b32_e32 v3, s1
	v_add_co_u32_e32 v0, vcc, s0, v0
	v_addc_co_u32_e32 v1, vcc, v3, v1, vcc
	flat_store_dword v[0:1], v2
	s_endpgm
	.section	.rodata,"a",@progbits
	.p2align	6, 0x0
	.amdhsa_kernel _ZN7rocprim17ROCPRIM_400000_NS6detail17trampoline_kernelINS0_14default_configENS1_27upper_bound_config_selectorIiiEEZNS1_14transform_implILb0ES3_S5_N6thrust23THRUST_200600_302600_NS6detail15normal_iteratorINS8_10device_ptrIiEEEESD_ZNS1_13binary_searchIS3_S5_SD_SD_SD_NS1_21upper_bound_search_opENS9_16wrapped_functionINS0_4lessIvEEbEEEE10hipError_tPvRmT1_T2_T3_mmT4_T5_P12ihipStream_tbEUlRKiE_EESK_SO_SP_mSQ_ST_bEUlT_E_NS1_11comp_targetILNS1_3genE2ELNS1_11target_archE906ELNS1_3gpuE6ELNS1_3repE0EEENS1_30default_config_static_selectorELNS0_4arch9wavefront6targetE1EEEvSN_
		.amdhsa_group_segment_fixed_size 0
		.amdhsa_private_segment_fixed_size 0
		.amdhsa_kernarg_size 312
		.amdhsa_user_sgpr_count 6
		.amdhsa_user_sgpr_private_segment_buffer 1
		.amdhsa_user_sgpr_dispatch_ptr 0
		.amdhsa_user_sgpr_queue_ptr 0
		.amdhsa_user_sgpr_kernarg_segment_ptr 1
		.amdhsa_user_sgpr_dispatch_id 0
		.amdhsa_user_sgpr_flat_scratch_init 0
		.amdhsa_user_sgpr_private_segment_size 0
		.amdhsa_uses_dynamic_stack 0
		.amdhsa_system_sgpr_private_segment_wavefront_offset 0
		.amdhsa_system_sgpr_workgroup_id_x 1
		.amdhsa_system_sgpr_workgroup_id_y 0
		.amdhsa_system_sgpr_workgroup_id_z 0
		.amdhsa_system_sgpr_workgroup_info 0
		.amdhsa_system_vgpr_workitem_id 0
		.amdhsa_next_free_vgpr 13
		.amdhsa_next_free_sgpr 20
		.amdhsa_reserve_vcc 1
		.amdhsa_reserve_flat_scratch 0
		.amdhsa_float_round_mode_32 0
		.amdhsa_float_round_mode_16_64 0
		.amdhsa_float_denorm_mode_32 3
		.amdhsa_float_denorm_mode_16_64 3
		.amdhsa_dx10_clamp 1
		.amdhsa_ieee_mode 1
		.amdhsa_fp16_overflow 0
		.amdhsa_exception_fp_ieee_invalid_op 0
		.amdhsa_exception_fp_denorm_src 0
		.amdhsa_exception_fp_ieee_div_zero 0
		.amdhsa_exception_fp_ieee_overflow 0
		.amdhsa_exception_fp_ieee_underflow 0
		.amdhsa_exception_fp_ieee_inexact 0
		.amdhsa_exception_int_div_zero 0
	.end_amdhsa_kernel
	.section	.text._ZN7rocprim17ROCPRIM_400000_NS6detail17trampoline_kernelINS0_14default_configENS1_27upper_bound_config_selectorIiiEEZNS1_14transform_implILb0ES3_S5_N6thrust23THRUST_200600_302600_NS6detail15normal_iteratorINS8_10device_ptrIiEEEESD_ZNS1_13binary_searchIS3_S5_SD_SD_SD_NS1_21upper_bound_search_opENS9_16wrapped_functionINS0_4lessIvEEbEEEE10hipError_tPvRmT1_T2_T3_mmT4_T5_P12ihipStream_tbEUlRKiE_EESK_SO_SP_mSQ_ST_bEUlT_E_NS1_11comp_targetILNS1_3genE2ELNS1_11target_archE906ELNS1_3gpuE6ELNS1_3repE0EEENS1_30default_config_static_selectorELNS0_4arch9wavefront6targetE1EEEvSN_,"axG",@progbits,_ZN7rocprim17ROCPRIM_400000_NS6detail17trampoline_kernelINS0_14default_configENS1_27upper_bound_config_selectorIiiEEZNS1_14transform_implILb0ES3_S5_N6thrust23THRUST_200600_302600_NS6detail15normal_iteratorINS8_10device_ptrIiEEEESD_ZNS1_13binary_searchIS3_S5_SD_SD_SD_NS1_21upper_bound_search_opENS9_16wrapped_functionINS0_4lessIvEEbEEEE10hipError_tPvRmT1_T2_T3_mmT4_T5_P12ihipStream_tbEUlRKiE_EESK_SO_SP_mSQ_ST_bEUlT_E_NS1_11comp_targetILNS1_3genE2ELNS1_11target_archE906ELNS1_3gpuE6ELNS1_3repE0EEENS1_30default_config_static_selectorELNS0_4arch9wavefront6targetE1EEEvSN_,comdat
.Lfunc_end612:
	.size	_ZN7rocprim17ROCPRIM_400000_NS6detail17trampoline_kernelINS0_14default_configENS1_27upper_bound_config_selectorIiiEEZNS1_14transform_implILb0ES3_S5_N6thrust23THRUST_200600_302600_NS6detail15normal_iteratorINS8_10device_ptrIiEEEESD_ZNS1_13binary_searchIS3_S5_SD_SD_SD_NS1_21upper_bound_search_opENS9_16wrapped_functionINS0_4lessIvEEbEEEE10hipError_tPvRmT1_T2_T3_mmT4_T5_P12ihipStream_tbEUlRKiE_EESK_SO_SP_mSQ_ST_bEUlT_E_NS1_11comp_targetILNS1_3genE2ELNS1_11target_archE906ELNS1_3gpuE6ELNS1_3repE0EEENS1_30default_config_static_selectorELNS0_4arch9wavefront6targetE1EEEvSN_, .Lfunc_end612-_ZN7rocprim17ROCPRIM_400000_NS6detail17trampoline_kernelINS0_14default_configENS1_27upper_bound_config_selectorIiiEEZNS1_14transform_implILb0ES3_S5_N6thrust23THRUST_200600_302600_NS6detail15normal_iteratorINS8_10device_ptrIiEEEESD_ZNS1_13binary_searchIS3_S5_SD_SD_SD_NS1_21upper_bound_search_opENS9_16wrapped_functionINS0_4lessIvEEbEEEE10hipError_tPvRmT1_T2_T3_mmT4_T5_P12ihipStream_tbEUlRKiE_EESK_SO_SP_mSQ_ST_bEUlT_E_NS1_11comp_targetILNS1_3genE2ELNS1_11target_archE906ELNS1_3gpuE6ELNS1_3repE0EEENS1_30default_config_static_selectorELNS0_4arch9wavefront6targetE1EEEvSN_
                                        ; -- End function
	.set _ZN7rocprim17ROCPRIM_400000_NS6detail17trampoline_kernelINS0_14default_configENS1_27upper_bound_config_selectorIiiEEZNS1_14transform_implILb0ES3_S5_N6thrust23THRUST_200600_302600_NS6detail15normal_iteratorINS8_10device_ptrIiEEEESD_ZNS1_13binary_searchIS3_S5_SD_SD_SD_NS1_21upper_bound_search_opENS9_16wrapped_functionINS0_4lessIvEEbEEEE10hipError_tPvRmT1_T2_T3_mmT4_T5_P12ihipStream_tbEUlRKiE_EESK_SO_SP_mSQ_ST_bEUlT_E_NS1_11comp_targetILNS1_3genE2ELNS1_11target_archE906ELNS1_3gpuE6ELNS1_3repE0EEENS1_30default_config_static_selectorELNS0_4arch9wavefront6targetE1EEEvSN_.num_vgpr, 13
	.set _ZN7rocprim17ROCPRIM_400000_NS6detail17trampoline_kernelINS0_14default_configENS1_27upper_bound_config_selectorIiiEEZNS1_14transform_implILb0ES3_S5_N6thrust23THRUST_200600_302600_NS6detail15normal_iteratorINS8_10device_ptrIiEEEESD_ZNS1_13binary_searchIS3_S5_SD_SD_SD_NS1_21upper_bound_search_opENS9_16wrapped_functionINS0_4lessIvEEbEEEE10hipError_tPvRmT1_T2_T3_mmT4_T5_P12ihipStream_tbEUlRKiE_EESK_SO_SP_mSQ_ST_bEUlT_E_NS1_11comp_targetILNS1_3genE2ELNS1_11target_archE906ELNS1_3gpuE6ELNS1_3repE0EEENS1_30default_config_static_selectorELNS0_4arch9wavefront6targetE1EEEvSN_.num_agpr, 0
	.set _ZN7rocprim17ROCPRIM_400000_NS6detail17trampoline_kernelINS0_14default_configENS1_27upper_bound_config_selectorIiiEEZNS1_14transform_implILb0ES3_S5_N6thrust23THRUST_200600_302600_NS6detail15normal_iteratorINS8_10device_ptrIiEEEESD_ZNS1_13binary_searchIS3_S5_SD_SD_SD_NS1_21upper_bound_search_opENS9_16wrapped_functionINS0_4lessIvEEbEEEE10hipError_tPvRmT1_T2_T3_mmT4_T5_P12ihipStream_tbEUlRKiE_EESK_SO_SP_mSQ_ST_bEUlT_E_NS1_11comp_targetILNS1_3genE2ELNS1_11target_archE906ELNS1_3gpuE6ELNS1_3repE0EEENS1_30default_config_static_selectorELNS0_4arch9wavefront6targetE1EEEvSN_.numbered_sgpr, 20
	.set _ZN7rocprim17ROCPRIM_400000_NS6detail17trampoline_kernelINS0_14default_configENS1_27upper_bound_config_selectorIiiEEZNS1_14transform_implILb0ES3_S5_N6thrust23THRUST_200600_302600_NS6detail15normal_iteratorINS8_10device_ptrIiEEEESD_ZNS1_13binary_searchIS3_S5_SD_SD_SD_NS1_21upper_bound_search_opENS9_16wrapped_functionINS0_4lessIvEEbEEEE10hipError_tPvRmT1_T2_T3_mmT4_T5_P12ihipStream_tbEUlRKiE_EESK_SO_SP_mSQ_ST_bEUlT_E_NS1_11comp_targetILNS1_3genE2ELNS1_11target_archE906ELNS1_3gpuE6ELNS1_3repE0EEENS1_30default_config_static_selectorELNS0_4arch9wavefront6targetE1EEEvSN_.num_named_barrier, 0
	.set _ZN7rocprim17ROCPRIM_400000_NS6detail17trampoline_kernelINS0_14default_configENS1_27upper_bound_config_selectorIiiEEZNS1_14transform_implILb0ES3_S5_N6thrust23THRUST_200600_302600_NS6detail15normal_iteratorINS8_10device_ptrIiEEEESD_ZNS1_13binary_searchIS3_S5_SD_SD_SD_NS1_21upper_bound_search_opENS9_16wrapped_functionINS0_4lessIvEEbEEEE10hipError_tPvRmT1_T2_T3_mmT4_T5_P12ihipStream_tbEUlRKiE_EESK_SO_SP_mSQ_ST_bEUlT_E_NS1_11comp_targetILNS1_3genE2ELNS1_11target_archE906ELNS1_3gpuE6ELNS1_3repE0EEENS1_30default_config_static_selectorELNS0_4arch9wavefront6targetE1EEEvSN_.private_seg_size, 0
	.set _ZN7rocprim17ROCPRIM_400000_NS6detail17trampoline_kernelINS0_14default_configENS1_27upper_bound_config_selectorIiiEEZNS1_14transform_implILb0ES3_S5_N6thrust23THRUST_200600_302600_NS6detail15normal_iteratorINS8_10device_ptrIiEEEESD_ZNS1_13binary_searchIS3_S5_SD_SD_SD_NS1_21upper_bound_search_opENS9_16wrapped_functionINS0_4lessIvEEbEEEE10hipError_tPvRmT1_T2_T3_mmT4_T5_P12ihipStream_tbEUlRKiE_EESK_SO_SP_mSQ_ST_bEUlT_E_NS1_11comp_targetILNS1_3genE2ELNS1_11target_archE906ELNS1_3gpuE6ELNS1_3repE0EEENS1_30default_config_static_selectorELNS0_4arch9wavefront6targetE1EEEvSN_.uses_vcc, 1
	.set _ZN7rocprim17ROCPRIM_400000_NS6detail17trampoline_kernelINS0_14default_configENS1_27upper_bound_config_selectorIiiEEZNS1_14transform_implILb0ES3_S5_N6thrust23THRUST_200600_302600_NS6detail15normal_iteratorINS8_10device_ptrIiEEEESD_ZNS1_13binary_searchIS3_S5_SD_SD_SD_NS1_21upper_bound_search_opENS9_16wrapped_functionINS0_4lessIvEEbEEEE10hipError_tPvRmT1_T2_T3_mmT4_T5_P12ihipStream_tbEUlRKiE_EESK_SO_SP_mSQ_ST_bEUlT_E_NS1_11comp_targetILNS1_3genE2ELNS1_11target_archE906ELNS1_3gpuE6ELNS1_3repE0EEENS1_30default_config_static_selectorELNS0_4arch9wavefront6targetE1EEEvSN_.uses_flat_scratch, 0
	.set _ZN7rocprim17ROCPRIM_400000_NS6detail17trampoline_kernelINS0_14default_configENS1_27upper_bound_config_selectorIiiEEZNS1_14transform_implILb0ES3_S5_N6thrust23THRUST_200600_302600_NS6detail15normal_iteratorINS8_10device_ptrIiEEEESD_ZNS1_13binary_searchIS3_S5_SD_SD_SD_NS1_21upper_bound_search_opENS9_16wrapped_functionINS0_4lessIvEEbEEEE10hipError_tPvRmT1_T2_T3_mmT4_T5_P12ihipStream_tbEUlRKiE_EESK_SO_SP_mSQ_ST_bEUlT_E_NS1_11comp_targetILNS1_3genE2ELNS1_11target_archE906ELNS1_3gpuE6ELNS1_3repE0EEENS1_30default_config_static_selectorELNS0_4arch9wavefront6targetE1EEEvSN_.has_dyn_sized_stack, 0
	.set _ZN7rocprim17ROCPRIM_400000_NS6detail17trampoline_kernelINS0_14default_configENS1_27upper_bound_config_selectorIiiEEZNS1_14transform_implILb0ES3_S5_N6thrust23THRUST_200600_302600_NS6detail15normal_iteratorINS8_10device_ptrIiEEEESD_ZNS1_13binary_searchIS3_S5_SD_SD_SD_NS1_21upper_bound_search_opENS9_16wrapped_functionINS0_4lessIvEEbEEEE10hipError_tPvRmT1_T2_T3_mmT4_T5_P12ihipStream_tbEUlRKiE_EESK_SO_SP_mSQ_ST_bEUlT_E_NS1_11comp_targetILNS1_3genE2ELNS1_11target_archE906ELNS1_3gpuE6ELNS1_3repE0EEENS1_30default_config_static_selectorELNS0_4arch9wavefront6targetE1EEEvSN_.has_recursion, 0
	.set _ZN7rocprim17ROCPRIM_400000_NS6detail17trampoline_kernelINS0_14default_configENS1_27upper_bound_config_selectorIiiEEZNS1_14transform_implILb0ES3_S5_N6thrust23THRUST_200600_302600_NS6detail15normal_iteratorINS8_10device_ptrIiEEEESD_ZNS1_13binary_searchIS3_S5_SD_SD_SD_NS1_21upper_bound_search_opENS9_16wrapped_functionINS0_4lessIvEEbEEEE10hipError_tPvRmT1_T2_T3_mmT4_T5_P12ihipStream_tbEUlRKiE_EESK_SO_SP_mSQ_ST_bEUlT_E_NS1_11comp_targetILNS1_3genE2ELNS1_11target_archE906ELNS1_3gpuE6ELNS1_3repE0EEENS1_30default_config_static_selectorELNS0_4arch9wavefront6targetE1EEEvSN_.has_indirect_call, 0
	.section	.AMDGPU.csdata,"",@progbits
; Kernel info:
; codeLenInByte = 576
; TotalNumSgprs: 24
; NumVgprs: 13
; ScratchSize: 0
; MemoryBound: 0
; FloatMode: 240
; IeeeMode: 1
; LDSByteSize: 0 bytes/workgroup (compile time only)
; SGPRBlocks: 2
; VGPRBlocks: 3
; NumSGPRsForWavesPerEU: 24
; NumVGPRsForWavesPerEU: 13
; Occupancy: 10
; WaveLimiterHint : 0
; COMPUTE_PGM_RSRC2:SCRATCH_EN: 0
; COMPUTE_PGM_RSRC2:USER_SGPR: 6
; COMPUTE_PGM_RSRC2:TRAP_HANDLER: 0
; COMPUTE_PGM_RSRC2:TGID_X_EN: 1
; COMPUTE_PGM_RSRC2:TGID_Y_EN: 0
; COMPUTE_PGM_RSRC2:TGID_Z_EN: 0
; COMPUTE_PGM_RSRC2:TIDIG_COMP_CNT: 0
	.section	.text._ZN7rocprim17ROCPRIM_400000_NS6detail17trampoline_kernelINS0_14default_configENS1_27upper_bound_config_selectorIiiEEZNS1_14transform_implILb0ES3_S5_N6thrust23THRUST_200600_302600_NS6detail15normal_iteratorINS8_10device_ptrIiEEEESD_ZNS1_13binary_searchIS3_S5_SD_SD_SD_NS1_21upper_bound_search_opENS9_16wrapped_functionINS0_4lessIvEEbEEEE10hipError_tPvRmT1_T2_T3_mmT4_T5_P12ihipStream_tbEUlRKiE_EESK_SO_SP_mSQ_ST_bEUlT_E_NS1_11comp_targetILNS1_3genE10ELNS1_11target_archE1201ELNS1_3gpuE5ELNS1_3repE0EEENS1_30default_config_static_selectorELNS0_4arch9wavefront6targetE1EEEvSN_,"axG",@progbits,_ZN7rocprim17ROCPRIM_400000_NS6detail17trampoline_kernelINS0_14default_configENS1_27upper_bound_config_selectorIiiEEZNS1_14transform_implILb0ES3_S5_N6thrust23THRUST_200600_302600_NS6detail15normal_iteratorINS8_10device_ptrIiEEEESD_ZNS1_13binary_searchIS3_S5_SD_SD_SD_NS1_21upper_bound_search_opENS9_16wrapped_functionINS0_4lessIvEEbEEEE10hipError_tPvRmT1_T2_T3_mmT4_T5_P12ihipStream_tbEUlRKiE_EESK_SO_SP_mSQ_ST_bEUlT_E_NS1_11comp_targetILNS1_3genE10ELNS1_11target_archE1201ELNS1_3gpuE5ELNS1_3repE0EEENS1_30default_config_static_selectorELNS0_4arch9wavefront6targetE1EEEvSN_,comdat
	.protected	_ZN7rocprim17ROCPRIM_400000_NS6detail17trampoline_kernelINS0_14default_configENS1_27upper_bound_config_selectorIiiEEZNS1_14transform_implILb0ES3_S5_N6thrust23THRUST_200600_302600_NS6detail15normal_iteratorINS8_10device_ptrIiEEEESD_ZNS1_13binary_searchIS3_S5_SD_SD_SD_NS1_21upper_bound_search_opENS9_16wrapped_functionINS0_4lessIvEEbEEEE10hipError_tPvRmT1_T2_T3_mmT4_T5_P12ihipStream_tbEUlRKiE_EESK_SO_SP_mSQ_ST_bEUlT_E_NS1_11comp_targetILNS1_3genE10ELNS1_11target_archE1201ELNS1_3gpuE5ELNS1_3repE0EEENS1_30default_config_static_selectorELNS0_4arch9wavefront6targetE1EEEvSN_ ; -- Begin function _ZN7rocprim17ROCPRIM_400000_NS6detail17trampoline_kernelINS0_14default_configENS1_27upper_bound_config_selectorIiiEEZNS1_14transform_implILb0ES3_S5_N6thrust23THRUST_200600_302600_NS6detail15normal_iteratorINS8_10device_ptrIiEEEESD_ZNS1_13binary_searchIS3_S5_SD_SD_SD_NS1_21upper_bound_search_opENS9_16wrapped_functionINS0_4lessIvEEbEEEE10hipError_tPvRmT1_T2_T3_mmT4_T5_P12ihipStream_tbEUlRKiE_EESK_SO_SP_mSQ_ST_bEUlT_E_NS1_11comp_targetILNS1_3genE10ELNS1_11target_archE1201ELNS1_3gpuE5ELNS1_3repE0EEENS1_30default_config_static_selectorELNS0_4arch9wavefront6targetE1EEEvSN_
	.globl	_ZN7rocprim17ROCPRIM_400000_NS6detail17trampoline_kernelINS0_14default_configENS1_27upper_bound_config_selectorIiiEEZNS1_14transform_implILb0ES3_S5_N6thrust23THRUST_200600_302600_NS6detail15normal_iteratorINS8_10device_ptrIiEEEESD_ZNS1_13binary_searchIS3_S5_SD_SD_SD_NS1_21upper_bound_search_opENS9_16wrapped_functionINS0_4lessIvEEbEEEE10hipError_tPvRmT1_T2_T3_mmT4_T5_P12ihipStream_tbEUlRKiE_EESK_SO_SP_mSQ_ST_bEUlT_E_NS1_11comp_targetILNS1_3genE10ELNS1_11target_archE1201ELNS1_3gpuE5ELNS1_3repE0EEENS1_30default_config_static_selectorELNS0_4arch9wavefront6targetE1EEEvSN_
	.p2align	8
	.type	_ZN7rocprim17ROCPRIM_400000_NS6detail17trampoline_kernelINS0_14default_configENS1_27upper_bound_config_selectorIiiEEZNS1_14transform_implILb0ES3_S5_N6thrust23THRUST_200600_302600_NS6detail15normal_iteratorINS8_10device_ptrIiEEEESD_ZNS1_13binary_searchIS3_S5_SD_SD_SD_NS1_21upper_bound_search_opENS9_16wrapped_functionINS0_4lessIvEEbEEEE10hipError_tPvRmT1_T2_T3_mmT4_T5_P12ihipStream_tbEUlRKiE_EESK_SO_SP_mSQ_ST_bEUlT_E_NS1_11comp_targetILNS1_3genE10ELNS1_11target_archE1201ELNS1_3gpuE5ELNS1_3repE0EEENS1_30default_config_static_selectorELNS0_4arch9wavefront6targetE1EEEvSN_,@function
_ZN7rocprim17ROCPRIM_400000_NS6detail17trampoline_kernelINS0_14default_configENS1_27upper_bound_config_selectorIiiEEZNS1_14transform_implILb0ES3_S5_N6thrust23THRUST_200600_302600_NS6detail15normal_iteratorINS8_10device_ptrIiEEEESD_ZNS1_13binary_searchIS3_S5_SD_SD_SD_NS1_21upper_bound_search_opENS9_16wrapped_functionINS0_4lessIvEEbEEEE10hipError_tPvRmT1_T2_T3_mmT4_T5_P12ihipStream_tbEUlRKiE_EESK_SO_SP_mSQ_ST_bEUlT_E_NS1_11comp_targetILNS1_3genE10ELNS1_11target_archE1201ELNS1_3gpuE5ELNS1_3repE0EEENS1_30default_config_static_selectorELNS0_4arch9wavefront6targetE1EEEvSN_: ; @_ZN7rocprim17ROCPRIM_400000_NS6detail17trampoline_kernelINS0_14default_configENS1_27upper_bound_config_selectorIiiEEZNS1_14transform_implILb0ES3_S5_N6thrust23THRUST_200600_302600_NS6detail15normal_iteratorINS8_10device_ptrIiEEEESD_ZNS1_13binary_searchIS3_S5_SD_SD_SD_NS1_21upper_bound_search_opENS9_16wrapped_functionINS0_4lessIvEEbEEEE10hipError_tPvRmT1_T2_T3_mmT4_T5_P12ihipStream_tbEUlRKiE_EESK_SO_SP_mSQ_ST_bEUlT_E_NS1_11comp_targetILNS1_3genE10ELNS1_11target_archE1201ELNS1_3gpuE5ELNS1_3repE0EEENS1_30default_config_static_selectorELNS0_4arch9wavefront6targetE1EEEvSN_
; %bb.0:
	.section	.rodata,"a",@progbits
	.p2align	6, 0x0
	.amdhsa_kernel _ZN7rocprim17ROCPRIM_400000_NS6detail17trampoline_kernelINS0_14default_configENS1_27upper_bound_config_selectorIiiEEZNS1_14transform_implILb0ES3_S5_N6thrust23THRUST_200600_302600_NS6detail15normal_iteratorINS8_10device_ptrIiEEEESD_ZNS1_13binary_searchIS3_S5_SD_SD_SD_NS1_21upper_bound_search_opENS9_16wrapped_functionINS0_4lessIvEEbEEEE10hipError_tPvRmT1_T2_T3_mmT4_T5_P12ihipStream_tbEUlRKiE_EESK_SO_SP_mSQ_ST_bEUlT_E_NS1_11comp_targetILNS1_3genE10ELNS1_11target_archE1201ELNS1_3gpuE5ELNS1_3repE0EEENS1_30default_config_static_selectorELNS0_4arch9wavefront6targetE1EEEvSN_
		.amdhsa_group_segment_fixed_size 0
		.amdhsa_private_segment_fixed_size 0
		.amdhsa_kernarg_size 56
		.amdhsa_user_sgpr_count 6
		.amdhsa_user_sgpr_private_segment_buffer 1
		.amdhsa_user_sgpr_dispatch_ptr 0
		.amdhsa_user_sgpr_queue_ptr 0
		.amdhsa_user_sgpr_kernarg_segment_ptr 1
		.amdhsa_user_sgpr_dispatch_id 0
		.amdhsa_user_sgpr_flat_scratch_init 0
		.amdhsa_user_sgpr_private_segment_size 0
		.amdhsa_uses_dynamic_stack 0
		.amdhsa_system_sgpr_private_segment_wavefront_offset 0
		.amdhsa_system_sgpr_workgroup_id_x 1
		.amdhsa_system_sgpr_workgroup_id_y 0
		.amdhsa_system_sgpr_workgroup_id_z 0
		.amdhsa_system_sgpr_workgroup_info 0
		.amdhsa_system_vgpr_workitem_id 0
		.amdhsa_next_free_vgpr 1
		.amdhsa_next_free_sgpr 0
		.amdhsa_reserve_vcc 0
		.amdhsa_reserve_flat_scratch 0
		.amdhsa_float_round_mode_32 0
		.amdhsa_float_round_mode_16_64 0
		.amdhsa_float_denorm_mode_32 3
		.amdhsa_float_denorm_mode_16_64 3
		.amdhsa_dx10_clamp 1
		.amdhsa_ieee_mode 1
		.amdhsa_fp16_overflow 0
		.amdhsa_exception_fp_ieee_invalid_op 0
		.amdhsa_exception_fp_denorm_src 0
		.amdhsa_exception_fp_ieee_div_zero 0
		.amdhsa_exception_fp_ieee_overflow 0
		.amdhsa_exception_fp_ieee_underflow 0
		.amdhsa_exception_fp_ieee_inexact 0
		.amdhsa_exception_int_div_zero 0
	.end_amdhsa_kernel
	.section	.text._ZN7rocprim17ROCPRIM_400000_NS6detail17trampoline_kernelINS0_14default_configENS1_27upper_bound_config_selectorIiiEEZNS1_14transform_implILb0ES3_S5_N6thrust23THRUST_200600_302600_NS6detail15normal_iteratorINS8_10device_ptrIiEEEESD_ZNS1_13binary_searchIS3_S5_SD_SD_SD_NS1_21upper_bound_search_opENS9_16wrapped_functionINS0_4lessIvEEbEEEE10hipError_tPvRmT1_T2_T3_mmT4_T5_P12ihipStream_tbEUlRKiE_EESK_SO_SP_mSQ_ST_bEUlT_E_NS1_11comp_targetILNS1_3genE10ELNS1_11target_archE1201ELNS1_3gpuE5ELNS1_3repE0EEENS1_30default_config_static_selectorELNS0_4arch9wavefront6targetE1EEEvSN_,"axG",@progbits,_ZN7rocprim17ROCPRIM_400000_NS6detail17trampoline_kernelINS0_14default_configENS1_27upper_bound_config_selectorIiiEEZNS1_14transform_implILb0ES3_S5_N6thrust23THRUST_200600_302600_NS6detail15normal_iteratorINS8_10device_ptrIiEEEESD_ZNS1_13binary_searchIS3_S5_SD_SD_SD_NS1_21upper_bound_search_opENS9_16wrapped_functionINS0_4lessIvEEbEEEE10hipError_tPvRmT1_T2_T3_mmT4_T5_P12ihipStream_tbEUlRKiE_EESK_SO_SP_mSQ_ST_bEUlT_E_NS1_11comp_targetILNS1_3genE10ELNS1_11target_archE1201ELNS1_3gpuE5ELNS1_3repE0EEENS1_30default_config_static_selectorELNS0_4arch9wavefront6targetE1EEEvSN_,comdat
.Lfunc_end613:
	.size	_ZN7rocprim17ROCPRIM_400000_NS6detail17trampoline_kernelINS0_14default_configENS1_27upper_bound_config_selectorIiiEEZNS1_14transform_implILb0ES3_S5_N6thrust23THRUST_200600_302600_NS6detail15normal_iteratorINS8_10device_ptrIiEEEESD_ZNS1_13binary_searchIS3_S5_SD_SD_SD_NS1_21upper_bound_search_opENS9_16wrapped_functionINS0_4lessIvEEbEEEE10hipError_tPvRmT1_T2_T3_mmT4_T5_P12ihipStream_tbEUlRKiE_EESK_SO_SP_mSQ_ST_bEUlT_E_NS1_11comp_targetILNS1_3genE10ELNS1_11target_archE1201ELNS1_3gpuE5ELNS1_3repE0EEENS1_30default_config_static_selectorELNS0_4arch9wavefront6targetE1EEEvSN_, .Lfunc_end613-_ZN7rocprim17ROCPRIM_400000_NS6detail17trampoline_kernelINS0_14default_configENS1_27upper_bound_config_selectorIiiEEZNS1_14transform_implILb0ES3_S5_N6thrust23THRUST_200600_302600_NS6detail15normal_iteratorINS8_10device_ptrIiEEEESD_ZNS1_13binary_searchIS3_S5_SD_SD_SD_NS1_21upper_bound_search_opENS9_16wrapped_functionINS0_4lessIvEEbEEEE10hipError_tPvRmT1_T2_T3_mmT4_T5_P12ihipStream_tbEUlRKiE_EESK_SO_SP_mSQ_ST_bEUlT_E_NS1_11comp_targetILNS1_3genE10ELNS1_11target_archE1201ELNS1_3gpuE5ELNS1_3repE0EEENS1_30default_config_static_selectorELNS0_4arch9wavefront6targetE1EEEvSN_
                                        ; -- End function
	.set _ZN7rocprim17ROCPRIM_400000_NS6detail17trampoline_kernelINS0_14default_configENS1_27upper_bound_config_selectorIiiEEZNS1_14transform_implILb0ES3_S5_N6thrust23THRUST_200600_302600_NS6detail15normal_iteratorINS8_10device_ptrIiEEEESD_ZNS1_13binary_searchIS3_S5_SD_SD_SD_NS1_21upper_bound_search_opENS9_16wrapped_functionINS0_4lessIvEEbEEEE10hipError_tPvRmT1_T2_T3_mmT4_T5_P12ihipStream_tbEUlRKiE_EESK_SO_SP_mSQ_ST_bEUlT_E_NS1_11comp_targetILNS1_3genE10ELNS1_11target_archE1201ELNS1_3gpuE5ELNS1_3repE0EEENS1_30default_config_static_selectorELNS0_4arch9wavefront6targetE1EEEvSN_.num_vgpr, 0
	.set _ZN7rocprim17ROCPRIM_400000_NS6detail17trampoline_kernelINS0_14default_configENS1_27upper_bound_config_selectorIiiEEZNS1_14transform_implILb0ES3_S5_N6thrust23THRUST_200600_302600_NS6detail15normal_iteratorINS8_10device_ptrIiEEEESD_ZNS1_13binary_searchIS3_S5_SD_SD_SD_NS1_21upper_bound_search_opENS9_16wrapped_functionINS0_4lessIvEEbEEEE10hipError_tPvRmT1_T2_T3_mmT4_T5_P12ihipStream_tbEUlRKiE_EESK_SO_SP_mSQ_ST_bEUlT_E_NS1_11comp_targetILNS1_3genE10ELNS1_11target_archE1201ELNS1_3gpuE5ELNS1_3repE0EEENS1_30default_config_static_selectorELNS0_4arch9wavefront6targetE1EEEvSN_.num_agpr, 0
	.set _ZN7rocprim17ROCPRIM_400000_NS6detail17trampoline_kernelINS0_14default_configENS1_27upper_bound_config_selectorIiiEEZNS1_14transform_implILb0ES3_S5_N6thrust23THRUST_200600_302600_NS6detail15normal_iteratorINS8_10device_ptrIiEEEESD_ZNS1_13binary_searchIS3_S5_SD_SD_SD_NS1_21upper_bound_search_opENS9_16wrapped_functionINS0_4lessIvEEbEEEE10hipError_tPvRmT1_T2_T3_mmT4_T5_P12ihipStream_tbEUlRKiE_EESK_SO_SP_mSQ_ST_bEUlT_E_NS1_11comp_targetILNS1_3genE10ELNS1_11target_archE1201ELNS1_3gpuE5ELNS1_3repE0EEENS1_30default_config_static_selectorELNS0_4arch9wavefront6targetE1EEEvSN_.numbered_sgpr, 0
	.set _ZN7rocprim17ROCPRIM_400000_NS6detail17trampoline_kernelINS0_14default_configENS1_27upper_bound_config_selectorIiiEEZNS1_14transform_implILb0ES3_S5_N6thrust23THRUST_200600_302600_NS6detail15normal_iteratorINS8_10device_ptrIiEEEESD_ZNS1_13binary_searchIS3_S5_SD_SD_SD_NS1_21upper_bound_search_opENS9_16wrapped_functionINS0_4lessIvEEbEEEE10hipError_tPvRmT1_T2_T3_mmT4_T5_P12ihipStream_tbEUlRKiE_EESK_SO_SP_mSQ_ST_bEUlT_E_NS1_11comp_targetILNS1_3genE10ELNS1_11target_archE1201ELNS1_3gpuE5ELNS1_3repE0EEENS1_30default_config_static_selectorELNS0_4arch9wavefront6targetE1EEEvSN_.num_named_barrier, 0
	.set _ZN7rocprim17ROCPRIM_400000_NS6detail17trampoline_kernelINS0_14default_configENS1_27upper_bound_config_selectorIiiEEZNS1_14transform_implILb0ES3_S5_N6thrust23THRUST_200600_302600_NS6detail15normal_iteratorINS8_10device_ptrIiEEEESD_ZNS1_13binary_searchIS3_S5_SD_SD_SD_NS1_21upper_bound_search_opENS9_16wrapped_functionINS0_4lessIvEEbEEEE10hipError_tPvRmT1_T2_T3_mmT4_T5_P12ihipStream_tbEUlRKiE_EESK_SO_SP_mSQ_ST_bEUlT_E_NS1_11comp_targetILNS1_3genE10ELNS1_11target_archE1201ELNS1_3gpuE5ELNS1_3repE0EEENS1_30default_config_static_selectorELNS0_4arch9wavefront6targetE1EEEvSN_.private_seg_size, 0
	.set _ZN7rocprim17ROCPRIM_400000_NS6detail17trampoline_kernelINS0_14default_configENS1_27upper_bound_config_selectorIiiEEZNS1_14transform_implILb0ES3_S5_N6thrust23THRUST_200600_302600_NS6detail15normal_iteratorINS8_10device_ptrIiEEEESD_ZNS1_13binary_searchIS3_S5_SD_SD_SD_NS1_21upper_bound_search_opENS9_16wrapped_functionINS0_4lessIvEEbEEEE10hipError_tPvRmT1_T2_T3_mmT4_T5_P12ihipStream_tbEUlRKiE_EESK_SO_SP_mSQ_ST_bEUlT_E_NS1_11comp_targetILNS1_3genE10ELNS1_11target_archE1201ELNS1_3gpuE5ELNS1_3repE0EEENS1_30default_config_static_selectorELNS0_4arch9wavefront6targetE1EEEvSN_.uses_vcc, 0
	.set _ZN7rocprim17ROCPRIM_400000_NS6detail17trampoline_kernelINS0_14default_configENS1_27upper_bound_config_selectorIiiEEZNS1_14transform_implILb0ES3_S5_N6thrust23THRUST_200600_302600_NS6detail15normal_iteratorINS8_10device_ptrIiEEEESD_ZNS1_13binary_searchIS3_S5_SD_SD_SD_NS1_21upper_bound_search_opENS9_16wrapped_functionINS0_4lessIvEEbEEEE10hipError_tPvRmT1_T2_T3_mmT4_T5_P12ihipStream_tbEUlRKiE_EESK_SO_SP_mSQ_ST_bEUlT_E_NS1_11comp_targetILNS1_3genE10ELNS1_11target_archE1201ELNS1_3gpuE5ELNS1_3repE0EEENS1_30default_config_static_selectorELNS0_4arch9wavefront6targetE1EEEvSN_.uses_flat_scratch, 0
	.set _ZN7rocprim17ROCPRIM_400000_NS6detail17trampoline_kernelINS0_14default_configENS1_27upper_bound_config_selectorIiiEEZNS1_14transform_implILb0ES3_S5_N6thrust23THRUST_200600_302600_NS6detail15normal_iteratorINS8_10device_ptrIiEEEESD_ZNS1_13binary_searchIS3_S5_SD_SD_SD_NS1_21upper_bound_search_opENS9_16wrapped_functionINS0_4lessIvEEbEEEE10hipError_tPvRmT1_T2_T3_mmT4_T5_P12ihipStream_tbEUlRKiE_EESK_SO_SP_mSQ_ST_bEUlT_E_NS1_11comp_targetILNS1_3genE10ELNS1_11target_archE1201ELNS1_3gpuE5ELNS1_3repE0EEENS1_30default_config_static_selectorELNS0_4arch9wavefront6targetE1EEEvSN_.has_dyn_sized_stack, 0
	.set _ZN7rocprim17ROCPRIM_400000_NS6detail17trampoline_kernelINS0_14default_configENS1_27upper_bound_config_selectorIiiEEZNS1_14transform_implILb0ES3_S5_N6thrust23THRUST_200600_302600_NS6detail15normal_iteratorINS8_10device_ptrIiEEEESD_ZNS1_13binary_searchIS3_S5_SD_SD_SD_NS1_21upper_bound_search_opENS9_16wrapped_functionINS0_4lessIvEEbEEEE10hipError_tPvRmT1_T2_T3_mmT4_T5_P12ihipStream_tbEUlRKiE_EESK_SO_SP_mSQ_ST_bEUlT_E_NS1_11comp_targetILNS1_3genE10ELNS1_11target_archE1201ELNS1_3gpuE5ELNS1_3repE0EEENS1_30default_config_static_selectorELNS0_4arch9wavefront6targetE1EEEvSN_.has_recursion, 0
	.set _ZN7rocprim17ROCPRIM_400000_NS6detail17trampoline_kernelINS0_14default_configENS1_27upper_bound_config_selectorIiiEEZNS1_14transform_implILb0ES3_S5_N6thrust23THRUST_200600_302600_NS6detail15normal_iteratorINS8_10device_ptrIiEEEESD_ZNS1_13binary_searchIS3_S5_SD_SD_SD_NS1_21upper_bound_search_opENS9_16wrapped_functionINS0_4lessIvEEbEEEE10hipError_tPvRmT1_T2_T3_mmT4_T5_P12ihipStream_tbEUlRKiE_EESK_SO_SP_mSQ_ST_bEUlT_E_NS1_11comp_targetILNS1_3genE10ELNS1_11target_archE1201ELNS1_3gpuE5ELNS1_3repE0EEENS1_30default_config_static_selectorELNS0_4arch9wavefront6targetE1EEEvSN_.has_indirect_call, 0
	.section	.AMDGPU.csdata,"",@progbits
; Kernel info:
; codeLenInByte = 0
; TotalNumSgprs: 4
; NumVgprs: 0
; ScratchSize: 0
; MemoryBound: 0
; FloatMode: 240
; IeeeMode: 1
; LDSByteSize: 0 bytes/workgroup (compile time only)
; SGPRBlocks: 0
; VGPRBlocks: 0
; NumSGPRsForWavesPerEU: 4
; NumVGPRsForWavesPerEU: 1
; Occupancy: 10
; WaveLimiterHint : 0
; COMPUTE_PGM_RSRC2:SCRATCH_EN: 0
; COMPUTE_PGM_RSRC2:USER_SGPR: 6
; COMPUTE_PGM_RSRC2:TRAP_HANDLER: 0
; COMPUTE_PGM_RSRC2:TGID_X_EN: 1
; COMPUTE_PGM_RSRC2:TGID_Y_EN: 0
; COMPUTE_PGM_RSRC2:TGID_Z_EN: 0
; COMPUTE_PGM_RSRC2:TIDIG_COMP_CNT: 0
	.section	.text._ZN7rocprim17ROCPRIM_400000_NS6detail17trampoline_kernelINS0_14default_configENS1_27upper_bound_config_selectorIiiEEZNS1_14transform_implILb0ES3_S5_N6thrust23THRUST_200600_302600_NS6detail15normal_iteratorINS8_10device_ptrIiEEEESD_ZNS1_13binary_searchIS3_S5_SD_SD_SD_NS1_21upper_bound_search_opENS9_16wrapped_functionINS0_4lessIvEEbEEEE10hipError_tPvRmT1_T2_T3_mmT4_T5_P12ihipStream_tbEUlRKiE_EESK_SO_SP_mSQ_ST_bEUlT_E_NS1_11comp_targetILNS1_3genE10ELNS1_11target_archE1200ELNS1_3gpuE4ELNS1_3repE0EEENS1_30default_config_static_selectorELNS0_4arch9wavefront6targetE1EEEvSN_,"axG",@progbits,_ZN7rocprim17ROCPRIM_400000_NS6detail17trampoline_kernelINS0_14default_configENS1_27upper_bound_config_selectorIiiEEZNS1_14transform_implILb0ES3_S5_N6thrust23THRUST_200600_302600_NS6detail15normal_iteratorINS8_10device_ptrIiEEEESD_ZNS1_13binary_searchIS3_S5_SD_SD_SD_NS1_21upper_bound_search_opENS9_16wrapped_functionINS0_4lessIvEEbEEEE10hipError_tPvRmT1_T2_T3_mmT4_T5_P12ihipStream_tbEUlRKiE_EESK_SO_SP_mSQ_ST_bEUlT_E_NS1_11comp_targetILNS1_3genE10ELNS1_11target_archE1200ELNS1_3gpuE4ELNS1_3repE0EEENS1_30default_config_static_selectorELNS0_4arch9wavefront6targetE1EEEvSN_,comdat
	.protected	_ZN7rocprim17ROCPRIM_400000_NS6detail17trampoline_kernelINS0_14default_configENS1_27upper_bound_config_selectorIiiEEZNS1_14transform_implILb0ES3_S5_N6thrust23THRUST_200600_302600_NS6detail15normal_iteratorINS8_10device_ptrIiEEEESD_ZNS1_13binary_searchIS3_S5_SD_SD_SD_NS1_21upper_bound_search_opENS9_16wrapped_functionINS0_4lessIvEEbEEEE10hipError_tPvRmT1_T2_T3_mmT4_T5_P12ihipStream_tbEUlRKiE_EESK_SO_SP_mSQ_ST_bEUlT_E_NS1_11comp_targetILNS1_3genE10ELNS1_11target_archE1200ELNS1_3gpuE4ELNS1_3repE0EEENS1_30default_config_static_selectorELNS0_4arch9wavefront6targetE1EEEvSN_ ; -- Begin function _ZN7rocprim17ROCPRIM_400000_NS6detail17trampoline_kernelINS0_14default_configENS1_27upper_bound_config_selectorIiiEEZNS1_14transform_implILb0ES3_S5_N6thrust23THRUST_200600_302600_NS6detail15normal_iteratorINS8_10device_ptrIiEEEESD_ZNS1_13binary_searchIS3_S5_SD_SD_SD_NS1_21upper_bound_search_opENS9_16wrapped_functionINS0_4lessIvEEbEEEE10hipError_tPvRmT1_T2_T3_mmT4_T5_P12ihipStream_tbEUlRKiE_EESK_SO_SP_mSQ_ST_bEUlT_E_NS1_11comp_targetILNS1_3genE10ELNS1_11target_archE1200ELNS1_3gpuE4ELNS1_3repE0EEENS1_30default_config_static_selectorELNS0_4arch9wavefront6targetE1EEEvSN_
	.globl	_ZN7rocprim17ROCPRIM_400000_NS6detail17trampoline_kernelINS0_14default_configENS1_27upper_bound_config_selectorIiiEEZNS1_14transform_implILb0ES3_S5_N6thrust23THRUST_200600_302600_NS6detail15normal_iteratorINS8_10device_ptrIiEEEESD_ZNS1_13binary_searchIS3_S5_SD_SD_SD_NS1_21upper_bound_search_opENS9_16wrapped_functionINS0_4lessIvEEbEEEE10hipError_tPvRmT1_T2_T3_mmT4_T5_P12ihipStream_tbEUlRKiE_EESK_SO_SP_mSQ_ST_bEUlT_E_NS1_11comp_targetILNS1_3genE10ELNS1_11target_archE1200ELNS1_3gpuE4ELNS1_3repE0EEENS1_30default_config_static_selectorELNS0_4arch9wavefront6targetE1EEEvSN_
	.p2align	8
	.type	_ZN7rocprim17ROCPRIM_400000_NS6detail17trampoline_kernelINS0_14default_configENS1_27upper_bound_config_selectorIiiEEZNS1_14transform_implILb0ES3_S5_N6thrust23THRUST_200600_302600_NS6detail15normal_iteratorINS8_10device_ptrIiEEEESD_ZNS1_13binary_searchIS3_S5_SD_SD_SD_NS1_21upper_bound_search_opENS9_16wrapped_functionINS0_4lessIvEEbEEEE10hipError_tPvRmT1_T2_T3_mmT4_T5_P12ihipStream_tbEUlRKiE_EESK_SO_SP_mSQ_ST_bEUlT_E_NS1_11comp_targetILNS1_3genE10ELNS1_11target_archE1200ELNS1_3gpuE4ELNS1_3repE0EEENS1_30default_config_static_selectorELNS0_4arch9wavefront6targetE1EEEvSN_,@function
_ZN7rocprim17ROCPRIM_400000_NS6detail17trampoline_kernelINS0_14default_configENS1_27upper_bound_config_selectorIiiEEZNS1_14transform_implILb0ES3_S5_N6thrust23THRUST_200600_302600_NS6detail15normal_iteratorINS8_10device_ptrIiEEEESD_ZNS1_13binary_searchIS3_S5_SD_SD_SD_NS1_21upper_bound_search_opENS9_16wrapped_functionINS0_4lessIvEEbEEEE10hipError_tPvRmT1_T2_T3_mmT4_T5_P12ihipStream_tbEUlRKiE_EESK_SO_SP_mSQ_ST_bEUlT_E_NS1_11comp_targetILNS1_3genE10ELNS1_11target_archE1200ELNS1_3gpuE4ELNS1_3repE0EEENS1_30default_config_static_selectorELNS0_4arch9wavefront6targetE1EEEvSN_: ; @_ZN7rocprim17ROCPRIM_400000_NS6detail17trampoline_kernelINS0_14default_configENS1_27upper_bound_config_selectorIiiEEZNS1_14transform_implILb0ES3_S5_N6thrust23THRUST_200600_302600_NS6detail15normal_iteratorINS8_10device_ptrIiEEEESD_ZNS1_13binary_searchIS3_S5_SD_SD_SD_NS1_21upper_bound_search_opENS9_16wrapped_functionINS0_4lessIvEEbEEEE10hipError_tPvRmT1_T2_T3_mmT4_T5_P12ihipStream_tbEUlRKiE_EESK_SO_SP_mSQ_ST_bEUlT_E_NS1_11comp_targetILNS1_3genE10ELNS1_11target_archE1200ELNS1_3gpuE4ELNS1_3repE0EEENS1_30default_config_static_selectorELNS0_4arch9wavefront6targetE1EEEvSN_
; %bb.0:
	.section	.rodata,"a",@progbits
	.p2align	6, 0x0
	.amdhsa_kernel _ZN7rocprim17ROCPRIM_400000_NS6detail17trampoline_kernelINS0_14default_configENS1_27upper_bound_config_selectorIiiEEZNS1_14transform_implILb0ES3_S5_N6thrust23THRUST_200600_302600_NS6detail15normal_iteratorINS8_10device_ptrIiEEEESD_ZNS1_13binary_searchIS3_S5_SD_SD_SD_NS1_21upper_bound_search_opENS9_16wrapped_functionINS0_4lessIvEEbEEEE10hipError_tPvRmT1_T2_T3_mmT4_T5_P12ihipStream_tbEUlRKiE_EESK_SO_SP_mSQ_ST_bEUlT_E_NS1_11comp_targetILNS1_3genE10ELNS1_11target_archE1200ELNS1_3gpuE4ELNS1_3repE0EEENS1_30default_config_static_selectorELNS0_4arch9wavefront6targetE1EEEvSN_
		.amdhsa_group_segment_fixed_size 0
		.amdhsa_private_segment_fixed_size 0
		.amdhsa_kernarg_size 56
		.amdhsa_user_sgpr_count 6
		.amdhsa_user_sgpr_private_segment_buffer 1
		.amdhsa_user_sgpr_dispatch_ptr 0
		.amdhsa_user_sgpr_queue_ptr 0
		.amdhsa_user_sgpr_kernarg_segment_ptr 1
		.amdhsa_user_sgpr_dispatch_id 0
		.amdhsa_user_sgpr_flat_scratch_init 0
		.amdhsa_user_sgpr_private_segment_size 0
		.amdhsa_uses_dynamic_stack 0
		.amdhsa_system_sgpr_private_segment_wavefront_offset 0
		.amdhsa_system_sgpr_workgroup_id_x 1
		.amdhsa_system_sgpr_workgroup_id_y 0
		.amdhsa_system_sgpr_workgroup_id_z 0
		.amdhsa_system_sgpr_workgroup_info 0
		.amdhsa_system_vgpr_workitem_id 0
		.amdhsa_next_free_vgpr 1
		.amdhsa_next_free_sgpr 0
		.amdhsa_reserve_vcc 0
		.amdhsa_reserve_flat_scratch 0
		.amdhsa_float_round_mode_32 0
		.amdhsa_float_round_mode_16_64 0
		.amdhsa_float_denorm_mode_32 3
		.amdhsa_float_denorm_mode_16_64 3
		.amdhsa_dx10_clamp 1
		.amdhsa_ieee_mode 1
		.amdhsa_fp16_overflow 0
		.amdhsa_exception_fp_ieee_invalid_op 0
		.amdhsa_exception_fp_denorm_src 0
		.amdhsa_exception_fp_ieee_div_zero 0
		.amdhsa_exception_fp_ieee_overflow 0
		.amdhsa_exception_fp_ieee_underflow 0
		.amdhsa_exception_fp_ieee_inexact 0
		.amdhsa_exception_int_div_zero 0
	.end_amdhsa_kernel
	.section	.text._ZN7rocprim17ROCPRIM_400000_NS6detail17trampoline_kernelINS0_14default_configENS1_27upper_bound_config_selectorIiiEEZNS1_14transform_implILb0ES3_S5_N6thrust23THRUST_200600_302600_NS6detail15normal_iteratorINS8_10device_ptrIiEEEESD_ZNS1_13binary_searchIS3_S5_SD_SD_SD_NS1_21upper_bound_search_opENS9_16wrapped_functionINS0_4lessIvEEbEEEE10hipError_tPvRmT1_T2_T3_mmT4_T5_P12ihipStream_tbEUlRKiE_EESK_SO_SP_mSQ_ST_bEUlT_E_NS1_11comp_targetILNS1_3genE10ELNS1_11target_archE1200ELNS1_3gpuE4ELNS1_3repE0EEENS1_30default_config_static_selectorELNS0_4arch9wavefront6targetE1EEEvSN_,"axG",@progbits,_ZN7rocprim17ROCPRIM_400000_NS6detail17trampoline_kernelINS0_14default_configENS1_27upper_bound_config_selectorIiiEEZNS1_14transform_implILb0ES3_S5_N6thrust23THRUST_200600_302600_NS6detail15normal_iteratorINS8_10device_ptrIiEEEESD_ZNS1_13binary_searchIS3_S5_SD_SD_SD_NS1_21upper_bound_search_opENS9_16wrapped_functionINS0_4lessIvEEbEEEE10hipError_tPvRmT1_T2_T3_mmT4_T5_P12ihipStream_tbEUlRKiE_EESK_SO_SP_mSQ_ST_bEUlT_E_NS1_11comp_targetILNS1_3genE10ELNS1_11target_archE1200ELNS1_3gpuE4ELNS1_3repE0EEENS1_30default_config_static_selectorELNS0_4arch9wavefront6targetE1EEEvSN_,comdat
.Lfunc_end614:
	.size	_ZN7rocprim17ROCPRIM_400000_NS6detail17trampoline_kernelINS0_14default_configENS1_27upper_bound_config_selectorIiiEEZNS1_14transform_implILb0ES3_S5_N6thrust23THRUST_200600_302600_NS6detail15normal_iteratorINS8_10device_ptrIiEEEESD_ZNS1_13binary_searchIS3_S5_SD_SD_SD_NS1_21upper_bound_search_opENS9_16wrapped_functionINS0_4lessIvEEbEEEE10hipError_tPvRmT1_T2_T3_mmT4_T5_P12ihipStream_tbEUlRKiE_EESK_SO_SP_mSQ_ST_bEUlT_E_NS1_11comp_targetILNS1_3genE10ELNS1_11target_archE1200ELNS1_3gpuE4ELNS1_3repE0EEENS1_30default_config_static_selectorELNS0_4arch9wavefront6targetE1EEEvSN_, .Lfunc_end614-_ZN7rocprim17ROCPRIM_400000_NS6detail17trampoline_kernelINS0_14default_configENS1_27upper_bound_config_selectorIiiEEZNS1_14transform_implILb0ES3_S5_N6thrust23THRUST_200600_302600_NS6detail15normal_iteratorINS8_10device_ptrIiEEEESD_ZNS1_13binary_searchIS3_S5_SD_SD_SD_NS1_21upper_bound_search_opENS9_16wrapped_functionINS0_4lessIvEEbEEEE10hipError_tPvRmT1_T2_T3_mmT4_T5_P12ihipStream_tbEUlRKiE_EESK_SO_SP_mSQ_ST_bEUlT_E_NS1_11comp_targetILNS1_3genE10ELNS1_11target_archE1200ELNS1_3gpuE4ELNS1_3repE0EEENS1_30default_config_static_selectorELNS0_4arch9wavefront6targetE1EEEvSN_
                                        ; -- End function
	.set _ZN7rocprim17ROCPRIM_400000_NS6detail17trampoline_kernelINS0_14default_configENS1_27upper_bound_config_selectorIiiEEZNS1_14transform_implILb0ES3_S5_N6thrust23THRUST_200600_302600_NS6detail15normal_iteratorINS8_10device_ptrIiEEEESD_ZNS1_13binary_searchIS3_S5_SD_SD_SD_NS1_21upper_bound_search_opENS9_16wrapped_functionINS0_4lessIvEEbEEEE10hipError_tPvRmT1_T2_T3_mmT4_T5_P12ihipStream_tbEUlRKiE_EESK_SO_SP_mSQ_ST_bEUlT_E_NS1_11comp_targetILNS1_3genE10ELNS1_11target_archE1200ELNS1_3gpuE4ELNS1_3repE0EEENS1_30default_config_static_selectorELNS0_4arch9wavefront6targetE1EEEvSN_.num_vgpr, 0
	.set _ZN7rocprim17ROCPRIM_400000_NS6detail17trampoline_kernelINS0_14default_configENS1_27upper_bound_config_selectorIiiEEZNS1_14transform_implILb0ES3_S5_N6thrust23THRUST_200600_302600_NS6detail15normal_iteratorINS8_10device_ptrIiEEEESD_ZNS1_13binary_searchIS3_S5_SD_SD_SD_NS1_21upper_bound_search_opENS9_16wrapped_functionINS0_4lessIvEEbEEEE10hipError_tPvRmT1_T2_T3_mmT4_T5_P12ihipStream_tbEUlRKiE_EESK_SO_SP_mSQ_ST_bEUlT_E_NS1_11comp_targetILNS1_3genE10ELNS1_11target_archE1200ELNS1_3gpuE4ELNS1_3repE0EEENS1_30default_config_static_selectorELNS0_4arch9wavefront6targetE1EEEvSN_.num_agpr, 0
	.set _ZN7rocprim17ROCPRIM_400000_NS6detail17trampoline_kernelINS0_14default_configENS1_27upper_bound_config_selectorIiiEEZNS1_14transform_implILb0ES3_S5_N6thrust23THRUST_200600_302600_NS6detail15normal_iteratorINS8_10device_ptrIiEEEESD_ZNS1_13binary_searchIS3_S5_SD_SD_SD_NS1_21upper_bound_search_opENS9_16wrapped_functionINS0_4lessIvEEbEEEE10hipError_tPvRmT1_T2_T3_mmT4_T5_P12ihipStream_tbEUlRKiE_EESK_SO_SP_mSQ_ST_bEUlT_E_NS1_11comp_targetILNS1_3genE10ELNS1_11target_archE1200ELNS1_3gpuE4ELNS1_3repE0EEENS1_30default_config_static_selectorELNS0_4arch9wavefront6targetE1EEEvSN_.numbered_sgpr, 0
	.set _ZN7rocprim17ROCPRIM_400000_NS6detail17trampoline_kernelINS0_14default_configENS1_27upper_bound_config_selectorIiiEEZNS1_14transform_implILb0ES3_S5_N6thrust23THRUST_200600_302600_NS6detail15normal_iteratorINS8_10device_ptrIiEEEESD_ZNS1_13binary_searchIS3_S5_SD_SD_SD_NS1_21upper_bound_search_opENS9_16wrapped_functionINS0_4lessIvEEbEEEE10hipError_tPvRmT1_T2_T3_mmT4_T5_P12ihipStream_tbEUlRKiE_EESK_SO_SP_mSQ_ST_bEUlT_E_NS1_11comp_targetILNS1_3genE10ELNS1_11target_archE1200ELNS1_3gpuE4ELNS1_3repE0EEENS1_30default_config_static_selectorELNS0_4arch9wavefront6targetE1EEEvSN_.num_named_barrier, 0
	.set _ZN7rocprim17ROCPRIM_400000_NS6detail17trampoline_kernelINS0_14default_configENS1_27upper_bound_config_selectorIiiEEZNS1_14transform_implILb0ES3_S5_N6thrust23THRUST_200600_302600_NS6detail15normal_iteratorINS8_10device_ptrIiEEEESD_ZNS1_13binary_searchIS3_S5_SD_SD_SD_NS1_21upper_bound_search_opENS9_16wrapped_functionINS0_4lessIvEEbEEEE10hipError_tPvRmT1_T2_T3_mmT4_T5_P12ihipStream_tbEUlRKiE_EESK_SO_SP_mSQ_ST_bEUlT_E_NS1_11comp_targetILNS1_3genE10ELNS1_11target_archE1200ELNS1_3gpuE4ELNS1_3repE0EEENS1_30default_config_static_selectorELNS0_4arch9wavefront6targetE1EEEvSN_.private_seg_size, 0
	.set _ZN7rocprim17ROCPRIM_400000_NS6detail17trampoline_kernelINS0_14default_configENS1_27upper_bound_config_selectorIiiEEZNS1_14transform_implILb0ES3_S5_N6thrust23THRUST_200600_302600_NS6detail15normal_iteratorINS8_10device_ptrIiEEEESD_ZNS1_13binary_searchIS3_S5_SD_SD_SD_NS1_21upper_bound_search_opENS9_16wrapped_functionINS0_4lessIvEEbEEEE10hipError_tPvRmT1_T2_T3_mmT4_T5_P12ihipStream_tbEUlRKiE_EESK_SO_SP_mSQ_ST_bEUlT_E_NS1_11comp_targetILNS1_3genE10ELNS1_11target_archE1200ELNS1_3gpuE4ELNS1_3repE0EEENS1_30default_config_static_selectorELNS0_4arch9wavefront6targetE1EEEvSN_.uses_vcc, 0
	.set _ZN7rocprim17ROCPRIM_400000_NS6detail17trampoline_kernelINS0_14default_configENS1_27upper_bound_config_selectorIiiEEZNS1_14transform_implILb0ES3_S5_N6thrust23THRUST_200600_302600_NS6detail15normal_iteratorINS8_10device_ptrIiEEEESD_ZNS1_13binary_searchIS3_S5_SD_SD_SD_NS1_21upper_bound_search_opENS9_16wrapped_functionINS0_4lessIvEEbEEEE10hipError_tPvRmT1_T2_T3_mmT4_T5_P12ihipStream_tbEUlRKiE_EESK_SO_SP_mSQ_ST_bEUlT_E_NS1_11comp_targetILNS1_3genE10ELNS1_11target_archE1200ELNS1_3gpuE4ELNS1_3repE0EEENS1_30default_config_static_selectorELNS0_4arch9wavefront6targetE1EEEvSN_.uses_flat_scratch, 0
	.set _ZN7rocprim17ROCPRIM_400000_NS6detail17trampoline_kernelINS0_14default_configENS1_27upper_bound_config_selectorIiiEEZNS1_14transform_implILb0ES3_S5_N6thrust23THRUST_200600_302600_NS6detail15normal_iteratorINS8_10device_ptrIiEEEESD_ZNS1_13binary_searchIS3_S5_SD_SD_SD_NS1_21upper_bound_search_opENS9_16wrapped_functionINS0_4lessIvEEbEEEE10hipError_tPvRmT1_T2_T3_mmT4_T5_P12ihipStream_tbEUlRKiE_EESK_SO_SP_mSQ_ST_bEUlT_E_NS1_11comp_targetILNS1_3genE10ELNS1_11target_archE1200ELNS1_3gpuE4ELNS1_3repE0EEENS1_30default_config_static_selectorELNS0_4arch9wavefront6targetE1EEEvSN_.has_dyn_sized_stack, 0
	.set _ZN7rocprim17ROCPRIM_400000_NS6detail17trampoline_kernelINS0_14default_configENS1_27upper_bound_config_selectorIiiEEZNS1_14transform_implILb0ES3_S5_N6thrust23THRUST_200600_302600_NS6detail15normal_iteratorINS8_10device_ptrIiEEEESD_ZNS1_13binary_searchIS3_S5_SD_SD_SD_NS1_21upper_bound_search_opENS9_16wrapped_functionINS0_4lessIvEEbEEEE10hipError_tPvRmT1_T2_T3_mmT4_T5_P12ihipStream_tbEUlRKiE_EESK_SO_SP_mSQ_ST_bEUlT_E_NS1_11comp_targetILNS1_3genE10ELNS1_11target_archE1200ELNS1_3gpuE4ELNS1_3repE0EEENS1_30default_config_static_selectorELNS0_4arch9wavefront6targetE1EEEvSN_.has_recursion, 0
	.set _ZN7rocprim17ROCPRIM_400000_NS6detail17trampoline_kernelINS0_14default_configENS1_27upper_bound_config_selectorIiiEEZNS1_14transform_implILb0ES3_S5_N6thrust23THRUST_200600_302600_NS6detail15normal_iteratorINS8_10device_ptrIiEEEESD_ZNS1_13binary_searchIS3_S5_SD_SD_SD_NS1_21upper_bound_search_opENS9_16wrapped_functionINS0_4lessIvEEbEEEE10hipError_tPvRmT1_T2_T3_mmT4_T5_P12ihipStream_tbEUlRKiE_EESK_SO_SP_mSQ_ST_bEUlT_E_NS1_11comp_targetILNS1_3genE10ELNS1_11target_archE1200ELNS1_3gpuE4ELNS1_3repE0EEENS1_30default_config_static_selectorELNS0_4arch9wavefront6targetE1EEEvSN_.has_indirect_call, 0
	.section	.AMDGPU.csdata,"",@progbits
; Kernel info:
; codeLenInByte = 0
; TotalNumSgprs: 4
; NumVgprs: 0
; ScratchSize: 0
; MemoryBound: 0
; FloatMode: 240
; IeeeMode: 1
; LDSByteSize: 0 bytes/workgroup (compile time only)
; SGPRBlocks: 0
; VGPRBlocks: 0
; NumSGPRsForWavesPerEU: 4
; NumVGPRsForWavesPerEU: 1
; Occupancy: 10
; WaveLimiterHint : 0
; COMPUTE_PGM_RSRC2:SCRATCH_EN: 0
; COMPUTE_PGM_RSRC2:USER_SGPR: 6
; COMPUTE_PGM_RSRC2:TRAP_HANDLER: 0
; COMPUTE_PGM_RSRC2:TGID_X_EN: 1
; COMPUTE_PGM_RSRC2:TGID_Y_EN: 0
; COMPUTE_PGM_RSRC2:TGID_Z_EN: 0
; COMPUTE_PGM_RSRC2:TIDIG_COMP_CNT: 0
	.section	.text._ZN7rocprim17ROCPRIM_400000_NS6detail17trampoline_kernelINS0_14default_configENS1_27upper_bound_config_selectorIiiEEZNS1_14transform_implILb0ES3_S5_N6thrust23THRUST_200600_302600_NS6detail15normal_iteratorINS8_10device_ptrIiEEEESD_ZNS1_13binary_searchIS3_S5_SD_SD_SD_NS1_21upper_bound_search_opENS9_16wrapped_functionINS0_4lessIvEEbEEEE10hipError_tPvRmT1_T2_T3_mmT4_T5_P12ihipStream_tbEUlRKiE_EESK_SO_SP_mSQ_ST_bEUlT_E_NS1_11comp_targetILNS1_3genE9ELNS1_11target_archE1100ELNS1_3gpuE3ELNS1_3repE0EEENS1_30default_config_static_selectorELNS0_4arch9wavefront6targetE1EEEvSN_,"axG",@progbits,_ZN7rocprim17ROCPRIM_400000_NS6detail17trampoline_kernelINS0_14default_configENS1_27upper_bound_config_selectorIiiEEZNS1_14transform_implILb0ES3_S5_N6thrust23THRUST_200600_302600_NS6detail15normal_iteratorINS8_10device_ptrIiEEEESD_ZNS1_13binary_searchIS3_S5_SD_SD_SD_NS1_21upper_bound_search_opENS9_16wrapped_functionINS0_4lessIvEEbEEEE10hipError_tPvRmT1_T2_T3_mmT4_T5_P12ihipStream_tbEUlRKiE_EESK_SO_SP_mSQ_ST_bEUlT_E_NS1_11comp_targetILNS1_3genE9ELNS1_11target_archE1100ELNS1_3gpuE3ELNS1_3repE0EEENS1_30default_config_static_selectorELNS0_4arch9wavefront6targetE1EEEvSN_,comdat
	.protected	_ZN7rocprim17ROCPRIM_400000_NS6detail17trampoline_kernelINS0_14default_configENS1_27upper_bound_config_selectorIiiEEZNS1_14transform_implILb0ES3_S5_N6thrust23THRUST_200600_302600_NS6detail15normal_iteratorINS8_10device_ptrIiEEEESD_ZNS1_13binary_searchIS3_S5_SD_SD_SD_NS1_21upper_bound_search_opENS9_16wrapped_functionINS0_4lessIvEEbEEEE10hipError_tPvRmT1_T2_T3_mmT4_T5_P12ihipStream_tbEUlRKiE_EESK_SO_SP_mSQ_ST_bEUlT_E_NS1_11comp_targetILNS1_3genE9ELNS1_11target_archE1100ELNS1_3gpuE3ELNS1_3repE0EEENS1_30default_config_static_selectorELNS0_4arch9wavefront6targetE1EEEvSN_ ; -- Begin function _ZN7rocprim17ROCPRIM_400000_NS6detail17trampoline_kernelINS0_14default_configENS1_27upper_bound_config_selectorIiiEEZNS1_14transform_implILb0ES3_S5_N6thrust23THRUST_200600_302600_NS6detail15normal_iteratorINS8_10device_ptrIiEEEESD_ZNS1_13binary_searchIS3_S5_SD_SD_SD_NS1_21upper_bound_search_opENS9_16wrapped_functionINS0_4lessIvEEbEEEE10hipError_tPvRmT1_T2_T3_mmT4_T5_P12ihipStream_tbEUlRKiE_EESK_SO_SP_mSQ_ST_bEUlT_E_NS1_11comp_targetILNS1_3genE9ELNS1_11target_archE1100ELNS1_3gpuE3ELNS1_3repE0EEENS1_30default_config_static_selectorELNS0_4arch9wavefront6targetE1EEEvSN_
	.globl	_ZN7rocprim17ROCPRIM_400000_NS6detail17trampoline_kernelINS0_14default_configENS1_27upper_bound_config_selectorIiiEEZNS1_14transform_implILb0ES3_S5_N6thrust23THRUST_200600_302600_NS6detail15normal_iteratorINS8_10device_ptrIiEEEESD_ZNS1_13binary_searchIS3_S5_SD_SD_SD_NS1_21upper_bound_search_opENS9_16wrapped_functionINS0_4lessIvEEbEEEE10hipError_tPvRmT1_T2_T3_mmT4_T5_P12ihipStream_tbEUlRKiE_EESK_SO_SP_mSQ_ST_bEUlT_E_NS1_11comp_targetILNS1_3genE9ELNS1_11target_archE1100ELNS1_3gpuE3ELNS1_3repE0EEENS1_30default_config_static_selectorELNS0_4arch9wavefront6targetE1EEEvSN_
	.p2align	8
	.type	_ZN7rocprim17ROCPRIM_400000_NS6detail17trampoline_kernelINS0_14default_configENS1_27upper_bound_config_selectorIiiEEZNS1_14transform_implILb0ES3_S5_N6thrust23THRUST_200600_302600_NS6detail15normal_iteratorINS8_10device_ptrIiEEEESD_ZNS1_13binary_searchIS3_S5_SD_SD_SD_NS1_21upper_bound_search_opENS9_16wrapped_functionINS0_4lessIvEEbEEEE10hipError_tPvRmT1_T2_T3_mmT4_T5_P12ihipStream_tbEUlRKiE_EESK_SO_SP_mSQ_ST_bEUlT_E_NS1_11comp_targetILNS1_3genE9ELNS1_11target_archE1100ELNS1_3gpuE3ELNS1_3repE0EEENS1_30default_config_static_selectorELNS0_4arch9wavefront6targetE1EEEvSN_,@function
_ZN7rocprim17ROCPRIM_400000_NS6detail17trampoline_kernelINS0_14default_configENS1_27upper_bound_config_selectorIiiEEZNS1_14transform_implILb0ES3_S5_N6thrust23THRUST_200600_302600_NS6detail15normal_iteratorINS8_10device_ptrIiEEEESD_ZNS1_13binary_searchIS3_S5_SD_SD_SD_NS1_21upper_bound_search_opENS9_16wrapped_functionINS0_4lessIvEEbEEEE10hipError_tPvRmT1_T2_T3_mmT4_T5_P12ihipStream_tbEUlRKiE_EESK_SO_SP_mSQ_ST_bEUlT_E_NS1_11comp_targetILNS1_3genE9ELNS1_11target_archE1100ELNS1_3gpuE3ELNS1_3repE0EEENS1_30default_config_static_selectorELNS0_4arch9wavefront6targetE1EEEvSN_: ; @_ZN7rocprim17ROCPRIM_400000_NS6detail17trampoline_kernelINS0_14default_configENS1_27upper_bound_config_selectorIiiEEZNS1_14transform_implILb0ES3_S5_N6thrust23THRUST_200600_302600_NS6detail15normal_iteratorINS8_10device_ptrIiEEEESD_ZNS1_13binary_searchIS3_S5_SD_SD_SD_NS1_21upper_bound_search_opENS9_16wrapped_functionINS0_4lessIvEEbEEEE10hipError_tPvRmT1_T2_T3_mmT4_T5_P12ihipStream_tbEUlRKiE_EESK_SO_SP_mSQ_ST_bEUlT_E_NS1_11comp_targetILNS1_3genE9ELNS1_11target_archE1100ELNS1_3gpuE3ELNS1_3repE0EEENS1_30default_config_static_selectorELNS0_4arch9wavefront6targetE1EEEvSN_
; %bb.0:
	.section	.rodata,"a",@progbits
	.p2align	6, 0x0
	.amdhsa_kernel _ZN7rocprim17ROCPRIM_400000_NS6detail17trampoline_kernelINS0_14default_configENS1_27upper_bound_config_selectorIiiEEZNS1_14transform_implILb0ES3_S5_N6thrust23THRUST_200600_302600_NS6detail15normal_iteratorINS8_10device_ptrIiEEEESD_ZNS1_13binary_searchIS3_S5_SD_SD_SD_NS1_21upper_bound_search_opENS9_16wrapped_functionINS0_4lessIvEEbEEEE10hipError_tPvRmT1_T2_T3_mmT4_T5_P12ihipStream_tbEUlRKiE_EESK_SO_SP_mSQ_ST_bEUlT_E_NS1_11comp_targetILNS1_3genE9ELNS1_11target_archE1100ELNS1_3gpuE3ELNS1_3repE0EEENS1_30default_config_static_selectorELNS0_4arch9wavefront6targetE1EEEvSN_
		.amdhsa_group_segment_fixed_size 0
		.amdhsa_private_segment_fixed_size 0
		.amdhsa_kernarg_size 56
		.amdhsa_user_sgpr_count 6
		.amdhsa_user_sgpr_private_segment_buffer 1
		.amdhsa_user_sgpr_dispatch_ptr 0
		.amdhsa_user_sgpr_queue_ptr 0
		.amdhsa_user_sgpr_kernarg_segment_ptr 1
		.amdhsa_user_sgpr_dispatch_id 0
		.amdhsa_user_sgpr_flat_scratch_init 0
		.amdhsa_user_sgpr_private_segment_size 0
		.amdhsa_uses_dynamic_stack 0
		.amdhsa_system_sgpr_private_segment_wavefront_offset 0
		.amdhsa_system_sgpr_workgroup_id_x 1
		.amdhsa_system_sgpr_workgroup_id_y 0
		.amdhsa_system_sgpr_workgroup_id_z 0
		.amdhsa_system_sgpr_workgroup_info 0
		.amdhsa_system_vgpr_workitem_id 0
		.amdhsa_next_free_vgpr 1
		.amdhsa_next_free_sgpr 0
		.amdhsa_reserve_vcc 0
		.amdhsa_reserve_flat_scratch 0
		.amdhsa_float_round_mode_32 0
		.amdhsa_float_round_mode_16_64 0
		.amdhsa_float_denorm_mode_32 3
		.amdhsa_float_denorm_mode_16_64 3
		.amdhsa_dx10_clamp 1
		.amdhsa_ieee_mode 1
		.amdhsa_fp16_overflow 0
		.amdhsa_exception_fp_ieee_invalid_op 0
		.amdhsa_exception_fp_denorm_src 0
		.amdhsa_exception_fp_ieee_div_zero 0
		.amdhsa_exception_fp_ieee_overflow 0
		.amdhsa_exception_fp_ieee_underflow 0
		.amdhsa_exception_fp_ieee_inexact 0
		.amdhsa_exception_int_div_zero 0
	.end_amdhsa_kernel
	.section	.text._ZN7rocprim17ROCPRIM_400000_NS6detail17trampoline_kernelINS0_14default_configENS1_27upper_bound_config_selectorIiiEEZNS1_14transform_implILb0ES3_S5_N6thrust23THRUST_200600_302600_NS6detail15normal_iteratorINS8_10device_ptrIiEEEESD_ZNS1_13binary_searchIS3_S5_SD_SD_SD_NS1_21upper_bound_search_opENS9_16wrapped_functionINS0_4lessIvEEbEEEE10hipError_tPvRmT1_T2_T3_mmT4_T5_P12ihipStream_tbEUlRKiE_EESK_SO_SP_mSQ_ST_bEUlT_E_NS1_11comp_targetILNS1_3genE9ELNS1_11target_archE1100ELNS1_3gpuE3ELNS1_3repE0EEENS1_30default_config_static_selectorELNS0_4arch9wavefront6targetE1EEEvSN_,"axG",@progbits,_ZN7rocprim17ROCPRIM_400000_NS6detail17trampoline_kernelINS0_14default_configENS1_27upper_bound_config_selectorIiiEEZNS1_14transform_implILb0ES3_S5_N6thrust23THRUST_200600_302600_NS6detail15normal_iteratorINS8_10device_ptrIiEEEESD_ZNS1_13binary_searchIS3_S5_SD_SD_SD_NS1_21upper_bound_search_opENS9_16wrapped_functionINS0_4lessIvEEbEEEE10hipError_tPvRmT1_T2_T3_mmT4_T5_P12ihipStream_tbEUlRKiE_EESK_SO_SP_mSQ_ST_bEUlT_E_NS1_11comp_targetILNS1_3genE9ELNS1_11target_archE1100ELNS1_3gpuE3ELNS1_3repE0EEENS1_30default_config_static_selectorELNS0_4arch9wavefront6targetE1EEEvSN_,comdat
.Lfunc_end615:
	.size	_ZN7rocprim17ROCPRIM_400000_NS6detail17trampoline_kernelINS0_14default_configENS1_27upper_bound_config_selectorIiiEEZNS1_14transform_implILb0ES3_S5_N6thrust23THRUST_200600_302600_NS6detail15normal_iteratorINS8_10device_ptrIiEEEESD_ZNS1_13binary_searchIS3_S5_SD_SD_SD_NS1_21upper_bound_search_opENS9_16wrapped_functionINS0_4lessIvEEbEEEE10hipError_tPvRmT1_T2_T3_mmT4_T5_P12ihipStream_tbEUlRKiE_EESK_SO_SP_mSQ_ST_bEUlT_E_NS1_11comp_targetILNS1_3genE9ELNS1_11target_archE1100ELNS1_3gpuE3ELNS1_3repE0EEENS1_30default_config_static_selectorELNS0_4arch9wavefront6targetE1EEEvSN_, .Lfunc_end615-_ZN7rocprim17ROCPRIM_400000_NS6detail17trampoline_kernelINS0_14default_configENS1_27upper_bound_config_selectorIiiEEZNS1_14transform_implILb0ES3_S5_N6thrust23THRUST_200600_302600_NS6detail15normal_iteratorINS8_10device_ptrIiEEEESD_ZNS1_13binary_searchIS3_S5_SD_SD_SD_NS1_21upper_bound_search_opENS9_16wrapped_functionINS0_4lessIvEEbEEEE10hipError_tPvRmT1_T2_T3_mmT4_T5_P12ihipStream_tbEUlRKiE_EESK_SO_SP_mSQ_ST_bEUlT_E_NS1_11comp_targetILNS1_3genE9ELNS1_11target_archE1100ELNS1_3gpuE3ELNS1_3repE0EEENS1_30default_config_static_selectorELNS0_4arch9wavefront6targetE1EEEvSN_
                                        ; -- End function
	.set _ZN7rocprim17ROCPRIM_400000_NS6detail17trampoline_kernelINS0_14default_configENS1_27upper_bound_config_selectorIiiEEZNS1_14transform_implILb0ES3_S5_N6thrust23THRUST_200600_302600_NS6detail15normal_iteratorINS8_10device_ptrIiEEEESD_ZNS1_13binary_searchIS3_S5_SD_SD_SD_NS1_21upper_bound_search_opENS9_16wrapped_functionINS0_4lessIvEEbEEEE10hipError_tPvRmT1_T2_T3_mmT4_T5_P12ihipStream_tbEUlRKiE_EESK_SO_SP_mSQ_ST_bEUlT_E_NS1_11comp_targetILNS1_3genE9ELNS1_11target_archE1100ELNS1_3gpuE3ELNS1_3repE0EEENS1_30default_config_static_selectorELNS0_4arch9wavefront6targetE1EEEvSN_.num_vgpr, 0
	.set _ZN7rocprim17ROCPRIM_400000_NS6detail17trampoline_kernelINS0_14default_configENS1_27upper_bound_config_selectorIiiEEZNS1_14transform_implILb0ES3_S5_N6thrust23THRUST_200600_302600_NS6detail15normal_iteratorINS8_10device_ptrIiEEEESD_ZNS1_13binary_searchIS3_S5_SD_SD_SD_NS1_21upper_bound_search_opENS9_16wrapped_functionINS0_4lessIvEEbEEEE10hipError_tPvRmT1_T2_T3_mmT4_T5_P12ihipStream_tbEUlRKiE_EESK_SO_SP_mSQ_ST_bEUlT_E_NS1_11comp_targetILNS1_3genE9ELNS1_11target_archE1100ELNS1_3gpuE3ELNS1_3repE0EEENS1_30default_config_static_selectorELNS0_4arch9wavefront6targetE1EEEvSN_.num_agpr, 0
	.set _ZN7rocprim17ROCPRIM_400000_NS6detail17trampoline_kernelINS0_14default_configENS1_27upper_bound_config_selectorIiiEEZNS1_14transform_implILb0ES3_S5_N6thrust23THRUST_200600_302600_NS6detail15normal_iteratorINS8_10device_ptrIiEEEESD_ZNS1_13binary_searchIS3_S5_SD_SD_SD_NS1_21upper_bound_search_opENS9_16wrapped_functionINS0_4lessIvEEbEEEE10hipError_tPvRmT1_T2_T3_mmT4_T5_P12ihipStream_tbEUlRKiE_EESK_SO_SP_mSQ_ST_bEUlT_E_NS1_11comp_targetILNS1_3genE9ELNS1_11target_archE1100ELNS1_3gpuE3ELNS1_3repE0EEENS1_30default_config_static_selectorELNS0_4arch9wavefront6targetE1EEEvSN_.numbered_sgpr, 0
	.set _ZN7rocprim17ROCPRIM_400000_NS6detail17trampoline_kernelINS0_14default_configENS1_27upper_bound_config_selectorIiiEEZNS1_14transform_implILb0ES3_S5_N6thrust23THRUST_200600_302600_NS6detail15normal_iteratorINS8_10device_ptrIiEEEESD_ZNS1_13binary_searchIS3_S5_SD_SD_SD_NS1_21upper_bound_search_opENS9_16wrapped_functionINS0_4lessIvEEbEEEE10hipError_tPvRmT1_T2_T3_mmT4_T5_P12ihipStream_tbEUlRKiE_EESK_SO_SP_mSQ_ST_bEUlT_E_NS1_11comp_targetILNS1_3genE9ELNS1_11target_archE1100ELNS1_3gpuE3ELNS1_3repE0EEENS1_30default_config_static_selectorELNS0_4arch9wavefront6targetE1EEEvSN_.num_named_barrier, 0
	.set _ZN7rocprim17ROCPRIM_400000_NS6detail17trampoline_kernelINS0_14default_configENS1_27upper_bound_config_selectorIiiEEZNS1_14transform_implILb0ES3_S5_N6thrust23THRUST_200600_302600_NS6detail15normal_iteratorINS8_10device_ptrIiEEEESD_ZNS1_13binary_searchIS3_S5_SD_SD_SD_NS1_21upper_bound_search_opENS9_16wrapped_functionINS0_4lessIvEEbEEEE10hipError_tPvRmT1_T2_T3_mmT4_T5_P12ihipStream_tbEUlRKiE_EESK_SO_SP_mSQ_ST_bEUlT_E_NS1_11comp_targetILNS1_3genE9ELNS1_11target_archE1100ELNS1_3gpuE3ELNS1_3repE0EEENS1_30default_config_static_selectorELNS0_4arch9wavefront6targetE1EEEvSN_.private_seg_size, 0
	.set _ZN7rocprim17ROCPRIM_400000_NS6detail17trampoline_kernelINS0_14default_configENS1_27upper_bound_config_selectorIiiEEZNS1_14transform_implILb0ES3_S5_N6thrust23THRUST_200600_302600_NS6detail15normal_iteratorINS8_10device_ptrIiEEEESD_ZNS1_13binary_searchIS3_S5_SD_SD_SD_NS1_21upper_bound_search_opENS9_16wrapped_functionINS0_4lessIvEEbEEEE10hipError_tPvRmT1_T2_T3_mmT4_T5_P12ihipStream_tbEUlRKiE_EESK_SO_SP_mSQ_ST_bEUlT_E_NS1_11comp_targetILNS1_3genE9ELNS1_11target_archE1100ELNS1_3gpuE3ELNS1_3repE0EEENS1_30default_config_static_selectorELNS0_4arch9wavefront6targetE1EEEvSN_.uses_vcc, 0
	.set _ZN7rocprim17ROCPRIM_400000_NS6detail17trampoline_kernelINS0_14default_configENS1_27upper_bound_config_selectorIiiEEZNS1_14transform_implILb0ES3_S5_N6thrust23THRUST_200600_302600_NS6detail15normal_iteratorINS8_10device_ptrIiEEEESD_ZNS1_13binary_searchIS3_S5_SD_SD_SD_NS1_21upper_bound_search_opENS9_16wrapped_functionINS0_4lessIvEEbEEEE10hipError_tPvRmT1_T2_T3_mmT4_T5_P12ihipStream_tbEUlRKiE_EESK_SO_SP_mSQ_ST_bEUlT_E_NS1_11comp_targetILNS1_3genE9ELNS1_11target_archE1100ELNS1_3gpuE3ELNS1_3repE0EEENS1_30default_config_static_selectorELNS0_4arch9wavefront6targetE1EEEvSN_.uses_flat_scratch, 0
	.set _ZN7rocprim17ROCPRIM_400000_NS6detail17trampoline_kernelINS0_14default_configENS1_27upper_bound_config_selectorIiiEEZNS1_14transform_implILb0ES3_S5_N6thrust23THRUST_200600_302600_NS6detail15normal_iteratorINS8_10device_ptrIiEEEESD_ZNS1_13binary_searchIS3_S5_SD_SD_SD_NS1_21upper_bound_search_opENS9_16wrapped_functionINS0_4lessIvEEbEEEE10hipError_tPvRmT1_T2_T3_mmT4_T5_P12ihipStream_tbEUlRKiE_EESK_SO_SP_mSQ_ST_bEUlT_E_NS1_11comp_targetILNS1_3genE9ELNS1_11target_archE1100ELNS1_3gpuE3ELNS1_3repE0EEENS1_30default_config_static_selectorELNS0_4arch9wavefront6targetE1EEEvSN_.has_dyn_sized_stack, 0
	.set _ZN7rocprim17ROCPRIM_400000_NS6detail17trampoline_kernelINS0_14default_configENS1_27upper_bound_config_selectorIiiEEZNS1_14transform_implILb0ES3_S5_N6thrust23THRUST_200600_302600_NS6detail15normal_iteratorINS8_10device_ptrIiEEEESD_ZNS1_13binary_searchIS3_S5_SD_SD_SD_NS1_21upper_bound_search_opENS9_16wrapped_functionINS0_4lessIvEEbEEEE10hipError_tPvRmT1_T2_T3_mmT4_T5_P12ihipStream_tbEUlRKiE_EESK_SO_SP_mSQ_ST_bEUlT_E_NS1_11comp_targetILNS1_3genE9ELNS1_11target_archE1100ELNS1_3gpuE3ELNS1_3repE0EEENS1_30default_config_static_selectorELNS0_4arch9wavefront6targetE1EEEvSN_.has_recursion, 0
	.set _ZN7rocprim17ROCPRIM_400000_NS6detail17trampoline_kernelINS0_14default_configENS1_27upper_bound_config_selectorIiiEEZNS1_14transform_implILb0ES3_S5_N6thrust23THRUST_200600_302600_NS6detail15normal_iteratorINS8_10device_ptrIiEEEESD_ZNS1_13binary_searchIS3_S5_SD_SD_SD_NS1_21upper_bound_search_opENS9_16wrapped_functionINS0_4lessIvEEbEEEE10hipError_tPvRmT1_T2_T3_mmT4_T5_P12ihipStream_tbEUlRKiE_EESK_SO_SP_mSQ_ST_bEUlT_E_NS1_11comp_targetILNS1_3genE9ELNS1_11target_archE1100ELNS1_3gpuE3ELNS1_3repE0EEENS1_30default_config_static_selectorELNS0_4arch9wavefront6targetE1EEEvSN_.has_indirect_call, 0
	.section	.AMDGPU.csdata,"",@progbits
; Kernel info:
; codeLenInByte = 0
; TotalNumSgprs: 4
; NumVgprs: 0
; ScratchSize: 0
; MemoryBound: 0
; FloatMode: 240
; IeeeMode: 1
; LDSByteSize: 0 bytes/workgroup (compile time only)
; SGPRBlocks: 0
; VGPRBlocks: 0
; NumSGPRsForWavesPerEU: 4
; NumVGPRsForWavesPerEU: 1
; Occupancy: 10
; WaveLimiterHint : 0
; COMPUTE_PGM_RSRC2:SCRATCH_EN: 0
; COMPUTE_PGM_RSRC2:USER_SGPR: 6
; COMPUTE_PGM_RSRC2:TRAP_HANDLER: 0
; COMPUTE_PGM_RSRC2:TGID_X_EN: 1
; COMPUTE_PGM_RSRC2:TGID_Y_EN: 0
; COMPUTE_PGM_RSRC2:TGID_Z_EN: 0
; COMPUTE_PGM_RSRC2:TIDIG_COMP_CNT: 0
	.section	.text._ZN7rocprim17ROCPRIM_400000_NS6detail17trampoline_kernelINS0_14default_configENS1_27upper_bound_config_selectorIiiEEZNS1_14transform_implILb0ES3_S5_N6thrust23THRUST_200600_302600_NS6detail15normal_iteratorINS8_10device_ptrIiEEEESD_ZNS1_13binary_searchIS3_S5_SD_SD_SD_NS1_21upper_bound_search_opENS9_16wrapped_functionINS0_4lessIvEEbEEEE10hipError_tPvRmT1_T2_T3_mmT4_T5_P12ihipStream_tbEUlRKiE_EESK_SO_SP_mSQ_ST_bEUlT_E_NS1_11comp_targetILNS1_3genE8ELNS1_11target_archE1030ELNS1_3gpuE2ELNS1_3repE0EEENS1_30default_config_static_selectorELNS0_4arch9wavefront6targetE1EEEvSN_,"axG",@progbits,_ZN7rocprim17ROCPRIM_400000_NS6detail17trampoline_kernelINS0_14default_configENS1_27upper_bound_config_selectorIiiEEZNS1_14transform_implILb0ES3_S5_N6thrust23THRUST_200600_302600_NS6detail15normal_iteratorINS8_10device_ptrIiEEEESD_ZNS1_13binary_searchIS3_S5_SD_SD_SD_NS1_21upper_bound_search_opENS9_16wrapped_functionINS0_4lessIvEEbEEEE10hipError_tPvRmT1_T2_T3_mmT4_T5_P12ihipStream_tbEUlRKiE_EESK_SO_SP_mSQ_ST_bEUlT_E_NS1_11comp_targetILNS1_3genE8ELNS1_11target_archE1030ELNS1_3gpuE2ELNS1_3repE0EEENS1_30default_config_static_selectorELNS0_4arch9wavefront6targetE1EEEvSN_,comdat
	.protected	_ZN7rocprim17ROCPRIM_400000_NS6detail17trampoline_kernelINS0_14default_configENS1_27upper_bound_config_selectorIiiEEZNS1_14transform_implILb0ES3_S5_N6thrust23THRUST_200600_302600_NS6detail15normal_iteratorINS8_10device_ptrIiEEEESD_ZNS1_13binary_searchIS3_S5_SD_SD_SD_NS1_21upper_bound_search_opENS9_16wrapped_functionINS0_4lessIvEEbEEEE10hipError_tPvRmT1_T2_T3_mmT4_T5_P12ihipStream_tbEUlRKiE_EESK_SO_SP_mSQ_ST_bEUlT_E_NS1_11comp_targetILNS1_3genE8ELNS1_11target_archE1030ELNS1_3gpuE2ELNS1_3repE0EEENS1_30default_config_static_selectorELNS0_4arch9wavefront6targetE1EEEvSN_ ; -- Begin function _ZN7rocprim17ROCPRIM_400000_NS6detail17trampoline_kernelINS0_14default_configENS1_27upper_bound_config_selectorIiiEEZNS1_14transform_implILb0ES3_S5_N6thrust23THRUST_200600_302600_NS6detail15normal_iteratorINS8_10device_ptrIiEEEESD_ZNS1_13binary_searchIS3_S5_SD_SD_SD_NS1_21upper_bound_search_opENS9_16wrapped_functionINS0_4lessIvEEbEEEE10hipError_tPvRmT1_T2_T3_mmT4_T5_P12ihipStream_tbEUlRKiE_EESK_SO_SP_mSQ_ST_bEUlT_E_NS1_11comp_targetILNS1_3genE8ELNS1_11target_archE1030ELNS1_3gpuE2ELNS1_3repE0EEENS1_30default_config_static_selectorELNS0_4arch9wavefront6targetE1EEEvSN_
	.globl	_ZN7rocprim17ROCPRIM_400000_NS6detail17trampoline_kernelINS0_14default_configENS1_27upper_bound_config_selectorIiiEEZNS1_14transform_implILb0ES3_S5_N6thrust23THRUST_200600_302600_NS6detail15normal_iteratorINS8_10device_ptrIiEEEESD_ZNS1_13binary_searchIS3_S5_SD_SD_SD_NS1_21upper_bound_search_opENS9_16wrapped_functionINS0_4lessIvEEbEEEE10hipError_tPvRmT1_T2_T3_mmT4_T5_P12ihipStream_tbEUlRKiE_EESK_SO_SP_mSQ_ST_bEUlT_E_NS1_11comp_targetILNS1_3genE8ELNS1_11target_archE1030ELNS1_3gpuE2ELNS1_3repE0EEENS1_30default_config_static_selectorELNS0_4arch9wavefront6targetE1EEEvSN_
	.p2align	8
	.type	_ZN7rocprim17ROCPRIM_400000_NS6detail17trampoline_kernelINS0_14default_configENS1_27upper_bound_config_selectorIiiEEZNS1_14transform_implILb0ES3_S5_N6thrust23THRUST_200600_302600_NS6detail15normal_iteratorINS8_10device_ptrIiEEEESD_ZNS1_13binary_searchIS3_S5_SD_SD_SD_NS1_21upper_bound_search_opENS9_16wrapped_functionINS0_4lessIvEEbEEEE10hipError_tPvRmT1_T2_T3_mmT4_T5_P12ihipStream_tbEUlRKiE_EESK_SO_SP_mSQ_ST_bEUlT_E_NS1_11comp_targetILNS1_3genE8ELNS1_11target_archE1030ELNS1_3gpuE2ELNS1_3repE0EEENS1_30default_config_static_selectorELNS0_4arch9wavefront6targetE1EEEvSN_,@function
_ZN7rocprim17ROCPRIM_400000_NS6detail17trampoline_kernelINS0_14default_configENS1_27upper_bound_config_selectorIiiEEZNS1_14transform_implILb0ES3_S5_N6thrust23THRUST_200600_302600_NS6detail15normal_iteratorINS8_10device_ptrIiEEEESD_ZNS1_13binary_searchIS3_S5_SD_SD_SD_NS1_21upper_bound_search_opENS9_16wrapped_functionINS0_4lessIvEEbEEEE10hipError_tPvRmT1_T2_T3_mmT4_T5_P12ihipStream_tbEUlRKiE_EESK_SO_SP_mSQ_ST_bEUlT_E_NS1_11comp_targetILNS1_3genE8ELNS1_11target_archE1030ELNS1_3gpuE2ELNS1_3repE0EEENS1_30default_config_static_selectorELNS0_4arch9wavefront6targetE1EEEvSN_: ; @_ZN7rocprim17ROCPRIM_400000_NS6detail17trampoline_kernelINS0_14default_configENS1_27upper_bound_config_selectorIiiEEZNS1_14transform_implILb0ES3_S5_N6thrust23THRUST_200600_302600_NS6detail15normal_iteratorINS8_10device_ptrIiEEEESD_ZNS1_13binary_searchIS3_S5_SD_SD_SD_NS1_21upper_bound_search_opENS9_16wrapped_functionINS0_4lessIvEEbEEEE10hipError_tPvRmT1_T2_T3_mmT4_T5_P12ihipStream_tbEUlRKiE_EESK_SO_SP_mSQ_ST_bEUlT_E_NS1_11comp_targetILNS1_3genE8ELNS1_11target_archE1030ELNS1_3gpuE2ELNS1_3repE0EEENS1_30default_config_static_selectorELNS0_4arch9wavefront6targetE1EEEvSN_
; %bb.0:
	.section	.rodata,"a",@progbits
	.p2align	6, 0x0
	.amdhsa_kernel _ZN7rocprim17ROCPRIM_400000_NS6detail17trampoline_kernelINS0_14default_configENS1_27upper_bound_config_selectorIiiEEZNS1_14transform_implILb0ES3_S5_N6thrust23THRUST_200600_302600_NS6detail15normal_iteratorINS8_10device_ptrIiEEEESD_ZNS1_13binary_searchIS3_S5_SD_SD_SD_NS1_21upper_bound_search_opENS9_16wrapped_functionINS0_4lessIvEEbEEEE10hipError_tPvRmT1_T2_T3_mmT4_T5_P12ihipStream_tbEUlRKiE_EESK_SO_SP_mSQ_ST_bEUlT_E_NS1_11comp_targetILNS1_3genE8ELNS1_11target_archE1030ELNS1_3gpuE2ELNS1_3repE0EEENS1_30default_config_static_selectorELNS0_4arch9wavefront6targetE1EEEvSN_
		.amdhsa_group_segment_fixed_size 0
		.amdhsa_private_segment_fixed_size 0
		.amdhsa_kernarg_size 56
		.amdhsa_user_sgpr_count 6
		.amdhsa_user_sgpr_private_segment_buffer 1
		.amdhsa_user_sgpr_dispatch_ptr 0
		.amdhsa_user_sgpr_queue_ptr 0
		.amdhsa_user_sgpr_kernarg_segment_ptr 1
		.amdhsa_user_sgpr_dispatch_id 0
		.amdhsa_user_sgpr_flat_scratch_init 0
		.amdhsa_user_sgpr_private_segment_size 0
		.amdhsa_uses_dynamic_stack 0
		.amdhsa_system_sgpr_private_segment_wavefront_offset 0
		.amdhsa_system_sgpr_workgroup_id_x 1
		.amdhsa_system_sgpr_workgroup_id_y 0
		.amdhsa_system_sgpr_workgroup_id_z 0
		.amdhsa_system_sgpr_workgroup_info 0
		.amdhsa_system_vgpr_workitem_id 0
		.amdhsa_next_free_vgpr 1
		.amdhsa_next_free_sgpr 0
		.amdhsa_reserve_vcc 0
		.amdhsa_reserve_flat_scratch 0
		.amdhsa_float_round_mode_32 0
		.amdhsa_float_round_mode_16_64 0
		.amdhsa_float_denorm_mode_32 3
		.amdhsa_float_denorm_mode_16_64 3
		.amdhsa_dx10_clamp 1
		.amdhsa_ieee_mode 1
		.amdhsa_fp16_overflow 0
		.amdhsa_exception_fp_ieee_invalid_op 0
		.amdhsa_exception_fp_denorm_src 0
		.amdhsa_exception_fp_ieee_div_zero 0
		.amdhsa_exception_fp_ieee_overflow 0
		.amdhsa_exception_fp_ieee_underflow 0
		.amdhsa_exception_fp_ieee_inexact 0
		.amdhsa_exception_int_div_zero 0
	.end_amdhsa_kernel
	.section	.text._ZN7rocprim17ROCPRIM_400000_NS6detail17trampoline_kernelINS0_14default_configENS1_27upper_bound_config_selectorIiiEEZNS1_14transform_implILb0ES3_S5_N6thrust23THRUST_200600_302600_NS6detail15normal_iteratorINS8_10device_ptrIiEEEESD_ZNS1_13binary_searchIS3_S5_SD_SD_SD_NS1_21upper_bound_search_opENS9_16wrapped_functionINS0_4lessIvEEbEEEE10hipError_tPvRmT1_T2_T3_mmT4_T5_P12ihipStream_tbEUlRKiE_EESK_SO_SP_mSQ_ST_bEUlT_E_NS1_11comp_targetILNS1_3genE8ELNS1_11target_archE1030ELNS1_3gpuE2ELNS1_3repE0EEENS1_30default_config_static_selectorELNS0_4arch9wavefront6targetE1EEEvSN_,"axG",@progbits,_ZN7rocprim17ROCPRIM_400000_NS6detail17trampoline_kernelINS0_14default_configENS1_27upper_bound_config_selectorIiiEEZNS1_14transform_implILb0ES3_S5_N6thrust23THRUST_200600_302600_NS6detail15normal_iteratorINS8_10device_ptrIiEEEESD_ZNS1_13binary_searchIS3_S5_SD_SD_SD_NS1_21upper_bound_search_opENS9_16wrapped_functionINS0_4lessIvEEbEEEE10hipError_tPvRmT1_T2_T3_mmT4_T5_P12ihipStream_tbEUlRKiE_EESK_SO_SP_mSQ_ST_bEUlT_E_NS1_11comp_targetILNS1_3genE8ELNS1_11target_archE1030ELNS1_3gpuE2ELNS1_3repE0EEENS1_30default_config_static_selectorELNS0_4arch9wavefront6targetE1EEEvSN_,comdat
.Lfunc_end616:
	.size	_ZN7rocprim17ROCPRIM_400000_NS6detail17trampoline_kernelINS0_14default_configENS1_27upper_bound_config_selectorIiiEEZNS1_14transform_implILb0ES3_S5_N6thrust23THRUST_200600_302600_NS6detail15normal_iteratorINS8_10device_ptrIiEEEESD_ZNS1_13binary_searchIS3_S5_SD_SD_SD_NS1_21upper_bound_search_opENS9_16wrapped_functionINS0_4lessIvEEbEEEE10hipError_tPvRmT1_T2_T3_mmT4_T5_P12ihipStream_tbEUlRKiE_EESK_SO_SP_mSQ_ST_bEUlT_E_NS1_11comp_targetILNS1_3genE8ELNS1_11target_archE1030ELNS1_3gpuE2ELNS1_3repE0EEENS1_30default_config_static_selectorELNS0_4arch9wavefront6targetE1EEEvSN_, .Lfunc_end616-_ZN7rocprim17ROCPRIM_400000_NS6detail17trampoline_kernelINS0_14default_configENS1_27upper_bound_config_selectorIiiEEZNS1_14transform_implILb0ES3_S5_N6thrust23THRUST_200600_302600_NS6detail15normal_iteratorINS8_10device_ptrIiEEEESD_ZNS1_13binary_searchIS3_S5_SD_SD_SD_NS1_21upper_bound_search_opENS9_16wrapped_functionINS0_4lessIvEEbEEEE10hipError_tPvRmT1_T2_T3_mmT4_T5_P12ihipStream_tbEUlRKiE_EESK_SO_SP_mSQ_ST_bEUlT_E_NS1_11comp_targetILNS1_3genE8ELNS1_11target_archE1030ELNS1_3gpuE2ELNS1_3repE0EEENS1_30default_config_static_selectorELNS0_4arch9wavefront6targetE1EEEvSN_
                                        ; -- End function
	.set _ZN7rocprim17ROCPRIM_400000_NS6detail17trampoline_kernelINS0_14default_configENS1_27upper_bound_config_selectorIiiEEZNS1_14transform_implILb0ES3_S5_N6thrust23THRUST_200600_302600_NS6detail15normal_iteratorINS8_10device_ptrIiEEEESD_ZNS1_13binary_searchIS3_S5_SD_SD_SD_NS1_21upper_bound_search_opENS9_16wrapped_functionINS0_4lessIvEEbEEEE10hipError_tPvRmT1_T2_T3_mmT4_T5_P12ihipStream_tbEUlRKiE_EESK_SO_SP_mSQ_ST_bEUlT_E_NS1_11comp_targetILNS1_3genE8ELNS1_11target_archE1030ELNS1_3gpuE2ELNS1_3repE0EEENS1_30default_config_static_selectorELNS0_4arch9wavefront6targetE1EEEvSN_.num_vgpr, 0
	.set _ZN7rocprim17ROCPRIM_400000_NS6detail17trampoline_kernelINS0_14default_configENS1_27upper_bound_config_selectorIiiEEZNS1_14transform_implILb0ES3_S5_N6thrust23THRUST_200600_302600_NS6detail15normal_iteratorINS8_10device_ptrIiEEEESD_ZNS1_13binary_searchIS3_S5_SD_SD_SD_NS1_21upper_bound_search_opENS9_16wrapped_functionINS0_4lessIvEEbEEEE10hipError_tPvRmT1_T2_T3_mmT4_T5_P12ihipStream_tbEUlRKiE_EESK_SO_SP_mSQ_ST_bEUlT_E_NS1_11comp_targetILNS1_3genE8ELNS1_11target_archE1030ELNS1_3gpuE2ELNS1_3repE0EEENS1_30default_config_static_selectorELNS0_4arch9wavefront6targetE1EEEvSN_.num_agpr, 0
	.set _ZN7rocprim17ROCPRIM_400000_NS6detail17trampoline_kernelINS0_14default_configENS1_27upper_bound_config_selectorIiiEEZNS1_14transform_implILb0ES3_S5_N6thrust23THRUST_200600_302600_NS6detail15normal_iteratorINS8_10device_ptrIiEEEESD_ZNS1_13binary_searchIS3_S5_SD_SD_SD_NS1_21upper_bound_search_opENS9_16wrapped_functionINS0_4lessIvEEbEEEE10hipError_tPvRmT1_T2_T3_mmT4_T5_P12ihipStream_tbEUlRKiE_EESK_SO_SP_mSQ_ST_bEUlT_E_NS1_11comp_targetILNS1_3genE8ELNS1_11target_archE1030ELNS1_3gpuE2ELNS1_3repE0EEENS1_30default_config_static_selectorELNS0_4arch9wavefront6targetE1EEEvSN_.numbered_sgpr, 0
	.set _ZN7rocprim17ROCPRIM_400000_NS6detail17trampoline_kernelINS0_14default_configENS1_27upper_bound_config_selectorIiiEEZNS1_14transform_implILb0ES3_S5_N6thrust23THRUST_200600_302600_NS6detail15normal_iteratorINS8_10device_ptrIiEEEESD_ZNS1_13binary_searchIS3_S5_SD_SD_SD_NS1_21upper_bound_search_opENS9_16wrapped_functionINS0_4lessIvEEbEEEE10hipError_tPvRmT1_T2_T3_mmT4_T5_P12ihipStream_tbEUlRKiE_EESK_SO_SP_mSQ_ST_bEUlT_E_NS1_11comp_targetILNS1_3genE8ELNS1_11target_archE1030ELNS1_3gpuE2ELNS1_3repE0EEENS1_30default_config_static_selectorELNS0_4arch9wavefront6targetE1EEEvSN_.num_named_barrier, 0
	.set _ZN7rocprim17ROCPRIM_400000_NS6detail17trampoline_kernelINS0_14default_configENS1_27upper_bound_config_selectorIiiEEZNS1_14transform_implILb0ES3_S5_N6thrust23THRUST_200600_302600_NS6detail15normal_iteratorINS8_10device_ptrIiEEEESD_ZNS1_13binary_searchIS3_S5_SD_SD_SD_NS1_21upper_bound_search_opENS9_16wrapped_functionINS0_4lessIvEEbEEEE10hipError_tPvRmT1_T2_T3_mmT4_T5_P12ihipStream_tbEUlRKiE_EESK_SO_SP_mSQ_ST_bEUlT_E_NS1_11comp_targetILNS1_3genE8ELNS1_11target_archE1030ELNS1_3gpuE2ELNS1_3repE0EEENS1_30default_config_static_selectorELNS0_4arch9wavefront6targetE1EEEvSN_.private_seg_size, 0
	.set _ZN7rocprim17ROCPRIM_400000_NS6detail17trampoline_kernelINS0_14default_configENS1_27upper_bound_config_selectorIiiEEZNS1_14transform_implILb0ES3_S5_N6thrust23THRUST_200600_302600_NS6detail15normal_iteratorINS8_10device_ptrIiEEEESD_ZNS1_13binary_searchIS3_S5_SD_SD_SD_NS1_21upper_bound_search_opENS9_16wrapped_functionINS0_4lessIvEEbEEEE10hipError_tPvRmT1_T2_T3_mmT4_T5_P12ihipStream_tbEUlRKiE_EESK_SO_SP_mSQ_ST_bEUlT_E_NS1_11comp_targetILNS1_3genE8ELNS1_11target_archE1030ELNS1_3gpuE2ELNS1_3repE0EEENS1_30default_config_static_selectorELNS0_4arch9wavefront6targetE1EEEvSN_.uses_vcc, 0
	.set _ZN7rocprim17ROCPRIM_400000_NS6detail17trampoline_kernelINS0_14default_configENS1_27upper_bound_config_selectorIiiEEZNS1_14transform_implILb0ES3_S5_N6thrust23THRUST_200600_302600_NS6detail15normal_iteratorINS8_10device_ptrIiEEEESD_ZNS1_13binary_searchIS3_S5_SD_SD_SD_NS1_21upper_bound_search_opENS9_16wrapped_functionINS0_4lessIvEEbEEEE10hipError_tPvRmT1_T2_T3_mmT4_T5_P12ihipStream_tbEUlRKiE_EESK_SO_SP_mSQ_ST_bEUlT_E_NS1_11comp_targetILNS1_3genE8ELNS1_11target_archE1030ELNS1_3gpuE2ELNS1_3repE0EEENS1_30default_config_static_selectorELNS0_4arch9wavefront6targetE1EEEvSN_.uses_flat_scratch, 0
	.set _ZN7rocprim17ROCPRIM_400000_NS6detail17trampoline_kernelINS0_14default_configENS1_27upper_bound_config_selectorIiiEEZNS1_14transform_implILb0ES3_S5_N6thrust23THRUST_200600_302600_NS6detail15normal_iteratorINS8_10device_ptrIiEEEESD_ZNS1_13binary_searchIS3_S5_SD_SD_SD_NS1_21upper_bound_search_opENS9_16wrapped_functionINS0_4lessIvEEbEEEE10hipError_tPvRmT1_T2_T3_mmT4_T5_P12ihipStream_tbEUlRKiE_EESK_SO_SP_mSQ_ST_bEUlT_E_NS1_11comp_targetILNS1_3genE8ELNS1_11target_archE1030ELNS1_3gpuE2ELNS1_3repE0EEENS1_30default_config_static_selectorELNS0_4arch9wavefront6targetE1EEEvSN_.has_dyn_sized_stack, 0
	.set _ZN7rocprim17ROCPRIM_400000_NS6detail17trampoline_kernelINS0_14default_configENS1_27upper_bound_config_selectorIiiEEZNS1_14transform_implILb0ES3_S5_N6thrust23THRUST_200600_302600_NS6detail15normal_iteratorINS8_10device_ptrIiEEEESD_ZNS1_13binary_searchIS3_S5_SD_SD_SD_NS1_21upper_bound_search_opENS9_16wrapped_functionINS0_4lessIvEEbEEEE10hipError_tPvRmT1_T2_T3_mmT4_T5_P12ihipStream_tbEUlRKiE_EESK_SO_SP_mSQ_ST_bEUlT_E_NS1_11comp_targetILNS1_3genE8ELNS1_11target_archE1030ELNS1_3gpuE2ELNS1_3repE0EEENS1_30default_config_static_selectorELNS0_4arch9wavefront6targetE1EEEvSN_.has_recursion, 0
	.set _ZN7rocprim17ROCPRIM_400000_NS6detail17trampoline_kernelINS0_14default_configENS1_27upper_bound_config_selectorIiiEEZNS1_14transform_implILb0ES3_S5_N6thrust23THRUST_200600_302600_NS6detail15normal_iteratorINS8_10device_ptrIiEEEESD_ZNS1_13binary_searchIS3_S5_SD_SD_SD_NS1_21upper_bound_search_opENS9_16wrapped_functionINS0_4lessIvEEbEEEE10hipError_tPvRmT1_T2_T3_mmT4_T5_P12ihipStream_tbEUlRKiE_EESK_SO_SP_mSQ_ST_bEUlT_E_NS1_11comp_targetILNS1_3genE8ELNS1_11target_archE1030ELNS1_3gpuE2ELNS1_3repE0EEENS1_30default_config_static_selectorELNS0_4arch9wavefront6targetE1EEEvSN_.has_indirect_call, 0
	.section	.AMDGPU.csdata,"",@progbits
; Kernel info:
; codeLenInByte = 0
; TotalNumSgprs: 4
; NumVgprs: 0
; ScratchSize: 0
; MemoryBound: 0
; FloatMode: 240
; IeeeMode: 1
; LDSByteSize: 0 bytes/workgroup (compile time only)
; SGPRBlocks: 0
; VGPRBlocks: 0
; NumSGPRsForWavesPerEU: 4
; NumVGPRsForWavesPerEU: 1
; Occupancy: 10
; WaveLimiterHint : 0
; COMPUTE_PGM_RSRC2:SCRATCH_EN: 0
; COMPUTE_PGM_RSRC2:USER_SGPR: 6
; COMPUTE_PGM_RSRC2:TRAP_HANDLER: 0
; COMPUTE_PGM_RSRC2:TGID_X_EN: 1
; COMPUTE_PGM_RSRC2:TGID_Y_EN: 0
; COMPUTE_PGM_RSRC2:TGID_Z_EN: 0
; COMPUTE_PGM_RSRC2:TIDIG_COMP_CNT: 0
	.section	.text._ZN7rocprim17ROCPRIM_400000_NS6detail17trampoline_kernelINS0_14default_configENS1_27upper_bound_config_selectorIN6thrust23THRUST_200600_302600_NS5tupleIiiNS6_9null_typeES8_S8_S8_S8_S8_S8_S8_EEiEEZNS1_14transform_implILb0ES3_SA_NS6_6detail15normal_iteratorINS6_10device_ptrIS9_EEEENSD_INSE_IiEEEEZNS1_13binary_searchIS3_SA_SG_SG_SI_NS1_21upper_bound_search_opENSC_16wrapped_functionINS0_4lessIvEEbEEEE10hipError_tPvRmT1_T2_T3_mmT4_T5_P12ihipStream_tbEUlRKS9_E_EESP_ST_SU_mSV_SY_bEUlT_E_NS1_11comp_targetILNS1_3genE0ELNS1_11target_archE4294967295ELNS1_3gpuE0ELNS1_3repE0EEENS1_30default_config_static_selectorELNS0_4arch9wavefront6targetE1EEEvSS_,"axG",@progbits,_ZN7rocprim17ROCPRIM_400000_NS6detail17trampoline_kernelINS0_14default_configENS1_27upper_bound_config_selectorIN6thrust23THRUST_200600_302600_NS5tupleIiiNS6_9null_typeES8_S8_S8_S8_S8_S8_S8_EEiEEZNS1_14transform_implILb0ES3_SA_NS6_6detail15normal_iteratorINS6_10device_ptrIS9_EEEENSD_INSE_IiEEEEZNS1_13binary_searchIS3_SA_SG_SG_SI_NS1_21upper_bound_search_opENSC_16wrapped_functionINS0_4lessIvEEbEEEE10hipError_tPvRmT1_T2_T3_mmT4_T5_P12ihipStream_tbEUlRKS9_E_EESP_ST_SU_mSV_SY_bEUlT_E_NS1_11comp_targetILNS1_3genE0ELNS1_11target_archE4294967295ELNS1_3gpuE0ELNS1_3repE0EEENS1_30default_config_static_selectorELNS0_4arch9wavefront6targetE1EEEvSS_,comdat
	.protected	_ZN7rocprim17ROCPRIM_400000_NS6detail17trampoline_kernelINS0_14default_configENS1_27upper_bound_config_selectorIN6thrust23THRUST_200600_302600_NS5tupleIiiNS6_9null_typeES8_S8_S8_S8_S8_S8_S8_EEiEEZNS1_14transform_implILb0ES3_SA_NS6_6detail15normal_iteratorINS6_10device_ptrIS9_EEEENSD_INSE_IiEEEEZNS1_13binary_searchIS3_SA_SG_SG_SI_NS1_21upper_bound_search_opENSC_16wrapped_functionINS0_4lessIvEEbEEEE10hipError_tPvRmT1_T2_T3_mmT4_T5_P12ihipStream_tbEUlRKS9_E_EESP_ST_SU_mSV_SY_bEUlT_E_NS1_11comp_targetILNS1_3genE0ELNS1_11target_archE4294967295ELNS1_3gpuE0ELNS1_3repE0EEENS1_30default_config_static_selectorELNS0_4arch9wavefront6targetE1EEEvSS_ ; -- Begin function _ZN7rocprim17ROCPRIM_400000_NS6detail17trampoline_kernelINS0_14default_configENS1_27upper_bound_config_selectorIN6thrust23THRUST_200600_302600_NS5tupleIiiNS6_9null_typeES8_S8_S8_S8_S8_S8_S8_EEiEEZNS1_14transform_implILb0ES3_SA_NS6_6detail15normal_iteratorINS6_10device_ptrIS9_EEEENSD_INSE_IiEEEEZNS1_13binary_searchIS3_SA_SG_SG_SI_NS1_21upper_bound_search_opENSC_16wrapped_functionINS0_4lessIvEEbEEEE10hipError_tPvRmT1_T2_T3_mmT4_T5_P12ihipStream_tbEUlRKS9_E_EESP_ST_SU_mSV_SY_bEUlT_E_NS1_11comp_targetILNS1_3genE0ELNS1_11target_archE4294967295ELNS1_3gpuE0ELNS1_3repE0EEENS1_30default_config_static_selectorELNS0_4arch9wavefront6targetE1EEEvSS_
	.globl	_ZN7rocprim17ROCPRIM_400000_NS6detail17trampoline_kernelINS0_14default_configENS1_27upper_bound_config_selectorIN6thrust23THRUST_200600_302600_NS5tupleIiiNS6_9null_typeES8_S8_S8_S8_S8_S8_S8_EEiEEZNS1_14transform_implILb0ES3_SA_NS6_6detail15normal_iteratorINS6_10device_ptrIS9_EEEENSD_INSE_IiEEEEZNS1_13binary_searchIS3_SA_SG_SG_SI_NS1_21upper_bound_search_opENSC_16wrapped_functionINS0_4lessIvEEbEEEE10hipError_tPvRmT1_T2_T3_mmT4_T5_P12ihipStream_tbEUlRKS9_E_EESP_ST_SU_mSV_SY_bEUlT_E_NS1_11comp_targetILNS1_3genE0ELNS1_11target_archE4294967295ELNS1_3gpuE0ELNS1_3repE0EEENS1_30default_config_static_selectorELNS0_4arch9wavefront6targetE1EEEvSS_
	.p2align	8
	.type	_ZN7rocprim17ROCPRIM_400000_NS6detail17trampoline_kernelINS0_14default_configENS1_27upper_bound_config_selectorIN6thrust23THRUST_200600_302600_NS5tupleIiiNS6_9null_typeES8_S8_S8_S8_S8_S8_S8_EEiEEZNS1_14transform_implILb0ES3_SA_NS6_6detail15normal_iteratorINS6_10device_ptrIS9_EEEENSD_INSE_IiEEEEZNS1_13binary_searchIS3_SA_SG_SG_SI_NS1_21upper_bound_search_opENSC_16wrapped_functionINS0_4lessIvEEbEEEE10hipError_tPvRmT1_T2_T3_mmT4_T5_P12ihipStream_tbEUlRKS9_E_EESP_ST_SU_mSV_SY_bEUlT_E_NS1_11comp_targetILNS1_3genE0ELNS1_11target_archE4294967295ELNS1_3gpuE0ELNS1_3repE0EEENS1_30default_config_static_selectorELNS0_4arch9wavefront6targetE1EEEvSS_,@function
_ZN7rocprim17ROCPRIM_400000_NS6detail17trampoline_kernelINS0_14default_configENS1_27upper_bound_config_selectorIN6thrust23THRUST_200600_302600_NS5tupleIiiNS6_9null_typeES8_S8_S8_S8_S8_S8_S8_EEiEEZNS1_14transform_implILb0ES3_SA_NS6_6detail15normal_iteratorINS6_10device_ptrIS9_EEEENSD_INSE_IiEEEEZNS1_13binary_searchIS3_SA_SG_SG_SI_NS1_21upper_bound_search_opENSC_16wrapped_functionINS0_4lessIvEEbEEEE10hipError_tPvRmT1_T2_T3_mmT4_T5_P12ihipStream_tbEUlRKS9_E_EESP_ST_SU_mSV_SY_bEUlT_E_NS1_11comp_targetILNS1_3genE0ELNS1_11target_archE4294967295ELNS1_3gpuE0ELNS1_3repE0EEENS1_30default_config_static_selectorELNS0_4arch9wavefront6targetE1EEEvSS_: ; @_ZN7rocprim17ROCPRIM_400000_NS6detail17trampoline_kernelINS0_14default_configENS1_27upper_bound_config_selectorIN6thrust23THRUST_200600_302600_NS5tupleIiiNS6_9null_typeES8_S8_S8_S8_S8_S8_S8_EEiEEZNS1_14transform_implILb0ES3_SA_NS6_6detail15normal_iteratorINS6_10device_ptrIS9_EEEENSD_INSE_IiEEEEZNS1_13binary_searchIS3_SA_SG_SG_SI_NS1_21upper_bound_search_opENSC_16wrapped_functionINS0_4lessIvEEbEEEE10hipError_tPvRmT1_T2_T3_mmT4_T5_P12ihipStream_tbEUlRKS9_E_EESP_ST_SU_mSV_SY_bEUlT_E_NS1_11comp_targetILNS1_3genE0ELNS1_11target_archE4294967295ELNS1_3gpuE0ELNS1_3repE0EEENS1_30default_config_static_selectorELNS0_4arch9wavefront6targetE1EEEvSS_
; %bb.0:
	.section	.rodata,"a",@progbits
	.p2align	6, 0x0
	.amdhsa_kernel _ZN7rocprim17ROCPRIM_400000_NS6detail17trampoline_kernelINS0_14default_configENS1_27upper_bound_config_selectorIN6thrust23THRUST_200600_302600_NS5tupleIiiNS6_9null_typeES8_S8_S8_S8_S8_S8_S8_EEiEEZNS1_14transform_implILb0ES3_SA_NS6_6detail15normal_iteratorINS6_10device_ptrIS9_EEEENSD_INSE_IiEEEEZNS1_13binary_searchIS3_SA_SG_SG_SI_NS1_21upper_bound_search_opENSC_16wrapped_functionINS0_4lessIvEEbEEEE10hipError_tPvRmT1_T2_T3_mmT4_T5_P12ihipStream_tbEUlRKS9_E_EESP_ST_SU_mSV_SY_bEUlT_E_NS1_11comp_targetILNS1_3genE0ELNS1_11target_archE4294967295ELNS1_3gpuE0ELNS1_3repE0EEENS1_30default_config_static_selectorELNS0_4arch9wavefront6targetE1EEEvSS_
		.amdhsa_group_segment_fixed_size 0
		.amdhsa_private_segment_fixed_size 0
		.amdhsa_kernarg_size 56
		.amdhsa_user_sgpr_count 6
		.amdhsa_user_sgpr_private_segment_buffer 1
		.amdhsa_user_sgpr_dispatch_ptr 0
		.amdhsa_user_sgpr_queue_ptr 0
		.amdhsa_user_sgpr_kernarg_segment_ptr 1
		.amdhsa_user_sgpr_dispatch_id 0
		.amdhsa_user_sgpr_flat_scratch_init 0
		.amdhsa_user_sgpr_private_segment_size 0
		.amdhsa_uses_dynamic_stack 0
		.amdhsa_system_sgpr_private_segment_wavefront_offset 0
		.amdhsa_system_sgpr_workgroup_id_x 1
		.amdhsa_system_sgpr_workgroup_id_y 0
		.amdhsa_system_sgpr_workgroup_id_z 0
		.amdhsa_system_sgpr_workgroup_info 0
		.amdhsa_system_vgpr_workitem_id 0
		.amdhsa_next_free_vgpr 1
		.amdhsa_next_free_sgpr 0
		.amdhsa_reserve_vcc 0
		.amdhsa_reserve_flat_scratch 0
		.amdhsa_float_round_mode_32 0
		.amdhsa_float_round_mode_16_64 0
		.amdhsa_float_denorm_mode_32 3
		.amdhsa_float_denorm_mode_16_64 3
		.amdhsa_dx10_clamp 1
		.amdhsa_ieee_mode 1
		.amdhsa_fp16_overflow 0
		.amdhsa_exception_fp_ieee_invalid_op 0
		.amdhsa_exception_fp_denorm_src 0
		.amdhsa_exception_fp_ieee_div_zero 0
		.amdhsa_exception_fp_ieee_overflow 0
		.amdhsa_exception_fp_ieee_underflow 0
		.amdhsa_exception_fp_ieee_inexact 0
		.amdhsa_exception_int_div_zero 0
	.end_amdhsa_kernel
	.section	.text._ZN7rocprim17ROCPRIM_400000_NS6detail17trampoline_kernelINS0_14default_configENS1_27upper_bound_config_selectorIN6thrust23THRUST_200600_302600_NS5tupleIiiNS6_9null_typeES8_S8_S8_S8_S8_S8_S8_EEiEEZNS1_14transform_implILb0ES3_SA_NS6_6detail15normal_iteratorINS6_10device_ptrIS9_EEEENSD_INSE_IiEEEEZNS1_13binary_searchIS3_SA_SG_SG_SI_NS1_21upper_bound_search_opENSC_16wrapped_functionINS0_4lessIvEEbEEEE10hipError_tPvRmT1_T2_T3_mmT4_T5_P12ihipStream_tbEUlRKS9_E_EESP_ST_SU_mSV_SY_bEUlT_E_NS1_11comp_targetILNS1_3genE0ELNS1_11target_archE4294967295ELNS1_3gpuE0ELNS1_3repE0EEENS1_30default_config_static_selectorELNS0_4arch9wavefront6targetE1EEEvSS_,"axG",@progbits,_ZN7rocprim17ROCPRIM_400000_NS6detail17trampoline_kernelINS0_14default_configENS1_27upper_bound_config_selectorIN6thrust23THRUST_200600_302600_NS5tupleIiiNS6_9null_typeES8_S8_S8_S8_S8_S8_S8_EEiEEZNS1_14transform_implILb0ES3_SA_NS6_6detail15normal_iteratorINS6_10device_ptrIS9_EEEENSD_INSE_IiEEEEZNS1_13binary_searchIS3_SA_SG_SG_SI_NS1_21upper_bound_search_opENSC_16wrapped_functionINS0_4lessIvEEbEEEE10hipError_tPvRmT1_T2_T3_mmT4_T5_P12ihipStream_tbEUlRKS9_E_EESP_ST_SU_mSV_SY_bEUlT_E_NS1_11comp_targetILNS1_3genE0ELNS1_11target_archE4294967295ELNS1_3gpuE0ELNS1_3repE0EEENS1_30default_config_static_selectorELNS0_4arch9wavefront6targetE1EEEvSS_,comdat
.Lfunc_end617:
	.size	_ZN7rocprim17ROCPRIM_400000_NS6detail17trampoline_kernelINS0_14default_configENS1_27upper_bound_config_selectorIN6thrust23THRUST_200600_302600_NS5tupleIiiNS6_9null_typeES8_S8_S8_S8_S8_S8_S8_EEiEEZNS1_14transform_implILb0ES3_SA_NS6_6detail15normal_iteratorINS6_10device_ptrIS9_EEEENSD_INSE_IiEEEEZNS1_13binary_searchIS3_SA_SG_SG_SI_NS1_21upper_bound_search_opENSC_16wrapped_functionINS0_4lessIvEEbEEEE10hipError_tPvRmT1_T2_T3_mmT4_T5_P12ihipStream_tbEUlRKS9_E_EESP_ST_SU_mSV_SY_bEUlT_E_NS1_11comp_targetILNS1_3genE0ELNS1_11target_archE4294967295ELNS1_3gpuE0ELNS1_3repE0EEENS1_30default_config_static_selectorELNS0_4arch9wavefront6targetE1EEEvSS_, .Lfunc_end617-_ZN7rocprim17ROCPRIM_400000_NS6detail17trampoline_kernelINS0_14default_configENS1_27upper_bound_config_selectorIN6thrust23THRUST_200600_302600_NS5tupleIiiNS6_9null_typeES8_S8_S8_S8_S8_S8_S8_EEiEEZNS1_14transform_implILb0ES3_SA_NS6_6detail15normal_iteratorINS6_10device_ptrIS9_EEEENSD_INSE_IiEEEEZNS1_13binary_searchIS3_SA_SG_SG_SI_NS1_21upper_bound_search_opENSC_16wrapped_functionINS0_4lessIvEEbEEEE10hipError_tPvRmT1_T2_T3_mmT4_T5_P12ihipStream_tbEUlRKS9_E_EESP_ST_SU_mSV_SY_bEUlT_E_NS1_11comp_targetILNS1_3genE0ELNS1_11target_archE4294967295ELNS1_3gpuE0ELNS1_3repE0EEENS1_30default_config_static_selectorELNS0_4arch9wavefront6targetE1EEEvSS_
                                        ; -- End function
	.set _ZN7rocprim17ROCPRIM_400000_NS6detail17trampoline_kernelINS0_14default_configENS1_27upper_bound_config_selectorIN6thrust23THRUST_200600_302600_NS5tupleIiiNS6_9null_typeES8_S8_S8_S8_S8_S8_S8_EEiEEZNS1_14transform_implILb0ES3_SA_NS6_6detail15normal_iteratorINS6_10device_ptrIS9_EEEENSD_INSE_IiEEEEZNS1_13binary_searchIS3_SA_SG_SG_SI_NS1_21upper_bound_search_opENSC_16wrapped_functionINS0_4lessIvEEbEEEE10hipError_tPvRmT1_T2_T3_mmT4_T5_P12ihipStream_tbEUlRKS9_E_EESP_ST_SU_mSV_SY_bEUlT_E_NS1_11comp_targetILNS1_3genE0ELNS1_11target_archE4294967295ELNS1_3gpuE0ELNS1_3repE0EEENS1_30default_config_static_selectorELNS0_4arch9wavefront6targetE1EEEvSS_.num_vgpr, 0
	.set _ZN7rocprim17ROCPRIM_400000_NS6detail17trampoline_kernelINS0_14default_configENS1_27upper_bound_config_selectorIN6thrust23THRUST_200600_302600_NS5tupleIiiNS6_9null_typeES8_S8_S8_S8_S8_S8_S8_EEiEEZNS1_14transform_implILb0ES3_SA_NS6_6detail15normal_iteratorINS6_10device_ptrIS9_EEEENSD_INSE_IiEEEEZNS1_13binary_searchIS3_SA_SG_SG_SI_NS1_21upper_bound_search_opENSC_16wrapped_functionINS0_4lessIvEEbEEEE10hipError_tPvRmT1_T2_T3_mmT4_T5_P12ihipStream_tbEUlRKS9_E_EESP_ST_SU_mSV_SY_bEUlT_E_NS1_11comp_targetILNS1_3genE0ELNS1_11target_archE4294967295ELNS1_3gpuE0ELNS1_3repE0EEENS1_30default_config_static_selectorELNS0_4arch9wavefront6targetE1EEEvSS_.num_agpr, 0
	.set _ZN7rocprim17ROCPRIM_400000_NS6detail17trampoline_kernelINS0_14default_configENS1_27upper_bound_config_selectorIN6thrust23THRUST_200600_302600_NS5tupleIiiNS6_9null_typeES8_S8_S8_S8_S8_S8_S8_EEiEEZNS1_14transform_implILb0ES3_SA_NS6_6detail15normal_iteratorINS6_10device_ptrIS9_EEEENSD_INSE_IiEEEEZNS1_13binary_searchIS3_SA_SG_SG_SI_NS1_21upper_bound_search_opENSC_16wrapped_functionINS0_4lessIvEEbEEEE10hipError_tPvRmT1_T2_T3_mmT4_T5_P12ihipStream_tbEUlRKS9_E_EESP_ST_SU_mSV_SY_bEUlT_E_NS1_11comp_targetILNS1_3genE0ELNS1_11target_archE4294967295ELNS1_3gpuE0ELNS1_3repE0EEENS1_30default_config_static_selectorELNS0_4arch9wavefront6targetE1EEEvSS_.numbered_sgpr, 0
	.set _ZN7rocprim17ROCPRIM_400000_NS6detail17trampoline_kernelINS0_14default_configENS1_27upper_bound_config_selectorIN6thrust23THRUST_200600_302600_NS5tupleIiiNS6_9null_typeES8_S8_S8_S8_S8_S8_S8_EEiEEZNS1_14transform_implILb0ES3_SA_NS6_6detail15normal_iteratorINS6_10device_ptrIS9_EEEENSD_INSE_IiEEEEZNS1_13binary_searchIS3_SA_SG_SG_SI_NS1_21upper_bound_search_opENSC_16wrapped_functionINS0_4lessIvEEbEEEE10hipError_tPvRmT1_T2_T3_mmT4_T5_P12ihipStream_tbEUlRKS9_E_EESP_ST_SU_mSV_SY_bEUlT_E_NS1_11comp_targetILNS1_3genE0ELNS1_11target_archE4294967295ELNS1_3gpuE0ELNS1_3repE0EEENS1_30default_config_static_selectorELNS0_4arch9wavefront6targetE1EEEvSS_.num_named_barrier, 0
	.set _ZN7rocprim17ROCPRIM_400000_NS6detail17trampoline_kernelINS0_14default_configENS1_27upper_bound_config_selectorIN6thrust23THRUST_200600_302600_NS5tupleIiiNS6_9null_typeES8_S8_S8_S8_S8_S8_S8_EEiEEZNS1_14transform_implILb0ES3_SA_NS6_6detail15normal_iteratorINS6_10device_ptrIS9_EEEENSD_INSE_IiEEEEZNS1_13binary_searchIS3_SA_SG_SG_SI_NS1_21upper_bound_search_opENSC_16wrapped_functionINS0_4lessIvEEbEEEE10hipError_tPvRmT1_T2_T3_mmT4_T5_P12ihipStream_tbEUlRKS9_E_EESP_ST_SU_mSV_SY_bEUlT_E_NS1_11comp_targetILNS1_3genE0ELNS1_11target_archE4294967295ELNS1_3gpuE0ELNS1_3repE0EEENS1_30default_config_static_selectorELNS0_4arch9wavefront6targetE1EEEvSS_.private_seg_size, 0
	.set _ZN7rocprim17ROCPRIM_400000_NS6detail17trampoline_kernelINS0_14default_configENS1_27upper_bound_config_selectorIN6thrust23THRUST_200600_302600_NS5tupleIiiNS6_9null_typeES8_S8_S8_S8_S8_S8_S8_EEiEEZNS1_14transform_implILb0ES3_SA_NS6_6detail15normal_iteratorINS6_10device_ptrIS9_EEEENSD_INSE_IiEEEEZNS1_13binary_searchIS3_SA_SG_SG_SI_NS1_21upper_bound_search_opENSC_16wrapped_functionINS0_4lessIvEEbEEEE10hipError_tPvRmT1_T2_T3_mmT4_T5_P12ihipStream_tbEUlRKS9_E_EESP_ST_SU_mSV_SY_bEUlT_E_NS1_11comp_targetILNS1_3genE0ELNS1_11target_archE4294967295ELNS1_3gpuE0ELNS1_3repE0EEENS1_30default_config_static_selectorELNS0_4arch9wavefront6targetE1EEEvSS_.uses_vcc, 0
	.set _ZN7rocprim17ROCPRIM_400000_NS6detail17trampoline_kernelINS0_14default_configENS1_27upper_bound_config_selectorIN6thrust23THRUST_200600_302600_NS5tupleIiiNS6_9null_typeES8_S8_S8_S8_S8_S8_S8_EEiEEZNS1_14transform_implILb0ES3_SA_NS6_6detail15normal_iteratorINS6_10device_ptrIS9_EEEENSD_INSE_IiEEEEZNS1_13binary_searchIS3_SA_SG_SG_SI_NS1_21upper_bound_search_opENSC_16wrapped_functionINS0_4lessIvEEbEEEE10hipError_tPvRmT1_T2_T3_mmT4_T5_P12ihipStream_tbEUlRKS9_E_EESP_ST_SU_mSV_SY_bEUlT_E_NS1_11comp_targetILNS1_3genE0ELNS1_11target_archE4294967295ELNS1_3gpuE0ELNS1_3repE0EEENS1_30default_config_static_selectorELNS0_4arch9wavefront6targetE1EEEvSS_.uses_flat_scratch, 0
	.set _ZN7rocprim17ROCPRIM_400000_NS6detail17trampoline_kernelINS0_14default_configENS1_27upper_bound_config_selectorIN6thrust23THRUST_200600_302600_NS5tupleIiiNS6_9null_typeES8_S8_S8_S8_S8_S8_S8_EEiEEZNS1_14transform_implILb0ES3_SA_NS6_6detail15normal_iteratorINS6_10device_ptrIS9_EEEENSD_INSE_IiEEEEZNS1_13binary_searchIS3_SA_SG_SG_SI_NS1_21upper_bound_search_opENSC_16wrapped_functionINS0_4lessIvEEbEEEE10hipError_tPvRmT1_T2_T3_mmT4_T5_P12ihipStream_tbEUlRKS9_E_EESP_ST_SU_mSV_SY_bEUlT_E_NS1_11comp_targetILNS1_3genE0ELNS1_11target_archE4294967295ELNS1_3gpuE0ELNS1_3repE0EEENS1_30default_config_static_selectorELNS0_4arch9wavefront6targetE1EEEvSS_.has_dyn_sized_stack, 0
	.set _ZN7rocprim17ROCPRIM_400000_NS6detail17trampoline_kernelINS0_14default_configENS1_27upper_bound_config_selectorIN6thrust23THRUST_200600_302600_NS5tupleIiiNS6_9null_typeES8_S8_S8_S8_S8_S8_S8_EEiEEZNS1_14transform_implILb0ES3_SA_NS6_6detail15normal_iteratorINS6_10device_ptrIS9_EEEENSD_INSE_IiEEEEZNS1_13binary_searchIS3_SA_SG_SG_SI_NS1_21upper_bound_search_opENSC_16wrapped_functionINS0_4lessIvEEbEEEE10hipError_tPvRmT1_T2_T3_mmT4_T5_P12ihipStream_tbEUlRKS9_E_EESP_ST_SU_mSV_SY_bEUlT_E_NS1_11comp_targetILNS1_3genE0ELNS1_11target_archE4294967295ELNS1_3gpuE0ELNS1_3repE0EEENS1_30default_config_static_selectorELNS0_4arch9wavefront6targetE1EEEvSS_.has_recursion, 0
	.set _ZN7rocprim17ROCPRIM_400000_NS6detail17trampoline_kernelINS0_14default_configENS1_27upper_bound_config_selectorIN6thrust23THRUST_200600_302600_NS5tupleIiiNS6_9null_typeES8_S8_S8_S8_S8_S8_S8_EEiEEZNS1_14transform_implILb0ES3_SA_NS6_6detail15normal_iteratorINS6_10device_ptrIS9_EEEENSD_INSE_IiEEEEZNS1_13binary_searchIS3_SA_SG_SG_SI_NS1_21upper_bound_search_opENSC_16wrapped_functionINS0_4lessIvEEbEEEE10hipError_tPvRmT1_T2_T3_mmT4_T5_P12ihipStream_tbEUlRKS9_E_EESP_ST_SU_mSV_SY_bEUlT_E_NS1_11comp_targetILNS1_3genE0ELNS1_11target_archE4294967295ELNS1_3gpuE0ELNS1_3repE0EEENS1_30default_config_static_selectorELNS0_4arch9wavefront6targetE1EEEvSS_.has_indirect_call, 0
	.section	.AMDGPU.csdata,"",@progbits
; Kernel info:
; codeLenInByte = 0
; TotalNumSgprs: 4
; NumVgprs: 0
; ScratchSize: 0
; MemoryBound: 0
; FloatMode: 240
; IeeeMode: 1
; LDSByteSize: 0 bytes/workgroup (compile time only)
; SGPRBlocks: 0
; VGPRBlocks: 0
; NumSGPRsForWavesPerEU: 4
; NumVGPRsForWavesPerEU: 1
; Occupancy: 10
; WaveLimiterHint : 0
; COMPUTE_PGM_RSRC2:SCRATCH_EN: 0
; COMPUTE_PGM_RSRC2:USER_SGPR: 6
; COMPUTE_PGM_RSRC2:TRAP_HANDLER: 0
; COMPUTE_PGM_RSRC2:TGID_X_EN: 1
; COMPUTE_PGM_RSRC2:TGID_Y_EN: 0
; COMPUTE_PGM_RSRC2:TGID_Z_EN: 0
; COMPUTE_PGM_RSRC2:TIDIG_COMP_CNT: 0
	.section	.text._ZN7rocprim17ROCPRIM_400000_NS6detail17trampoline_kernelINS0_14default_configENS1_27upper_bound_config_selectorIN6thrust23THRUST_200600_302600_NS5tupleIiiNS6_9null_typeES8_S8_S8_S8_S8_S8_S8_EEiEEZNS1_14transform_implILb0ES3_SA_NS6_6detail15normal_iteratorINS6_10device_ptrIS9_EEEENSD_INSE_IiEEEEZNS1_13binary_searchIS3_SA_SG_SG_SI_NS1_21upper_bound_search_opENSC_16wrapped_functionINS0_4lessIvEEbEEEE10hipError_tPvRmT1_T2_T3_mmT4_T5_P12ihipStream_tbEUlRKS9_E_EESP_ST_SU_mSV_SY_bEUlT_E_NS1_11comp_targetILNS1_3genE5ELNS1_11target_archE942ELNS1_3gpuE9ELNS1_3repE0EEENS1_30default_config_static_selectorELNS0_4arch9wavefront6targetE1EEEvSS_,"axG",@progbits,_ZN7rocprim17ROCPRIM_400000_NS6detail17trampoline_kernelINS0_14default_configENS1_27upper_bound_config_selectorIN6thrust23THRUST_200600_302600_NS5tupleIiiNS6_9null_typeES8_S8_S8_S8_S8_S8_S8_EEiEEZNS1_14transform_implILb0ES3_SA_NS6_6detail15normal_iteratorINS6_10device_ptrIS9_EEEENSD_INSE_IiEEEEZNS1_13binary_searchIS3_SA_SG_SG_SI_NS1_21upper_bound_search_opENSC_16wrapped_functionINS0_4lessIvEEbEEEE10hipError_tPvRmT1_T2_T3_mmT4_T5_P12ihipStream_tbEUlRKS9_E_EESP_ST_SU_mSV_SY_bEUlT_E_NS1_11comp_targetILNS1_3genE5ELNS1_11target_archE942ELNS1_3gpuE9ELNS1_3repE0EEENS1_30default_config_static_selectorELNS0_4arch9wavefront6targetE1EEEvSS_,comdat
	.protected	_ZN7rocprim17ROCPRIM_400000_NS6detail17trampoline_kernelINS0_14default_configENS1_27upper_bound_config_selectorIN6thrust23THRUST_200600_302600_NS5tupleIiiNS6_9null_typeES8_S8_S8_S8_S8_S8_S8_EEiEEZNS1_14transform_implILb0ES3_SA_NS6_6detail15normal_iteratorINS6_10device_ptrIS9_EEEENSD_INSE_IiEEEEZNS1_13binary_searchIS3_SA_SG_SG_SI_NS1_21upper_bound_search_opENSC_16wrapped_functionINS0_4lessIvEEbEEEE10hipError_tPvRmT1_T2_T3_mmT4_T5_P12ihipStream_tbEUlRKS9_E_EESP_ST_SU_mSV_SY_bEUlT_E_NS1_11comp_targetILNS1_3genE5ELNS1_11target_archE942ELNS1_3gpuE9ELNS1_3repE0EEENS1_30default_config_static_selectorELNS0_4arch9wavefront6targetE1EEEvSS_ ; -- Begin function _ZN7rocprim17ROCPRIM_400000_NS6detail17trampoline_kernelINS0_14default_configENS1_27upper_bound_config_selectorIN6thrust23THRUST_200600_302600_NS5tupleIiiNS6_9null_typeES8_S8_S8_S8_S8_S8_S8_EEiEEZNS1_14transform_implILb0ES3_SA_NS6_6detail15normal_iteratorINS6_10device_ptrIS9_EEEENSD_INSE_IiEEEEZNS1_13binary_searchIS3_SA_SG_SG_SI_NS1_21upper_bound_search_opENSC_16wrapped_functionINS0_4lessIvEEbEEEE10hipError_tPvRmT1_T2_T3_mmT4_T5_P12ihipStream_tbEUlRKS9_E_EESP_ST_SU_mSV_SY_bEUlT_E_NS1_11comp_targetILNS1_3genE5ELNS1_11target_archE942ELNS1_3gpuE9ELNS1_3repE0EEENS1_30default_config_static_selectorELNS0_4arch9wavefront6targetE1EEEvSS_
	.globl	_ZN7rocprim17ROCPRIM_400000_NS6detail17trampoline_kernelINS0_14default_configENS1_27upper_bound_config_selectorIN6thrust23THRUST_200600_302600_NS5tupleIiiNS6_9null_typeES8_S8_S8_S8_S8_S8_S8_EEiEEZNS1_14transform_implILb0ES3_SA_NS6_6detail15normal_iteratorINS6_10device_ptrIS9_EEEENSD_INSE_IiEEEEZNS1_13binary_searchIS3_SA_SG_SG_SI_NS1_21upper_bound_search_opENSC_16wrapped_functionINS0_4lessIvEEbEEEE10hipError_tPvRmT1_T2_T3_mmT4_T5_P12ihipStream_tbEUlRKS9_E_EESP_ST_SU_mSV_SY_bEUlT_E_NS1_11comp_targetILNS1_3genE5ELNS1_11target_archE942ELNS1_3gpuE9ELNS1_3repE0EEENS1_30default_config_static_selectorELNS0_4arch9wavefront6targetE1EEEvSS_
	.p2align	8
	.type	_ZN7rocprim17ROCPRIM_400000_NS6detail17trampoline_kernelINS0_14default_configENS1_27upper_bound_config_selectorIN6thrust23THRUST_200600_302600_NS5tupleIiiNS6_9null_typeES8_S8_S8_S8_S8_S8_S8_EEiEEZNS1_14transform_implILb0ES3_SA_NS6_6detail15normal_iteratorINS6_10device_ptrIS9_EEEENSD_INSE_IiEEEEZNS1_13binary_searchIS3_SA_SG_SG_SI_NS1_21upper_bound_search_opENSC_16wrapped_functionINS0_4lessIvEEbEEEE10hipError_tPvRmT1_T2_T3_mmT4_T5_P12ihipStream_tbEUlRKS9_E_EESP_ST_SU_mSV_SY_bEUlT_E_NS1_11comp_targetILNS1_3genE5ELNS1_11target_archE942ELNS1_3gpuE9ELNS1_3repE0EEENS1_30default_config_static_selectorELNS0_4arch9wavefront6targetE1EEEvSS_,@function
_ZN7rocprim17ROCPRIM_400000_NS6detail17trampoline_kernelINS0_14default_configENS1_27upper_bound_config_selectorIN6thrust23THRUST_200600_302600_NS5tupleIiiNS6_9null_typeES8_S8_S8_S8_S8_S8_S8_EEiEEZNS1_14transform_implILb0ES3_SA_NS6_6detail15normal_iteratorINS6_10device_ptrIS9_EEEENSD_INSE_IiEEEEZNS1_13binary_searchIS3_SA_SG_SG_SI_NS1_21upper_bound_search_opENSC_16wrapped_functionINS0_4lessIvEEbEEEE10hipError_tPvRmT1_T2_T3_mmT4_T5_P12ihipStream_tbEUlRKS9_E_EESP_ST_SU_mSV_SY_bEUlT_E_NS1_11comp_targetILNS1_3genE5ELNS1_11target_archE942ELNS1_3gpuE9ELNS1_3repE0EEENS1_30default_config_static_selectorELNS0_4arch9wavefront6targetE1EEEvSS_: ; @_ZN7rocprim17ROCPRIM_400000_NS6detail17trampoline_kernelINS0_14default_configENS1_27upper_bound_config_selectorIN6thrust23THRUST_200600_302600_NS5tupleIiiNS6_9null_typeES8_S8_S8_S8_S8_S8_S8_EEiEEZNS1_14transform_implILb0ES3_SA_NS6_6detail15normal_iteratorINS6_10device_ptrIS9_EEEENSD_INSE_IiEEEEZNS1_13binary_searchIS3_SA_SG_SG_SI_NS1_21upper_bound_search_opENSC_16wrapped_functionINS0_4lessIvEEbEEEE10hipError_tPvRmT1_T2_T3_mmT4_T5_P12ihipStream_tbEUlRKS9_E_EESP_ST_SU_mSV_SY_bEUlT_E_NS1_11comp_targetILNS1_3genE5ELNS1_11target_archE942ELNS1_3gpuE9ELNS1_3repE0EEENS1_30default_config_static_selectorELNS0_4arch9wavefront6targetE1EEEvSS_
; %bb.0:
	.section	.rodata,"a",@progbits
	.p2align	6, 0x0
	.amdhsa_kernel _ZN7rocprim17ROCPRIM_400000_NS6detail17trampoline_kernelINS0_14default_configENS1_27upper_bound_config_selectorIN6thrust23THRUST_200600_302600_NS5tupleIiiNS6_9null_typeES8_S8_S8_S8_S8_S8_S8_EEiEEZNS1_14transform_implILb0ES3_SA_NS6_6detail15normal_iteratorINS6_10device_ptrIS9_EEEENSD_INSE_IiEEEEZNS1_13binary_searchIS3_SA_SG_SG_SI_NS1_21upper_bound_search_opENSC_16wrapped_functionINS0_4lessIvEEbEEEE10hipError_tPvRmT1_T2_T3_mmT4_T5_P12ihipStream_tbEUlRKS9_E_EESP_ST_SU_mSV_SY_bEUlT_E_NS1_11comp_targetILNS1_3genE5ELNS1_11target_archE942ELNS1_3gpuE9ELNS1_3repE0EEENS1_30default_config_static_selectorELNS0_4arch9wavefront6targetE1EEEvSS_
		.amdhsa_group_segment_fixed_size 0
		.amdhsa_private_segment_fixed_size 0
		.amdhsa_kernarg_size 56
		.amdhsa_user_sgpr_count 6
		.amdhsa_user_sgpr_private_segment_buffer 1
		.amdhsa_user_sgpr_dispatch_ptr 0
		.amdhsa_user_sgpr_queue_ptr 0
		.amdhsa_user_sgpr_kernarg_segment_ptr 1
		.amdhsa_user_sgpr_dispatch_id 0
		.amdhsa_user_sgpr_flat_scratch_init 0
		.amdhsa_user_sgpr_private_segment_size 0
		.amdhsa_uses_dynamic_stack 0
		.amdhsa_system_sgpr_private_segment_wavefront_offset 0
		.amdhsa_system_sgpr_workgroup_id_x 1
		.amdhsa_system_sgpr_workgroup_id_y 0
		.amdhsa_system_sgpr_workgroup_id_z 0
		.amdhsa_system_sgpr_workgroup_info 0
		.amdhsa_system_vgpr_workitem_id 0
		.amdhsa_next_free_vgpr 1
		.amdhsa_next_free_sgpr 0
		.amdhsa_reserve_vcc 0
		.amdhsa_reserve_flat_scratch 0
		.amdhsa_float_round_mode_32 0
		.amdhsa_float_round_mode_16_64 0
		.amdhsa_float_denorm_mode_32 3
		.amdhsa_float_denorm_mode_16_64 3
		.amdhsa_dx10_clamp 1
		.amdhsa_ieee_mode 1
		.amdhsa_fp16_overflow 0
		.amdhsa_exception_fp_ieee_invalid_op 0
		.amdhsa_exception_fp_denorm_src 0
		.amdhsa_exception_fp_ieee_div_zero 0
		.amdhsa_exception_fp_ieee_overflow 0
		.amdhsa_exception_fp_ieee_underflow 0
		.amdhsa_exception_fp_ieee_inexact 0
		.amdhsa_exception_int_div_zero 0
	.end_amdhsa_kernel
	.section	.text._ZN7rocprim17ROCPRIM_400000_NS6detail17trampoline_kernelINS0_14default_configENS1_27upper_bound_config_selectorIN6thrust23THRUST_200600_302600_NS5tupleIiiNS6_9null_typeES8_S8_S8_S8_S8_S8_S8_EEiEEZNS1_14transform_implILb0ES3_SA_NS6_6detail15normal_iteratorINS6_10device_ptrIS9_EEEENSD_INSE_IiEEEEZNS1_13binary_searchIS3_SA_SG_SG_SI_NS1_21upper_bound_search_opENSC_16wrapped_functionINS0_4lessIvEEbEEEE10hipError_tPvRmT1_T2_T3_mmT4_T5_P12ihipStream_tbEUlRKS9_E_EESP_ST_SU_mSV_SY_bEUlT_E_NS1_11comp_targetILNS1_3genE5ELNS1_11target_archE942ELNS1_3gpuE9ELNS1_3repE0EEENS1_30default_config_static_selectorELNS0_4arch9wavefront6targetE1EEEvSS_,"axG",@progbits,_ZN7rocprim17ROCPRIM_400000_NS6detail17trampoline_kernelINS0_14default_configENS1_27upper_bound_config_selectorIN6thrust23THRUST_200600_302600_NS5tupleIiiNS6_9null_typeES8_S8_S8_S8_S8_S8_S8_EEiEEZNS1_14transform_implILb0ES3_SA_NS6_6detail15normal_iteratorINS6_10device_ptrIS9_EEEENSD_INSE_IiEEEEZNS1_13binary_searchIS3_SA_SG_SG_SI_NS1_21upper_bound_search_opENSC_16wrapped_functionINS0_4lessIvEEbEEEE10hipError_tPvRmT1_T2_T3_mmT4_T5_P12ihipStream_tbEUlRKS9_E_EESP_ST_SU_mSV_SY_bEUlT_E_NS1_11comp_targetILNS1_3genE5ELNS1_11target_archE942ELNS1_3gpuE9ELNS1_3repE0EEENS1_30default_config_static_selectorELNS0_4arch9wavefront6targetE1EEEvSS_,comdat
.Lfunc_end618:
	.size	_ZN7rocprim17ROCPRIM_400000_NS6detail17trampoline_kernelINS0_14default_configENS1_27upper_bound_config_selectorIN6thrust23THRUST_200600_302600_NS5tupleIiiNS6_9null_typeES8_S8_S8_S8_S8_S8_S8_EEiEEZNS1_14transform_implILb0ES3_SA_NS6_6detail15normal_iteratorINS6_10device_ptrIS9_EEEENSD_INSE_IiEEEEZNS1_13binary_searchIS3_SA_SG_SG_SI_NS1_21upper_bound_search_opENSC_16wrapped_functionINS0_4lessIvEEbEEEE10hipError_tPvRmT1_T2_T3_mmT4_T5_P12ihipStream_tbEUlRKS9_E_EESP_ST_SU_mSV_SY_bEUlT_E_NS1_11comp_targetILNS1_3genE5ELNS1_11target_archE942ELNS1_3gpuE9ELNS1_3repE0EEENS1_30default_config_static_selectorELNS0_4arch9wavefront6targetE1EEEvSS_, .Lfunc_end618-_ZN7rocprim17ROCPRIM_400000_NS6detail17trampoline_kernelINS0_14default_configENS1_27upper_bound_config_selectorIN6thrust23THRUST_200600_302600_NS5tupleIiiNS6_9null_typeES8_S8_S8_S8_S8_S8_S8_EEiEEZNS1_14transform_implILb0ES3_SA_NS6_6detail15normal_iteratorINS6_10device_ptrIS9_EEEENSD_INSE_IiEEEEZNS1_13binary_searchIS3_SA_SG_SG_SI_NS1_21upper_bound_search_opENSC_16wrapped_functionINS0_4lessIvEEbEEEE10hipError_tPvRmT1_T2_T3_mmT4_T5_P12ihipStream_tbEUlRKS9_E_EESP_ST_SU_mSV_SY_bEUlT_E_NS1_11comp_targetILNS1_3genE5ELNS1_11target_archE942ELNS1_3gpuE9ELNS1_3repE0EEENS1_30default_config_static_selectorELNS0_4arch9wavefront6targetE1EEEvSS_
                                        ; -- End function
	.set _ZN7rocprim17ROCPRIM_400000_NS6detail17trampoline_kernelINS0_14default_configENS1_27upper_bound_config_selectorIN6thrust23THRUST_200600_302600_NS5tupleIiiNS6_9null_typeES8_S8_S8_S8_S8_S8_S8_EEiEEZNS1_14transform_implILb0ES3_SA_NS6_6detail15normal_iteratorINS6_10device_ptrIS9_EEEENSD_INSE_IiEEEEZNS1_13binary_searchIS3_SA_SG_SG_SI_NS1_21upper_bound_search_opENSC_16wrapped_functionINS0_4lessIvEEbEEEE10hipError_tPvRmT1_T2_T3_mmT4_T5_P12ihipStream_tbEUlRKS9_E_EESP_ST_SU_mSV_SY_bEUlT_E_NS1_11comp_targetILNS1_3genE5ELNS1_11target_archE942ELNS1_3gpuE9ELNS1_3repE0EEENS1_30default_config_static_selectorELNS0_4arch9wavefront6targetE1EEEvSS_.num_vgpr, 0
	.set _ZN7rocprim17ROCPRIM_400000_NS6detail17trampoline_kernelINS0_14default_configENS1_27upper_bound_config_selectorIN6thrust23THRUST_200600_302600_NS5tupleIiiNS6_9null_typeES8_S8_S8_S8_S8_S8_S8_EEiEEZNS1_14transform_implILb0ES3_SA_NS6_6detail15normal_iteratorINS6_10device_ptrIS9_EEEENSD_INSE_IiEEEEZNS1_13binary_searchIS3_SA_SG_SG_SI_NS1_21upper_bound_search_opENSC_16wrapped_functionINS0_4lessIvEEbEEEE10hipError_tPvRmT1_T2_T3_mmT4_T5_P12ihipStream_tbEUlRKS9_E_EESP_ST_SU_mSV_SY_bEUlT_E_NS1_11comp_targetILNS1_3genE5ELNS1_11target_archE942ELNS1_3gpuE9ELNS1_3repE0EEENS1_30default_config_static_selectorELNS0_4arch9wavefront6targetE1EEEvSS_.num_agpr, 0
	.set _ZN7rocprim17ROCPRIM_400000_NS6detail17trampoline_kernelINS0_14default_configENS1_27upper_bound_config_selectorIN6thrust23THRUST_200600_302600_NS5tupleIiiNS6_9null_typeES8_S8_S8_S8_S8_S8_S8_EEiEEZNS1_14transform_implILb0ES3_SA_NS6_6detail15normal_iteratorINS6_10device_ptrIS9_EEEENSD_INSE_IiEEEEZNS1_13binary_searchIS3_SA_SG_SG_SI_NS1_21upper_bound_search_opENSC_16wrapped_functionINS0_4lessIvEEbEEEE10hipError_tPvRmT1_T2_T3_mmT4_T5_P12ihipStream_tbEUlRKS9_E_EESP_ST_SU_mSV_SY_bEUlT_E_NS1_11comp_targetILNS1_3genE5ELNS1_11target_archE942ELNS1_3gpuE9ELNS1_3repE0EEENS1_30default_config_static_selectorELNS0_4arch9wavefront6targetE1EEEvSS_.numbered_sgpr, 0
	.set _ZN7rocprim17ROCPRIM_400000_NS6detail17trampoline_kernelINS0_14default_configENS1_27upper_bound_config_selectorIN6thrust23THRUST_200600_302600_NS5tupleIiiNS6_9null_typeES8_S8_S8_S8_S8_S8_S8_EEiEEZNS1_14transform_implILb0ES3_SA_NS6_6detail15normal_iteratorINS6_10device_ptrIS9_EEEENSD_INSE_IiEEEEZNS1_13binary_searchIS3_SA_SG_SG_SI_NS1_21upper_bound_search_opENSC_16wrapped_functionINS0_4lessIvEEbEEEE10hipError_tPvRmT1_T2_T3_mmT4_T5_P12ihipStream_tbEUlRKS9_E_EESP_ST_SU_mSV_SY_bEUlT_E_NS1_11comp_targetILNS1_3genE5ELNS1_11target_archE942ELNS1_3gpuE9ELNS1_3repE0EEENS1_30default_config_static_selectorELNS0_4arch9wavefront6targetE1EEEvSS_.num_named_barrier, 0
	.set _ZN7rocprim17ROCPRIM_400000_NS6detail17trampoline_kernelINS0_14default_configENS1_27upper_bound_config_selectorIN6thrust23THRUST_200600_302600_NS5tupleIiiNS6_9null_typeES8_S8_S8_S8_S8_S8_S8_EEiEEZNS1_14transform_implILb0ES3_SA_NS6_6detail15normal_iteratorINS6_10device_ptrIS9_EEEENSD_INSE_IiEEEEZNS1_13binary_searchIS3_SA_SG_SG_SI_NS1_21upper_bound_search_opENSC_16wrapped_functionINS0_4lessIvEEbEEEE10hipError_tPvRmT1_T2_T3_mmT4_T5_P12ihipStream_tbEUlRKS9_E_EESP_ST_SU_mSV_SY_bEUlT_E_NS1_11comp_targetILNS1_3genE5ELNS1_11target_archE942ELNS1_3gpuE9ELNS1_3repE0EEENS1_30default_config_static_selectorELNS0_4arch9wavefront6targetE1EEEvSS_.private_seg_size, 0
	.set _ZN7rocprim17ROCPRIM_400000_NS6detail17trampoline_kernelINS0_14default_configENS1_27upper_bound_config_selectorIN6thrust23THRUST_200600_302600_NS5tupleIiiNS6_9null_typeES8_S8_S8_S8_S8_S8_S8_EEiEEZNS1_14transform_implILb0ES3_SA_NS6_6detail15normal_iteratorINS6_10device_ptrIS9_EEEENSD_INSE_IiEEEEZNS1_13binary_searchIS3_SA_SG_SG_SI_NS1_21upper_bound_search_opENSC_16wrapped_functionINS0_4lessIvEEbEEEE10hipError_tPvRmT1_T2_T3_mmT4_T5_P12ihipStream_tbEUlRKS9_E_EESP_ST_SU_mSV_SY_bEUlT_E_NS1_11comp_targetILNS1_3genE5ELNS1_11target_archE942ELNS1_3gpuE9ELNS1_3repE0EEENS1_30default_config_static_selectorELNS0_4arch9wavefront6targetE1EEEvSS_.uses_vcc, 0
	.set _ZN7rocprim17ROCPRIM_400000_NS6detail17trampoline_kernelINS0_14default_configENS1_27upper_bound_config_selectorIN6thrust23THRUST_200600_302600_NS5tupleIiiNS6_9null_typeES8_S8_S8_S8_S8_S8_S8_EEiEEZNS1_14transform_implILb0ES3_SA_NS6_6detail15normal_iteratorINS6_10device_ptrIS9_EEEENSD_INSE_IiEEEEZNS1_13binary_searchIS3_SA_SG_SG_SI_NS1_21upper_bound_search_opENSC_16wrapped_functionINS0_4lessIvEEbEEEE10hipError_tPvRmT1_T2_T3_mmT4_T5_P12ihipStream_tbEUlRKS9_E_EESP_ST_SU_mSV_SY_bEUlT_E_NS1_11comp_targetILNS1_3genE5ELNS1_11target_archE942ELNS1_3gpuE9ELNS1_3repE0EEENS1_30default_config_static_selectorELNS0_4arch9wavefront6targetE1EEEvSS_.uses_flat_scratch, 0
	.set _ZN7rocprim17ROCPRIM_400000_NS6detail17trampoline_kernelINS0_14default_configENS1_27upper_bound_config_selectorIN6thrust23THRUST_200600_302600_NS5tupleIiiNS6_9null_typeES8_S8_S8_S8_S8_S8_S8_EEiEEZNS1_14transform_implILb0ES3_SA_NS6_6detail15normal_iteratorINS6_10device_ptrIS9_EEEENSD_INSE_IiEEEEZNS1_13binary_searchIS3_SA_SG_SG_SI_NS1_21upper_bound_search_opENSC_16wrapped_functionINS0_4lessIvEEbEEEE10hipError_tPvRmT1_T2_T3_mmT4_T5_P12ihipStream_tbEUlRKS9_E_EESP_ST_SU_mSV_SY_bEUlT_E_NS1_11comp_targetILNS1_3genE5ELNS1_11target_archE942ELNS1_3gpuE9ELNS1_3repE0EEENS1_30default_config_static_selectorELNS0_4arch9wavefront6targetE1EEEvSS_.has_dyn_sized_stack, 0
	.set _ZN7rocprim17ROCPRIM_400000_NS6detail17trampoline_kernelINS0_14default_configENS1_27upper_bound_config_selectorIN6thrust23THRUST_200600_302600_NS5tupleIiiNS6_9null_typeES8_S8_S8_S8_S8_S8_S8_EEiEEZNS1_14transform_implILb0ES3_SA_NS6_6detail15normal_iteratorINS6_10device_ptrIS9_EEEENSD_INSE_IiEEEEZNS1_13binary_searchIS3_SA_SG_SG_SI_NS1_21upper_bound_search_opENSC_16wrapped_functionINS0_4lessIvEEbEEEE10hipError_tPvRmT1_T2_T3_mmT4_T5_P12ihipStream_tbEUlRKS9_E_EESP_ST_SU_mSV_SY_bEUlT_E_NS1_11comp_targetILNS1_3genE5ELNS1_11target_archE942ELNS1_3gpuE9ELNS1_3repE0EEENS1_30default_config_static_selectorELNS0_4arch9wavefront6targetE1EEEvSS_.has_recursion, 0
	.set _ZN7rocprim17ROCPRIM_400000_NS6detail17trampoline_kernelINS0_14default_configENS1_27upper_bound_config_selectorIN6thrust23THRUST_200600_302600_NS5tupleIiiNS6_9null_typeES8_S8_S8_S8_S8_S8_S8_EEiEEZNS1_14transform_implILb0ES3_SA_NS6_6detail15normal_iteratorINS6_10device_ptrIS9_EEEENSD_INSE_IiEEEEZNS1_13binary_searchIS3_SA_SG_SG_SI_NS1_21upper_bound_search_opENSC_16wrapped_functionINS0_4lessIvEEbEEEE10hipError_tPvRmT1_T2_T3_mmT4_T5_P12ihipStream_tbEUlRKS9_E_EESP_ST_SU_mSV_SY_bEUlT_E_NS1_11comp_targetILNS1_3genE5ELNS1_11target_archE942ELNS1_3gpuE9ELNS1_3repE0EEENS1_30default_config_static_selectorELNS0_4arch9wavefront6targetE1EEEvSS_.has_indirect_call, 0
	.section	.AMDGPU.csdata,"",@progbits
; Kernel info:
; codeLenInByte = 0
; TotalNumSgprs: 4
; NumVgprs: 0
; ScratchSize: 0
; MemoryBound: 0
; FloatMode: 240
; IeeeMode: 1
; LDSByteSize: 0 bytes/workgroup (compile time only)
; SGPRBlocks: 0
; VGPRBlocks: 0
; NumSGPRsForWavesPerEU: 4
; NumVGPRsForWavesPerEU: 1
; Occupancy: 10
; WaveLimiterHint : 0
; COMPUTE_PGM_RSRC2:SCRATCH_EN: 0
; COMPUTE_PGM_RSRC2:USER_SGPR: 6
; COMPUTE_PGM_RSRC2:TRAP_HANDLER: 0
; COMPUTE_PGM_RSRC2:TGID_X_EN: 1
; COMPUTE_PGM_RSRC2:TGID_Y_EN: 0
; COMPUTE_PGM_RSRC2:TGID_Z_EN: 0
; COMPUTE_PGM_RSRC2:TIDIG_COMP_CNT: 0
	.section	.text._ZN7rocprim17ROCPRIM_400000_NS6detail17trampoline_kernelINS0_14default_configENS1_27upper_bound_config_selectorIN6thrust23THRUST_200600_302600_NS5tupleIiiNS6_9null_typeES8_S8_S8_S8_S8_S8_S8_EEiEEZNS1_14transform_implILb0ES3_SA_NS6_6detail15normal_iteratorINS6_10device_ptrIS9_EEEENSD_INSE_IiEEEEZNS1_13binary_searchIS3_SA_SG_SG_SI_NS1_21upper_bound_search_opENSC_16wrapped_functionINS0_4lessIvEEbEEEE10hipError_tPvRmT1_T2_T3_mmT4_T5_P12ihipStream_tbEUlRKS9_E_EESP_ST_SU_mSV_SY_bEUlT_E_NS1_11comp_targetILNS1_3genE4ELNS1_11target_archE910ELNS1_3gpuE8ELNS1_3repE0EEENS1_30default_config_static_selectorELNS0_4arch9wavefront6targetE1EEEvSS_,"axG",@progbits,_ZN7rocprim17ROCPRIM_400000_NS6detail17trampoline_kernelINS0_14default_configENS1_27upper_bound_config_selectorIN6thrust23THRUST_200600_302600_NS5tupleIiiNS6_9null_typeES8_S8_S8_S8_S8_S8_S8_EEiEEZNS1_14transform_implILb0ES3_SA_NS6_6detail15normal_iteratorINS6_10device_ptrIS9_EEEENSD_INSE_IiEEEEZNS1_13binary_searchIS3_SA_SG_SG_SI_NS1_21upper_bound_search_opENSC_16wrapped_functionINS0_4lessIvEEbEEEE10hipError_tPvRmT1_T2_T3_mmT4_T5_P12ihipStream_tbEUlRKS9_E_EESP_ST_SU_mSV_SY_bEUlT_E_NS1_11comp_targetILNS1_3genE4ELNS1_11target_archE910ELNS1_3gpuE8ELNS1_3repE0EEENS1_30default_config_static_selectorELNS0_4arch9wavefront6targetE1EEEvSS_,comdat
	.protected	_ZN7rocprim17ROCPRIM_400000_NS6detail17trampoline_kernelINS0_14default_configENS1_27upper_bound_config_selectorIN6thrust23THRUST_200600_302600_NS5tupleIiiNS6_9null_typeES8_S8_S8_S8_S8_S8_S8_EEiEEZNS1_14transform_implILb0ES3_SA_NS6_6detail15normal_iteratorINS6_10device_ptrIS9_EEEENSD_INSE_IiEEEEZNS1_13binary_searchIS3_SA_SG_SG_SI_NS1_21upper_bound_search_opENSC_16wrapped_functionINS0_4lessIvEEbEEEE10hipError_tPvRmT1_T2_T3_mmT4_T5_P12ihipStream_tbEUlRKS9_E_EESP_ST_SU_mSV_SY_bEUlT_E_NS1_11comp_targetILNS1_3genE4ELNS1_11target_archE910ELNS1_3gpuE8ELNS1_3repE0EEENS1_30default_config_static_selectorELNS0_4arch9wavefront6targetE1EEEvSS_ ; -- Begin function _ZN7rocprim17ROCPRIM_400000_NS6detail17trampoline_kernelINS0_14default_configENS1_27upper_bound_config_selectorIN6thrust23THRUST_200600_302600_NS5tupleIiiNS6_9null_typeES8_S8_S8_S8_S8_S8_S8_EEiEEZNS1_14transform_implILb0ES3_SA_NS6_6detail15normal_iteratorINS6_10device_ptrIS9_EEEENSD_INSE_IiEEEEZNS1_13binary_searchIS3_SA_SG_SG_SI_NS1_21upper_bound_search_opENSC_16wrapped_functionINS0_4lessIvEEbEEEE10hipError_tPvRmT1_T2_T3_mmT4_T5_P12ihipStream_tbEUlRKS9_E_EESP_ST_SU_mSV_SY_bEUlT_E_NS1_11comp_targetILNS1_3genE4ELNS1_11target_archE910ELNS1_3gpuE8ELNS1_3repE0EEENS1_30default_config_static_selectorELNS0_4arch9wavefront6targetE1EEEvSS_
	.globl	_ZN7rocprim17ROCPRIM_400000_NS6detail17trampoline_kernelINS0_14default_configENS1_27upper_bound_config_selectorIN6thrust23THRUST_200600_302600_NS5tupleIiiNS6_9null_typeES8_S8_S8_S8_S8_S8_S8_EEiEEZNS1_14transform_implILb0ES3_SA_NS6_6detail15normal_iteratorINS6_10device_ptrIS9_EEEENSD_INSE_IiEEEEZNS1_13binary_searchIS3_SA_SG_SG_SI_NS1_21upper_bound_search_opENSC_16wrapped_functionINS0_4lessIvEEbEEEE10hipError_tPvRmT1_T2_T3_mmT4_T5_P12ihipStream_tbEUlRKS9_E_EESP_ST_SU_mSV_SY_bEUlT_E_NS1_11comp_targetILNS1_3genE4ELNS1_11target_archE910ELNS1_3gpuE8ELNS1_3repE0EEENS1_30default_config_static_selectorELNS0_4arch9wavefront6targetE1EEEvSS_
	.p2align	8
	.type	_ZN7rocprim17ROCPRIM_400000_NS6detail17trampoline_kernelINS0_14default_configENS1_27upper_bound_config_selectorIN6thrust23THRUST_200600_302600_NS5tupleIiiNS6_9null_typeES8_S8_S8_S8_S8_S8_S8_EEiEEZNS1_14transform_implILb0ES3_SA_NS6_6detail15normal_iteratorINS6_10device_ptrIS9_EEEENSD_INSE_IiEEEEZNS1_13binary_searchIS3_SA_SG_SG_SI_NS1_21upper_bound_search_opENSC_16wrapped_functionINS0_4lessIvEEbEEEE10hipError_tPvRmT1_T2_T3_mmT4_T5_P12ihipStream_tbEUlRKS9_E_EESP_ST_SU_mSV_SY_bEUlT_E_NS1_11comp_targetILNS1_3genE4ELNS1_11target_archE910ELNS1_3gpuE8ELNS1_3repE0EEENS1_30default_config_static_selectorELNS0_4arch9wavefront6targetE1EEEvSS_,@function
_ZN7rocprim17ROCPRIM_400000_NS6detail17trampoline_kernelINS0_14default_configENS1_27upper_bound_config_selectorIN6thrust23THRUST_200600_302600_NS5tupleIiiNS6_9null_typeES8_S8_S8_S8_S8_S8_S8_EEiEEZNS1_14transform_implILb0ES3_SA_NS6_6detail15normal_iteratorINS6_10device_ptrIS9_EEEENSD_INSE_IiEEEEZNS1_13binary_searchIS3_SA_SG_SG_SI_NS1_21upper_bound_search_opENSC_16wrapped_functionINS0_4lessIvEEbEEEE10hipError_tPvRmT1_T2_T3_mmT4_T5_P12ihipStream_tbEUlRKS9_E_EESP_ST_SU_mSV_SY_bEUlT_E_NS1_11comp_targetILNS1_3genE4ELNS1_11target_archE910ELNS1_3gpuE8ELNS1_3repE0EEENS1_30default_config_static_selectorELNS0_4arch9wavefront6targetE1EEEvSS_: ; @_ZN7rocprim17ROCPRIM_400000_NS6detail17trampoline_kernelINS0_14default_configENS1_27upper_bound_config_selectorIN6thrust23THRUST_200600_302600_NS5tupleIiiNS6_9null_typeES8_S8_S8_S8_S8_S8_S8_EEiEEZNS1_14transform_implILb0ES3_SA_NS6_6detail15normal_iteratorINS6_10device_ptrIS9_EEEENSD_INSE_IiEEEEZNS1_13binary_searchIS3_SA_SG_SG_SI_NS1_21upper_bound_search_opENSC_16wrapped_functionINS0_4lessIvEEbEEEE10hipError_tPvRmT1_T2_T3_mmT4_T5_P12ihipStream_tbEUlRKS9_E_EESP_ST_SU_mSV_SY_bEUlT_E_NS1_11comp_targetILNS1_3genE4ELNS1_11target_archE910ELNS1_3gpuE8ELNS1_3repE0EEENS1_30default_config_static_selectorELNS0_4arch9wavefront6targetE1EEEvSS_
; %bb.0:
	.section	.rodata,"a",@progbits
	.p2align	6, 0x0
	.amdhsa_kernel _ZN7rocprim17ROCPRIM_400000_NS6detail17trampoline_kernelINS0_14default_configENS1_27upper_bound_config_selectorIN6thrust23THRUST_200600_302600_NS5tupleIiiNS6_9null_typeES8_S8_S8_S8_S8_S8_S8_EEiEEZNS1_14transform_implILb0ES3_SA_NS6_6detail15normal_iteratorINS6_10device_ptrIS9_EEEENSD_INSE_IiEEEEZNS1_13binary_searchIS3_SA_SG_SG_SI_NS1_21upper_bound_search_opENSC_16wrapped_functionINS0_4lessIvEEbEEEE10hipError_tPvRmT1_T2_T3_mmT4_T5_P12ihipStream_tbEUlRKS9_E_EESP_ST_SU_mSV_SY_bEUlT_E_NS1_11comp_targetILNS1_3genE4ELNS1_11target_archE910ELNS1_3gpuE8ELNS1_3repE0EEENS1_30default_config_static_selectorELNS0_4arch9wavefront6targetE1EEEvSS_
		.amdhsa_group_segment_fixed_size 0
		.amdhsa_private_segment_fixed_size 0
		.amdhsa_kernarg_size 56
		.amdhsa_user_sgpr_count 6
		.amdhsa_user_sgpr_private_segment_buffer 1
		.amdhsa_user_sgpr_dispatch_ptr 0
		.amdhsa_user_sgpr_queue_ptr 0
		.amdhsa_user_sgpr_kernarg_segment_ptr 1
		.amdhsa_user_sgpr_dispatch_id 0
		.amdhsa_user_sgpr_flat_scratch_init 0
		.amdhsa_user_sgpr_private_segment_size 0
		.amdhsa_uses_dynamic_stack 0
		.amdhsa_system_sgpr_private_segment_wavefront_offset 0
		.amdhsa_system_sgpr_workgroup_id_x 1
		.amdhsa_system_sgpr_workgroup_id_y 0
		.amdhsa_system_sgpr_workgroup_id_z 0
		.amdhsa_system_sgpr_workgroup_info 0
		.amdhsa_system_vgpr_workitem_id 0
		.amdhsa_next_free_vgpr 1
		.amdhsa_next_free_sgpr 0
		.amdhsa_reserve_vcc 0
		.amdhsa_reserve_flat_scratch 0
		.amdhsa_float_round_mode_32 0
		.amdhsa_float_round_mode_16_64 0
		.amdhsa_float_denorm_mode_32 3
		.amdhsa_float_denorm_mode_16_64 3
		.amdhsa_dx10_clamp 1
		.amdhsa_ieee_mode 1
		.amdhsa_fp16_overflow 0
		.amdhsa_exception_fp_ieee_invalid_op 0
		.amdhsa_exception_fp_denorm_src 0
		.amdhsa_exception_fp_ieee_div_zero 0
		.amdhsa_exception_fp_ieee_overflow 0
		.amdhsa_exception_fp_ieee_underflow 0
		.amdhsa_exception_fp_ieee_inexact 0
		.amdhsa_exception_int_div_zero 0
	.end_amdhsa_kernel
	.section	.text._ZN7rocprim17ROCPRIM_400000_NS6detail17trampoline_kernelINS0_14default_configENS1_27upper_bound_config_selectorIN6thrust23THRUST_200600_302600_NS5tupleIiiNS6_9null_typeES8_S8_S8_S8_S8_S8_S8_EEiEEZNS1_14transform_implILb0ES3_SA_NS6_6detail15normal_iteratorINS6_10device_ptrIS9_EEEENSD_INSE_IiEEEEZNS1_13binary_searchIS3_SA_SG_SG_SI_NS1_21upper_bound_search_opENSC_16wrapped_functionINS0_4lessIvEEbEEEE10hipError_tPvRmT1_T2_T3_mmT4_T5_P12ihipStream_tbEUlRKS9_E_EESP_ST_SU_mSV_SY_bEUlT_E_NS1_11comp_targetILNS1_3genE4ELNS1_11target_archE910ELNS1_3gpuE8ELNS1_3repE0EEENS1_30default_config_static_selectorELNS0_4arch9wavefront6targetE1EEEvSS_,"axG",@progbits,_ZN7rocprim17ROCPRIM_400000_NS6detail17trampoline_kernelINS0_14default_configENS1_27upper_bound_config_selectorIN6thrust23THRUST_200600_302600_NS5tupleIiiNS6_9null_typeES8_S8_S8_S8_S8_S8_S8_EEiEEZNS1_14transform_implILb0ES3_SA_NS6_6detail15normal_iteratorINS6_10device_ptrIS9_EEEENSD_INSE_IiEEEEZNS1_13binary_searchIS3_SA_SG_SG_SI_NS1_21upper_bound_search_opENSC_16wrapped_functionINS0_4lessIvEEbEEEE10hipError_tPvRmT1_T2_T3_mmT4_T5_P12ihipStream_tbEUlRKS9_E_EESP_ST_SU_mSV_SY_bEUlT_E_NS1_11comp_targetILNS1_3genE4ELNS1_11target_archE910ELNS1_3gpuE8ELNS1_3repE0EEENS1_30default_config_static_selectorELNS0_4arch9wavefront6targetE1EEEvSS_,comdat
.Lfunc_end619:
	.size	_ZN7rocprim17ROCPRIM_400000_NS6detail17trampoline_kernelINS0_14default_configENS1_27upper_bound_config_selectorIN6thrust23THRUST_200600_302600_NS5tupleIiiNS6_9null_typeES8_S8_S8_S8_S8_S8_S8_EEiEEZNS1_14transform_implILb0ES3_SA_NS6_6detail15normal_iteratorINS6_10device_ptrIS9_EEEENSD_INSE_IiEEEEZNS1_13binary_searchIS3_SA_SG_SG_SI_NS1_21upper_bound_search_opENSC_16wrapped_functionINS0_4lessIvEEbEEEE10hipError_tPvRmT1_T2_T3_mmT4_T5_P12ihipStream_tbEUlRKS9_E_EESP_ST_SU_mSV_SY_bEUlT_E_NS1_11comp_targetILNS1_3genE4ELNS1_11target_archE910ELNS1_3gpuE8ELNS1_3repE0EEENS1_30default_config_static_selectorELNS0_4arch9wavefront6targetE1EEEvSS_, .Lfunc_end619-_ZN7rocprim17ROCPRIM_400000_NS6detail17trampoline_kernelINS0_14default_configENS1_27upper_bound_config_selectorIN6thrust23THRUST_200600_302600_NS5tupleIiiNS6_9null_typeES8_S8_S8_S8_S8_S8_S8_EEiEEZNS1_14transform_implILb0ES3_SA_NS6_6detail15normal_iteratorINS6_10device_ptrIS9_EEEENSD_INSE_IiEEEEZNS1_13binary_searchIS3_SA_SG_SG_SI_NS1_21upper_bound_search_opENSC_16wrapped_functionINS0_4lessIvEEbEEEE10hipError_tPvRmT1_T2_T3_mmT4_T5_P12ihipStream_tbEUlRKS9_E_EESP_ST_SU_mSV_SY_bEUlT_E_NS1_11comp_targetILNS1_3genE4ELNS1_11target_archE910ELNS1_3gpuE8ELNS1_3repE0EEENS1_30default_config_static_selectorELNS0_4arch9wavefront6targetE1EEEvSS_
                                        ; -- End function
	.set _ZN7rocprim17ROCPRIM_400000_NS6detail17trampoline_kernelINS0_14default_configENS1_27upper_bound_config_selectorIN6thrust23THRUST_200600_302600_NS5tupleIiiNS6_9null_typeES8_S8_S8_S8_S8_S8_S8_EEiEEZNS1_14transform_implILb0ES3_SA_NS6_6detail15normal_iteratorINS6_10device_ptrIS9_EEEENSD_INSE_IiEEEEZNS1_13binary_searchIS3_SA_SG_SG_SI_NS1_21upper_bound_search_opENSC_16wrapped_functionINS0_4lessIvEEbEEEE10hipError_tPvRmT1_T2_T3_mmT4_T5_P12ihipStream_tbEUlRKS9_E_EESP_ST_SU_mSV_SY_bEUlT_E_NS1_11comp_targetILNS1_3genE4ELNS1_11target_archE910ELNS1_3gpuE8ELNS1_3repE0EEENS1_30default_config_static_selectorELNS0_4arch9wavefront6targetE1EEEvSS_.num_vgpr, 0
	.set _ZN7rocprim17ROCPRIM_400000_NS6detail17trampoline_kernelINS0_14default_configENS1_27upper_bound_config_selectorIN6thrust23THRUST_200600_302600_NS5tupleIiiNS6_9null_typeES8_S8_S8_S8_S8_S8_S8_EEiEEZNS1_14transform_implILb0ES3_SA_NS6_6detail15normal_iteratorINS6_10device_ptrIS9_EEEENSD_INSE_IiEEEEZNS1_13binary_searchIS3_SA_SG_SG_SI_NS1_21upper_bound_search_opENSC_16wrapped_functionINS0_4lessIvEEbEEEE10hipError_tPvRmT1_T2_T3_mmT4_T5_P12ihipStream_tbEUlRKS9_E_EESP_ST_SU_mSV_SY_bEUlT_E_NS1_11comp_targetILNS1_3genE4ELNS1_11target_archE910ELNS1_3gpuE8ELNS1_3repE0EEENS1_30default_config_static_selectorELNS0_4arch9wavefront6targetE1EEEvSS_.num_agpr, 0
	.set _ZN7rocprim17ROCPRIM_400000_NS6detail17trampoline_kernelINS0_14default_configENS1_27upper_bound_config_selectorIN6thrust23THRUST_200600_302600_NS5tupleIiiNS6_9null_typeES8_S8_S8_S8_S8_S8_S8_EEiEEZNS1_14transform_implILb0ES3_SA_NS6_6detail15normal_iteratorINS6_10device_ptrIS9_EEEENSD_INSE_IiEEEEZNS1_13binary_searchIS3_SA_SG_SG_SI_NS1_21upper_bound_search_opENSC_16wrapped_functionINS0_4lessIvEEbEEEE10hipError_tPvRmT1_T2_T3_mmT4_T5_P12ihipStream_tbEUlRKS9_E_EESP_ST_SU_mSV_SY_bEUlT_E_NS1_11comp_targetILNS1_3genE4ELNS1_11target_archE910ELNS1_3gpuE8ELNS1_3repE0EEENS1_30default_config_static_selectorELNS0_4arch9wavefront6targetE1EEEvSS_.numbered_sgpr, 0
	.set _ZN7rocprim17ROCPRIM_400000_NS6detail17trampoline_kernelINS0_14default_configENS1_27upper_bound_config_selectorIN6thrust23THRUST_200600_302600_NS5tupleIiiNS6_9null_typeES8_S8_S8_S8_S8_S8_S8_EEiEEZNS1_14transform_implILb0ES3_SA_NS6_6detail15normal_iteratorINS6_10device_ptrIS9_EEEENSD_INSE_IiEEEEZNS1_13binary_searchIS3_SA_SG_SG_SI_NS1_21upper_bound_search_opENSC_16wrapped_functionINS0_4lessIvEEbEEEE10hipError_tPvRmT1_T2_T3_mmT4_T5_P12ihipStream_tbEUlRKS9_E_EESP_ST_SU_mSV_SY_bEUlT_E_NS1_11comp_targetILNS1_3genE4ELNS1_11target_archE910ELNS1_3gpuE8ELNS1_3repE0EEENS1_30default_config_static_selectorELNS0_4arch9wavefront6targetE1EEEvSS_.num_named_barrier, 0
	.set _ZN7rocprim17ROCPRIM_400000_NS6detail17trampoline_kernelINS0_14default_configENS1_27upper_bound_config_selectorIN6thrust23THRUST_200600_302600_NS5tupleIiiNS6_9null_typeES8_S8_S8_S8_S8_S8_S8_EEiEEZNS1_14transform_implILb0ES3_SA_NS6_6detail15normal_iteratorINS6_10device_ptrIS9_EEEENSD_INSE_IiEEEEZNS1_13binary_searchIS3_SA_SG_SG_SI_NS1_21upper_bound_search_opENSC_16wrapped_functionINS0_4lessIvEEbEEEE10hipError_tPvRmT1_T2_T3_mmT4_T5_P12ihipStream_tbEUlRKS9_E_EESP_ST_SU_mSV_SY_bEUlT_E_NS1_11comp_targetILNS1_3genE4ELNS1_11target_archE910ELNS1_3gpuE8ELNS1_3repE0EEENS1_30default_config_static_selectorELNS0_4arch9wavefront6targetE1EEEvSS_.private_seg_size, 0
	.set _ZN7rocprim17ROCPRIM_400000_NS6detail17trampoline_kernelINS0_14default_configENS1_27upper_bound_config_selectorIN6thrust23THRUST_200600_302600_NS5tupleIiiNS6_9null_typeES8_S8_S8_S8_S8_S8_S8_EEiEEZNS1_14transform_implILb0ES3_SA_NS6_6detail15normal_iteratorINS6_10device_ptrIS9_EEEENSD_INSE_IiEEEEZNS1_13binary_searchIS3_SA_SG_SG_SI_NS1_21upper_bound_search_opENSC_16wrapped_functionINS0_4lessIvEEbEEEE10hipError_tPvRmT1_T2_T3_mmT4_T5_P12ihipStream_tbEUlRKS9_E_EESP_ST_SU_mSV_SY_bEUlT_E_NS1_11comp_targetILNS1_3genE4ELNS1_11target_archE910ELNS1_3gpuE8ELNS1_3repE0EEENS1_30default_config_static_selectorELNS0_4arch9wavefront6targetE1EEEvSS_.uses_vcc, 0
	.set _ZN7rocprim17ROCPRIM_400000_NS6detail17trampoline_kernelINS0_14default_configENS1_27upper_bound_config_selectorIN6thrust23THRUST_200600_302600_NS5tupleIiiNS6_9null_typeES8_S8_S8_S8_S8_S8_S8_EEiEEZNS1_14transform_implILb0ES3_SA_NS6_6detail15normal_iteratorINS6_10device_ptrIS9_EEEENSD_INSE_IiEEEEZNS1_13binary_searchIS3_SA_SG_SG_SI_NS1_21upper_bound_search_opENSC_16wrapped_functionINS0_4lessIvEEbEEEE10hipError_tPvRmT1_T2_T3_mmT4_T5_P12ihipStream_tbEUlRKS9_E_EESP_ST_SU_mSV_SY_bEUlT_E_NS1_11comp_targetILNS1_3genE4ELNS1_11target_archE910ELNS1_3gpuE8ELNS1_3repE0EEENS1_30default_config_static_selectorELNS0_4arch9wavefront6targetE1EEEvSS_.uses_flat_scratch, 0
	.set _ZN7rocprim17ROCPRIM_400000_NS6detail17trampoline_kernelINS0_14default_configENS1_27upper_bound_config_selectorIN6thrust23THRUST_200600_302600_NS5tupleIiiNS6_9null_typeES8_S8_S8_S8_S8_S8_S8_EEiEEZNS1_14transform_implILb0ES3_SA_NS6_6detail15normal_iteratorINS6_10device_ptrIS9_EEEENSD_INSE_IiEEEEZNS1_13binary_searchIS3_SA_SG_SG_SI_NS1_21upper_bound_search_opENSC_16wrapped_functionINS0_4lessIvEEbEEEE10hipError_tPvRmT1_T2_T3_mmT4_T5_P12ihipStream_tbEUlRKS9_E_EESP_ST_SU_mSV_SY_bEUlT_E_NS1_11comp_targetILNS1_3genE4ELNS1_11target_archE910ELNS1_3gpuE8ELNS1_3repE0EEENS1_30default_config_static_selectorELNS0_4arch9wavefront6targetE1EEEvSS_.has_dyn_sized_stack, 0
	.set _ZN7rocprim17ROCPRIM_400000_NS6detail17trampoline_kernelINS0_14default_configENS1_27upper_bound_config_selectorIN6thrust23THRUST_200600_302600_NS5tupleIiiNS6_9null_typeES8_S8_S8_S8_S8_S8_S8_EEiEEZNS1_14transform_implILb0ES3_SA_NS6_6detail15normal_iteratorINS6_10device_ptrIS9_EEEENSD_INSE_IiEEEEZNS1_13binary_searchIS3_SA_SG_SG_SI_NS1_21upper_bound_search_opENSC_16wrapped_functionINS0_4lessIvEEbEEEE10hipError_tPvRmT1_T2_T3_mmT4_T5_P12ihipStream_tbEUlRKS9_E_EESP_ST_SU_mSV_SY_bEUlT_E_NS1_11comp_targetILNS1_3genE4ELNS1_11target_archE910ELNS1_3gpuE8ELNS1_3repE0EEENS1_30default_config_static_selectorELNS0_4arch9wavefront6targetE1EEEvSS_.has_recursion, 0
	.set _ZN7rocprim17ROCPRIM_400000_NS6detail17trampoline_kernelINS0_14default_configENS1_27upper_bound_config_selectorIN6thrust23THRUST_200600_302600_NS5tupleIiiNS6_9null_typeES8_S8_S8_S8_S8_S8_S8_EEiEEZNS1_14transform_implILb0ES3_SA_NS6_6detail15normal_iteratorINS6_10device_ptrIS9_EEEENSD_INSE_IiEEEEZNS1_13binary_searchIS3_SA_SG_SG_SI_NS1_21upper_bound_search_opENSC_16wrapped_functionINS0_4lessIvEEbEEEE10hipError_tPvRmT1_T2_T3_mmT4_T5_P12ihipStream_tbEUlRKS9_E_EESP_ST_SU_mSV_SY_bEUlT_E_NS1_11comp_targetILNS1_3genE4ELNS1_11target_archE910ELNS1_3gpuE8ELNS1_3repE0EEENS1_30default_config_static_selectorELNS0_4arch9wavefront6targetE1EEEvSS_.has_indirect_call, 0
	.section	.AMDGPU.csdata,"",@progbits
; Kernel info:
; codeLenInByte = 0
; TotalNumSgprs: 4
; NumVgprs: 0
; ScratchSize: 0
; MemoryBound: 0
; FloatMode: 240
; IeeeMode: 1
; LDSByteSize: 0 bytes/workgroup (compile time only)
; SGPRBlocks: 0
; VGPRBlocks: 0
; NumSGPRsForWavesPerEU: 4
; NumVGPRsForWavesPerEU: 1
; Occupancy: 10
; WaveLimiterHint : 0
; COMPUTE_PGM_RSRC2:SCRATCH_EN: 0
; COMPUTE_PGM_RSRC2:USER_SGPR: 6
; COMPUTE_PGM_RSRC2:TRAP_HANDLER: 0
; COMPUTE_PGM_RSRC2:TGID_X_EN: 1
; COMPUTE_PGM_RSRC2:TGID_Y_EN: 0
; COMPUTE_PGM_RSRC2:TGID_Z_EN: 0
; COMPUTE_PGM_RSRC2:TIDIG_COMP_CNT: 0
	.section	.text._ZN7rocprim17ROCPRIM_400000_NS6detail17trampoline_kernelINS0_14default_configENS1_27upper_bound_config_selectorIN6thrust23THRUST_200600_302600_NS5tupleIiiNS6_9null_typeES8_S8_S8_S8_S8_S8_S8_EEiEEZNS1_14transform_implILb0ES3_SA_NS6_6detail15normal_iteratorINS6_10device_ptrIS9_EEEENSD_INSE_IiEEEEZNS1_13binary_searchIS3_SA_SG_SG_SI_NS1_21upper_bound_search_opENSC_16wrapped_functionINS0_4lessIvEEbEEEE10hipError_tPvRmT1_T2_T3_mmT4_T5_P12ihipStream_tbEUlRKS9_E_EESP_ST_SU_mSV_SY_bEUlT_E_NS1_11comp_targetILNS1_3genE3ELNS1_11target_archE908ELNS1_3gpuE7ELNS1_3repE0EEENS1_30default_config_static_selectorELNS0_4arch9wavefront6targetE1EEEvSS_,"axG",@progbits,_ZN7rocprim17ROCPRIM_400000_NS6detail17trampoline_kernelINS0_14default_configENS1_27upper_bound_config_selectorIN6thrust23THRUST_200600_302600_NS5tupleIiiNS6_9null_typeES8_S8_S8_S8_S8_S8_S8_EEiEEZNS1_14transform_implILb0ES3_SA_NS6_6detail15normal_iteratorINS6_10device_ptrIS9_EEEENSD_INSE_IiEEEEZNS1_13binary_searchIS3_SA_SG_SG_SI_NS1_21upper_bound_search_opENSC_16wrapped_functionINS0_4lessIvEEbEEEE10hipError_tPvRmT1_T2_T3_mmT4_T5_P12ihipStream_tbEUlRKS9_E_EESP_ST_SU_mSV_SY_bEUlT_E_NS1_11comp_targetILNS1_3genE3ELNS1_11target_archE908ELNS1_3gpuE7ELNS1_3repE0EEENS1_30default_config_static_selectorELNS0_4arch9wavefront6targetE1EEEvSS_,comdat
	.protected	_ZN7rocprim17ROCPRIM_400000_NS6detail17trampoline_kernelINS0_14default_configENS1_27upper_bound_config_selectorIN6thrust23THRUST_200600_302600_NS5tupleIiiNS6_9null_typeES8_S8_S8_S8_S8_S8_S8_EEiEEZNS1_14transform_implILb0ES3_SA_NS6_6detail15normal_iteratorINS6_10device_ptrIS9_EEEENSD_INSE_IiEEEEZNS1_13binary_searchIS3_SA_SG_SG_SI_NS1_21upper_bound_search_opENSC_16wrapped_functionINS0_4lessIvEEbEEEE10hipError_tPvRmT1_T2_T3_mmT4_T5_P12ihipStream_tbEUlRKS9_E_EESP_ST_SU_mSV_SY_bEUlT_E_NS1_11comp_targetILNS1_3genE3ELNS1_11target_archE908ELNS1_3gpuE7ELNS1_3repE0EEENS1_30default_config_static_selectorELNS0_4arch9wavefront6targetE1EEEvSS_ ; -- Begin function _ZN7rocprim17ROCPRIM_400000_NS6detail17trampoline_kernelINS0_14default_configENS1_27upper_bound_config_selectorIN6thrust23THRUST_200600_302600_NS5tupleIiiNS6_9null_typeES8_S8_S8_S8_S8_S8_S8_EEiEEZNS1_14transform_implILb0ES3_SA_NS6_6detail15normal_iteratorINS6_10device_ptrIS9_EEEENSD_INSE_IiEEEEZNS1_13binary_searchIS3_SA_SG_SG_SI_NS1_21upper_bound_search_opENSC_16wrapped_functionINS0_4lessIvEEbEEEE10hipError_tPvRmT1_T2_T3_mmT4_T5_P12ihipStream_tbEUlRKS9_E_EESP_ST_SU_mSV_SY_bEUlT_E_NS1_11comp_targetILNS1_3genE3ELNS1_11target_archE908ELNS1_3gpuE7ELNS1_3repE0EEENS1_30default_config_static_selectorELNS0_4arch9wavefront6targetE1EEEvSS_
	.globl	_ZN7rocprim17ROCPRIM_400000_NS6detail17trampoline_kernelINS0_14default_configENS1_27upper_bound_config_selectorIN6thrust23THRUST_200600_302600_NS5tupleIiiNS6_9null_typeES8_S8_S8_S8_S8_S8_S8_EEiEEZNS1_14transform_implILb0ES3_SA_NS6_6detail15normal_iteratorINS6_10device_ptrIS9_EEEENSD_INSE_IiEEEEZNS1_13binary_searchIS3_SA_SG_SG_SI_NS1_21upper_bound_search_opENSC_16wrapped_functionINS0_4lessIvEEbEEEE10hipError_tPvRmT1_T2_T3_mmT4_T5_P12ihipStream_tbEUlRKS9_E_EESP_ST_SU_mSV_SY_bEUlT_E_NS1_11comp_targetILNS1_3genE3ELNS1_11target_archE908ELNS1_3gpuE7ELNS1_3repE0EEENS1_30default_config_static_selectorELNS0_4arch9wavefront6targetE1EEEvSS_
	.p2align	8
	.type	_ZN7rocprim17ROCPRIM_400000_NS6detail17trampoline_kernelINS0_14default_configENS1_27upper_bound_config_selectorIN6thrust23THRUST_200600_302600_NS5tupleIiiNS6_9null_typeES8_S8_S8_S8_S8_S8_S8_EEiEEZNS1_14transform_implILb0ES3_SA_NS6_6detail15normal_iteratorINS6_10device_ptrIS9_EEEENSD_INSE_IiEEEEZNS1_13binary_searchIS3_SA_SG_SG_SI_NS1_21upper_bound_search_opENSC_16wrapped_functionINS0_4lessIvEEbEEEE10hipError_tPvRmT1_T2_T3_mmT4_T5_P12ihipStream_tbEUlRKS9_E_EESP_ST_SU_mSV_SY_bEUlT_E_NS1_11comp_targetILNS1_3genE3ELNS1_11target_archE908ELNS1_3gpuE7ELNS1_3repE0EEENS1_30default_config_static_selectorELNS0_4arch9wavefront6targetE1EEEvSS_,@function
_ZN7rocprim17ROCPRIM_400000_NS6detail17trampoline_kernelINS0_14default_configENS1_27upper_bound_config_selectorIN6thrust23THRUST_200600_302600_NS5tupleIiiNS6_9null_typeES8_S8_S8_S8_S8_S8_S8_EEiEEZNS1_14transform_implILb0ES3_SA_NS6_6detail15normal_iteratorINS6_10device_ptrIS9_EEEENSD_INSE_IiEEEEZNS1_13binary_searchIS3_SA_SG_SG_SI_NS1_21upper_bound_search_opENSC_16wrapped_functionINS0_4lessIvEEbEEEE10hipError_tPvRmT1_T2_T3_mmT4_T5_P12ihipStream_tbEUlRKS9_E_EESP_ST_SU_mSV_SY_bEUlT_E_NS1_11comp_targetILNS1_3genE3ELNS1_11target_archE908ELNS1_3gpuE7ELNS1_3repE0EEENS1_30default_config_static_selectorELNS0_4arch9wavefront6targetE1EEEvSS_: ; @_ZN7rocprim17ROCPRIM_400000_NS6detail17trampoline_kernelINS0_14default_configENS1_27upper_bound_config_selectorIN6thrust23THRUST_200600_302600_NS5tupleIiiNS6_9null_typeES8_S8_S8_S8_S8_S8_S8_EEiEEZNS1_14transform_implILb0ES3_SA_NS6_6detail15normal_iteratorINS6_10device_ptrIS9_EEEENSD_INSE_IiEEEEZNS1_13binary_searchIS3_SA_SG_SG_SI_NS1_21upper_bound_search_opENSC_16wrapped_functionINS0_4lessIvEEbEEEE10hipError_tPvRmT1_T2_T3_mmT4_T5_P12ihipStream_tbEUlRKS9_E_EESP_ST_SU_mSV_SY_bEUlT_E_NS1_11comp_targetILNS1_3genE3ELNS1_11target_archE908ELNS1_3gpuE7ELNS1_3repE0EEENS1_30default_config_static_selectorELNS0_4arch9wavefront6targetE1EEEvSS_
; %bb.0:
	.section	.rodata,"a",@progbits
	.p2align	6, 0x0
	.amdhsa_kernel _ZN7rocprim17ROCPRIM_400000_NS6detail17trampoline_kernelINS0_14default_configENS1_27upper_bound_config_selectorIN6thrust23THRUST_200600_302600_NS5tupleIiiNS6_9null_typeES8_S8_S8_S8_S8_S8_S8_EEiEEZNS1_14transform_implILb0ES3_SA_NS6_6detail15normal_iteratorINS6_10device_ptrIS9_EEEENSD_INSE_IiEEEEZNS1_13binary_searchIS3_SA_SG_SG_SI_NS1_21upper_bound_search_opENSC_16wrapped_functionINS0_4lessIvEEbEEEE10hipError_tPvRmT1_T2_T3_mmT4_T5_P12ihipStream_tbEUlRKS9_E_EESP_ST_SU_mSV_SY_bEUlT_E_NS1_11comp_targetILNS1_3genE3ELNS1_11target_archE908ELNS1_3gpuE7ELNS1_3repE0EEENS1_30default_config_static_selectorELNS0_4arch9wavefront6targetE1EEEvSS_
		.amdhsa_group_segment_fixed_size 0
		.amdhsa_private_segment_fixed_size 0
		.amdhsa_kernarg_size 56
		.amdhsa_user_sgpr_count 6
		.amdhsa_user_sgpr_private_segment_buffer 1
		.amdhsa_user_sgpr_dispatch_ptr 0
		.amdhsa_user_sgpr_queue_ptr 0
		.amdhsa_user_sgpr_kernarg_segment_ptr 1
		.amdhsa_user_sgpr_dispatch_id 0
		.amdhsa_user_sgpr_flat_scratch_init 0
		.amdhsa_user_sgpr_private_segment_size 0
		.amdhsa_uses_dynamic_stack 0
		.amdhsa_system_sgpr_private_segment_wavefront_offset 0
		.amdhsa_system_sgpr_workgroup_id_x 1
		.amdhsa_system_sgpr_workgroup_id_y 0
		.amdhsa_system_sgpr_workgroup_id_z 0
		.amdhsa_system_sgpr_workgroup_info 0
		.amdhsa_system_vgpr_workitem_id 0
		.amdhsa_next_free_vgpr 1
		.amdhsa_next_free_sgpr 0
		.amdhsa_reserve_vcc 0
		.amdhsa_reserve_flat_scratch 0
		.amdhsa_float_round_mode_32 0
		.amdhsa_float_round_mode_16_64 0
		.amdhsa_float_denorm_mode_32 3
		.amdhsa_float_denorm_mode_16_64 3
		.amdhsa_dx10_clamp 1
		.amdhsa_ieee_mode 1
		.amdhsa_fp16_overflow 0
		.amdhsa_exception_fp_ieee_invalid_op 0
		.amdhsa_exception_fp_denorm_src 0
		.amdhsa_exception_fp_ieee_div_zero 0
		.amdhsa_exception_fp_ieee_overflow 0
		.amdhsa_exception_fp_ieee_underflow 0
		.amdhsa_exception_fp_ieee_inexact 0
		.amdhsa_exception_int_div_zero 0
	.end_amdhsa_kernel
	.section	.text._ZN7rocprim17ROCPRIM_400000_NS6detail17trampoline_kernelINS0_14default_configENS1_27upper_bound_config_selectorIN6thrust23THRUST_200600_302600_NS5tupleIiiNS6_9null_typeES8_S8_S8_S8_S8_S8_S8_EEiEEZNS1_14transform_implILb0ES3_SA_NS6_6detail15normal_iteratorINS6_10device_ptrIS9_EEEENSD_INSE_IiEEEEZNS1_13binary_searchIS3_SA_SG_SG_SI_NS1_21upper_bound_search_opENSC_16wrapped_functionINS0_4lessIvEEbEEEE10hipError_tPvRmT1_T2_T3_mmT4_T5_P12ihipStream_tbEUlRKS9_E_EESP_ST_SU_mSV_SY_bEUlT_E_NS1_11comp_targetILNS1_3genE3ELNS1_11target_archE908ELNS1_3gpuE7ELNS1_3repE0EEENS1_30default_config_static_selectorELNS0_4arch9wavefront6targetE1EEEvSS_,"axG",@progbits,_ZN7rocprim17ROCPRIM_400000_NS6detail17trampoline_kernelINS0_14default_configENS1_27upper_bound_config_selectorIN6thrust23THRUST_200600_302600_NS5tupleIiiNS6_9null_typeES8_S8_S8_S8_S8_S8_S8_EEiEEZNS1_14transform_implILb0ES3_SA_NS6_6detail15normal_iteratorINS6_10device_ptrIS9_EEEENSD_INSE_IiEEEEZNS1_13binary_searchIS3_SA_SG_SG_SI_NS1_21upper_bound_search_opENSC_16wrapped_functionINS0_4lessIvEEbEEEE10hipError_tPvRmT1_T2_T3_mmT4_T5_P12ihipStream_tbEUlRKS9_E_EESP_ST_SU_mSV_SY_bEUlT_E_NS1_11comp_targetILNS1_3genE3ELNS1_11target_archE908ELNS1_3gpuE7ELNS1_3repE0EEENS1_30default_config_static_selectorELNS0_4arch9wavefront6targetE1EEEvSS_,comdat
.Lfunc_end620:
	.size	_ZN7rocprim17ROCPRIM_400000_NS6detail17trampoline_kernelINS0_14default_configENS1_27upper_bound_config_selectorIN6thrust23THRUST_200600_302600_NS5tupleIiiNS6_9null_typeES8_S8_S8_S8_S8_S8_S8_EEiEEZNS1_14transform_implILb0ES3_SA_NS6_6detail15normal_iteratorINS6_10device_ptrIS9_EEEENSD_INSE_IiEEEEZNS1_13binary_searchIS3_SA_SG_SG_SI_NS1_21upper_bound_search_opENSC_16wrapped_functionINS0_4lessIvEEbEEEE10hipError_tPvRmT1_T2_T3_mmT4_T5_P12ihipStream_tbEUlRKS9_E_EESP_ST_SU_mSV_SY_bEUlT_E_NS1_11comp_targetILNS1_3genE3ELNS1_11target_archE908ELNS1_3gpuE7ELNS1_3repE0EEENS1_30default_config_static_selectorELNS0_4arch9wavefront6targetE1EEEvSS_, .Lfunc_end620-_ZN7rocprim17ROCPRIM_400000_NS6detail17trampoline_kernelINS0_14default_configENS1_27upper_bound_config_selectorIN6thrust23THRUST_200600_302600_NS5tupleIiiNS6_9null_typeES8_S8_S8_S8_S8_S8_S8_EEiEEZNS1_14transform_implILb0ES3_SA_NS6_6detail15normal_iteratorINS6_10device_ptrIS9_EEEENSD_INSE_IiEEEEZNS1_13binary_searchIS3_SA_SG_SG_SI_NS1_21upper_bound_search_opENSC_16wrapped_functionINS0_4lessIvEEbEEEE10hipError_tPvRmT1_T2_T3_mmT4_T5_P12ihipStream_tbEUlRKS9_E_EESP_ST_SU_mSV_SY_bEUlT_E_NS1_11comp_targetILNS1_3genE3ELNS1_11target_archE908ELNS1_3gpuE7ELNS1_3repE0EEENS1_30default_config_static_selectorELNS0_4arch9wavefront6targetE1EEEvSS_
                                        ; -- End function
	.set _ZN7rocprim17ROCPRIM_400000_NS6detail17trampoline_kernelINS0_14default_configENS1_27upper_bound_config_selectorIN6thrust23THRUST_200600_302600_NS5tupleIiiNS6_9null_typeES8_S8_S8_S8_S8_S8_S8_EEiEEZNS1_14transform_implILb0ES3_SA_NS6_6detail15normal_iteratorINS6_10device_ptrIS9_EEEENSD_INSE_IiEEEEZNS1_13binary_searchIS3_SA_SG_SG_SI_NS1_21upper_bound_search_opENSC_16wrapped_functionINS0_4lessIvEEbEEEE10hipError_tPvRmT1_T2_T3_mmT4_T5_P12ihipStream_tbEUlRKS9_E_EESP_ST_SU_mSV_SY_bEUlT_E_NS1_11comp_targetILNS1_3genE3ELNS1_11target_archE908ELNS1_3gpuE7ELNS1_3repE0EEENS1_30default_config_static_selectorELNS0_4arch9wavefront6targetE1EEEvSS_.num_vgpr, 0
	.set _ZN7rocprim17ROCPRIM_400000_NS6detail17trampoline_kernelINS0_14default_configENS1_27upper_bound_config_selectorIN6thrust23THRUST_200600_302600_NS5tupleIiiNS6_9null_typeES8_S8_S8_S8_S8_S8_S8_EEiEEZNS1_14transform_implILb0ES3_SA_NS6_6detail15normal_iteratorINS6_10device_ptrIS9_EEEENSD_INSE_IiEEEEZNS1_13binary_searchIS3_SA_SG_SG_SI_NS1_21upper_bound_search_opENSC_16wrapped_functionINS0_4lessIvEEbEEEE10hipError_tPvRmT1_T2_T3_mmT4_T5_P12ihipStream_tbEUlRKS9_E_EESP_ST_SU_mSV_SY_bEUlT_E_NS1_11comp_targetILNS1_3genE3ELNS1_11target_archE908ELNS1_3gpuE7ELNS1_3repE0EEENS1_30default_config_static_selectorELNS0_4arch9wavefront6targetE1EEEvSS_.num_agpr, 0
	.set _ZN7rocprim17ROCPRIM_400000_NS6detail17trampoline_kernelINS0_14default_configENS1_27upper_bound_config_selectorIN6thrust23THRUST_200600_302600_NS5tupleIiiNS6_9null_typeES8_S8_S8_S8_S8_S8_S8_EEiEEZNS1_14transform_implILb0ES3_SA_NS6_6detail15normal_iteratorINS6_10device_ptrIS9_EEEENSD_INSE_IiEEEEZNS1_13binary_searchIS3_SA_SG_SG_SI_NS1_21upper_bound_search_opENSC_16wrapped_functionINS0_4lessIvEEbEEEE10hipError_tPvRmT1_T2_T3_mmT4_T5_P12ihipStream_tbEUlRKS9_E_EESP_ST_SU_mSV_SY_bEUlT_E_NS1_11comp_targetILNS1_3genE3ELNS1_11target_archE908ELNS1_3gpuE7ELNS1_3repE0EEENS1_30default_config_static_selectorELNS0_4arch9wavefront6targetE1EEEvSS_.numbered_sgpr, 0
	.set _ZN7rocprim17ROCPRIM_400000_NS6detail17trampoline_kernelINS0_14default_configENS1_27upper_bound_config_selectorIN6thrust23THRUST_200600_302600_NS5tupleIiiNS6_9null_typeES8_S8_S8_S8_S8_S8_S8_EEiEEZNS1_14transform_implILb0ES3_SA_NS6_6detail15normal_iteratorINS6_10device_ptrIS9_EEEENSD_INSE_IiEEEEZNS1_13binary_searchIS3_SA_SG_SG_SI_NS1_21upper_bound_search_opENSC_16wrapped_functionINS0_4lessIvEEbEEEE10hipError_tPvRmT1_T2_T3_mmT4_T5_P12ihipStream_tbEUlRKS9_E_EESP_ST_SU_mSV_SY_bEUlT_E_NS1_11comp_targetILNS1_3genE3ELNS1_11target_archE908ELNS1_3gpuE7ELNS1_3repE0EEENS1_30default_config_static_selectorELNS0_4arch9wavefront6targetE1EEEvSS_.num_named_barrier, 0
	.set _ZN7rocprim17ROCPRIM_400000_NS6detail17trampoline_kernelINS0_14default_configENS1_27upper_bound_config_selectorIN6thrust23THRUST_200600_302600_NS5tupleIiiNS6_9null_typeES8_S8_S8_S8_S8_S8_S8_EEiEEZNS1_14transform_implILb0ES3_SA_NS6_6detail15normal_iteratorINS6_10device_ptrIS9_EEEENSD_INSE_IiEEEEZNS1_13binary_searchIS3_SA_SG_SG_SI_NS1_21upper_bound_search_opENSC_16wrapped_functionINS0_4lessIvEEbEEEE10hipError_tPvRmT1_T2_T3_mmT4_T5_P12ihipStream_tbEUlRKS9_E_EESP_ST_SU_mSV_SY_bEUlT_E_NS1_11comp_targetILNS1_3genE3ELNS1_11target_archE908ELNS1_3gpuE7ELNS1_3repE0EEENS1_30default_config_static_selectorELNS0_4arch9wavefront6targetE1EEEvSS_.private_seg_size, 0
	.set _ZN7rocprim17ROCPRIM_400000_NS6detail17trampoline_kernelINS0_14default_configENS1_27upper_bound_config_selectorIN6thrust23THRUST_200600_302600_NS5tupleIiiNS6_9null_typeES8_S8_S8_S8_S8_S8_S8_EEiEEZNS1_14transform_implILb0ES3_SA_NS6_6detail15normal_iteratorINS6_10device_ptrIS9_EEEENSD_INSE_IiEEEEZNS1_13binary_searchIS3_SA_SG_SG_SI_NS1_21upper_bound_search_opENSC_16wrapped_functionINS0_4lessIvEEbEEEE10hipError_tPvRmT1_T2_T3_mmT4_T5_P12ihipStream_tbEUlRKS9_E_EESP_ST_SU_mSV_SY_bEUlT_E_NS1_11comp_targetILNS1_3genE3ELNS1_11target_archE908ELNS1_3gpuE7ELNS1_3repE0EEENS1_30default_config_static_selectorELNS0_4arch9wavefront6targetE1EEEvSS_.uses_vcc, 0
	.set _ZN7rocprim17ROCPRIM_400000_NS6detail17trampoline_kernelINS0_14default_configENS1_27upper_bound_config_selectorIN6thrust23THRUST_200600_302600_NS5tupleIiiNS6_9null_typeES8_S8_S8_S8_S8_S8_S8_EEiEEZNS1_14transform_implILb0ES3_SA_NS6_6detail15normal_iteratorINS6_10device_ptrIS9_EEEENSD_INSE_IiEEEEZNS1_13binary_searchIS3_SA_SG_SG_SI_NS1_21upper_bound_search_opENSC_16wrapped_functionINS0_4lessIvEEbEEEE10hipError_tPvRmT1_T2_T3_mmT4_T5_P12ihipStream_tbEUlRKS9_E_EESP_ST_SU_mSV_SY_bEUlT_E_NS1_11comp_targetILNS1_3genE3ELNS1_11target_archE908ELNS1_3gpuE7ELNS1_3repE0EEENS1_30default_config_static_selectorELNS0_4arch9wavefront6targetE1EEEvSS_.uses_flat_scratch, 0
	.set _ZN7rocprim17ROCPRIM_400000_NS6detail17trampoline_kernelINS0_14default_configENS1_27upper_bound_config_selectorIN6thrust23THRUST_200600_302600_NS5tupleIiiNS6_9null_typeES8_S8_S8_S8_S8_S8_S8_EEiEEZNS1_14transform_implILb0ES3_SA_NS6_6detail15normal_iteratorINS6_10device_ptrIS9_EEEENSD_INSE_IiEEEEZNS1_13binary_searchIS3_SA_SG_SG_SI_NS1_21upper_bound_search_opENSC_16wrapped_functionINS0_4lessIvEEbEEEE10hipError_tPvRmT1_T2_T3_mmT4_T5_P12ihipStream_tbEUlRKS9_E_EESP_ST_SU_mSV_SY_bEUlT_E_NS1_11comp_targetILNS1_3genE3ELNS1_11target_archE908ELNS1_3gpuE7ELNS1_3repE0EEENS1_30default_config_static_selectorELNS0_4arch9wavefront6targetE1EEEvSS_.has_dyn_sized_stack, 0
	.set _ZN7rocprim17ROCPRIM_400000_NS6detail17trampoline_kernelINS0_14default_configENS1_27upper_bound_config_selectorIN6thrust23THRUST_200600_302600_NS5tupleIiiNS6_9null_typeES8_S8_S8_S8_S8_S8_S8_EEiEEZNS1_14transform_implILb0ES3_SA_NS6_6detail15normal_iteratorINS6_10device_ptrIS9_EEEENSD_INSE_IiEEEEZNS1_13binary_searchIS3_SA_SG_SG_SI_NS1_21upper_bound_search_opENSC_16wrapped_functionINS0_4lessIvEEbEEEE10hipError_tPvRmT1_T2_T3_mmT4_T5_P12ihipStream_tbEUlRKS9_E_EESP_ST_SU_mSV_SY_bEUlT_E_NS1_11comp_targetILNS1_3genE3ELNS1_11target_archE908ELNS1_3gpuE7ELNS1_3repE0EEENS1_30default_config_static_selectorELNS0_4arch9wavefront6targetE1EEEvSS_.has_recursion, 0
	.set _ZN7rocprim17ROCPRIM_400000_NS6detail17trampoline_kernelINS0_14default_configENS1_27upper_bound_config_selectorIN6thrust23THRUST_200600_302600_NS5tupleIiiNS6_9null_typeES8_S8_S8_S8_S8_S8_S8_EEiEEZNS1_14transform_implILb0ES3_SA_NS6_6detail15normal_iteratorINS6_10device_ptrIS9_EEEENSD_INSE_IiEEEEZNS1_13binary_searchIS3_SA_SG_SG_SI_NS1_21upper_bound_search_opENSC_16wrapped_functionINS0_4lessIvEEbEEEE10hipError_tPvRmT1_T2_T3_mmT4_T5_P12ihipStream_tbEUlRKS9_E_EESP_ST_SU_mSV_SY_bEUlT_E_NS1_11comp_targetILNS1_3genE3ELNS1_11target_archE908ELNS1_3gpuE7ELNS1_3repE0EEENS1_30default_config_static_selectorELNS0_4arch9wavefront6targetE1EEEvSS_.has_indirect_call, 0
	.section	.AMDGPU.csdata,"",@progbits
; Kernel info:
; codeLenInByte = 0
; TotalNumSgprs: 4
; NumVgprs: 0
; ScratchSize: 0
; MemoryBound: 0
; FloatMode: 240
; IeeeMode: 1
; LDSByteSize: 0 bytes/workgroup (compile time only)
; SGPRBlocks: 0
; VGPRBlocks: 0
; NumSGPRsForWavesPerEU: 4
; NumVGPRsForWavesPerEU: 1
; Occupancy: 10
; WaveLimiterHint : 0
; COMPUTE_PGM_RSRC2:SCRATCH_EN: 0
; COMPUTE_PGM_RSRC2:USER_SGPR: 6
; COMPUTE_PGM_RSRC2:TRAP_HANDLER: 0
; COMPUTE_PGM_RSRC2:TGID_X_EN: 1
; COMPUTE_PGM_RSRC2:TGID_Y_EN: 0
; COMPUTE_PGM_RSRC2:TGID_Z_EN: 0
; COMPUTE_PGM_RSRC2:TIDIG_COMP_CNT: 0
	.section	.text._ZN7rocprim17ROCPRIM_400000_NS6detail17trampoline_kernelINS0_14default_configENS1_27upper_bound_config_selectorIN6thrust23THRUST_200600_302600_NS5tupleIiiNS6_9null_typeES8_S8_S8_S8_S8_S8_S8_EEiEEZNS1_14transform_implILb0ES3_SA_NS6_6detail15normal_iteratorINS6_10device_ptrIS9_EEEENSD_INSE_IiEEEEZNS1_13binary_searchIS3_SA_SG_SG_SI_NS1_21upper_bound_search_opENSC_16wrapped_functionINS0_4lessIvEEbEEEE10hipError_tPvRmT1_T2_T3_mmT4_T5_P12ihipStream_tbEUlRKS9_E_EESP_ST_SU_mSV_SY_bEUlT_E_NS1_11comp_targetILNS1_3genE2ELNS1_11target_archE906ELNS1_3gpuE6ELNS1_3repE0EEENS1_30default_config_static_selectorELNS0_4arch9wavefront6targetE1EEEvSS_,"axG",@progbits,_ZN7rocprim17ROCPRIM_400000_NS6detail17trampoline_kernelINS0_14default_configENS1_27upper_bound_config_selectorIN6thrust23THRUST_200600_302600_NS5tupleIiiNS6_9null_typeES8_S8_S8_S8_S8_S8_S8_EEiEEZNS1_14transform_implILb0ES3_SA_NS6_6detail15normal_iteratorINS6_10device_ptrIS9_EEEENSD_INSE_IiEEEEZNS1_13binary_searchIS3_SA_SG_SG_SI_NS1_21upper_bound_search_opENSC_16wrapped_functionINS0_4lessIvEEbEEEE10hipError_tPvRmT1_T2_T3_mmT4_T5_P12ihipStream_tbEUlRKS9_E_EESP_ST_SU_mSV_SY_bEUlT_E_NS1_11comp_targetILNS1_3genE2ELNS1_11target_archE906ELNS1_3gpuE6ELNS1_3repE0EEENS1_30default_config_static_selectorELNS0_4arch9wavefront6targetE1EEEvSS_,comdat
	.protected	_ZN7rocprim17ROCPRIM_400000_NS6detail17trampoline_kernelINS0_14default_configENS1_27upper_bound_config_selectorIN6thrust23THRUST_200600_302600_NS5tupleIiiNS6_9null_typeES8_S8_S8_S8_S8_S8_S8_EEiEEZNS1_14transform_implILb0ES3_SA_NS6_6detail15normal_iteratorINS6_10device_ptrIS9_EEEENSD_INSE_IiEEEEZNS1_13binary_searchIS3_SA_SG_SG_SI_NS1_21upper_bound_search_opENSC_16wrapped_functionINS0_4lessIvEEbEEEE10hipError_tPvRmT1_T2_T3_mmT4_T5_P12ihipStream_tbEUlRKS9_E_EESP_ST_SU_mSV_SY_bEUlT_E_NS1_11comp_targetILNS1_3genE2ELNS1_11target_archE906ELNS1_3gpuE6ELNS1_3repE0EEENS1_30default_config_static_selectorELNS0_4arch9wavefront6targetE1EEEvSS_ ; -- Begin function _ZN7rocprim17ROCPRIM_400000_NS6detail17trampoline_kernelINS0_14default_configENS1_27upper_bound_config_selectorIN6thrust23THRUST_200600_302600_NS5tupleIiiNS6_9null_typeES8_S8_S8_S8_S8_S8_S8_EEiEEZNS1_14transform_implILb0ES3_SA_NS6_6detail15normal_iteratorINS6_10device_ptrIS9_EEEENSD_INSE_IiEEEEZNS1_13binary_searchIS3_SA_SG_SG_SI_NS1_21upper_bound_search_opENSC_16wrapped_functionINS0_4lessIvEEbEEEE10hipError_tPvRmT1_T2_T3_mmT4_T5_P12ihipStream_tbEUlRKS9_E_EESP_ST_SU_mSV_SY_bEUlT_E_NS1_11comp_targetILNS1_3genE2ELNS1_11target_archE906ELNS1_3gpuE6ELNS1_3repE0EEENS1_30default_config_static_selectorELNS0_4arch9wavefront6targetE1EEEvSS_
	.globl	_ZN7rocprim17ROCPRIM_400000_NS6detail17trampoline_kernelINS0_14default_configENS1_27upper_bound_config_selectorIN6thrust23THRUST_200600_302600_NS5tupleIiiNS6_9null_typeES8_S8_S8_S8_S8_S8_S8_EEiEEZNS1_14transform_implILb0ES3_SA_NS6_6detail15normal_iteratorINS6_10device_ptrIS9_EEEENSD_INSE_IiEEEEZNS1_13binary_searchIS3_SA_SG_SG_SI_NS1_21upper_bound_search_opENSC_16wrapped_functionINS0_4lessIvEEbEEEE10hipError_tPvRmT1_T2_T3_mmT4_T5_P12ihipStream_tbEUlRKS9_E_EESP_ST_SU_mSV_SY_bEUlT_E_NS1_11comp_targetILNS1_3genE2ELNS1_11target_archE906ELNS1_3gpuE6ELNS1_3repE0EEENS1_30default_config_static_selectorELNS0_4arch9wavefront6targetE1EEEvSS_
	.p2align	8
	.type	_ZN7rocprim17ROCPRIM_400000_NS6detail17trampoline_kernelINS0_14default_configENS1_27upper_bound_config_selectorIN6thrust23THRUST_200600_302600_NS5tupleIiiNS6_9null_typeES8_S8_S8_S8_S8_S8_S8_EEiEEZNS1_14transform_implILb0ES3_SA_NS6_6detail15normal_iteratorINS6_10device_ptrIS9_EEEENSD_INSE_IiEEEEZNS1_13binary_searchIS3_SA_SG_SG_SI_NS1_21upper_bound_search_opENSC_16wrapped_functionINS0_4lessIvEEbEEEE10hipError_tPvRmT1_T2_T3_mmT4_T5_P12ihipStream_tbEUlRKS9_E_EESP_ST_SU_mSV_SY_bEUlT_E_NS1_11comp_targetILNS1_3genE2ELNS1_11target_archE906ELNS1_3gpuE6ELNS1_3repE0EEENS1_30default_config_static_selectorELNS0_4arch9wavefront6targetE1EEEvSS_,@function
_ZN7rocprim17ROCPRIM_400000_NS6detail17trampoline_kernelINS0_14default_configENS1_27upper_bound_config_selectorIN6thrust23THRUST_200600_302600_NS5tupleIiiNS6_9null_typeES8_S8_S8_S8_S8_S8_S8_EEiEEZNS1_14transform_implILb0ES3_SA_NS6_6detail15normal_iteratorINS6_10device_ptrIS9_EEEENSD_INSE_IiEEEEZNS1_13binary_searchIS3_SA_SG_SG_SI_NS1_21upper_bound_search_opENSC_16wrapped_functionINS0_4lessIvEEbEEEE10hipError_tPvRmT1_T2_T3_mmT4_T5_P12ihipStream_tbEUlRKS9_E_EESP_ST_SU_mSV_SY_bEUlT_E_NS1_11comp_targetILNS1_3genE2ELNS1_11target_archE906ELNS1_3gpuE6ELNS1_3repE0EEENS1_30default_config_static_selectorELNS0_4arch9wavefront6targetE1EEEvSS_: ; @_ZN7rocprim17ROCPRIM_400000_NS6detail17trampoline_kernelINS0_14default_configENS1_27upper_bound_config_selectorIN6thrust23THRUST_200600_302600_NS5tupleIiiNS6_9null_typeES8_S8_S8_S8_S8_S8_S8_EEiEEZNS1_14transform_implILb0ES3_SA_NS6_6detail15normal_iteratorINS6_10device_ptrIS9_EEEENSD_INSE_IiEEEEZNS1_13binary_searchIS3_SA_SG_SG_SI_NS1_21upper_bound_search_opENSC_16wrapped_functionINS0_4lessIvEEbEEEE10hipError_tPvRmT1_T2_T3_mmT4_T5_P12ihipStream_tbEUlRKS9_E_EESP_ST_SU_mSV_SY_bEUlT_E_NS1_11comp_targetILNS1_3genE2ELNS1_11target_archE906ELNS1_3gpuE6ELNS1_3repE0EEENS1_30default_config_static_selectorELNS0_4arch9wavefront6targetE1EEEvSS_
; %bb.0:
	s_load_dwordx4 s[12:15], s[4:5], 0x0
	s_load_dwordx4 s[8:11], s[4:5], 0x18
	s_load_dwordx2 s[16:17], s[4:5], 0x28
	s_load_dword s2, s[4:5], 0x38
	s_waitcnt lgkmcnt(0)
	s_lshl_b64 s[0:1], s[14:15], 3
	s_add_u32 s20, s12, s0
	s_addc_u32 s21, s13, s1
	s_lshl_b32 s12, s6, 8
	s_add_i32 s2, s2, -1
	s_cmp_lg_u32 s6, s2
	s_mov_b32 s13, 0
	s_cbranch_scc0 .LBB621_6
; %bb.1:
	v_mov_b32_e32 v1, 0
	s_mov_b64 s[18:19], 0
	s_cmp_eq_u64 s[16:17], 0
	v_mov_b32_e32 v2, v1
	s_cbranch_scc1 .LBB621_5
; %bb.2:
	s_lshl_b64 s[0:1], s[12:13], 3
	s_add_u32 s0, s20, s0
	s_addc_u32 s1, s21, s1
	v_lshlrev_b32_e32 v2, 3, v0
	v_mov_b32_e32 v3, s1
	v_add_co_u32_e32 v2, vcc, s0, v2
	v_addc_co_u32_e32 v3, vcc, 0, v3, vcc
	flat_load_dwordx2 v[4:5], v[2:3]
	v_mov_b32_e32 v2, 0
	v_mov_b32_e32 v6, s16
	s_mov_b64 s[6:7], 0
	v_mov_b32_e32 v3, 0
	v_mov_b32_e32 v7, s17
	v_mov_b32_e32 v8, s11
.LBB621_3:                              ; =>This Inner Loop Header: Depth=1
	v_sub_co_u32_e32 v9, vcc, v6, v2
	v_subb_co_u32_e32 v10, vcc, v7, v3, vcc
	v_lshrrev_b64 v[11:12], 1, v[9:10]
	v_lshrrev_b64 v[9:10], 6, v[9:10]
	v_add_co_u32_e32 v11, vcc, v11, v2
	v_addc_co_u32_e32 v12, vcc, v12, v3, vcc
	v_add_co_u32_e32 v9, vcc, v11, v9
	v_addc_co_u32_e32 v10, vcc, v12, v10, vcc
	v_lshlrev_b64 v[11:12], 3, v[9:10]
	v_add_co_u32_e32 v11, vcc, s10, v11
	v_addc_co_u32_e32 v12, vcc, v8, v12, vcc
	global_load_dwordx2 v[11:12], v[11:12], off
	v_add_co_u32_e32 v13, vcc, 1, v9
	v_addc_co_u32_e32 v14, vcc, 0, v10, vcc
	s_waitcnt vmcnt(0) lgkmcnt(0)
	v_cmp_ge_i32_e64 s[0:1], v11, v4
	v_cmp_lt_i32_e64 s[2:3], v5, v12
	v_cmp_lt_i32_e32 vcc, v4, v11
	s_and_b64 s[0:1], s[0:1], s[2:3]
	s_or_b64 vcc, vcc, s[0:1]
	v_cndmask_b32_e32 v7, v7, v10, vcc
	v_cndmask_b32_e32 v6, v6, v9, vcc
	;; [unrolled: 1-line block ×4, first 2 shown]
	v_cmp_ge_u64_e32 vcc, v[2:3], v[6:7]
	s_or_b64 s[6:7], vcc, s[6:7]
	s_andn2_b64 exec, exec, s[6:7]
	s_cbranch_execnz .LBB621_3
; %bb.4:
	s_or_b64 exec, exec, s[6:7]
.LBB621_5:
	s_mov_b64 s[6:7], -1
	s_andn2_b64 vcc, exec, s[18:19]
	s_cbranch_vccz .LBB621_7
	s_branch .LBB621_14
.LBB621_6:
	s_mov_b64 s[6:7], 0
                                        ; implicit-def: $vgpr2
.LBB621_7:
	s_load_dword s0, s[4:5], 0x10
                                        ; implicit-def: $vgpr2
	s_waitcnt lgkmcnt(0)
	s_sub_i32 s0, s0, s12
	v_cmp_gt_u32_e32 vcc, s0, v0
	s_and_saveexec_b64 s[4:5], vcc
	s_cbranch_execz .LBB621_13
; %bb.8:
	v_mov_b32_e32 v1, 0
	s_mov_b64 s[18:19], 0
	s_cmp_eq_u64 s[16:17], 0
	v_mov_b32_e32 v2, v1
	s_cbranch_scc1 .LBB621_12
; %bb.9:
	s_lshl_b64 s[0:1], s[12:13], 3
	s_add_u32 s0, s20, s0
	s_addc_u32 s1, s21, s1
	v_lshlrev_b32_e32 v2, 3, v0
	v_mov_b32_e32 v3, s1
	v_add_co_u32_e32 v2, vcc, s0, v2
	v_addc_co_u32_e32 v3, vcc, 0, v3, vcc
	flat_load_dwordx2 v[4:5], v[2:3]
	v_mov_b32_e32 v2, 0
	v_mov_b32_e32 v6, s16
	;; [unrolled: 1-line block ×5, first 2 shown]
.LBB621_10:                             ; =>This Inner Loop Header: Depth=1
	v_sub_co_u32_e32 v9, vcc, v6, v2
	v_subb_co_u32_e32 v10, vcc, v7, v3, vcc
	v_lshrrev_b64 v[11:12], 1, v[9:10]
	v_lshrrev_b64 v[9:10], 6, v[9:10]
	v_add_co_u32_e32 v11, vcc, v11, v2
	v_addc_co_u32_e32 v12, vcc, v12, v3, vcc
	v_add_co_u32_e32 v9, vcc, v11, v9
	v_addc_co_u32_e32 v10, vcc, v12, v10, vcc
	v_lshlrev_b64 v[11:12], 3, v[9:10]
	v_add_co_u32_e32 v11, vcc, s10, v11
	v_addc_co_u32_e32 v12, vcc, v8, v12, vcc
	global_load_dwordx2 v[11:12], v[11:12], off
	v_add_co_u32_e32 v13, vcc, 1, v9
	v_addc_co_u32_e32 v14, vcc, 0, v10, vcc
	s_waitcnt vmcnt(0) lgkmcnt(0)
	v_cmp_ge_i32_e64 s[0:1], v11, v4
	v_cmp_lt_i32_e64 s[2:3], v5, v12
	v_cmp_lt_i32_e32 vcc, v4, v11
	s_and_b64 s[0:1], s[0:1], s[2:3]
	s_or_b64 vcc, vcc, s[0:1]
	v_cndmask_b32_e32 v7, v7, v10, vcc
	v_cndmask_b32_e32 v6, v6, v9, vcc
	;; [unrolled: 1-line block ×4, first 2 shown]
	v_cmp_ge_u64_e32 vcc, v[2:3], v[6:7]
	s_or_b64 s[18:19], vcc, s[18:19]
	s_andn2_b64 exec, exec, s[18:19]
	s_cbranch_execnz .LBB621_10
; %bb.11:
	s_or_b64 exec, exec, s[18:19]
.LBB621_12:
	s_or_b64 s[6:7], s[6:7], exec
.LBB621_13:
	s_or_b64 exec, exec, s[4:5]
.LBB621_14:
	s_and_saveexec_b64 s[0:1], s[6:7]
	s_cbranch_execnz .LBB621_16
; %bb.15:
	s_endpgm
.LBB621_16:
	s_lshl_b64 s[0:1], s[14:15], 2
	s_add_u32 s2, s8, s0
	s_addc_u32 s3, s9, s1
	s_lshl_b64 s[0:1], s[12:13], 2
	s_add_u32 s0, s2, s0
	v_lshlrev_b64 v[0:1], 2, v[0:1]
	s_addc_u32 s1, s3, s1
	v_mov_b32_e32 v3, s1
	v_add_co_u32_e32 v0, vcc, s0, v0
	v_addc_co_u32_e32 v1, vcc, v3, v1, vcc
	flat_store_dword v[0:1], v2
	s_endpgm
	.section	.rodata,"a",@progbits
	.p2align	6, 0x0
	.amdhsa_kernel _ZN7rocprim17ROCPRIM_400000_NS6detail17trampoline_kernelINS0_14default_configENS1_27upper_bound_config_selectorIN6thrust23THRUST_200600_302600_NS5tupleIiiNS6_9null_typeES8_S8_S8_S8_S8_S8_S8_EEiEEZNS1_14transform_implILb0ES3_SA_NS6_6detail15normal_iteratorINS6_10device_ptrIS9_EEEENSD_INSE_IiEEEEZNS1_13binary_searchIS3_SA_SG_SG_SI_NS1_21upper_bound_search_opENSC_16wrapped_functionINS0_4lessIvEEbEEEE10hipError_tPvRmT1_T2_T3_mmT4_T5_P12ihipStream_tbEUlRKS9_E_EESP_ST_SU_mSV_SY_bEUlT_E_NS1_11comp_targetILNS1_3genE2ELNS1_11target_archE906ELNS1_3gpuE6ELNS1_3repE0EEENS1_30default_config_static_selectorELNS0_4arch9wavefront6targetE1EEEvSS_
		.amdhsa_group_segment_fixed_size 0
		.amdhsa_private_segment_fixed_size 0
		.amdhsa_kernarg_size 312
		.amdhsa_user_sgpr_count 6
		.amdhsa_user_sgpr_private_segment_buffer 1
		.amdhsa_user_sgpr_dispatch_ptr 0
		.amdhsa_user_sgpr_queue_ptr 0
		.amdhsa_user_sgpr_kernarg_segment_ptr 1
		.amdhsa_user_sgpr_dispatch_id 0
		.amdhsa_user_sgpr_flat_scratch_init 0
		.amdhsa_user_sgpr_private_segment_size 0
		.amdhsa_uses_dynamic_stack 0
		.amdhsa_system_sgpr_private_segment_wavefront_offset 0
		.amdhsa_system_sgpr_workgroup_id_x 1
		.amdhsa_system_sgpr_workgroup_id_y 0
		.amdhsa_system_sgpr_workgroup_id_z 0
		.amdhsa_system_sgpr_workgroup_info 0
		.amdhsa_system_vgpr_workitem_id 0
		.amdhsa_next_free_vgpr 15
		.amdhsa_next_free_sgpr 22
		.amdhsa_reserve_vcc 1
		.amdhsa_reserve_flat_scratch 0
		.amdhsa_float_round_mode_32 0
		.amdhsa_float_round_mode_16_64 0
		.amdhsa_float_denorm_mode_32 3
		.amdhsa_float_denorm_mode_16_64 3
		.amdhsa_dx10_clamp 1
		.amdhsa_ieee_mode 1
		.amdhsa_fp16_overflow 0
		.amdhsa_exception_fp_ieee_invalid_op 0
		.amdhsa_exception_fp_denorm_src 0
		.amdhsa_exception_fp_ieee_div_zero 0
		.amdhsa_exception_fp_ieee_overflow 0
		.amdhsa_exception_fp_ieee_underflow 0
		.amdhsa_exception_fp_ieee_inexact 0
		.amdhsa_exception_int_div_zero 0
	.end_amdhsa_kernel
	.section	.text._ZN7rocprim17ROCPRIM_400000_NS6detail17trampoline_kernelINS0_14default_configENS1_27upper_bound_config_selectorIN6thrust23THRUST_200600_302600_NS5tupleIiiNS6_9null_typeES8_S8_S8_S8_S8_S8_S8_EEiEEZNS1_14transform_implILb0ES3_SA_NS6_6detail15normal_iteratorINS6_10device_ptrIS9_EEEENSD_INSE_IiEEEEZNS1_13binary_searchIS3_SA_SG_SG_SI_NS1_21upper_bound_search_opENSC_16wrapped_functionINS0_4lessIvEEbEEEE10hipError_tPvRmT1_T2_T3_mmT4_T5_P12ihipStream_tbEUlRKS9_E_EESP_ST_SU_mSV_SY_bEUlT_E_NS1_11comp_targetILNS1_3genE2ELNS1_11target_archE906ELNS1_3gpuE6ELNS1_3repE0EEENS1_30default_config_static_selectorELNS0_4arch9wavefront6targetE1EEEvSS_,"axG",@progbits,_ZN7rocprim17ROCPRIM_400000_NS6detail17trampoline_kernelINS0_14default_configENS1_27upper_bound_config_selectorIN6thrust23THRUST_200600_302600_NS5tupleIiiNS6_9null_typeES8_S8_S8_S8_S8_S8_S8_EEiEEZNS1_14transform_implILb0ES3_SA_NS6_6detail15normal_iteratorINS6_10device_ptrIS9_EEEENSD_INSE_IiEEEEZNS1_13binary_searchIS3_SA_SG_SG_SI_NS1_21upper_bound_search_opENSC_16wrapped_functionINS0_4lessIvEEbEEEE10hipError_tPvRmT1_T2_T3_mmT4_T5_P12ihipStream_tbEUlRKS9_E_EESP_ST_SU_mSV_SY_bEUlT_E_NS1_11comp_targetILNS1_3genE2ELNS1_11target_archE906ELNS1_3gpuE6ELNS1_3repE0EEENS1_30default_config_static_selectorELNS0_4arch9wavefront6targetE1EEEvSS_,comdat
.Lfunc_end621:
	.size	_ZN7rocprim17ROCPRIM_400000_NS6detail17trampoline_kernelINS0_14default_configENS1_27upper_bound_config_selectorIN6thrust23THRUST_200600_302600_NS5tupleIiiNS6_9null_typeES8_S8_S8_S8_S8_S8_S8_EEiEEZNS1_14transform_implILb0ES3_SA_NS6_6detail15normal_iteratorINS6_10device_ptrIS9_EEEENSD_INSE_IiEEEEZNS1_13binary_searchIS3_SA_SG_SG_SI_NS1_21upper_bound_search_opENSC_16wrapped_functionINS0_4lessIvEEbEEEE10hipError_tPvRmT1_T2_T3_mmT4_T5_P12ihipStream_tbEUlRKS9_E_EESP_ST_SU_mSV_SY_bEUlT_E_NS1_11comp_targetILNS1_3genE2ELNS1_11target_archE906ELNS1_3gpuE6ELNS1_3repE0EEENS1_30default_config_static_selectorELNS0_4arch9wavefront6targetE1EEEvSS_, .Lfunc_end621-_ZN7rocprim17ROCPRIM_400000_NS6detail17trampoline_kernelINS0_14default_configENS1_27upper_bound_config_selectorIN6thrust23THRUST_200600_302600_NS5tupleIiiNS6_9null_typeES8_S8_S8_S8_S8_S8_S8_EEiEEZNS1_14transform_implILb0ES3_SA_NS6_6detail15normal_iteratorINS6_10device_ptrIS9_EEEENSD_INSE_IiEEEEZNS1_13binary_searchIS3_SA_SG_SG_SI_NS1_21upper_bound_search_opENSC_16wrapped_functionINS0_4lessIvEEbEEEE10hipError_tPvRmT1_T2_T3_mmT4_T5_P12ihipStream_tbEUlRKS9_E_EESP_ST_SU_mSV_SY_bEUlT_E_NS1_11comp_targetILNS1_3genE2ELNS1_11target_archE906ELNS1_3gpuE6ELNS1_3repE0EEENS1_30default_config_static_selectorELNS0_4arch9wavefront6targetE1EEEvSS_
                                        ; -- End function
	.set _ZN7rocprim17ROCPRIM_400000_NS6detail17trampoline_kernelINS0_14default_configENS1_27upper_bound_config_selectorIN6thrust23THRUST_200600_302600_NS5tupleIiiNS6_9null_typeES8_S8_S8_S8_S8_S8_S8_EEiEEZNS1_14transform_implILb0ES3_SA_NS6_6detail15normal_iteratorINS6_10device_ptrIS9_EEEENSD_INSE_IiEEEEZNS1_13binary_searchIS3_SA_SG_SG_SI_NS1_21upper_bound_search_opENSC_16wrapped_functionINS0_4lessIvEEbEEEE10hipError_tPvRmT1_T2_T3_mmT4_T5_P12ihipStream_tbEUlRKS9_E_EESP_ST_SU_mSV_SY_bEUlT_E_NS1_11comp_targetILNS1_3genE2ELNS1_11target_archE906ELNS1_3gpuE6ELNS1_3repE0EEENS1_30default_config_static_selectorELNS0_4arch9wavefront6targetE1EEEvSS_.num_vgpr, 15
	.set _ZN7rocprim17ROCPRIM_400000_NS6detail17trampoline_kernelINS0_14default_configENS1_27upper_bound_config_selectorIN6thrust23THRUST_200600_302600_NS5tupleIiiNS6_9null_typeES8_S8_S8_S8_S8_S8_S8_EEiEEZNS1_14transform_implILb0ES3_SA_NS6_6detail15normal_iteratorINS6_10device_ptrIS9_EEEENSD_INSE_IiEEEEZNS1_13binary_searchIS3_SA_SG_SG_SI_NS1_21upper_bound_search_opENSC_16wrapped_functionINS0_4lessIvEEbEEEE10hipError_tPvRmT1_T2_T3_mmT4_T5_P12ihipStream_tbEUlRKS9_E_EESP_ST_SU_mSV_SY_bEUlT_E_NS1_11comp_targetILNS1_3genE2ELNS1_11target_archE906ELNS1_3gpuE6ELNS1_3repE0EEENS1_30default_config_static_selectorELNS0_4arch9wavefront6targetE1EEEvSS_.num_agpr, 0
	.set _ZN7rocprim17ROCPRIM_400000_NS6detail17trampoline_kernelINS0_14default_configENS1_27upper_bound_config_selectorIN6thrust23THRUST_200600_302600_NS5tupleIiiNS6_9null_typeES8_S8_S8_S8_S8_S8_S8_EEiEEZNS1_14transform_implILb0ES3_SA_NS6_6detail15normal_iteratorINS6_10device_ptrIS9_EEEENSD_INSE_IiEEEEZNS1_13binary_searchIS3_SA_SG_SG_SI_NS1_21upper_bound_search_opENSC_16wrapped_functionINS0_4lessIvEEbEEEE10hipError_tPvRmT1_T2_T3_mmT4_T5_P12ihipStream_tbEUlRKS9_E_EESP_ST_SU_mSV_SY_bEUlT_E_NS1_11comp_targetILNS1_3genE2ELNS1_11target_archE906ELNS1_3gpuE6ELNS1_3repE0EEENS1_30default_config_static_selectorELNS0_4arch9wavefront6targetE1EEEvSS_.numbered_sgpr, 22
	.set _ZN7rocprim17ROCPRIM_400000_NS6detail17trampoline_kernelINS0_14default_configENS1_27upper_bound_config_selectorIN6thrust23THRUST_200600_302600_NS5tupleIiiNS6_9null_typeES8_S8_S8_S8_S8_S8_S8_EEiEEZNS1_14transform_implILb0ES3_SA_NS6_6detail15normal_iteratorINS6_10device_ptrIS9_EEEENSD_INSE_IiEEEEZNS1_13binary_searchIS3_SA_SG_SG_SI_NS1_21upper_bound_search_opENSC_16wrapped_functionINS0_4lessIvEEbEEEE10hipError_tPvRmT1_T2_T3_mmT4_T5_P12ihipStream_tbEUlRKS9_E_EESP_ST_SU_mSV_SY_bEUlT_E_NS1_11comp_targetILNS1_3genE2ELNS1_11target_archE906ELNS1_3gpuE6ELNS1_3repE0EEENS1_30default_config_static_selectorELNS0_4arch9wavefront6targetE1EEEvSS_.num_named_barrier, 0
	.set _ZN7rocprim17ROCPRIM_400000_NS6detail17trampoline_kernelINS0_14default_configENS1_27upper_bound_config_selectorIN6thrust23THRUST_200600_302600_NS5tupleIiiNS6_9null_typeES8_S8_S8_S8_S8_S8_S8_EEiEEZNS1_14transform_implILb0ES3_SA_NS6_6detail15normal_iteratorINS6_10device_ptrIS9_EEEENSD_INSE_IiEEEEZNS1_13binary_searchIS3_SA_SG_SG_SI_NS1_21upper_bound_search_opENSC_16wrapped_functionINS0_4lessIvEEbEEEE10hipError_tPvRmT1_T2_T3_mmT4_T5_P12ihipStream_tbEUlRKS9_E_EESP_ST_SU_mSV_SY_bEUlT_E_NS1_11comp_targetILNS1_3genE2ELNS1_11target_archE906ELNS1_3gpuE6ELNS1_3repE0EEENS1_30default_config_static_selectorELNS0_4arch9wavefront6targetE1EEEvSS_.private_seg_size, 0
	.set _ZN7rocprim17ROCPRIM_400000_NS6detail17trampoline_kernelINS0_14default_configENS1_27upper_bound_config_selectorIN6thrust23THRUST_200600_302600_NS5tupleIiiNS6_9null_typeES8_S8_S8_S8_S8_S8_S8_EEiEEZNS1_14transform_implILb0ES3_SA_NS6_6detail15normal_iteratorINS6_10device_ptrIS9_EEEENSD_INSE_IiEEEEZNS1_13binary_searchIS3_SA_SG_SG_SI_NS1_21upper_bound_search_opENSC_16wrapped_functionINS0_4lessIvEEbEEEE10hipError_tPvRmT1_T2_T3_mmT4_T5_P12ihipStream_tbEUlRKS9_E_EESP_ST_SU_mSV_SY_bEUlT_E_NS1_11comp_targetILNS1_3genE2ELNS1_11target_archE906ELNS1_3gpuE6ELNS1_3repE0EEENS1_30default_config_static_selectorELNS0_4arch9wavefront6targetE1EEEvSS_.uses_vcc, 1
	.set _ZN7rocprim17ROCPRIM_400000_NS6detail17trampoline_kernelINS0_14default_configENS1_27upper_bound_config_selectorIN6thrust23THRUST_200600_302600_NS5tupleIiiNS6_9null_typeES8_S8_S8_S8_S8_S8_S8_EEiEEZNS1_14transform_implILb0ES3_SA_NS6_6detail15normal_iteratorINS6_10device_ptrIS9_EEEENSD_INSE_IiEEEEZNS1_13binary_searchIS3_SA_SG_SG_SI_NS1_21upper_bound_search_opENSC_16wrapped_functionINS0_4lessIvEEbEEEE10hipError_tPvRmT1_T2_T3_mmT4_T5_P12ihipStream_tbEUlRKS9_E_EESP_ST_SU_mSV_SY_bEUlT_E_NS1_11comp_targetILNS1_3genE2ELNS1_11target_archE906ELNS1_3gpuE6ELNS1_3repE0EEENS1_30default_config_static_selectorELNS0_4arch9wavefront6targetE1EEEvSS_.uses_flat_scratch, 0
	.set _ZN7rocprim17ROCPRIM_400000_NS6detail17trampoline_kernelINS0_14default_configENS1_27upper_bound_config_selectorIN6thrust23THRUST_200600_302600_NS5tupleIiiNS6_9null_typeES8_S8_S8_S8_S8_S8_S8_EEiEEZNS1_14transform_implILb0ES3_SA_NS6_6detail15normal_iteratorINS6_10device_ptrIS9_EEEENSD_INSE_IiEEEEZNS1_13binary_searchIS3_SA_SG_SG_SI_NS1_21upper_bound_search_opENSC_16wrapped_functionINS0_4lessIvEEbEEEE10hipError_tPvRmT1_T2_T3_mmT4_T5_P12ihipStream_tbEUlRKS9_E_EESP_ST_SU_mSV_SY_bEUlT_E_NS1_11comp_targetILNS1_3genE2ELNS1_11target_archE906ELNS1_3gpuE6ELNS1_3repE0EEENS1_30default_config_static_selectorELNS0_4arch9wavefront6targetE1EEEvSS_.has_dyn_sized_stack, 0
	.set _ZN7rocprim17ROCPRIM_400000_NS6detail17trampoline_kernelINS0_14default_configENS1_27upper_bound_config_selectorIN6thrust23THRUST_200600_302600_NS5tupleIiiNS6_9null_typeES8_S8_S8_S8_S8_S8_S8_EEiEEZNS1_14transform_implILb0ES3_SA_NS6_6detail15normal_iteratorINS6_10device_ptrIS9_EEEENSD_INSE_IiEEEEZNS1_13binary_searchIS3_SA_SG_SG_SI_NS1_21upper_bound_search_opENSC_16wrapped_functionINS0_4lessIvEEbEEEE10hipError_tPvRmT1_T2_T3_mmT4_T5_P12ihipStream_tbEUlRKS9_E_EESP_ST_SU_mSV_SY_bEUlT_E_NS1_11comp_targetILNS1_3genE2ELNS1_11target_archE906ELNS1_3gpuE6ELNS1_3repE0EEENS1_30default_config_static_selectorELNS0_4arch9wavefront6targetE1EEEvSS_.has_recursion, 0
	.set _ZN7rocprim17ROCPRIM_400000_NS6detail17trampoline_kernelINS0_14default_configENS1_27upper_bound_config_selectorIN6thrust23THRUST_200600_302600_NS5tupleIiiNS6_9null_typeES8_S8_S8_S8_S8_S8_S8_EEiEEZNS1_14transform_implILb0ES3_SA_NS6_6detail15normal_iteratorINS6_10device_ptrIS9_EEEENSD_INSE_IiEEEEZNS1_13binary_searchIS3_SA_SG_SG_SI_NS1_21upper_bound_search_opENSC_16wrapped_functionINS0_4lessIvEEbEEEE10hipError_tPvRmT1_T2_T3_mmT4_T5_P12ihipStream_tbEUlRKS9_E_EESP_ST_SU_mSV_SY_bEUlT_E_NS1_11comp_targetILNS1_3genE2ELNS1_11target_archE906ELNS1_3gpuE6ELNS1_3repE0EEENS1_30default_config_static_selectorELNS0_4arch9wavefront6targetE1EEEvSS_.has_indirect_call, 0
	.section	.AMDGPU.csdata,"",@progbits
; Kernel info:
; codeLenInByte = 628
; TotalNumSgprs: 26
; NumVgprs: 15
; ScratchSize: 0
; MemoryBound: 0
; FloatMode: 240
; IeeeMode: 1
; LDSByteSize: 0 bytes/workgroup (compile time only)
; SGPRBlocks: 3
; VGPRBlocks: 3
; NumSGPRsForWavesPerEU: 26
; NumVGPRsForWavesPerEU: 15
; Occupancy: 10
; WaveLimiterHint : 0
; COMPUTE_PGM_RSRC2:SCRATCH_EN: 0
; COMPUTE_PGM_RSRC2:USER_SGPR: 6
; COMPUTE_PGM_RSRC2:TRAP_HANDLER: 0
; COMPUTE_PGM_RSRC2:TGID_X_EN: 1
; COMPUTE_PGM_RSRC2:TGID_Y_EN: 0
; COMPUTE_PGM_RSRC2:TGID_Z_EN: 0
; COMPUTE_PGM_RSRC2:TIDIG_COMP_CNT: 0
	.section	.text._ZN7rocprim17ROCPRIM_400000_NS6detail17trampoline_kernelINS0_14default_configENS1_27upper_bound_config_selectorIN6thrust23THRUST_200600_302600_NS5tupleIiiNS6_9null_typeES8_S8_S8_S8_S8_S8_S8_EEiEEZNS1_14transform_implILb0ES3_SA_NS6_6detail15normal_iteratorINS6_10device_ptrIS9_EEEENSD_INSE_IiEEEEZNS1_13binary_searchIS3_SA_SG_SG_SI_NS1_21upper_bound_search_opENSC_16wrapped_functionINS0_4lessIvEEbEEEE10hipError_tPvRmT1_T2_T3_mmT4_T5_P12ihipStream_tbEUlRKS9_E_EESP_ST_SU_mSV_SY_bEUlT_E_NS1_11comp_targetILNS1_3genE10ELNS1_11target_archE1201ELNS1_3gpuE5ELNS1_3repE0EEENS1_30default_config_static_selectorELNS0_4arch9wavefront6targetE1EEEvSS_,"axG",@progbits,_ZN7rocprim17ROCPRIM_400000_NS6detail17trampoline_kernelINS0_14default_configENS1_27upper_bound_config_selectorIN6thrust23THRUST_200600_302600_NS5tupleIiiNS6_9null_typeES8_S8_S8_S8_S8_S8_S8_EEiEEZNS1_14transform_implILb0ES3_SA_NS6_6detail15normal_iteratorINS6_10device_ptrIS9_EEEENSD_INSE_IiEEEEZNS1_13binary_searchIS3_SA_SG_SG_SI_NS1_21upper_bound_search_opENSC_16wrapped_functionINS0_4lessIvEEbEEEE10hipError_tPvRmT1_T2_T3_mmT4_T5_P12ihipStream_tbEUlRKS9_E_EESP_ST_SU_mSV_SY_bEUlT_E_NS1_11comp_targetILNS1_3genE10ELNS1_11target_archE1201ELNS1_3gpuE5ELNS1_3repE0EEENS1_30default_config_static_selectorELNS0_4arch9wavefront6targetE1EEEvSS_,comdat
	.protected	_ZN7rocprim17ROCPRIM_400000_NS6detail17trampoline_kernelINS0_14default_configENS1_27upper_bound_config_selectorIN6thrust23THRUST_200600_302600_NS5tupleIiiNS6_9null_typeES8_S8_S8_S8_S8_S8_S8_EEiEEZNS1_14transform_implILb0ES3_SA_NS6_6detail15normal_iteratorINS6_10device_ptrIS9_EEEENSD_INSE_IiEEEEZNS1_13binary_searchIS3_SA_SG_SG_SI_NS1_21upper_bound_search_opENSC_16wrapped_functionINS0_4lessIvEEbEEEE10hipError_tPvRmT1_T2_T3_mmT4_T5_P12ihipStream_tbEUlRKS9_E_EESP_ST_SU_mSV_SY_bEUlT_E_NS1_11comp_targetILNS1_3genE10ELNS1_11target_archE1201ELNS1_3gpuE5ELNS1_3repE0EEENS1_30default_config_static_selectorELNS0_4arch9wavefront6targetE1EEEvSS_ ; -- Begin function _ZN7rocprim17ROCPRIM_400000_NS6detail17trampoline_kernelINS0_14default_configENS1_27upper_bound_config_selectorIN6thrust23THRUST_200600_302600_NS5tupleIiiNS6_9null_typeES8_S8_S8_S8_S8_S8_S8_EEiEEZNS1_14transform_implILb0ES3_SA_NS6_6detail15normal_iteratorINS6_10device_ptrIS9_EEEENSD_INSE_IiEEEEZNS1_13binary_searchIS3_SA_SG_SG_SI_NS1_21upper_bound_search_opENSC_16wrapped_functionINS0_4lessIvEEbEEEE10hipError_tPvRmT1_T2_T3_mmT4_T5_P12ihipStream_tbEUlRKS9_E_EESP_ST_SU_mSV_SY_bEUlT_E_NS1_11comp_targetILNS1_3genE10ELNS1_11target_archE1201ELNS1_3gpuE5ELNS1_3repE0EEENS1_30default_config_static_selectorELNS0_4arch9wavefront6targetE1EEEvSS_
	.globl	_ZN7rocprim17ROCPRIM_400000_NS6detail17trampoline_kernelINS0_14default_configENS1_27upper_bound_config_selectorIN6thrust23THRUST_200600_302600_NS5tupleIiiNS6_9null_typeES8_S8_S8_S8_S8_S8_S8_EEiEEZNS1_14transform_implILb0ES3_SA_NS6_6detail15normal_iteratorINS6_10device_ptrIS9_EEEENSD_INSE_IiEEEEZNS1_13binary_searchIS3_SA_SG_SG_SI_NS1_21upper_bound_search_opENSC_16wrapped_functionINS0_4lessIvEEbEEEE10hipError_tPvRmT1_T2_T3_mmT4_T5_P12ihipStream_tbEUlRKS9_E_EESP_ST_SU_mSV_SY_bEUlT_E_NS1_11comp_targetILNS1_3genE10ELNS1_11target_archE1201ELNS1_3gpuE5ELNS1_3repE0EEENS1_30default_config_static_selectorELNS0_4arch9wavefront6targetE1EEEvSS_
	.p2align	8
	.type	_ZN7rocprim17ROCPRIM_400000_NS6detail17trampoline_kernelINS0_14default_configENS1_27upper_bound_config_selectorIN6thrust23THRUST_200600_302600_NS5tupleIiiNS6_9null_typeES8_S8_S8_S8_S8_S8_S8_EEiEEZNS1_14transform_implILb0ES3_SA_NS6_6detail15normal_iteratorINS6_10device_ptrIS9_EEEENSD_INSE_IiEEEEZNS1_13binary_searchIS3_SA_SG_SG_SI_NS1_21upper_bound_search_opENSC_16wrapped_functionINS0_4lessIvEEbEEEE10hipError_tPvRmT1_T2_T3_mmT4_T5_P12ihipStream_tbEUlRKS9_E_EESP_ST_SU_mSV_SY_bEUlT_E_NS1_11comp_targetILNS1_3genE10ELNS1_11target_archE1201ELNS1_3gpuE5ELNS1_3repE0EEENS1_30default_config_static_selectorELNS0_4arch9wavefront6targetE1EEEvSS_,@function
_ZN7rocprim17ROCPRIM_400000_NS6detail17trampoline_kernelINS0_14default_configENS1_27upper_bound_config_selectorIN6thrust23THRUST_200600_302600_NS5tupleIiiNS6_9null_typeES8_S8_S8_S8_S8_S8_S8_EEiEEZNS1_14transform_implILb0ES3_SA_NS6_6detail15normal_iteratorINS6_10device_ptrIS9_EEEENSD_INSE_IiEEEEZNS1_13binary_searchIS3_SA_SG_SG_SI_NS1_21upper_bound_search_opENSC_16wrapped_functionINS0_4lessIvEEbEEEE10hipError_tPvRmT1_T2_T3_mmT4_T5_P12ihipStream_tbEUlRKS9_E_EESP_ST_SU_mSV_SY_bEUlT_E_NS1_11comp_targetILNS1_3genE10ELNS1_11target_archE1201ELNS1_3gpuE5ELNS1_3repE0EEENS1_30default_config_static_selectorELNS0_4arch9wavefront6targetE1EEEvSS_: ; @_ZN7rocprim17ROCPRIM_400000_NS6detail17trampoline_kernelINS0_14default_configENS1_27upper_bound_config_selectorIN6thrust23THRUST_200600_302600_NS5tupleIiiNS6_9null_typeES8_S8_S8_S8_S8_S8_S8_EEiEEZNS1_14transform_implILb0ES3_SA_NS6_6detail15normal_iteratorINS6_10device_ptrIS9_EEEENSD_INSE_IiEEEEZNS1_13binary_searchIS3_SA_SG_SG_SI_NS1_21upper_bound_search_opENSC_16wrapped_functionINS0_4lessIvEEbEEEE10hipError_tPvRmT1_T2_T3_mmT4_T5_P12ihipStream_tbEUlRKS9_E_EESP_ST_SU_mSV_SY_bEUlT_E_NS1_11comp_targetILNS1_3genE10ELNS1_11target_archE1201ELNS1_3gpuE5ELNS1_3repE0EEENS1_30default_config_static_selectorELNS0_4arch9wavefront6targetE1EEEvSS_
; %bb.0:
	.section	.rodata,"a",@progbits
	.p2align	6, 0x0
	.amdhsa_kernel _ZN7rocprim17ROCPRIM_400000_NS6detail17trampoline_kernelINS0_14default_configENS1_27upper_bound_config_selectorIN6thrust23THRUST_200600_302600_NS5tupleIiiNS6_9null_typeES8_S8_S8_S8_S8_S8_S8_EEiEEZNS1_14transform_implILb0ES3_SA_NS6_6detail15normal_iteratorINS6_10device_ptrIS9_EEEENSD_INSE_IiEEEEZNS1_13binary_searchIS3_SA_SG_SG_SI_NS1_21upper_bound_search_opENSC_16wrapped_functionINS0_4lessIvEEbEEEE10hipError_tPvRmT1_T2_T3_mmT4_T5_P12ihipStream_tbEUlRKS9_E_EESP_ST_SU_mSV_SY_bEUlT_E_NS1_11comp_targetILNS1_3genE10ELNS1_11target_archE1201ELNS1_3gpuE5ELNS1_3repE0EEENS1_30default_config_static_selectorELNS0_4arch9wavefront6targetE1EEEvSS_
		.amdhsa_group_segment_fixed_size 0
		.amdhsa_private_segment_fixed_size 0
		.amdhsa_kernarg_size 56
		.amdhsa_user_sgpr_count 6
		.amdhsa_user_sgpr_private_segment_buffer 1
		.amdhsa_user_sgpr_dispatch_ptr 0
		.amdhsa_user_sgpr_queue_ptr 0
		.amdhsa_user_sgpr_kernarg_segment_ptr 1
		.amdhsa_user_sgpr_dispatch_id 0
		.amdhsa_user_sgpr_flat_scratch_init 0
		.amdhsa_user_sgpr_private_segment_size 0
		.amdhsa_uses_dynamic_stack 0
		.amdhsa_system_sgpr_private_segment_wavefront_offset 0
		.amdhsa_system_sgpr_workgroup_id_x 1
		.amdhsa_system_sgpr_workgroup_id_y 0
		.amdhsa_system_sgpr_workgroup_id_z 0
		.amdhsa_system_sgpr_workgroup_info 0
		.amdhsa_system_vgpr_workitem_id 0
		.amdhsa_next_free_vgpr 1
		.amdhsa_next_free_sgpr 0
		.amdhsa_reserve_vcc 0
		.amdhsa_reserve_flat_scratch 0
		.amdhsa_float_round_mode_32 0
		.amdhsa_float_round_mode_16_64 0
		.amdhsa_float_denorm_mode_32 3
		.amdhsa_float_denorm_mode_16_64 3
		.amdhsa_dx10_clamp 1
		.amdhsa_ieee_mode 1
		.amdhsa_fp16_overflow 0
		.amdhsa_exception_fp_ieee_invalid_op 0
		.amdhsa_exception_fp_denorm_src 0
		.amdhsa_exception_fp_ieee_div_zero 0
		.amdhsa_exception_fp_ieee_overflow 0
		.amdhsa_exception_fp_ieee_underflow 0
		.amdhsa_exception_fp_ieee_inexact 0
		.amdhsa_exception_int_div_zero 0
	.end_amdhsa_kernel
	.section	.text._ZN7rocprim17ROCPRIM_400000_NS6detail17trampoline_kernelINS0_14default_configENS1_27upper_bound_config_selectorIN6thrust23THRUST_200600_302600_NS5tupleIiiNS6_9null_typeES8_S8_S8_S8_S8_S8_S8_EEiEEZNS1_14transform_implILb0ES3_SA_NS6_6detail15normal_iteratorINS6_10device_ptrIS9_EEEENSD_INSE_IiEEEEZNS1_13binary_searchIS3_SA_SG_SG_SI_NS1_21upper_bound_search_opENSC_16wrapped_functionINS0_4lessIvEEbEEEE10hipError_tPvRmT1_T2_T3_mmT4_T5_P12ihipStream_tbEUlRKS9_E_EESP_ST_SU_mSV_SY_bEUlT_E_NS1_11comp_targetILNS1_3genE10ELNS1_11target_archE1201ELNS1_3gpuE5ELNS1_3repE0EEENS1_30default_config_static_selectorELNS0_4arch9wavefront6targetE1EEEvSS_,"axG",@progbits,_ZN7rocprim17ROCPRIM_400000_NS6detail17trampoline_kernelINS0_14default_configENS1_27upper_bound_config_selectorIN6thrust23THRUST_200600_302600_NS5tupleIiiNS6_9null_typeES8_S8_S8_S8_S8_S8_S8_EEiEEZNS1_14transform_implILb0ES3_SA_NS6_6detail15normal_iteratorINS6_10device_ptrIS9_EEEENSD_INSE_IiEEEEZNS1_13binary_searchIS3_SA_SG_SG_SI_NS1_21upper_bound_search_opENSC_16wrapped_functionINS0_4lessIvEEbEEEE10hipError_tPvRmT1_T2_T3_mmT4_T5_P12ihipStream_tbEUlRKS9_E_EESP_ST_SU_mSV_SY_bEUlT_E_NS1_11comp_targetILNS1_3genE10ELNS1_11target_archE1201ELNS1_3gpuE5ELNS1_3repE0EEENS1_30default_config_static_selectorELNS0_4arch9wavefront6targetE1EEEvSS_,comdat
.Lfunc_end622:
	.size	_ZN7rocprim17ROCPRIM_400000_NS6detail17trampoline_kernelINS0_14default_configENS1_27upper_bound_config_selectorIN6thrust23THRUST_200600_302600_NS5tupleIiiNS6_9null_typeES8_S8_S8_S8_S8_S8_S8_EEiEEZNS1_14transform_implILb0ES3_SA_NS6_6detail15normal_iteratorINS6_10device_ptrIS9_EEEENSD_INSE_IiEEEEZNS1_13binary_searchIS3_SA_SG_SG_SI_NS1_21upper_bound_search_opENSC_16wrapped_functionINS0_4lessIvEEbEEEE10hipError_tPvRmT1_T2_T3_mmT4_T5_P12ihipStream_tbEUlRKS9_E_EESP_ST_SU_mSV_SY_bEUlT_E_NS1_11comp_targetILNS1_3genE10ELNS1_11target_archE1201ELNS1_3gpuE5ELNS1_3repE0EEENS1_30default_config_static_selectorELNS0_4arch9wavefront6targetE1EEEvSS_, .Lfunc_end622-_ZN7rocprim17ROCPRIM_400000_NS6detail17trampoline_kernelINS0_14default_configENS1_27upper_bound_config_selectorIN6thrust23THRUST_200600_302600_NS5tupleIiiNS6_9null_typeES8_S8_S8_S8_S8_S8_S8_EEiEEZNS1_14transform_implILb0ES3_SA_NS6_6detail15normal_iteratorINS6_10device_ptrIS9_EEEENSD_INSE_IiEEEEZNS1_13binary_searchIS3_SA_SG_SG_SI_NS1_21upper_bound_search_opENSC_16wrapped_functionINS0_4lessIvEEbEEEE10hipError_tPvRmT1_T2_T3_mmT4_T5_P12ihipStream_tbEUlRKS9_E_EESP_ST_SU_mSV_SY_bEUlT_E_NS1_11comp_targetILNS1_3genE10ELNS1_11target_archE1201ELNS1_3gpuE5ELNS1_3repE0EEENS1_30default_config_static_selectorELNS0_4arch9wavefront6targetE1EEEvSS_
                                        ; -- End function
	.set _ZN7rocprim17ROCPRIM_400000_NS6detail17trampoline_kernelINS0_14default_configENS1_27upper_bound_config_selectorIN6thrust23THRUST_200600_302600_NS5tupleIiiNS6_9null_typeES8_S8_S8_S8_S8_S8_S8_EEiEEZNS1_14transform_implILb0ES3_SA_NS6_6detail15normal_iteratorINS6_10device_ptrIS9_EEEENSD_INSE_IiEEEEZNS1_13binary_searchIS3_SA_SG_SG_SI_NS1_21upper_bound_search_opENSC_16wrapped_functionINS0_4lessIvEEbEEEE10hipError_tPvRmT1_T2_T3_mmT4_T5_P12ihipStream_tbEUlRKS9_E_EESP_ST_SU_mSV_SY_bEUlT_E_NS1_11comp_targetILNS1_3genE10ELNS1_11target_archE1201ELNS1_3gpuE5ELNS1_3repE0EEENS1_30default_config_static_selectorELNS0_4arch9wavefront6targetE1EEEvSS_.num_vgpr, 0
	.set _ZN7rocprim17ROCPRIM_400000_NS6detail17trampoline_kernelINS0_14default_configENS1_27upper_bound_config_selectorIN6thrust23THRUST_200600_302600_NS5tupleIiiNS6_9null_typeES8_S8_S8_S8_S8_S8_S8_EEiEEZNS1_14transform_implILb0ES3_SA_NS6_6detail15normal_iteratorINS6_10device_ptrIS9_EEEENSD_INSE_IiEEEEZNS1_13binary_searchIS3_SA_SG_SG_SI_NS1_21upper_bound_search_opENSC_16wrapped_functionINS0_4lessIvEEbEEEE10hipError_tPvRmT1_T2_T3_mmT4_T5_P12ihipStream_tbEUlRKS9_E_EESP_ST_SU_mSV_SY_bEUlT_E_NS1_11comp_targetILNS1_3genE10ELNS1_11target_archE1201ELNS1_3gpuE5ELNS1_3repE0EEENS1_30default_config_static_selectorELNS0_4arch9wavefront6targetE1EEEvSS_.num_agpr, 0
	.set _ZN7rocprim17ROCPRIM_400000_NS6detail17trampoline_kernelINS0_14default_configENS1_27upper_bound_config_selectorIN6thrust23THRUST_200600_302600_NS5tupleIiiNS6_9null_typeES8_S8_S8_S8_S8_S8_S8_EEiEEZNS1_14transform_implILb0ES3_SA_NS6_6detail15normal_iteratorINS6_10device_ptrIS9_EEEENSD_INSE_IiEEEEZNS1_13binary_searchIS3_SA_SG_SG_SI_NS1_21upper_bound_search_opENSC_16wrapped_functionINS0_4lessIvEEbEEEE10hipError_tPvRmT1_T2_T3_mmT4_T5_P12ihipStream_tbEUlRKS9_E_EESP_ST_SU_mSV_SY_bEUlT_E_NS1_11comp_targetILNS1_3genE10ELNS1_11target_archE1201ELNS1_3gpuE5ELNS1_3repE0EEENS1_30default_config_static_selectorELNS0_4arch9wavefront6targetE1EEEvSS_.numbered_sgpr, 0
	.set _ZN7rocprim17ROCPRIM_400000_NS6detail17trampoline_kernelINS0_14default_configENS1_27upper_bound_config_selectorIN6thrust23THRUST_200600_302600_NS5tupleIiiNS6_9null_typeES8_S8_S8_S8_S8_S8_S8_EEiEEZNS1_14transform_implILb0ES3_SA_NS6_6detail15normal_iteratorINS6_10device_ptrIS9_EEEENSD_INSE_IiEEEEZNS1_13binary_searchIS3_SA_SG_SG_SI_NS1_21upper_bound_search_opENSC_16wrapped_functionINS0_4lessIvEEbEEEE10hipError_tPvRmT1_T2_T3_mmT4_T5_P12ihipStream_tbEUlRKS9_E_EESP_ST_SU_mSV_SY_bEUlT_E_NS1_11comp_targetILNS1_3genE10ELNS1_11target_archE1201ELNS1_3gpuE5ELNS1_3repE0EEENS1_30default_config_static_selectorELNS0_4arch9wavefront6targetE1EEEvSS_.num_named_barrier, 0
	.set _ZN7rocprim17ROCPRIM_400000_NS6detail17trampoline_kernelINS0_14default_configENS1_27upper_bound_config_selectorIN6thrust23THRUST_200600_302600_NS5tupleIiiNS6_9null_typeES8_S8_S8_S8_S8_S8_S8_EEiEEZNS1_14transform_implILb0ES3_SA_NS6_6detail15normal_iteratorINS6_10device_ptrIS9_EEEENSD_INSE_IiEEEEZNS1_13binary_searchIS3_SA_SG_SG_SI_NS1_21upper_bound_search_opENSC_16wrapped_functionINS0_4lessIvEEbEEEE10hipError_tPvRmT1_T2_T3_mmT4_T5_P12ihipStream_tbEUlRKS9_E_EESP_ST_SU_mSV_SY_bEUlT_E_NS1_11comp_targetILNS1_3genE10ELNS1_11target_archE1201ELNS1_3gpuE5ELNS1_3repE0EEENS1_30default_config_static_selectorELNS0_4arch9wavefront6targetE1EEEvSS_.private_seg_size, 0
	.set _ZN7rocprim17ROCPRIM_400000_NS6detail17trampoline_kernelINS0_14default_configENS1_27upper_bound_config_selectorIN6thrust23THRUST_200600_302600_NS5tupleIiiNS6_9null_typeES8_S8_S8_S8_S8_S8_S8_EEiEEZNS1_14transform_implILb0ES3_SA_NS6_6detail15normal_iteratorINS6_10device_ptrIS9_EEEENSD_INSE_IiEEEEZNS1_13binary_searchIS3_SA_SG_SG_SI_NS1_21upper_bound_search_opENSC_16wrapped_functionINS0_4lessIvEEbEEEE10hipError_tPvRmT1_T2_T3_mmT4_T5_P12ihipStream_tbEUlRKS9_E_EESP_ST_SU_mSV_SY_bEUlT_E_NS1_11comp_targetILNS1_3genE10ELNS1_11target_archE1201ELNS1_3gpuE5ELNS1_3repE0EEENS1_30default_config_static_selectorELNS0_4arch9wavefront6targetE1EEEvSS_.uses_vcc, 0
	.set _ZN7rocprim17ROCPRIM_400000_NS6detail17trampoline_kernelINS0_14default_configENS1_27upper_bound_config_selectorIN6thrust23THRUST_200600_302600_NS5tupleIiiNS6_9null_typeES8_S8_S8_S8_S8_S8_S8_EEiEEZNS1_14transform_implILb0ES3_SA_NS6_6detail15normal_iteratorINS6_10device_ptrIS9_EEEENSD_INSE_IiEEEEZNS1_13binary_searchIS3_SA_SG_SG_SI_NS1_21upper_bound_search_opENSC_16wrapped_functionINS0_4lessIvEEbEEEE10hipError_tPvRmT1_T2_T3_mmT4_T5_P12ihipStream_tbEUlRKS9_E_EESP_ST_SU_mSV_SY_bEUlT_E_NS1_11comp_targetILNS1_3genE10ELNS1_11target_archE1201ELNS1_3gpuE5ELNS1_3repE0EEENS1_30default_config_static_selectorELNS0_4arch9wavefront6targetE1EEEvSS_.uses_flat_scratch, 0
	.set _ZN7rocprim17ROCPRIM_400000_NS6detail17trampoline_kernelINS0_14default_configENS1_27upper_bound_config_selectorIN6thrust23THRUST_200600_302600_NS5tupleIiiNS6_9null_typeES8_S8_S8_S8_S8_S8_S8_EEiEEZNS1_14transform_implILb0ES3_SA_NS6_6detail15normal_iteratorINS6_10device_ptrIS9_EEEENSD_INSE_IiEEEEZNS1_13binary_searchIS3_SA_SG_SG_SI_NS1_21upper_bound_search_opENSC_16wrapped_functionINS0_4lessIvEEbEEEE10hipError_tPvRmT1_T2_T3_mmT4_T5_P12ihipStream_tbEUlRKS9_E_EESP_ST_SU_mSV_SY_bEUlT_E_NS1_11comp_targetILNS1_3genE10ELNS1_11target_archE1201ELNS1_3gpuE5ELNS1_3repE0EEENS1_30default_config_static_selectorELNS0_4arch9wavefront6targetE1EEEvSS_.has_dyn_sized_stack, 0
	.set _ZN7rocprim17ROCPRIM_400000_NS6detail17trampoline_kernelINS0_14default_configENS1_27upper_bound_config_selectorIN6thrust23THRUST_200600_302600_NS5tupleIiiNS6_9null_typeES8_S8_S8_S8_S8_S8_S8_EEiEEZNS1_14transform_implILb0ES3_SA_NS6_6detail15normal_iteratorINS6_10device_ptrIS9_EEEENSD_INSE_IiEEEEZNS1_13binary_searchIS3_SA_SG_SG_SI_NS1_21upper_bound_search_opENSC_16wrapped_functionINS0_4lessIvEEbEEEE10hipError_tPvRmT1_T2_T3_mmT4_T5_P12ihipStream_tbEUlRKS9_E_EESP_ST_SU_mSV_SY_bEUlT_E_NS1_11comp_targetILNS1_3genE10ELNS1_11target_archE1201ELNS1_3gpuE5ELNS1_3repE0EEENS1_30default_config_static_selectorELNS0_4arch9wavefront6targetE1EEEvSS_.has_recursion, 0
	.set _ZN7rocprim17ROCPRIM_400000_NS6detail17trampoline_kernelINS0_14default_configENS1_27upper_bound_config_selectorIN6thrust23THRUST_200600_302600_NS5tupleIiiNS6_9null_typeES8_S8_S8_S8_S8_S8_S8_EEiEEZNS1_14transform_implILb0ES3_SA_NS6_6detail15normal_iteratorINS6_10device_ptrIS9_EEEENSD_INSE_IiEEEEZNS1_13binary_searchIS3_SA_SG_SG_SI_NS1_21upper_bound_search_opENSC_16wrapped_functionINS0_4lessIvEEbEEEE10hipError_tPvRmT1_T2_T3_mmT4_T5_P12ihipStream_tbEUlRKS9_E_EESP_ST_SU_mSV_SY_bEUlT_E_NS1_11comp_targetILNS1_3genE10ELNS1_11target_archE1201ELNS1_3gpuE5ELNS1_3repE0EEENS1_30default_config_static_selectorELNS0_4arch9wavefront6targetE1EEEvSS_.has_indirect_call, 0
	.section	.AMDGPU.csdata,"",@progbits
; Kernel info:
; codeLenInByte = 0
; TotalNumSgprs: 4
; NumVgprs: 0
; ScratchSize: 0
; MemoryBound: 0
; FloatMode: 240
; IeeeMode: 1
; LDSByteSize: 0 bytes/workgroup (compile time only)
; SGPRBlocks: 0
; VGPRBlocks: 0
; NumSGPRsForWavesPerEU: 4
; NumVGPRsForWavesPerEU: 1
; Occupancy: 10
; WaveLimiterHint : 0
; COMPUTE_PGM_RSRC2:SCRATCH_EN: 0
; COMPUTE_PGM_RSRC2:USER_SGPR: 6
; COMPUTE_PGM_RSRC2:TRAP_HANDLER: 0
; COMPUTE_PGM_RSRC2:TGID_X_EN: 1
; COMPUTE_PGM_RSRC2:TGID_Y_EN: 0
; COMPUTE_PGM_RSRC2:TGID_Z_EN: 0
; COMPUTE_PGM_RSRC2:TIDIG_COMP_CNT: 0
	.section	.text._ZN7rocprim17ROCPRIM_400000_NS6detail17trampoline_kernelINS0_14default_configENS1_27upper_bound_config_selectorIN6thrust23THRUST_200600_302600_NS5tupleIiiNS6_9null_typeES8_S8_S8_S8_S8_S8_S8_EEiEEZNS1_14transform_implILb0ES3_SA_NS6_6detail15normal_iteratorINS6_10device_ptrIS9_EEEENSD_INSE_IiEEEEZNS1_13binary_searchIS3_SA_SG_SG_SI_NS1_21upper_bound_search_opENSC_16wrapped_functionINS0_4lessIvEEbEEEE10hipError_tPvRmT1_T2_T3_mmT4_T5_P12ihipStream_tbEUlRKS9_E_EESP_ST_SU_mSV_SY_bEUlT_E_NS1_11comp_targetILNS1_3genE10ELNS1_11target_archE1200ELNS1_3gpuE4ELNS1_3repE0EEENS1_30default_config_static_selectorELNS0_4arch9wavefront6targetE1EEEvSS_,"axG",@progbits,_ZN7rocprim17ROCPRIM_400000_NS6detail17trampoline_kernelINS0_14default_configENS1_27upper_bound_config_selectorIN6thrust23THRUST_200600_302600_NS5tupleIiiNS6_9null_typeES8_S8_S8_S8_S8_S8_S8_EEiEEZNS1_14transform_implILb0ES3_SA_NS6_6detail15normal_iteratorINS6_10device_ptrIS9_EEEENSD_INSE_IiEEEEZNS1_13binary_searchIS3_SA_SG_SG_SI_NS1_21upper_bound_search_opENSC_16wrapped_functionINS0_4lessIvEEbEEEE10hipError_tPvRmT1_T2_T3_mmT4_T5_P12ihipStream_tbEUlRKS9_E_EESP_ST_SU_mSV_SY_bEUlT_E_NS1_11comp_targetILNS1_3genE10ELNS1_11target_archE1200ELNS1_3gpuE4ELNS1_3repE0EEENS1_30default_config_static_selectorELNS0_4arch9wavefront6targetE1EEEvSS_,comdat
	.protected	_ZN7rocprim17ROCPRIM_400000_NS6detail17trampoline_kernelINS0_14default_configENS1_27upper_bound_config_selectorIN6thrust23THRUST_200600_302600_NS5tupleIiiNS6_9null_typeES8_S8_S8_S8_S8_S8_S8_EEiEEZNS1_14transform_implILb0ES3_SA_NS6_6detail15normal_iteratorINS6_10device_ptrIS9_EEEENSD_INSE_IiEEEEZNS1_13binary_searchIS3_SA_SG_SG_SI_NS1_21upper_bound_search_opENSC_16wrapped_functionINS0_4lessIvEEbEEEE10hipError_tPvRmT1_T2_T3_mmT4_T5_P12ihipStream_tbEUlRKS9_E_EESP_ST_SU_mSV_SY_bEUlT_E_NS1_11comp_targetILNS1_3genE10ELNS1_11target_archE1200ELNS1_3gpuE4ELNS1_3repE0EEENS1_30default_config_static_selectorELNS0_4arch9wavefront6targetE1EEEvSS_ ; -- Begin function _ZN7rocprim17ROCPRIM_400000_NS6detail17trampoline_kernelINS0_14default_configENS1_27upper_bound_config_selectorIN6thrust23THRUST_200600_302600_NS5tupleIiiNS6_9null_typeES8_S8_S8_S8_S8_S8_S8_EEiEEZNS1_14transform_implILb0ES3_SA_NS6_6detail15normal_iteratorINS6_10device_ptrIS9_EEEENSD_INSE_IiEEEEZNS1_13binary_searchIS3_SA_SG_SG_SI_NS1_21upper_bound_search_opENSC_16wrapped_functionINS0_4lessIvEEbEEEE10hipError_tPvRmT1_T2_T3_mmT4_T5_P12ihipStream_tbEUlRKS9_E_EESP_ST_SU_mSV_SY_bEUlT_E_NS1_11comp_targetILNS1_3genE10ELNS1_11target_archE1200ELNS1_3gpuE4ELNS1_3repE0EEENS1_30default_config_static_selectorELNS0_4arch9wavefront6targetE1EEEvSS_
	.globl	_ZN7rocprim17ROCPRIM_400000_NS6detail17trampoline_kernelINS0_14default_configENS1_27upper_bound_config_selectorIN6thrust23THRUST_200600_302600_NS5tupleIiiNS6_9null_typeES8_S8_S8_S8_S8_S8_S8_EEiEEZNS1_14transform_implILb0ES3_SA_NS6_6detail15normal_iteratorINS6_10device_ptrIS9_EEEENSD_INSE_IiEEEEZNS1_13binary_searchIS3_SA_SG_SG_SI_NS1_21upper_bound_search_opENSC_16wrapped_functionINS0_4lessIvEEbEEEE10hipError_tPvRmT1_T2_T3_mmT4_T5_P12ihipStream_tbEUlRKS9_E_EESP_ST_SU_mSV_SY_bEUlT_E_NS1_11comp_targetILNS1_3genE10ELNS1_11target_archE1200ELNS1_3gpuE4ELNS1_3repE0EEENS1_30default_config_static_selectorELNS0_4arch9wavefront6targetE1EEEvSS_
	.p2align	8
	.type	_ZN7rocprim17ROCPRIM_400000_NS6detail17trampoline_kernelINS0_14default_configENS1_27upper_bound_config_selectorIN6thrust23THRUST_200600_302600_NS5tupleIiiNS6_9null_typeES8_S8_S8_S8_S8_S8_S8_EEiEEZNS1_14transform_implILb0ES3_SA_NS6_6detail15normal_iteratorINS6_10device_ptrIS9_EEEENSD_INSE_IiEEEEZNS1_13binary_searchIS3_SA_SG_SG_SI_NS1_21upper_bound_search_opENSC_16wrapped_functionINS0_4lessIvEEbEEEE10hipError_tPvRmT1_T2_T3_mmT4_T5_P12ihipStream_tbEUlRKS9_E_EESP_ST_SU_mSV_SY_bEUlT_E_NS1_11comp_targetILNS1_3genE10ELNS1_11target_archE1200ELNS1_3gpuE4ELNS1_3repE0EEENS1_30default_config_static_selectorELNS0_4arch9wavefront6targetE1EEEvSS_,@function
_ZN7rocprim17ROCPRIM_400000_NS6detail17trampoline_kernelINS0_14default_configENS1_27upper_bound_config_selectorIN6thrust23THRUST_200600_302600_NS5tupleIiiNS6_9null_typeES8_S8_S8_S8_S8_S8_S8_EEiEEZNS1_14transform_implILb0ES3_SA_NS6_6detail15normal_iteratorINS6_10device_ptrIS9_EEEENSD_INSE_IiEEEEZNS1_13binary_searchIS3_SA_SG_SG_SI_NS1_21upper_bound_search_opENSC_16wrapped_functionINS0_4lessIvEEbEEEE10hipError_tPvRmT1_T2_T3_mmT4_T5_P12ihipStream_tbEUlRKS9_E_EESP_ST_SU_mSV_SY_bEUlT_E_NS1_11comp_targetILNS1_3genE10ELNS1_11target_archE1200ELNS1_3gpuE4ELNS1_3repE0EEENS1_30default_config_static_selectorELNS0_4arch9wavefront6targetE1EEEvSS_: ; @_ZN7rocprim17ROCPRIM_400000_NS6detail17trampoline_kernelINS0_14default_configENS1_27upper_bound_config_selectorIN6thrust23THRUST_200600_302600_NS5tupleIiiNS6_9null_typeES8_S8_S8_S8_S8_S8_S8_EEiEEZNS1_14transform_implILb0ES3_SA_NS6_6detail15normal_iteratorINS6_10device_ptrIS9_EEEENSD_INSE_IiEEEEZNS1_13binary_searchIS3_SA_SG_SG_SI_NS1_21upper_bound_search_opENSC_16wrapped_functionINS0_4lessIvEEbEEEE10hipError_tPvRmT1_T2_T3_mmT4_T5_P12ihipStream_tbEUlRKS9_E_EESP_ST_SU_mSV_SY_bEUlT_E_NS1_11comp_targetILNS1_3genE10ELNS1_11target_archE1200ELNS1_3gpuE4ELNS1_3repE0EEENS1_30default_config_static_selectorELNS0_4arch9wavefront6targetE1EEEvSS_
; %bb.0:
	.section	.rodata,"a",@progbits
	.p2align	6, 0x0
	.amdhsa_kernel _ZN7rocprim17ROCPRIM_400000_NS6detail17trampoline_kernelINS0_14default_configENS1_27upper_bound_config_selectorIN6thrust23THRUST_200600_302600_NS5tupleIiiNS6_9null_typeES8_S8_S8_S8_S8_S8_S8_EEiEEZNS1_14transform_implILb0ES3_SA_NS6_6detail15normal_iteratorINS6_10device_ptrIS9_EEEENSD_INSE_IiEEEEZNS1_13binary_searchIS3_SA_SG_SG_SI_NS1_21upper_bound_search_opENSC_16wrapped_functionINS0_4lessIvEEbEEEE10hipError_tPvRmT1_T2_T3_mmT4_T5_P12ihipStream_tbEUlRKS9_E_EESP_ST_SU_mSV_SY_bEUlT_E_NS1_11comp_targetILNS1_3genE10ELNS1_11target_archE1200ELNS1_3gpuE4ELNS1_3repE0EEENS1_30default_config_static_selectorELNS0_4arch9wavefront6targetE1EEEvSS_
		.amdhsa_group_segment_fixed_size 0
		.amdhsa_private_segment_fixed_size 0
		.amdhsa_kernarg_size 56
		.amdhsa_user_sgpr_count 6
		.amdhsa_user_sgpr_private_segment_buffer 1
		.amdhsa_user_sgpr_dispatch_ptr 0
		.amdhsa_user_sgpr_queue_ptr 0
		.amdhsa_user_sgpr_kernarg_segment_ptr 1
		.amdhsa_user_sgpr_dispatch_id 0
		.amdhsa_user_sgpr_flat_scratch_init 0
		.amdhsa_user_sgpr_private_segment_size 0
		.amdhsa_uses_dynamic_stack 0
		.amdhsa_system_sgpr_private_segment_wavefront_offset 0
		.amdhsa_system_sgpr_workgroup_id_x 1
		.amdhsa_system_sgpr_workgroup_id_y 0
		.amdhsa_system_sgpr_workgroup_id_z 0
		.amdhsa_system_sgpr_workgroup_info 0
		.amdhsa_system_vgpr_workitem_id 0
		.amdhsa_next_free_vgpr 1
		.amdhsa_next_free_sgpr 0
		.amdhsa_reserve_vcc 0
		.amdhsa_reserve_flat_scratch 0
		.amdhsa_float_round_mode_32 0
		.amdhsa_float_round_mode_16_64 0
		.amdhsa_float_denorm_mode_32 3
		.amdhsa_float_denorm_mode_16_64 3
		.amdhsa_dx10_clamp 1
		.amdhsa_ieee_mode 1
		.amdhsa_fp16_overflow 0
		.amdhsa_exception_fp_ieee_invalid_op 0
		.amdhsa_exception_fp_denorm_src 0
		.amdhsa_exception_fp_ieee_div_zero 0
		.amdhsa_exception_fp_ieee_overflow 0
		.amdhsa_exception_fp_ieee_underflow 0
		.amdhsa_exception_fp_ieee_inexact 0
		.amdhsa_exception_int_div_zero 0
	.end_amdhsa_kernel
	.section	.text._ZN7rocprim17ROCPRIM_400000_NS6detail17trampoline_kernelINS0_14default_configENS1_27upper_bound_config_selectorIN6thrust23THRUST_200600_302600_NS5tupleIiiNS6_9null_typeES8_S8_S8_S8_S8_S8_S8_EEiEEZNS1_14transform_implILb0ES3_SA_NS6_6detail15normal_iteratorINS6_10device_ptrIS9_EEEENSD_INSE_IiEEEEZNS1_13binary_searchIS3_SA_SG_SG_SI_NS1_21upper_bound_search_opENSC_16wrapped_functionINS0_4lessIvEEbEEEE10hipError_tPvRmT1_T2_T3_mmT4_T5_P12ihipStream_tbEUlRKS9_E_EESP_ST_SU_mSV_SY_bEUlT_E_NS1_11comp_targetILNS1_3genE10ELNS1_11target_archE1200ELNS1_3gpuE4ELNS1_3repE0EEENS1_30default_config_static_selectorELNS0_4arch9wavefront6targetE1EEEvSS_,"axG",@progbits,_ZN7rocprim17ROCPRIM_400000_NS6detail17trampoline_kernelINS0_14default_configENS1_27upper_bound_config_selectorIN6thrust23THRUST_200600_302600_NS5tupleIiiNS6_9null_typeES8_S8_S8_S8_S8_S8_S8_EEiEEZNS1_14transform_implILb0ES3_SA_NS6_6detail15normal_iteratorINS6_10device_ptrIS9_EEEENSD_INSE_IiEEEEZNS1_13binary_searchIS3_SA_SG_SG_SI_NS1_21upper_bound_search_opENSC_16wrapped_functionINS0_4lessIvEEbEEEE10hipError_tPvRmT1_T2_T3_mmT4_T5_P12ihipStream_tbEUlRKS9_E_EESP_ST_SU_mSV_SY_bEUlT_E_NS1_11comp_targetILNS1_3genE10ELNS1_11target_archE1200ELNS1_3gpuE4ELNS1_3repE0EEENS1_30default_config_static_selectorELNS0_4arch9wavefront6targetE1EEEvSS_,comdat
.Lfunc_end623:
	.size	_ZN7rocprim17ROCPRIM_400000_NS6detail17trampoline_kernelINS0_14default_configENS1_27upper_bound_config_selectorIN6thrust23THRUST_200600_302600_NS5tupleIiiNS6_9null_typeES8_S8_S8_S8_S8_S8_S8_EEiEEZNS1_14transform_implILb0ES3_SA_NS6_6detail15normal_iteratorINS6_10device_ptrIS9_EEEENSD_INSE_IiEEEEZNS1_13binary_searchIS3_SA_SG_SG_SI_NS1_21upper_bound_search_opENSC_16wrapped_functionINS0_4lessIvEEbEEEE10hipError_tPvRmT1_T2_T3_mmT4_T5_P12ihipStream_tbEUlRKS9_E_EESP_ST_SU_mSV_SY_bEUlT_E_NS1_11comp_targetILNS1_3genE10ELNS1_11target_archE1200ELNS1_3gpuE4ELNS1_3repE0EEENS1_30default_config_static_selectorELNS0_4arch9wavefront6targetE1EEEvSS_, .Lfunc_end623-_ZN7rocprim17ROCPRIM_400000_NS6detail17trampoline_kernelINS0_14default_configENS1_27upper_bound_config_selectorIN6thrust23THRUST_200600_302600_NS5tupleIiiNS6_9null_typeES8_S8_S8_S8_S8_S8_S8_EEiEEZNS1_14transform_implILb0ES3_SA_NS6_6detail15normal_iteratorINS6_10device_ptrIS9_EEEENSD_INSE_IiEEEEZNS1_13binary_searchIS3_SA_SG_SG_SI_NS1_21upper_bound_search_opENSC_16wrapped_functionINS0_4lessIvEEbEEEE10hipError_tPvRmT1_T2_T3_mmT4_T5_P12ihipStream_tbEUlRKS9_E_EESP_ST_SU_mSV_SY_bEUlT_E_NS1_11comp_targetILNS1_3genE10ELNS1_11target_archE1200ELNS1_3gpuE4ELNS1_3repE0EEENS1_30default_config_static_selectorELNS0_4arch9wavefront6targetE1EEEvSS_
                                        ; -- End function
	.set _ZN7rocprim17ROCPRIM_400000_NS6detail17trampoline_kernelINS0_14default_configENS1_27upper_bound_config_selectorIN6thrust23THRUST_200600_302600_NS5tupleIiiNS6_9null_typeES8_S8_S8_S8_S8_S8_S8_EEiEEZNS1_14transform_implILb0ES3_SA_NS6_6detail15normal_iteratorINS6_10device_ptrIS9_EEEENSD_INSE_IiEEEEZNS1_13binary_searchIS3_SA_SG_SG_SI_NS1_21upper_bound_search_opENSC_16wrapped_functionINS0_4lessIvEEbEEEE10hipError_tPvRmT1_T2_T3_mmT4_T5_P12ihipStream_tbEUlRKS9_E_EESP_ST_SU_mSV_SY_bEUlT_E_NS1_11comp_targetILNS1_3genE10ELNS1_11target_archE1200ELNS1_3gpuE4ELNS1_3repE0EEENS1_30default_config_static_selectorELNS0_4arch9wavefront6targetE1EEEvSS_.num_vgpr, 0
	.set _ZN7rocprim17ROCPRIM_400000_NS6detail17trampoline_kernelINS0_14default_configENS1_27upper_bound_config_selectorIN6thrust23THRUST_200600_302600_NS5tupleIiiNS6_9null_typeES8_S8_S8_S8_S8_S8_S8_EEiEEZNS1_14transform_implILb0ES3_SA_NS6_6detail15normal_iteratorINS6_10device_ptrIS9_EEEENSD_INSE_IiEEEEZNS1_13binary_searchIS3_SA_SG_SG_SI_NS1_21upper_bound_search_opENSC_16wrapped_functionINS0_4lessIvEEbEEEE10hipError_tPvRmT1_T2_T3_mmT4_T5_P12ihipStream_tbEUlRKS9_E_EESP_ST_SU_mSV_SY_bEUlT_E_NS1_11comp_targetILNS1_3genE10ELNS1_11target_archE1200ELNS1_3gpuE4ELNS1_3repE0EEENS1_30default_config_static_selectorELNS0_4arch9wavefront6targetE1EEEvSS_.num_agpr, 0
	.set _ZN7rocprim17ROCPRIM_400000_NS6detail17trampoline_kernelINS0_14default_configENS1_27upper_bound_config_selectorIN6thrust23THRUST_200600_302600_NS5tupleIiiNS6_9null_typeES8_S8_S8_S8_S8_S8_S8_EEiEEZNS1_14transform_implILb0ES3_SA_NS6_6detail15normal_iteratorINS6_10device_ptrIS9_EEEENSD_INSE_IiEEEEZNS1_13binary_searchIS3_SA_SG_SG_SI_NS1_21upper_bound_search_opENSC_16wrapped_functionINS0_4lessIvEEbEEEE10hipError_tPvRmT1_T2_T3_mmT4_T5_P12ihipStream_tbEUlRKS9_E_EESP_ST_SU_mSV_SY_bEUlT_E_NS1_11comp_targetILNS1_3genE10ELNS1_11target_archE1200ELNS1_3gpuE4ELNS1_3repE0EEENS1_30default_config_static_selectorELNS0_4arch9wavefront6targetE1EEEvSS_.numbered_sgpr, 0
	.set _ZN7rocprim17ROCPRIM_400000_NS6detail17trampoline_kernelINS0_14default_configENS1_27upper_bound_config_selectorIN6thrust23THRUST_200600_302600_NS5tupleIiiNS6_9null_typeES8_S8_S8_S8_S8_S8_S8_EEiEEZNS1_14transform_implILb0ES3_SA_NS6_6detail15normal_iteratorINS6_10device_ptrIS9_EEEENSD_INSE_IiEEEEZNS1_13binary_searchIS3_SA_SG_SG_SI_NS1_21upper_bound_search_opENSC_16wrapped_functionINS0_4lessIvEEbEEEE10hipError_tPvRmT1_T2_T3_mmT4_T5_P12ihipStream_tbEUlRKS9_E_EESP_ST_SU_mSV_SY_bEUlT_E_NS1_11comp_targetILNS1_3genE10ELNS1_11target_archE1200ELNS1_3gpuE4ELNS1_3repE0EEENS1_30default_config_static_selectorELNS0_4arch9wavefront6targetE1EEEvSS_.num_named_barrier, 0
	.set _ZN7rocprim17ROCPRIM_400000_NS6detail17trampoline_kernelINS0_14default_configENS1_27upper_bound_config_selectorIN6thrust23THRUST_200600_302600_NS5tupleIiiNS6_9null_typeES8_S8_S8_S8_S8_S8_S8_EEiEEZNS1_14transform_implILb0ES3_SA_NS6_6detail15normal_iteratorINS6_10device_ptrIS9_EEEENSD_INSE_IiEEEEZNS1_13binary_searchIS3_SA_SG_SG_SI_NS1_21upper_bound_search_opENSC_16wrapped_functionINS0_4lessIvEEbEEEE10hipError_tPvRmT1_T2_T3_mmT4_T5_P12ihipStream_tbEUlRKS9_E_EESP_ST_SU_mSV_SY_bEUlT_E_NS1_11comp_targetILNS1_3genE10ELNS1_11target_archE1200ELNS1_3gpuE4ELNS1_3repE0EEENS1_30default_config_static_selectorELNS0_4arch9wavefront6targetE1EEEvSS_.private_seg_size, 0
	.set _ZN7rocprim17ROCPRIM_400000_NS6detail17trampoline_kernelINS0_14default_configENS1_27upper_bound_config_selectorIN6thrust23THRUST_200600_302600_NS5tupleIiiNS6_9null_typeES8_S8_S8_S8_S8_S8_S8_EEiEEZNS1_14transform_implILb0ES3_SA_NS6_6detail15normal_iteratorINS6_10device_ptrIS9_EEEENSD_INSE_IiEEEEZNS1_13binary_searchIS3_SA_SG_SG_SI_NS1_21upper_bound_search_opENSC_16wrapped_functionINS0_4lessIvEEbEEEE10hipError_tPvRmT1_T2_T3_mmT4_T5_P12ihipStream_tbEUlRKS9_E_EESP_ST_SU_mSV_SY_bEUlT_E_NS1_11comp_targetILNS1_3genE10ELNS1_11target_archE1200ELNS1_3gpuE4ELNS1_3repE0EEENS1_30default_config_static_selectorELNS0_4arch9wavefront6targetE1EEEvSS_.uses_vcc, 0
	.set _ZN7rocprim17ROCPRIM_400000_NS6detail17trampoline_kernelINS0_14default_configENS1_27upper_bound_config_selectorIN6thrust23THRUST_200600_302600_NS5tupleIiiNS6_9null_typeES8_S8_S8_S8_S8_S8_S8_EEiEEZNS1_14transform_implILb0ES3_SA_NS6_6detail15normal_iteratorINS6_10device_ptrIS9_EEEENSD_INSE_IiEEEEZNS1_13binary_searchIS3_SA_SG_SG_SI_NS1_21upper_bound_search_opENSC_16wrapped_functionINS0_4lessIvEEbEEEE10hipError_tPvRmT1_T2_T3_mmT4_T5_P12ihipStream_tbEUlRKS9_E_EESP_ST_SU_mSV_SY_bEUlT_E_NS1_11comp_targetILNS1_3genE10ELNS1_11target_archE1200ELNS1_3gpuE4ELNS1_3repE0EEENS1_30default_config_static_selectorELNS0_4arch9wavefront6targetE1EEEvSS_.uses_flat_scratch, 0
	.set _ZN7rocprim17ROCPRIM_400000_NS6detail17trampoline_kernelINS0_14default_configENS1_27upper_bound_config_selectorIN6thrust23THRUST_200600_302600_NS5tupleIiiNS6_9null_typeES8_S8_S8_S8_S8_S8_S8_EEiEEZNS1_14transform_implILb0ES3_SA_NS6_6detail15normal_iteratorINS6_10device_ptrIS9_EEEENSD_INSE_IiEEEEZNS1_13binary_searchIS3_SA_SG_SG_SI_NS1_21upper_bound_search_opENSC_16wrapped_functionINS0_4lessIvEEbEEEE10hipError_tPvRmT1_T2_T3_mmT4_T5_P12ihipStream_tbEUlRKS9_E_EESP_ST_SU_mSV_SY_bEUlT_E_NS1_11comp_targetILNS1_3genE10ELNS1_11target_archE1200ELNS1_3gpuE4ELNS1_3repE0EEENS1_30default_config_static_selectorELNS0_4arch9wavefront6targetE1EEEvSS_.has_dyn_sized_stack, 0
	.set _ZN7rocprim17ROCPRIM_400000_NS6detail17trampoline_kernelINS0_14default_configENS1_27upper_bound_config_selectorIN6thrust23THRUST_200600_302600_NS5tupleIiiNS6_9null_typeES8_S8_S8_S8_S8_S8_S8_EEiEEZNS1_14transform_implILb0ES3_SA_NS6_6detail15normal_iteratorINS6_10device_ptrIS9_EEEENSD_INSE_IiEEEEZNS1_13binary_searchIS3_SA_SG_SG_SI_NS1_21upper_bound_search_opENSC_16wrapped_functionINS0_4lessIvEEbEEEE10hipError_tPvRmT1_T2_T3_mmT4_T5_P12ihipStream_tbEUlRKS9_E_EESP_ST_SU_mSV_SY_bEUlT_E_NS1_11comp_targetILNS1_3genE10ELNS1_11target_archE1200ELNS1_3gpuE4ELNS1_3repE0EEENS1_30default_config_static_selectorELNS0_4arch9wavefront6targetE1EEEvSS_.has_recursion, 0
	.set _ZN7rocprim17ROCPRIM_400000_NS6detail17trampoline_kernelINS0_14default_configENS1_27upper_bound_config_selectorIN6thrust23THRUST_200600_302600_NS5tupleIiiNS6_9null_typeES8_S8_S8_S8_S8_S8_S8_EEiEEZNS1_14transform_implILb0ES3_SA_NS6_6detail15normal_iteratorINS6_10device_ptrIS9_EEEENSD_INSE_IiEEEEZNS1_13binary_searchIS3_SA_SG_SG_SI_NS1_21upper_bound_search_opENSC_16wrapped_functionINS0_4lessIvEEbEEEE10hipError_tPvRmT1_T2_T3_mmT4_T5_P12ihipStream_tbEUlRKS9_E_EESP_ST_SU_mSV_SY_bEUlT_E_NS1_11comp_targetILNS1_3genE10ELNS1_11target_archE1200ELNS1_3gpuE4ELNS1_3repE0EEENS1_30default_config_static_selectorELNS0_4arch9wavefront6targetE1EEEvSS_.has_indirect_call, 0
	.section	.AMDGPU.csdata,"",@progbits
; Kernel info:
; codeLenInByte = 0
; TotalNumSgprs: 4
; NumVgprs: 0
; ScratchSize: 0
; MemoryBound: 0
; FloatMode: 240
; IeeeMode: 1
; LDSByteSize: 0 bytes/workgroup (compile time only)
; SGPRBlocks: 0
; VGPRBlocks: 0
; NumSGPRsForWavesPerEU: 4
; NumVGPRsForWavesPerEU: 1
; Occupancy: 10
; WaveLimiterHint : 0
; COMPUTE_PGM_RSRC2:SCRATCH_EN: 0
; COMPUTE_PGM_RSRC2:USER_SGPR: 6
; COMPUTE_PGM_RSRC2:TRAP_HANDLER: 0
; COMPUTE_PGM_RSRC2:TGID_X_EN: 1
; COMPUTE_PGM_RSRC2:TGID_Y_EN: 0
; COMPUTE_PGM_RSRC2:TGID_Z_EN: 0
; COMPUTE_PGM_RSRC2:TIDIG_COMP_CNT: 0
	.section	.text._ZN7rocprim17ROCPRIM_400000_NS6detail17trampoline_kernelINS0_14default_configENS1_27upper_bound_config_selectorIN6thrust23THRUST_200600_302600_NS5tupleIiiNS6_9null_typeES8_S8_S8_S8_S8_S8_S8_EEiEEZNS1_14transform_implILb0ES3_SA_NS6_6detail15normal_iteratorINS6_10device_ptrIS9_EEEENSD_INSE_IiEEEEZNS1_13binary_searchIS3_SA_SG_SG_SI_NS1_21upper_bound_search_opENSC_16wrapped_functionINS0_4lessIvEEbEEEE10hipError_tPvRmT1_T2_T3_mmT4_T5_P12ihipStream_tbEUlRKS9_E_EESP_ST_SU_mSV_SY_bEUlT_E_NS1_11comp_targetILNS1_3genE9ELNS1_11target_archE1100ELNS1_3gpuE3ELNS1_3repE0EEENS1_30default_config_static_selectorELNS0_4arch9wavefront6targetE1EEEvSS_,"axG",@progbits,_ZN7rocprim17ROCPRIM_400000_NS6detail17trampoline_kernelINS0_14default_configENS1_27upper_bound_config_selectorIN6thrust23THRUST_200600_302600_NS5tupleIiiNS6_9null_typeES8_S8_S8_S8_S8_S8_S8_EEiEEZNS1_14transform_implILb0ES3_SA_NS6_6detail15normal_iteratorINS6_10device_ptrIS9_EEEENSD_INSE_IiEEEEZNS1_13binary_searchIS3_SA_SG_SG_SI_NS1_21upper_bound_search_opENSC_16wrapped_functionINS0_4lessIvEEbEEEE10hipError_tPvRmT1_T2_T3_mmT4_T5_P12ihipStream_tbEUlRKS9_E_EESP_ST_SU_mSV_SY_bEUlT_E_NS1_11comp_targetILNS1_3genE9ELNS1_11target_archE1100ELNS1_3gpuE3ELNS1_3repE0EEENS1_30default_config_static_selectorELNS0_4arch9wavefront6targetE1EEEvSS_,comdat
	.protected	_ZN7rocprim17ROCPRIM_400000_NS6detail17trampoline_kernelINS0_14default_configENS1_27upper_bound_config_selectorIN6thrust23THRUST_200600_302600_NS5tupleIiiNS6_9null_typeES8_S8_S8_S8_S8_S8_S8_EEiEEZNS1_14transform_implILb0ES3_SA_NS6_6detail15normal_iteratorINS6_10device_ptrIS9_EEEENSD_INSE_IiEEEEZNS1_13binary_searchIS3_SA_SG_SG_SI_NS1_21upper_bound_search_opENSC_16wrapped_functionINS0_4lessIvEEbEEEE10hipError_tPvRmT1_T2_T3_mmT4_T5_P12ihipStream_tbEUlRKS9_E_EESP_ST_SU_mSV_SY_bEUlT_E_NS1_11comp_targetILNS1_3genE9ELNS1_11target_archE1100ELNS1_3gpuE3ELNS1_3repE0EEENS1_30default_config_static_selectorELNS0_4arch9wavefront6targetE1EEEvSS_ ; -- Begin function _ZN7rocprim17ROCPRIM_400000_NS6detail17trampoline_kernelINS0_14default_configENS1_27upper_bound_config_selectorIN6thrust23THRUST_200600_302600_NS5tupleIiiNS6_9null_typeES8_S8_S8_S8_S8_S8_S8_EEiEEZNS1_14transform_implILb0ES3_SA_NS6_6detail15normal_iteratorINS6_10device_ptrIS9_EEEENSD_INSE_IiEEEEZNS1_13binary_searchIS3_SA_SG_SG_SI_NS1_21upper_bound_search_opENSC_16wrapped_functionINS0_4lessIvEEbEEEE10hipError_tPvRmT1_T2_T3_mmT4_T5_P12ihipStream_tbEUlRKS9_E_EESP_ST_SU_mSV_SY_bEUlT_E_NS1_11comp_targetILNS1_3genE9ELNS1_11target_archE1100ELNS1_3gpuE3ELNS1_3repE0EEENS1_30default_config_static_selectorELNS0_4arch9wavefront6targetE1EEEvSS_
	.globl	_ZN7rocprim17ROCPRIM_400000_NS6detail17trampoline_kernelINS0_14default_configENS1_27upper_bound_config_selectorIN6thrust23THRUST_200600_302600_NS5tupleIiiNS6_9null_typeES8_S8_S8_S8_S8_S8_S8_EEiEEZNS1_14transform_implILb0ES3_SA_NS6_6detail15normal_iteratorINS6_10device_ptrIS9_EEEENSD_INSE_IiEEEEZNS1_13binary_searchIS3_SA_SG_SG_SI_NS1_21upper_bound_search_opENSC_16wrapped_functionINS0_4lessIvEEbEEEE10hipError_tPvRmT1_T2_T3_mmT4_T5_P12ihipStream_tbEUlRKS9_E_EESP_ST_SU_mSV_SY_bEUlT_E_NS1_11comp_targetILNS1_3genE9ELNS1_11target_archE1100ELNS1_3gpuE3ELNS1_3repE0EEENS1_30default_config_static_selectorELNS0_4arch9wavefront6targetE1EEEvSS_
	.p2align	8
	.type	_ZN7rocprim17ROCPRIM_400000_NS6detail17trampoline_kernelINS0_14default_configENS1_27upper_bound_config_selectorIN6thrust23THRUST_200600_302600_NS5tupleIiiNS6_9null_typeES8_S8_S8_S8_S8_S8_S8_EEiEEZNS1_14transform_implILb0ES3_SA_NS6_6detail15normal_iteratorINS6_10device_ptrIS9_EEEENSD_INSE_IiEEEEZNS1_13binary_searchIS3_SA_SG_SG_SI_NS1_21upper_bound_search_opENSC_16wrapped_functionINS0_4lessIvEEbEEEE10hipError_tPvRmT1_T2_T3_mmT4_T5_P12ihipStream_tbEUlRKS9_E_EESP_ST_SU_mSV_SY_bEUlT_E_NS1_11comp_targetILNS1_3genE9ELNS1_11target_archE1100ELNS1_3gpuE3ELNS1_3repE0EEENS1_30default_config_static_selectorELNS0_4arch9wavefront6targetE1EEEvSS_,@function
_ZN7rocprim17ROCPRIM_400000_NS6detail17trampoline_kernelINS0_14default_configENS1_27upper_bound_config_selectorIN6thrust23THRUST_200600_302600_NS5tupleIiiNS6_9null_typeES8_S8_S8_S8_S8_S8_S8_EEiEEZNS1_14transform_implILb0ES3_SA_NS6_6detail15normal_iteratorINS6_10device_ptrIS9_EEEENSD_INSE_IiEEEEZNS1_13binary_searchIS3_SA_SG_SG_SI_NS1_21upper_bound_search_opENSC_16wrapped_functionINS0_4lessIvEEbEEEE10hipError_tPvRmT1_T2_T3_mmT4_T5_P12ihipStream_tbEUlRKS9_E_EESP_ST_SU_mSV_SY_bEUlT_E_NS1_11comp_targetILNS1_3genE9ELNS1_11target_archE1100ELNS1_3gpuE3ELNS1_3repE0EEENS1_30default_config_static_selectorELNS0_4arch9wavefront6targetE1EEEvSS_: ; @_ZN7rocprim17ROCPRIM_400000_NS6detail17trampoline_kernelINS0_14default_configENS1_27upper_bound_config_selectorIN6thrust23THRUST_200600_302600_NS5tupleIiiNS6_9null_typeES8_S8_S8_S8_S8_S8_S8_EEiEEZNS1_14transform_implILb0ES3_SA_NS6_6detail15normal_iteratorINS6_10device_ptrIS9_EEEENSD_INSE_IiEEEEZNS1_13binary_searchIS3_SA_SG_SG_SI_NS1_21upper_bound_search_opENSC_16wrapped_functionINS0_4lessIvEEbEEEE10hipError_tPvRmT1_T2_T3_mmT4_T5_P12ihipStream_tbEUlRKS9_E_EESP_ST_SU_mSV_SY_bEUlT_E_NS1_11comp_targetILNS1_3genE9ELNS1_11target_archE1100ELNS1_3gpuE3ELNS1_3repE0EEENS1_30default_config_static_selectorELNS0_4arch9wavefront6targetE1EEEvSS_
; %bb.0:
	.section	.rodata,"a",@progbits
	.p2align	6, 0x0
	.amdhsa_kernel _ZN7rocprim17ROCPRIM_400000_NS6detail17trampoline_kernelINS0_14default_configENS1_27upper_bound_config_selectorIN6thrust23THRUST_200600_302600_NS5tupleIiiNS6_9null_typeES8_S8_S8_S8_S8_S8_S8_EEiEEZNS1_14transform_implILb0ES3_SA_NS6_6detail15normal_iteratorINS6_10device_ptrIS9_EEEENSD_INSE_IiEEEEZNS1_13binary_searchIS3_SA_SG_SG_SI_NS1_21upper_bound_search_opENSC_16wrapped_functionINS0_4lessIvEEbEEEE10hipError_tPvRmT1_T2_T3_mmT4_T5_P12ihipStream_tbEUlRKS9_E_EESP_ST_SU_mSV_SY_bEUlT_E_NS1_11comp_targetILNS1_3genE9ELNS1_11target_archE1100ELNS1_3gpuE3ELNS1_3repE0EEENS1_30default_config_static_selectorELNS0_4arch9wavefront6targetE1EEEvSS_
		.amdhsa_group_segment_fixed_size 0
		.amdhsa_private_segment_fixed_size 0
		.amdhsa_kernarg_size 56
		.amdhsa_user_sgpr_count 6
		.amdhsa_user_sgpr_private_segment_buffer 1
		.amdhsa_user_sgpr_dispatch_ptr 0
		.amdhsa_user_sgpr_queue_ptr 0
		.amdhsa_user_sgpr_kernarg_segment_ptr 1
		.amdhsa_user_sgpr_dispatch_id 0
		.amdhsa_user_sgpr_flat_scratch_init 0
		.amdhsa_user_sgpr_private_segment_size 0
		.amdhsa_uses_dynamic_stack 0
		.amdhsa_system_sgpr_private_segment_wavefront_offset 0
		.amdhsa_system_sgpr_workgroup_id_x 1
		.amdhsa_system_sgpr_workgroup_id_y 0
		.amdhsa_system_sgpr_workgroup_id_z 0
		.amdhsa_system_sgpr_workgroup_info 0
		.amdhsa_system_vgpr_workitem_id 0
		.amdhsa_next_free_vgpr 1
		.amdhsa_next_free_sgpr 0
		.amdhsa_reserve_vcc 0
		.amdhsa_reserve_flat_scratch 0
		.amdhsa_float_round_mode_32 0
		.amdhsa_float_round_mode_16_64 0
		.amdhsa_float_denorm_mode_32 3
		.amdhsa_float_denorm_mode_16_64 3
		.amdhsa_dx10_clamp 1
		.amdhsa_ieee_mode 1
		.amdhsa_fp16_overflow 0
		.amdhsa_exception_fp_ieee_invalid_op 0
		.amdhsa_exception_fp_denorm_src 0
		.amdhsa_exception_fp_ieee_div_zero 0
		.amdhsa_exception_fp_ieee_overflow 0
		.amdhsa_exception_fp_ieee_underflow 0
		.amdhsa_exception_fp_ieee_inexact 0
		.amdhsa_exception_int_div_zero 0
	.end_amdhsa_kernel
	.section	.text._ZN7rocprim17ROCPRIM_400000_NS6detail17trampoline_kernelINS0_14default_configENS1_27upper_bound_config_selectorIN6thrust23THRUST_200600_302600_NS5tupleIiiNS6_9null_typeES8_S8_S8_S8_S8_S8_S8_EEiEEZNS1_14transform_implILb0ES3_SA_NS6_6detail15normal_iteratorINS6_10device_ptrIS9_EEEENSD_INSE_IiEEEEZNS1_13binary_searchIS3_SA_SG_SG_SI_NS1_21upper_bound_search_opENSC_16wrapped_functionINS0_4lessIvEEbEEEE10hipError_tPvRmT1_T2_T3_mmT4_T5_P12ihipStream_tbEUlRKS9_E_EESP_ST_SU_mSV_SY_bEUlT_E_NS1_11comp_targetILNS1_3genE9ELNS1_11target_archE1100ELNS1_3gpuE3ELNS1_3repE0EEENS1_30default_config_static_selectorELNS0_4arch9wavefront6targetE1EEEvSS_,"axG",@progbits,_ZN7rocprim17ROCPRIM_400000_NS6detail17trampoline_kernelINS0_14default_configENS1_27upper_bound_config_selectorIN6thrust23THRUST_200600_302600_NS5tupleIiiNS6_9null_typeES8_S8_S8_S8_S8_S8_S8_EEiEEZNS1_14transform_implILb0ES3_SA_NS6_6detail15normal_iteratorINS6_10device_ptrIS9_EEEENSD_INSE_IiEEEEZNS1_13binary_searchIS3_SA_SG_SG_SI_NS1_21upper_bound_search_opENSC_16wrapped_functionINS0_4lessIvEEbEEEE10hipError_tPvRmT1_T2_T3_mmT4_T5_P12ihipStream_tbEUlRKS9_E_EESP_ST_SU_mSV_SY_bEUlT_E_NS1_11comp_targetILNS1_3genE9ELNS1_11target_archE1100ELNS1_3gpuE3ELNS1_3repE0EEENS1_30default_config_static_selectorELNS0_4arch9wavefront6targetE1EEEvSS_,comdat
.Lfunc_end624:
	.size	_ZN7rocprim17ROCPRIM_400000_NS6detail17trampoline_kernelINS0_14default_configENS1_27upper_bound_config_selectorIN6thrust23THRUST_200600_302600_NS5tupleIiiNS6_9null_typeES8_S8_S8_S8_S8_S8_S8_EEiEEZNS1_14transform_implILb0ES3_SA_NS6_6detail15normal_iteratorINS6_10device_ptrIS9_EEEENSD_INSE_IiEEEEZNS1_13binary_searchIS3_SA_SG_SG_SI_NS1_21upper_bound_search_opENSC_16wrapped_functionINS0_4lessIvEEbEEEE10hipError_tPvRmT1_T2_T3_mmT4_T5_P12ihipStream_tbEUlRKS9_E_EESP_ST_SU_mSV_SY_bEUlT_E_NS1_11comp_targetILNS1_3genE9ELNS1_11target_archE1100ELNS1_3gpuE3ELNS1_3repE0EEENS1_30default_config_static_selectorELNS0_4arch9wavefront6targetE1EEEvSS_, .Lfunc_end624-_ZN7rocprim17ROCPRIM_400000_NS6detail17trampoline_kernelINS0_14default_configENS1_27upper_bound_config_selectorIN6thrust23THRUST_200600_302600_NS5tupleIiiNS6_9null_typeES8_S8_S8_S8_S8_S8_S8_EEiEEZNS1_14transform_implILb0ES3_SA_NS6_6detail15normal_iteratorINS6_10device_ptrIS9_EEEENSD_INSE_IiEEEEZNS1_13binary_searchIS3_SA_SG_SG_SI_NS1_21upper_bound_search_opENSC_16wrapped_functionINS0_4lessIvEEbEEEE10hipError_tPvRmT1_T2_T3_mmT4_T5_P12ihipStream_tbEUlRKS9_E_EESP_ST_SU_mSV_SY_bEUlT_E_NS1_11comp_targetILNS1_3genE9ELNS1_11target_archE1100ELNS1_3gpuE3ELNS1_3repE0EEENS1_30default_config_static_selectorELNS0_4arch9wavefront6targetE1EEEvSS_
                                        ; -- End function
	.set _ZN7rocprim17ROCPRIM_400000_NS6detail17trampoline_kernelINS0_14default_configENS1_27upper_bound_config_selectorIN6thrust23THRUST_200600_302600_NS5tupleIiiNS6_9null_typeES8_S8_S8_S8_S8_S8_S8_EEiEEZNS1_14transform_implILb0ES3_SA_NS6_6detail15normal_iteratorINS6_10device_ptrIS9_EEEENSD_INSE_IiEEEEZNS1_13binary_searchIS3_SA_SG_SG_SI_NS1_21upper_bound_search_opENSC_16wrapped_functionINS0_4lessIvEEbEEEE10hipError_tPvRmT1_T2_T3_mmT4_T5_P12ihipStream_tbEUlRKS9_E_EESP_ST_SU_mSV_SY_bEUlT_E_NS1_11comp_targetILNS1_3genE9ELNS1_11target_archE1100ELNS1_3gpuE3ELNS1_3repE0EEENS1_30default_config_static_selectorELNS0_4arch9wavefront6targetE1EEEvSS_.num_vgpr, 0
	.set _ZN7rocprim17ROCPRIM_400000_NS6detail17trampoline_kernelINS0_14default_configENS1_27upper_bound_config_selectorIN6thrust23THRUST_200600_302600_NS5tupleIiiNS6_9null_typeES8_S8_S8_S8_S8_S8_S8_EEiEEZNS1_14transform_implILb0ES3_SA_NS6_6detail15normal_iteratorINS6_10device_ptrIS9_EEEENSD_INSE_IiEEEEZNS1_13binary_searchIS3_SA_SG_SG_SI_NS1_21upper_bound_search_opENSC_16wrapped_functionINS0_4lessIvEEbEEEE10hipError_tPvRmT1_T2_T3_mmT4_T5_P12ihipStream_tbEUlRKS9_E_EESP_ST_SU_mSV_SY_bEUlT_E_NS1_11comp_targetILNS1_3genE9ELNS1_11target_archE1100ELNS1_3gpuE3ELNS1_3repE0EEENS1_30default_config_static_selectorELNS0_4arch9wavefront6targetE1EEEvSS_.num_agpr, 0
	.set _ZN7rocprim17ROCPRIM_400000_NS6detail17trampoline_kernelINS0_14default_configENS1_27upper_bound_config_selectorIN6thrust23THRUST_200600_302600_NS5tupleIiiNS6_9null_typeES8_S8_S8_S8_S8_S8_S8_EEiEEZNS1_14transform_implILb0ES3_SA_NS6_6detail15normal_iteratorINS6_10device_ptrIS9_EEEENSD_INSE_IiEEEEZNS1_13binary_searchIS3_SA_SG_SG_SI_NS1_21upper_bound_search_opENSC_16wrapped_functionINS0_4lessIvEEbEEEE10hipError_tPvRmT1_T2_T3_mmT4_T5_P12ihipStream_tbEUlRKS9_E_EESP_ST_SU_mSV_SY_bEUlT_E_NS1_11comp_targetILNS1_3genE9ELNS1_11target_archE1100ELNS1_3gpuE3ELNS1_3repE0EEENS1_30default_config_static_selectorELNS0_4arch9wavefront6targetE1EEEvSS_.numbered_sgpr, 0
	.set _ZN7rocprim17ROCPRIM_400000_NS6detail17trampoline_kernelINS0_14default_configENS1_27upper_bound_config_selectorIN6thrust23THRUST_200600_302600_NS5tupleIiiNS6_9null_typeES8_S8_S8_S8_S8_S8_S8_EEiEEZNS1_14transform_implILb0ES3_SA_NS6_6detail15normal_iteratorINS6_10device_ptrIS9_EEEENSD_INSE_IiEEEEZNS1_13binary_searchIS3_SA_SG_SG_SI_NS1_21upper_bound_search_opENSC_16wrapped_functionINS0_4lessIvEEbEEEE10hipError_tPvRmT1_T2_T3_mmT4_T5_P12ihipStream_tbEUlRKS9_E_EESP_ST_SU_mSV_SY_bEUlT_E_NS1_11comp_targetILNS1_3genE9ELNS1_11target_archE1100ELNS1_3gpuE3ELNS1_3repE0EEENS1_30default_config_static_selectorELNS0_4arch9wavefront6targetE1EEEvSS_.num_named_barrier, 0
	.set _ZN7rocprim17ROCPRIM_400000_NS6detail17trampoline_kernelINS0_14default_configENS1_27upper_bound_config_selectorIN6thrust23THRUST_200600_302600_NS5tupleIiiNS6_9null_typeES8_S8_S8_S8_S8_S8_S8_EEiEEZNS1_14transform_implILb0ES3_SA_NS6_6detail15normal_iteratorINS6_10device_ptrIS9_EEEENSD_INSE_IiEEEEZNS1_13binary_searchIS3_SA_SG_SG_SI_NS1_21upper_bound_search_opENSC_16wrapped_functionINS0_4lessIvEEbEEEE10hipError_tPvRmT1_T2_T3_mmT4_T5_P12ihipStream_tbEUlRKS9_E_EESP_ST_SU_mSV_SY_bEUlT_E_NS1_11comp_targetILNS1_3genE9ELNS1_11target_archE1100ELNS1_3gpuE3ELNS1_3repE0EEENS1_30default_config_static_selectorELNS0_4arch9wavefront6targetE1EEEvSS_.private_seg_size, 0
	.set _ZN7rocprim17ROCPRIM_400000_NS6detail17trampoline_kernelINS0_14default_configENS1_27upper_bound_config_selectorIN6thrust23THRUST_200600_302600_NS5tupleIiiNS6_9null_typeES8_S8_S8_S8_S8_S8_S8_EEiEEZNS1_14transform_implILb0ES3_SA_NS6_6detail15normal_iteratorINS6_10device_ptrIS9_EEEENSD_INSE_IiEEEEZNS1_13binary_searchIS3_SA_SG_SG_SI_NS1_21upper_bound_search_opENSC_16wrapped_functionINS0_4lessIvEEbEEEE10hipError_tPvRmT1_T2_T3_mmT4_T5_P12ihipStream_tbEUlRKS9_E_EESP_ST_SU_mSV_SY_bEUlT_E_NS1_11comp_targetILNS1_3genE9ELNS1_11target_archE1100ELNS1_3gpuE3ELNS1_3repE0EEENS1_30default_config_static_selectorELNS0_4arch9wavefront6targetE1EEEvSS_.uses_vcc, 0
	.set _ZN7rocprim17ROCPRIM_400000_NS6detail17trampoline_kernelINS0_14default_configENS1_27upper_bound_config_selectorIN6thrust23THRUST_200600_302600_NS5tupleIiiNS6_9null_typeES8_S8_S8_S8_S8_S8_S8_EEiEEZNS1_14transform_implILb0ES3_SA_NS6_6detail15normal_iteratorINS6_10device_ptrIS9_EEEENSD_INSE_IiEEEEZNS1_13binary_searchIS3_SA_SG_SG_SI_NS1_21upper_bound_search_opENSC_16wrapped_functionINS0_4lessIvEEbEEEE10hipError_tPvRmT1_T2_T3_mmT4_T5_P12ihipStream_tbEUlRKS9_E_EESP_ST_SU_mSV_SY_bEUlT_E_NS1_11comp_targetILNS1_3genE9ELNS1_11target_archE1100ELNS1_3gpuE3ELNS1_3repE0EEENS1_30default_config_static_selectorELNS0_4arch9wavefront6targetE1EEEvSS_.uses_flat_scratch, 0
	.set _ZN7rocprim17ROCPRIM_400000_NS6detail17trampoline_kernelINS0_14default_configENS1_27upper_bound_config_selectorIN6thrust23THRUST_200600_302600_NS5tupleIiiNS6_9null_typeES8_S8_S8_S8_S8_S8_S8_EEiEEZNS1_14transform_implILb0ES3_SA_NS6_6detail15normal_iteratorINS6_10device_ptrIS9_EEEENSD_INSE_IiEEEEZNS1_13binary_searchIS3_SA_SG_SG_SI_NS1_21upper_bound_search_opENSC_16wrapped_functionINS0_4lessIvEEbEEEE10hipError_tPvRmT1_T2_T3_mmT4_T5_P12ihipStream_tbEUlRKS9_E_EESP_ST_SU_mSV_SY_bEUlT_E_NS1_11comp_targetILNS1_3genE9ELNS1_11target_archE1100ELNS1_3gpuE3ELNS1_3repE0EEENS1_30default_config_static_selectorELNS0_4arch9wavefront6targetE1EEEvSS_.has_dyn_sized_stack, 0
	.set _ZN7rocprim17ROCPRIM_400000_NS6detail17trampoline_kernelINS0_14default_configENS1_27upper_bound_config_selectorIN6thrust23THRUST_200600_302600_NS5tupleIiiNS6_9null_typeES8_S8_S8_S8_S8_S8_S8_EEiEEZNS1_14transform_implILb0ES3_SA_NS6_6detail15normal_iteratorINS6_10device_ptrIS9_EEEENSD_INSE_IiEEEEZNS1_13binary_searchIS3_SA_SG_SG_SI_NS1_21upper_bound_search_opENSC_16wrapped_functionINS0_4lessIvEEbEEEE10hipError_tPvRmT1_T2_T3_mmT4_T5_P12ihipStream_tbEUlRKS9_E_EESP_ST_SU_mSV_SY_bEUlT_E_NS1_11comp_targetILNS1_3genE9ELNS1_11target_archE1100ELNS1_3gpuE3ELNS1_3repE0EEENS1_30default_config_static_selectorELNS0_4arch9wavefront6targetE1EEEvSS_.has_recursion, 0
	.set _ZN7rocprim17ROCPRIM_400000_NS6detail17trampoline_kernelINS0_14default_configENS1_27upper_bound_config_selectorIN6thrust23THRUST_200600_302600_NS5tupleIiiNS6_9null_typeES8_S8_S8_S8_S8_S8_S8_EEiEEZNS1_14transform_implILb0ES3_SA_NS6_6detail15normal_iteratorINS6_10device_ptrIS9_EEEENSD_INSE_IiEEEEZNS1_13binary_searchIS3_SA_SG_SG_SI_NS1_21upper_bound_search_opENSC_16wrapped_functionINS0_4lessIvEEbEEEE10hipError_tPvRmT1_T2_T3_mmT4_T5_P12ihipStream_tbEUlRKS9_E_EESP_ST_SU_mSV_SY_bEUlT_E_NS1_11comp_targetILNS1_3genE9ELNS1_11target_archE1100ELNS1_3gpuE3ELNS1_3repE0EEENS1_30default_config_static_selectorELNS0_4arch9wavefront6targetE1EEEvSS_.has_indirect_call, 0
	.section	.AMDGPU.csdata,"",@progbits
; Kernel info:
; codeLenInByte = 0
; TotalNumSgprs: 4
; NumVgprs: 0
; ScratchSize: 0
; MemoryBound: 0
; FloatMode: 240
; IeeeMode: 1
; LDSByteSize: 0 bytes/workgroup (compile time only)
; SGPRBlocks: 0
; VGPRBlocks: 0
; NumSGPRsForWavesPerEU: 4
; NumVGPRsForWavesPerEU: 1
; Occupancy: 10
; WaveLimiterHint : 0
; COMPUTE_PGM_RSRC2:SCRATCH_EN: 0
; COMPUTE_PGM_RSRC2:USER_SGPR: 6
; COMPUTE_PGM_RSRC2:TRAP_HANDLER: 0
; COMPUTE_PGM_RSRC2:TGID_X_EN: 1
; COMPUTE_PGM_RSRC2:TGID_Y_EN: 0
; COMPUTE_PGM_RSRC2:TGID_Z_EN: 0
; COMPUTE_PGM_RSRC2:TIDIG_COMP_CNT: 0
	.section	.text._ZN7rocprim17ROCPRIM_400000_NS6detail17trampoline_kernelINS0_14default_configENS1_27upper_bound_config_selectorIN6thrust23THRUST_200600_302600_NS5tupleIiiNS6_9null_typeES8_S8_S8_S8_S8_S8_S8_EEiEEZNS1_14transform_implILb0ES3_SA_NS6_6detail15normal_iteratorINS6_10device_ptrIS9_EEEENSD_INSE_IiEEEEZNS1_13binary_searchIS3_SA_SG_SG_SI_NS1_21upper_bound_search_opENSC_16wrapped_functionINS0_4lessIvEEbEEEE10hipError_tPvRmT1_T2_T3_mmT4_T5_P12ihipStream_tbEUlRKS9_E_EESP_ST_SU_mSV_SY_bEUlT_E_NS1_11comp_targetILNS1_3genE8ELNS1_11target_archE1030ELNS1_3gpuE2ELNS1_3repE0EEENS1_30default_config_static_selectorELNS0_4arch9wavefront6targetE1EEEvSS_,"axG",@progbits,_ZN7rocprim17ROCPRIM_400000_NS6detail17trampoline_kernelINS0_14default_configENS1_27upper_bound_config_selectorIN6thrust23THRUST_200600_302600_NS5tupleIiiNS6_9null_typeES8_S8_S8_S8_S8_S8_S8_EEiEEZNS1_14transform_implILb0ES3_SA_NS6_6detail15normal_iteratorINS6_10device_ptrIS9_EEEENSD_INSE_IiEEEEZNS1_13binary_searchIS3_SA_SG_SG_SI_NS1_21upper_bound_search_opENSC_16wrapped_functionINS0_4lessIvEEbEEEE10hipError_tPvRmT1_T2_T3_mmT4_T5_P12ihipStream_tbEUlRKS9_E_EESP_ST_SU_mSV_SY_bEUlT_E_NS1_11comp_targetILNS1_3genE8ELNS1_11target_archE1030ELNS1_3gpuE2ELNS1_3repE0EEENS1_30default_config_static_selectorELNS0_4arch9wavefront6targetE1EEEvSS_,comdat
	.protected	_ZN7rocprim17ROCPRIM_400000_NS6detail17trampoline_kernelINS0_14default_configENS1_27upper_bound_config_selectorIN6thrust23THRUST_200600_302600_NS5tupleIiiNS6_9null_typeES8_S8_S8_S8_S8_S8_S8_EEiEEZNS1_14transform_implILb0ES3_SA_NS6_6detail15normal_iteratorINS6_10device_ptrIS9_EEEENSD_INSE_IiEEEEZNS1_13binary_searchIS3_SA_SG_SG_SI_NS1_21upper_bound_search_opENSC_16wrapped_functionINS0_4lessIvEEbEEEE10hipError_tPvRmT1_T2_T3_mmT4_T5_P12ihipStream_tbEUlRKS9_E_EESP_ST_SU_mSV_SY_bEUlT_E_NS1_11comp_targetILNS1_3genE8ELNS1_11target_archE1030ELNS1_3gpuE2ELNS1_3repE0EEENS1_30default_config_static_selectorELNS0_4arch9wavefront6targetE1EEEvSS_ ; -- Begin function _ZN7rocprim17ROCPRIM_400000_NS6detail17trampoline_kernelINS0_14default_configENS1_27upper_bound_config_selectorIN6thrust23THRUST_200600_302600_NS5tupleIiiNS6_9null_typeES8_S8_S8_S8_S8_S8_S8_EEiEEZNS1_14transform_implILb0ES3_SA_NS6_6detail15normal_iteratorINS6_10device_ptrIS9_EEEENSD_INSE_IiEEEEZNS1_13binary_searchIS3_SA_SG_SG_SI_NS1_21upper_bound_search_opENSC_16wrapped_functionINS0_4lessIvEEbEEEE10hipError_tPvRmT1_T2_T3_mmT4_T5_P12ihipStream_tbEUlRKS9_E_EESP_ST_SU_mSV_SY_bEUlT_E_NS1_11comp_targetILNS1_3genE8ELNS1_11target_archE1030ELNS1_3gpuE2ELNS1_3repE0EEENS1_30default_config_static_selectorELNS0_4arch9wavefront6targetE1EEEvSS_
	.globl	_ZN7rocprim17ROCPRIM_400000_NS6detail17trampoline_kernelINS0_14default_configENS1_27upper_bound_config_selectorIN6thrust23THRUST_200600_302600_NS5tupleIiiNS6_9null_typeES8_S8_S8_S8_S8_S8_S8_EEiEEZNS1_14transform_implILb0ES3_SA_NS6_6detail15normal_iteratorINS6_10device_ptrIS9_EEEENSD_INSE_IiEEEEZNS1_13binary_searchIS3_SA_SG_SG_SI_NS1_21upper_bound_search_opENSC_16wrapped_functionINS0_4lessIvEEbEEEE10hipError_tPvRmT1_T2_T3_mmT4_T5_P12ihipStream_tbEUlRKS9_E_EESP_ST_SU_mSV_SY_bEUlT_E_NS1_11comp_targetILNS1_3genE8ELNS1_11target_archE1030ELNS1_3gpuE2ELNS1_3repE0EEENS1_30default_config_static_selectorELNS0_4arch9wavefront6targetE1EEEvSS_
	.p2align	8
	.type	_ZN7rocprim17ROCPRIM_400000_NS6detail17trampoline_kernelINS0_14default_configENS1_27upper_bound_config_selectorIN6thrust23THRUST_200600_302600_NS5tupleIiiNS6_9null_typeES8_S8_S8_S8_S8_S8_S8_EEiEEZNS1_14transform_implILb0ES3_SA_NS6_6detail15normal_iteratorINS6_10device_ptrIS9_EEEENSD_INSE_IiEEEEZNS1_13binary_searchIS3_SA_SG_SG_SI_NS1_21upper_bound_search_opENSC_16wrapped_functionINS0_4lessIvEEbEEEE10hipError_tPvRmT1_T2_T3_mmT4_T5_P12ihipStream_tbEUlRKS9_E_EESP_ST_SU_mSV_SY_bEUlT_E_NS1_11comp_targetILNS1_3genE8ELNS1_11target_archE1030ELNS1_3gpuE2ELNS1_3repE0EEENS1_30default_config_static_selectorELNS0_4arch9wavefront6targetE1EEEvSS_,@function
_ZN7rocprim17ROCPRIM_400000_NS6detail17trampoline_kernelINS0_14default_configENS1_27upper_bound_config_selectorIN6thrust23THRUST_200600_302600_NS5tupleIiiNS6_9null_typeES8_S8_S8_S8_S8_S8_S8_EEiEEZNS1_14transform_implILb0ES3_SA_NS6_6detail15normal_iteratorINS6_10device_ptrIS9_EEEENSD_INSE_IiEEEEZNS1_13binary_searchIS3_SA_SG_SG_SI_NS1_21upper_bound_search_opENSC_16wrapped_functionINS0_4lessIvEEbEEEE10hipError_tPvRmT1_T2_T3_mmT4_T5_P12ihipStream_tbEUlRKS9_E_EESP_ST_SU_mSV_SY_bEUlT_E_NS1_11comp_targetILNS1_3genE8ELNS1_11target_archE1030ELNS1_3gpuE2ELNS1_3repE0EEENS1_30default_config_static_selectorELNS0_4arch9wavefront6targetE1EEEvSS_: ; @_ZN7rocprim17ROCPRIM_400000_NS6detail17trampoline_kernelINS0_14default_configENS1_27upper_bound_config_selectorIN6thrust23THRUST_200600_302600_NS5tupleIiiNS6_9null_typeES8_S8_S8_S8_S8_S8_S8_EEiEEZNS1_14transform_implILb0ES3_SA_NS6_6detail15normal_iteratorINS6_10device_ptrIS9_EEEENSD_INSE_IiEEEEZNS1_13binary_searchIS3_SA_SG_SG_SI_NS1_21upper_bound_search_opENSC_16wrapped_functionINS0_4lessIvEEbEEEE10hipError_tPvRmT1_T2_T3_mmT4_T5_P12ihipStream_tbEUlRKS9_E_EESP_ST_SU_mSV_SY_bEUlT_E_NS1_11comp_targetILNS1_3genE8ELNS1_11target_archE1030ELNS1_3gpuE2ELNS1_3repE0EEENS1_30default_config_static_selectorELNS0_4arch9wavefront6targetE1EEEvSS_
; %bb.0:
	.section	.rodata,"a",@progbits
	.p2align	6, 0x0
	.amdhsa_kernel _ZN7rocprim17ROCPRIM_400000_NS6detail17trampoline_kernelINS0_14default_configENS1_27upper_bound_config_selectorIN6thrust23THRUST_200600_302600_NS5tupleIiiNS6_9null_typeES8_S8_S8_S8_S8_S8_S8_EEiEEZNS1_14transform_implILb0ES3_SA_NS6_6detail15normal_iteratorINS6_10device_ptrIS9_EEEENSD_INSE_IiEEEEZNS1_13binary_searchIS3_SA_SG_SG_SI_NS1_21upper_bound_search_opENSC_16wrapped_functionINS0_4lessIvEEbEEEE10hipError_tPvRmT1_T2_T3_mmT4_T5_P12ihipStream_tbEUlRKS9_E_EESP_ST_SU_mSV_SY_bEUlT_E_NS1_11comp_targetILNS1_3genE8ELNS1_11target_archE1030ELNS1_3gpuE2ELNS1_3repE0EEENS1_30default_config_static_selectorELNS0_4arch9wavefront6targetE1EEEvSS_
		.amdhsa_group_segment_fixed_size 0
		.amdhsa_private_segment_fixed_size 0
		.amdhsa_kernarg_size 56
		.amdhsa_user_sgpr_count 6
		.amdhsa_user_sgpr_private_segment_buffer 1
		.amdhsa_user_sgpr_dispatch_ptr 0
		.amdhsa_user_sgpr_queue_ptr 0
		.amdhsa_user_sgpr_kernarg_segment_ptr 1
		.amdhsa_user_sgpr_dispatch_id 0
		.amdhsa_user_sgpr_flat_scratch_init 0
		.amdhsa_user_sgpr_private_segment_size 0
		.amdhsa_uses_dynamic_stack 0
		.amdhsa_system_sgpr_private_segment_wavefront_offset 0
		.amdhsa_system_sgpr_workgroup_id_x 1
		.amdhsa_system_sgpr_workgroup_id_y 0
		.amdhsa_system_sgpr_workgroup_id_z 0
		.amdhsa_system_sgpr_workgroup_info 0
		.amdhsa_system_vgpr_workitem_id 0
		.amdhsa_next_free_vgpr 1
		.amdhsa_next_free_sgpr 0
		.amdhsa_reserve_vcc 0
		.amdhsa_reserve_flat_scratch 0
		.amdhsa_float_round_mode_32 0
		.amdhsa_float_round_mode_16_64 0
		.amdhsa_float_denorm_mode_32 3
		.amdhsa_float_denorm_mode_16_64 3
		.amdhsa_dx10_clamp 1
		.amdhsa_ieee_mode 1
		.amdhsa_fp16_overflow 0
		.amdhsa_exception_fp_ieee_invalid_op 0
		.amdhsa_exception_fp_denorm_src 0
		.amdhsa_exception_fp_ieee_div_zero 0
		.amdhsa_exception_fp_ieee_overflow 0
		.amdhsa_exception_fp_ieee_underflow 0
		.amdhsa_exception_fp_ieee_inexact 0
		.amdhsa_exception_int_div_zero 0
	.end_amdhsa_kernel
	.section	.text._ZN7rocprim17ROCPRIM_400000_NS6detail17trampoline_kernelINS0_14default_configENS1_27upper_bound_config_selectorIN6thrust23THRUST_200600_302600_NS5tupleIiiNS6_9null_typeES8_S8_S8_S8_S8_S8_S8_EEiEEZNS1_14transform_implILb0ES3_SA_NS6_6detail15normal_iteratorINS6_10device_ptrIS9_EEEENSD_INSE_IiEEEEZNS1_13binary_searchIS3_SA_SG_SG_SI_NS1_21upper_bound_search_opENSC_16wrapped_functionINS0_4lessIvEEbEEEE10hipError_tPvRmT1_T2_T3_mmT4_T5_P12ihipStream_tbEUlRKS9_E_EESP_ST_SU_mSV_SY_bEUlT_E_NS1_11comp_targetILNS1_3genE8ELNS1_11target_archE1030ELNS1_3gpuE2ELNS1_3repE0EEENS1_30default_config_static_selectorELNS0_4arch9wavefront6targetE1EEEvSS_,"axG",@progbits,_ZN7rocprim17ROCPRIM_400000_NS6detail17trampoline_kernelINS0_14default_configENS1_27upper_bound_config_selectorIN6thrust23THRUST_200600_302600_NS5tupleIiiNS6_9null_typeES8_S8_S8_S8_S8_S8_S8_EEiEEZNS1_14transform_implILb0ES3_SA_NS6_6detail15normal_iteratorINS6_10device_ptrIS9_EEEENSD_INSE_IiEEEEZNS1_13binary_searchIS3_SA_SG_SG_SI_NS1_21upper_bound_search_opENSC_16wrapped_functionINS0_4lessIvEEbEEEE10hipError_tPvRmT1_T2_T3_mmT4_T5_P12ihipStream_tbEUlRKS9_E_EESP_ST_SU_mSV_SY_bEUlT_E_NS1_11comp_targetILNS1_3genE8ELNS1_11target_archE1030ELNS1_3gpuE2ELNS1_3repE0EEENS1_30default_config_static_selectorELNS0_4arch9wavefront6targetE1EEEvSS_,comdat
.Lfunc_end625:
	.size	_ZN7rocprim17ROCPRIM_400000_NS6detail17trampoline_kernelINS0_14default_configENS1_27upper_bound_config_selectorIN6thrust23THRUST_200600_302600_NS5tupleIiiNS6_9null_typeES8_S8_S8_S8_S8_S8_S8_EEiEEZNS1_14transform_implILb0ES3_SA_NS6_6detail15normal_iteratorINS6_10device_ptrIS9_EEEENSD_INSE_IiEEEEZNS1_13binary_searchIS3_SA_SG_SG_SI_NS1_21upper_bound_search_opENSC_16wrapped_functionINS0_4lessIvEEbEEEE10hipError_tPvRmT1_T2_T3_mmT4_T5_P12ihipStream_tbEUlRKS9_E_EESP_ST_SU_mSV_SY_bEUlT_E_NS1_11comp_targetILNS1_3genE8ELNS1_11target_archE1030ELNS1_3gpuE2ELNS1_3repE0EEENS1_30default_config_static_selectorELNS0_4arch9wavefront6targetE1EEEvSS_, .Lfunc_end625-_ZN7rocprim17ROCPRIM_400000_NS6detail17trampoline_kernelINS0_14default_configENS1_27upper_bound_config_selectorIN6thrust23THRUST_200600_302600_NS5tupleIiiNS6_9null_typeES8_S8_S8_S8_S8_S8_S8_EEiEEZNS1_14transform_implILb0ES3_SA_NS6_6detail15normal_iteratorINS6_10device_ptrIS9_EEEENSD_INSE_IiEEEEZNS1_13binary_searchIS3_SA_SG_SG_SI_NS1_21upper_bound_search_opENSC_16wrapped_functionINS0_4lessIvEEbEEEE10hipError_tPvRmT1_T2_T3_mmT4_T5_P12ihipStream_tbEUlRKS9_E_EESP_ST_SU_mSV_SY_bEUlT_E_NS1_11comp_targetILNS1_3genE8ELNS1_11target_archE1030ELNS1_3gpuE2ELNS1_3repE0EEENS1_30default_config_static_selectorELNS0_4arch9wavefront6targetE1EEEvSS_
                                        ; -- End function
	.set _ZN7rocprim17ROCPRIM_400000_NS6detail17trampoline_kernelINS0_14default_configENS1_27upper_bound_config_selectorIN6thrust23THRUST_200600_302600_NS5tupleIiiNS6_9null_typeES8_S8_S8_S8_S8_S8_S8_EEiEEZNS1_14transform_implILb0ES3_SA_NS6_6detail15normal_iteratorINS6_10device_ptrIS9_EEEENSD_INSE_IiEEEEZNS1_13binary_searchIS3_SA_SG_SG_SI_NS1_21upper_bound_search_opENSC_16wrapped_functionINS0_4lessIvEEbEEEE10hipError_tPvRmT1_T2_T3_mmT4_T5_P12ihipStream_tbEUlRKS9_E_EESP_ST_SU_mSV_SY_bEUlT_E_NS1_11comp_targetILNS1_3genE8ELNS1_11target_archE1030ELNS1_3gpuE2ELNS1_3repE0EEENS1_30default_config_static_selectorELNS0_4arch9wavefront6targetE1EEEvSS_.num_vgpr, 0
	.set _ZN7rocprim17ROCPRIM_400000_NS6detail17trampoline_kernelINS0_14default_configENS1_27upper_bound_config_selectorIN6thrust23THRUST_200600_302600_NS5tupleIiiNS6_9null_typeES8_S8_S8_S8_S8_S8_S8_EEiEEZNS1_14transform_implILb0ES3_SA_NS6_6detail15normal_iteratorINS6_10device_ptrIS9_EEEENSD_INSE_IiEEEEZNS1_13binary_searchIS3_SA_SG_SG_SI_NS1_21upper_bound_search_opENSC_16wrapped_functionINS0_4lessIvEEbEEEE10hipError_tPvRmT1_T2_T3_mmT4_T5_P12ihipStream_tbEUlRKS9_E_EESP_ST_SU_mSV_SY_bEUlT_E_NS1_11comp_targetILNS1_3genE8ELNS1_11target_archE1030ELNS1_3gpuE2ELNS1_3repE0EEENS1_30default_config_static_selectorELNS0_4arch9wavefront6targetE1EEEvSS_.num_agpr, 0
	.set _ZN7rocprim17ROCPRIM_400000_NS6detail17trampoline_kernelINS0_14default_configENS1_27upper_bound_config_selectorIN6thrust23THRUST_200600_302600_NS5tupleIiiNS6_9null_typeES8_S8_S8_S8_S8_S8_S8_EEiEEZNS1_14transform_implILb0ES3_SA_NS6_6detail15normal_iteratorINS6_10device_ptrIS9_EEEENSD_INSE_IiEEEEZNS1_13binary_searchIS3_SA_SG_SG_SI_NS1_21upper_bound_search_opENSC_16wrapped_functionINS0_4lessIvEEbEEEE10hipError_tPvRmT1_T2_T3_mmT4_T5_P12ihipStream_tbEUlRKS9_E_EESP_ST_SU_mSV_SY_bEUlT_E_NS1_11comp_targetILNS1_3genE8ELNS1_11target_archE1030ELNS1_3gpuE2ELNS1_3repE0EEENS1_30default_config_static_selectorELNS0_4arch9wavefront6targetE1EEEvSS_.numbered_sgpr, 0
	.set _ZN7rocprim17ROCPRIM_400000_NS6detail17trampoline_kernelINS0_14default_configENS1_27upper_bound_config_selectorIN6thrust23THRUST_200600_302600_NS5tupleIiiNS6_9null_typeES8_S8_S8_S8_S8_S8_S8_EEiEEZNS1_14transform_implILb0ES3_SA_NS6_6detail15normal_iteratorINS6_10device_ptrIS9_EEEENSD_INSE_IiEEEEZNS1_13binary_searchIS3_SA_SG_SG_SI_NS1_21upper_bound_search_opENSC_16wrapped_functionINS0_4lessIvEEbEEEE10hipError_tPvRmT1_T2_T3_mmT4_T5_P12ihipStream_tbEUlRKS9_E_EESP_ST_SU_mSV_SY_bEUlT_E_NS1_11comp_targetILNS1_3genE8ELNS1_11target_archE1030ELNS1_3gpuE2ELNS1_3repE0EEENS1_30default_config_static_selectorELNS0_4arch9wavefront6targetE1EEEvSS_.num_named_barrier, 0
	.set _ZN7rocprim17ROCPRIM_400000_NS6detail17trampoline_kernelINS0_14default_configENS1_27upper_bound_config_selectorIN6thrust23THRUST_200600_302600_NS5tupleIiiNS6_9null_typeES8_S8_S8_S8_S8_S8_S8_EEiEEZNS1_14transform_implILb0ES3_SA_NS6_6detail15normal_iteratorINS6_10device_ptrIS9_EEEENSD_INSE_IiEEEEZNS1_13binary_searchIS3_SA_SG_SG_SI_NS1_21upper_bound_search_opENSC_16wrapped_functionINS0_4lessIvEEbEEEE10hipError_tPvRmT1_T2_T3_mmT4_T5_P12ihipStream_tbEUlRKS9_E_EESP_ST_SU_mSV_SY_bEUlT_E_NS1_11comp_targetILNS1_3genE8ELNS1_11target_archE1030ELNS1_3gpuE2ELNS1_3repE0EEENS1_30default_config_static_selectorELNS0_4arch9wavefront6targetE1EEEvSS_.private_seg_size, 0
	.set _ZN7rocprim17ROCPRIM_400000_NS6detail17trampoline_kernelINS0_14default_configENS1_27upper_bound_config_selectorIN6thrust23THRUST_200600_302600_NS5tupleIiiNS6_9null_typeES8_S8_S8_S8_S8_S8_S8_EEiEEZNS1_14transform_implILb0ES3_SA_NS6_6detail15normal_iteratorINS6_10device_ptrIS9_EEEENSD_INSE_IiEEEEZNS1_13binary_searchIS3_SA_SG_SG_SI_NS1_21upper_bound_search_opENSC_16wrapped_functionINS0_4lessIvEEbEEEE10hipError_tPvRmT1_T2_T3_mmT4_T5_P12ihipStream_tbEUlRKS9_E_EESP_ST_SU_mSV_SY_bEUlT_E_NS1_11comp_targetILNS1_3genE8ELNS1_11target_archE1030ELNS1_3gpuE2ELNS1_3repE0EEENS1_30default_config_static_selectorELNS0_4arch9wavefront6targetE1EEEvSS_.uses_vcc, 0
	.set _ZN7rocprim17ROCPRIM_400000_NS6detail17trampoline_kernelINS0_14default_configENS1_27upper_bound_config_selectorIN6thrust23THRUST_200600_302600_NS5tupleIiiNS6_9null_typeES8_S8_S8_S8_S8_S8_S8_EEiEEZNS1_14transform_implILb0ES3_SA_NS6_6detail15normal_iteratorINS6_10device_ptrIS9_EEEENSD_INSE_IiEEEEZNS1_13binary_searchIS3_SA_SG_SG_SI_NS1_21upper_bound_search_opENSC_16wrapped_functionINS0_4lessIvEEbEEEE10hipError_tPvRmT1_T2_T3_mmT4_T5_P12ihipStream_tbEUlRKS9_E_EESP_ST_SU_mSV_SY_bEUlT_E_NS1_11comp_targetILNS1_3genE8ELNS1_11target_archE1030ELNS1_3gpuE2ELNS1_3repE0EEENS1_30default_config_static_selectorELNS0_4arch9wavefront6targetE1EEEvSS_.uses_flat_scratch, 0
	.set _ZN7rocprim17ROCPRIM_400000_NS6detail17trampoline_kernelINS0_14default_configENS1_27upper_bound_config_selectorIN6thrust23THRUST_200600_302600_NS5tupleIiiNS6_9null_typeES8_S8_S8_S8_S8_S8_S8_EEiEEZNS1_14transform_implILb0ES3_SA_NS6_6detail15normal_iteratorINS6_10device_ptrIS9_EEEENSD_INSE_IiEEEEZNS1_13binary_searchIS3_SA_SG_SG_SI_NS1_21upper_bound_search_opENSC_16wrapped_functionINS0_4lessIvEEbEEEE10hipError_tPvRmT1_T2_T3_mmT4_T5_P12ihipStream_tbEUlRKS9_E_EESP_ST_SU_mSV_SY_bEUlT_E_NS1_11comp_targetILNS1_3genE8ELNS1_11target_archE1030ELNS1_3gpuE2ELNS1_3repE0EEENS1_30default_config_static_selectorELNS0_4arch9wavefront6targetE1EEEvSS_.has_dyn_sized_stack, 0
	.set _ZN7rocprim17ROCPRIM_400000_NS6detail17trampoline_kernelINS0_14default_configENS1_27upper_bound_config_selectorIN6thrust23THRUST_200600_302600_NS5tupleIiiNS6_9null_typeES8_S8_S8_S8_S8_S8_S8_EEiEEZNS1_14transform_implILb0ES3_SA_NS6_6detail15normal_iteratorINS6_10device_ptrIS9_EEEENSD_INSE_IiEEEEZNS1_13binary_searchIS3_SA_SG_SG_SI_NS1_21upper_bound_search_opENSC_16wrapped_functionINS0_4lessIvEEbEEEE10hipError_tPvRmT1_T2_T3_mmT4_T5_P12ihipStream_tbEUlRKS9_E_EESP_ST_SU_mSV_SY_bEUlT_E_NS1_11comp_targetILNS1_3genE8ELNS1_11target_archE1030ELNS1_3gpuE2ELNS1_3repE0EEENS1_30default_config_static_selectorELNS0_4arch9wavefront6targetE1EEEvSS_.has_recursion, 0
	.set _ZN7rocprim17ROCPRIM_400000_NS6detail17trampoline_kernelINS0_14default_configENS1_27upper_bound_config_selectorIN6thrust23THRUST_200600_302600_NS5tupleIiiNS6_9null_typeES8_S8_S8_S8_S8_S8_S8_EEiEEZNS1_14transform_implILb0ES3_SA_NS6_6detail15normal_iteratorINS6_10device_ptrIS9_EEEENSD_INSE_IiEEEEZNS1_13binary_searchIS3_SA_SG_SG_SI_NS1_21upper_bound_search_opENSC_16wrapped_functionINS0_4lessIvEEbEEEE10hipError_tPvRmT1_T2_T3_mmT4_T5_P12ihipStream_tbEUlRKS9_E_EESP_ST_SU_mSV_SY_bEUlT_E_NS1_11comp_targetILNS1_3genE8ELNS1_11target_archE1030ELNS1_3gpuE2ELNS1_3repE0EEENS1_30default_config_static_selectorELNS0_4arch9wavefront6targetE1EEEvSS_.has_indirect_call, 0
	.section	.AMDGPU.csdata,"",@progbits
; Kernel info:
; codeLenInByte = 0
; TotalNumSgprs: 4
; NumVgprs: 0
; ScratchSize: 0
; MemoryBound: 0
; FloatMode: 240
; IeeeMode: 1
; LDSByteSize: 0 bytes/workgroup (compile time only)
; SGPRBlocks: 0
; VGPRBlocks: 0
; NumSGPRsForWavesPerEU: 4
; NumVGPRsForWavesPerEU: 1
; Occupancy: 10
; WaveLimiterHint : 0
; COMPUTE_PGM_RSRC2:SCRATCH_EN: 0
; COMPUTE_PGM_RSRC2:USER_SGPR: 6
; COMPUTE_PGM_RSRC2:TRAP_HANDLER: 0
; COMPUTE_PGM_RSRC2:TGID_X_EN: 1
; COMPUTE_PGM_RSRC2:TGID_Y_EN: 0
; COMPUTE_PGM_RSRC2:TGID_Z_EN: 0
; COMPUTE_PGM_RSRC2:TIDIG_COMP_CNT: 0
	.section	.text._ZN7rocprim17ROCPRIM_400000_NS6detail17trampoline_kernelINS0_14default_configENS1_29binary_search_config_selectorIdiEEZNS1_14transform_implILb0ES3_S5_N6thrust23THRUST_200600_302600_NS6detail15normal_iteratorINS8_7pointerIdNS8_11hip_rocprim5par_tENS8_11use_defaultESE_EEEENSA_INSB_IiSD_SE_SE_EEEEZNS1_13binary_searchIS3_S5_NSA_INS8_10device_ptrIdEEEESG_SI_NS1_16binary_search_opENS9_16wrapped_functionINS8_6system6detail7generic6detail18binary_search_lessEbEEEE10hipError_tPvRmT1_T2_T3_mmT4_T5_P12ihipStream_tbEUlRKdE_EESV_SZ_S10_mS11_S14_bEUlT_E_NS1_11comp_targetILNS1_3genE0ELNS1_11target_archE4294967295ELNS1_3gpuE0ELNS1_3repE0EEENS1_30default_config_static_selectorELNS0_4arch9wavefront6targetE1EEEvSY_,"axG",@progbits,_ZN7rocprim17ROCPRIM_400000_NS6detail17trampoline_kernelINS0_14default_configENS1_29binary_search_config_selectorIdiEEZNS1_14transform_implILb0ES3_S5_N6thrust23THRUST_200600_302600_NS6detail15normal_iteratorINS8_7pointerIdNS8_11hip_rocprim5par_tENS8_11use_defaultESE_EEEENSA_INSB_IiSD_SE_SE_EEEEZNS1_13binary_searchIS3_S5_NSA_INS8_10device_ptrIdEEEESG_SI_NS1_16binary_search_opENS9_16wrapped_functionINS8_6system6detail7generic6detail18binary_search_lessEbEEEE10hipError_tPvRmT1_T2_T3_mmT4_T5_P12ihipStream_tbEUlRKdE_EESV_SZ_S10_mS11_S14_bEUlT_E_NS1_11comp_targetILNS1_3genE0ELNS1_11target_archE4294967295ELNS1_3gpuE0ELNS1_3repE0EEENS1_30default_config_static_selectorELNS0_4arch9wavefront6targetE1EEEvSY_,comdat
	.protected	_ZN7rocprim17ROCPRIM_400000_NS6detail17trampoline_kernelINS0_14default_configENS1_29binary_search_config_selectorIdiEEZNS1_14transform_implILb0ES3_S5_N6thrust23THRUST_200600_302600_NS6detail15normal_iteratorINS8_7pointerIdNS8_11hip_rocprim5par_tENS8_11use_defaultESE_EEEENSA_INSB_IiSD_SE_SE_EEEEZNS1_13binary_searchIS3_S5_NSA_INS8_10device_ptrIdEEEESG_SI_NS1_16binary_search_opENS9_16wrapped_functionINS8_6system6detail7generic6detail18binary_search_lessEbEEEE10hipError_tPvRmT1_T2_T3_mmT4_T5_P12ihipStream_tbEUlRKdE_EESV_SZ_S10_mS11_S14_bEUlT_E_NS1_11comp_targetILNS1_3genE0ELNS1_11target_archE4294967295ELNS1_3gpuE0ELNS1_3repE0EEENS1_30default_config_static_selectorELNS0_4arch9wavefront6targetE1EEEvSY_ ; -- Begin function _ZN7rocprim17ROCPRIM_400000_NS6detail17trampoline_kernelINS0_14default_configENS1_29binary_search_config_selectorIdiEEZNS1_14transform_implILb0ES3_S5_N6thrust23THRUST_200600_302600_NS6detail15normal_iteratorINS8_7pointerIdNS8_11hip_rocprim5par_tENS8_11use_defaultESE_EEEENSA_INSB_IiSD_SE_SE_EEEEZNS1_13binary_searchIS3_S5_NSA_INS8_10device_ptrIdEEEESG_SI_NS1_16binary_search_opENS9_16wrapped_functionINS8_6system6detail7generic6detail18binary_search_lessEbEEEE10hipError_tPvRmT1_T2_T3_mmT4_T5_P12ihipStream_tbEUlRKdE_EESV_SZ_S10_mS11_S14_bEUlT_E_NS1_11comp_targetILNS1_3genE0ELNS1_11target_archE4294967295ELNS1_3gpuE0ELNS1_3repE0EEENS1_30default_config_static_selectorELNS0_4arch9wavefront6targetE1EEEvSY_
	.globl	_ZN7rocprim17ROCPRIM_400000_NS6detail17trampoline_kernelINS0_14default_configENS1_29binary_search_config_selectorIdiEEZNS1_14transform_implILb0ES3_S5_N6thrust23THRUST_200600_302600_NS6detail15normal_iteratorINS8_7pointerIdNS8_11hip_rocprim5par_tENS8_11use_defaultESE_EEEENSA_INSB_IiSD_SE_SE_EEEEZNS1_13binary_searchIS3_S5_NSA_INS8_10device_ptrIdEEEESG_SI_NS1_16binary_search_opENS9_16wrapped_functionINS8_6system6detail7generic6detail18binary_search_lessEbEEEE10hipError_tPvRmT1_T2_T3_mmT4_T5_P12ihipStream_tbEUlRKdE_EESV_SZ_S10_mS11_S14_bEUlT_E_NS1_11comp_targetILNS1_3genE0ELNS1_11target_archE4294967295ELNS1_3gpuE0ELNS1_3repE0EEENS1_30default_config_static_selectorELNS0_4arch9wavefront6targetE1EEEvSY_
	.p2align	8
	.type	_ZN7rocprim17ROCPRIM_400000_NS6detail17trampoline_kernelINS0_14default_configENS1_29binary_search_config_selectorIdiEEZNS1_14transform_implILb0ES3_S5_N6thrust23THRUST_200600_302600_NS6detail15normal_iteratorINS8_7pointerIdNS8_11hip_rocprim5par_tENS8_11use_defaultESE_EEEENSA_INSB_IiSD_SE_SE_EEEEZNS1_13binary_searchIS3_S5_NSA_INS8_10device_ptrIdEEEESG_SI_NS1_16binary_search_opENS9_16wrapped_functionINS8_6system6detail7generic6detail18binary_search_lessEbEEEE10hipError_tPvRmT1_T2_T3_mmT4_T5_P12ihipStream_tbEUlRKdE_EESV_SZ_S10_mS11_S14_bEUlT_E_NS1_11comp_targetILNS1_3genE0ELNS1_11target_archE4294967295ELNS1_3gpuE0ELNS1_3repE0EEENS1_30default_config_static_selectorELNS0_4arch9wavefront6targetE1EEEvSY_,@function
_ZN7rocprim17ROCPRIM_400000_NS6detail17trampoline_kernelINS0_14default_configENS1_29binary_search_config_selectorIdiEEZNS1_14transform_implILb0ES3_S5_N6thrust23THRUST_200600_302600_NS6detail15normal_iteratorINS8_7pointerIdNS8_11hip_rocprim5par_tENS8_11use_defaultESE_EEEENSA_INSB_IiSD_SE_SE_EEEEZNS1_13binary_searchIS3_S5_NSA_INS8_10device_ptrIdEEEESG_SI_NS1_16binary_search_opENS9_16wrapped_functionINS8_6system6detail7generic6detail18binary_search_lessEbEEEE10hipError_tPvRmT1_T2_T3_mmT4_T5_P12ihipStream_tbEUlRKdE_EESV_SZ_S10_mS11_S14_bEUlT_E_NS1_11comp_targetILNS1_3genE0ELNS1_11target_archE4294967295ELNS1_3gpuE0ELNS1_3repE0EEENS1_30default_config_static_selectorELNS0_4arch9wavefront6targetE1EEEvSY_: ; @_ZN7rocprim17ROCPRIM_400000_NS6detail17trampoline_kernelINS0_14default_configENS1_29binary_search_config_selectorIdiEEZNS1_14transform_implILb0ES3_S5_N6thrust23THRUST_200600_302600_NS6detail15normal_iteratorINS8_7pointerIdNS8_11hip_rocprim5par_tENS8_11use_defaultESE_EEEENSA_INSB_IiSD_SE_SE_EEEEZNS1_13binary_searchIS3_S5_NSA_INS8_10device_ptrIdEEEESG_SI_NS1_16binary_search_opENS9_16wrapped_functionINS8_6system6detail7generic6detail18binary_search_lessEbEEEE10hipError_tPvRmT1_T2_T3_mmT4_T5_P12ihipStream_tbEUlRKdE_EESV_SZ_S10_mS11_S14_bEUlT_E_NS1_11comp_targetILNS1_3genE0ELNS1_11target_archE4294967295ELNS1_3gpuE0ELNS1_3repE0EEENS1_30default_config_static_selectorELNS0_4arch9wavefront6targetE1EEEvSY_
; %bb.0:
	.section	.rodata,"a",@progbits
	.p2align	6, 0x0
	.amdhsa_kernel _ZN7rocprim17ROCPRIM_400000_NS6detail17trampoline_kernelINS0_14default_configENS1_29binary_search_config_selectorIdiEEZNS1_14transform_implILb0ES3_S5_N6thrust23THRUST_200600_302600_NS6detail15normal_iteratorINS8_7pointerIdNS8_11hip_rocprim5par_tENS8_11use_defaultESE_EEEENSA_INSB_IiSD_SE_SE_EEEEZNS1_13binary_searchIS3_S5_NSA_INS8_10device_ptrIdEEEESG_SI_NS1_16binary_search_opENS9_16wrapped_functionINS8_6system6detail7generic6detail18binary_search_lessEbEEEE10hipError_tPvRmT1_T2_T3_mmT4_T5_P12ihipStream_tbEUlRKdE_EESV_SZ_S10_mS11_S14_bEUlT_E_NS1_11comp_targetILNS1_3genE0ELNS1_11target_archE4294967295ELNS1_3gpuE0ELNS1_3repE0EEENS1_30default_config_static_selectorELNS0_4arch9wavefront6targetE1EEEvSY_
		.amdhsa_group_segment_fixed_size 0
		.amdhsa_private_segment_fixed_size 0
		.amdhsa_kernarg_size 56
		.amdhsa_user_sgpr_count 6
		.amdhsa_user_sgpr_private_segment_buffer 1
		.amdhsa_user_sgpr_dispatch_ptr 0
		.amdhsa_user_sgpr_queue_ptr 0
		.amdhsa_user_sgpr_kernarg_segment_ptr 1
		.amdhsa_user_sgpr_dispatch_id 0
		.amdhsa_user_sgpr_flat_scratch_init 0
		.amdhsa_user_sgpr_private_segment_size 0
		.amdhsa_uses_dynamic_stack 0
		.amdhsa_system_sgpr_private_segment_wavefront_offset 0
		.amdhsa_system_sgpr_workgroup_id_x 1
		.amdhsa_system_sgpr_workgroup_id_y 0
		.amdhsa_system_sgpr_workgroup_id_z 0
		.amdhsa_system_sgpr_workgroup_info 0
		.amdhsa_system_vgpr_workitem_id 0
		.amdhsa_next_free_vgpr 1
		.amdhsa_next_free_sgpr 0
		.amdhsa_reserve_vcc 0
		.amdhsa_reserve_flat_scratch 0
		.amdhsa_float_round_mode_32 0
		.amdhsa_float_round_mode_16_64 0
		.amdhsa_float_denorm_mode_32 3
		.amdhsa_float_denorm_mode_16_64 3
		.amdhsa_dx10_clamp 1
		.amdhsa_ieee_mode 1
		.amdhsa_fp16_overflow 0
		.amdhsa_exception_fp_ieee_invalid_op 0
		.amdhsa_exception_fp_denorm_src 0
		.amdhsa_exception_fp_ieee_div_zero 0
		.amdhsa_exception_fp_ieee_overflow 0
		.amdhsa_exception_fp_ieee_underflow 0
		.amdhsa_exception_fp_ieee_inexact 0
		.amdhsa_exception_int_div_zero 0
	.end_amdhsa_kernel
	.section	.text._ZN7rocprim17ROCPRIM_400000_NS6detail17trampoline_kernelINS0_14default_configENS1_29binary_search_config_selectorIdiEEZNS1_14transform_implILb0ES3_S5_N6thrust23THRUST_200600_302600_NS6detail15normal_iteratorINS8_7pointerIdNS8_11hip_rocprim5par_tENS8_11use_defaultESE_EEEENSA_INSB_IiSD_SE_SE_EEEEZNS1_13binary_searchIS3_S5_NSA_INS8_10device_ptrIdEEEESG_SI_NS1_16binary_search_opENS9_16wrapped_functionINS8_6system6detail7generic6detail18binary_search_lessEbEEEE10hipError_tPvRmT1_T2_T3_mmT4_T5_P12ihipStream_tbEUlRKdE_EESV_SZ_S10_mS11_S14_bEUlT_E_NS1_11comp_targetILNS1_3genE0ELNS1_11target_archE4294967295ELNS1_3gpuE0ELNS1_3repE0EEENS1_30default_config_static_selectorELNS0_4arch9wavefront6targetE1EEEvSY_,"axG",@progbits,_ZN7rocprim17ROCPRIM_400000_NS6detail17trampoline_kernelINS0_14default_configENS1_29binary_search_config_selectorIdiEEZNS1_14transform_implILb0ES3_S5_N6thrust23THRUST_200600_302600_NS6detail15normal_iteratorINS8_7pointerIdNS8_11hip_rocprim5par_tENS8_11use_defaultESE_EEEENSA_INSB_IiSD_SE_SE_EEEEZNS1_13binary_searchIS3_S5_NSA_INS8_10device_ptrIdEEEESG_SI_NS1_16binary_search_opENS9_16wrapped_functionINS8_6system6detail7generic6detail18binary_search_lessEbEEEE10hipError_tPvRmT1_T2_T3_mmT4_T5_P12ihipStream_tbEUlRKdE_EESV_SZ_S10_mS11_S14_bEUlT_E_NS1_11comp_targetILNS1_3genE0ELNS1_11target_archE4294967295ELNS1_3gpuE0ELNS1_3repE0EEENS1_30default_config_static_selectorELNS0_4arch9wavefront6targetE1EEEvSY_,comdat
.Lfunc_end626:
	.size	_ZN7rocprim17ROCPRIM_400000_NS6detail17trampoline_kernelINS0_14default_configENS1_29binary_search_config_selectorIdiEEZNS1_14transform_implILb0ES3_S5_N6thrust23THRUST_200600_302600_NS6detail15normal_iteratorINS8_7pointerIdNS8_11hip_rocprim5par_tENS8_11use_defaultESE_EEEENSA_INSB_IiSD_SE_SE_EEEEZNS1_13binary_searchIS3_S5_NSA_INS8_10device_ptrIdEEEESG_SI_NS1_16binary_search_opENS9_16wrapped_functionINS8_6system6detail7generic6detail18binary_search_lessEbEEEE10hipError_tPvRmT1_T2_T3_mmT4_T5_P12ihipStream_tbEUlRKdE_EESV_SZ_S10_mS11_S14_bEUlT_E_NS1_11comp_targetILNS1_3genE0ELNS1_11target_archE4294967295ELNS1_3gpuE0ELNS1_3repE0EEENS1_30default_config_static_selectorELNS0_4arch9wavefront6targetE1EEEvSY_, .Lfunc_end626-_ZN7rocprim17ROCPRIM_400000_NS6detail17trampoline_kernelINS0_14default_configENS1_29binary_search_config_selectorIdiEEZNS1_14transform_implILb0ES3_S5_N6thrust23THRUST_200600_302600_NS6detail15normal_iteratorINS8_7pointerIdNS8_11hip_rocprim5par_tENS8_11use_defaultESE_EEEENSA_INSB_IiSD_SE_SE_EEEEZNS1_13binary_searchIS3_S5_NSA_INS8_10device_ptrIdEEEESG_SI_NS1_16binary_search_opENS9_16wrapped_functionINS8_6system6detail7generic6detail18binary_search_lessEbEEEE10hipError_tPvRmT1_T2_T3_mmT4_T5_P12ihipStream_tbEUlRKdE_EESV_SZ_S10_mS11_S14_bEUlT_E_NS1_11comp_targetILNS1_3genE0ELNS1_11target_archE4294967295ELNS1_3gpuE0ELNS1_3repE0EEENS1_30default_config_static_selectorELNS0_4arch9wavefront6targetE1EEEvSY_
                                        ; -- End function
	.set _ZN7rocprim17ROCPRIM_400000_NS6detail17trampoline_kernelINS0_14default_configENS1_29binary_search_config_selectorIdiEEZNS1_14transform_implILb0ES3_S5_N6thrust23THRUST_200600_302600_NS6detail15normal_iteratorINS8_7pointerIdNS8_11hip_rocprim5par_tENS8_11use_defaultESE_EEEENSA_INSB_IiSD_SE_SE_EEEEZNS1_13binary_searchIS3_S5_NSA_INS8_10device_ptrIdEEEESG_SI_NS1_16binary_search_opENS9_16wrapped_functionINS8_6system6detail7generic6detail18binary_search_lessEbEEEE10hipError_tPvRmT1_T2_T3_mmT4_T5_P12ihipStream_tbEUlRKdE_EESV_SZ_S10_mS11_S14_bEUlT_E_NS1_11comp_targetILNS1_3genE0ELNS1_11target_archE4294967295ELNS1_3gpuE0ELNS1_3repE0EEENS1_30default_config_static_selectorELNS0_4arch9wavefront6targetE1EEEvSY_.num_vgpr, 0
	.set _ZN7rocprim17ROCPRIM_400000_NS6detail17trampoline_kernelINS0_14default_configENS1_29binary_search_config_selectorIdiEEZNS1_14transform_implILb0ES3_S5_N6thrust23THRUST_200600_302600_NS6detail15normal_iteratorINS8_7pointerIdNS8_11hip_rocprim5par_tENS8_11use_defaultESE_EEEENSA_INSB_IiSD_SE_SE_EEEEZNS1_13binary_searchIS3_S5_NSA_INS8_10device_ptrIdEEEESG_SI_NS1_16binary_search_opENS9_16wrapped_functionINS8_6system6detail7generic6detail18binary_search_lessEbEEEE10hipError_tPvRmT1_T2_T3_mmT4_T5_P12ihipStream_tbEUlRKdE_EESV_SZ_S10_mS11_S14_bEUlT_E_NS1_11comp_targetILNS1_3genE0ELNS1_11target_archE4294967295ELNS1_3gpuE0ELNS1_3repE0EEENS1_30default_config_static_selectorELNS0_4arch9wavefront6targetE1EEEvSY_.num_agpr, 0
	.set _ZN7rocprim17ROCPRIM_400000_NS6detail17trampoline_kernelINS0_14default_configENS1_29binary_search_config_selectorIdiEEZNS1_14transform_implILb0ES3_S5_N6thrust23THRUST_200600_302600_NS6detail15normal_iteratorINS8_7pointerIdNS8_11hip_rocprim5par_tENS8_11use_defaultESE_EEEENSA_INSB_IiSD_SE_SE_EEEEZNS1_13binary_searchIS3_S5_NSA_INS8_10device_ptrIdEEEESG_SI_NS1_16binary_search_opENS9_16wrapped_functionINS8_6system6detail7generic6detail18binary_search_lessEbEEEE10hipError_tPvRmT1_T2_T3_mmT4_T5_P12ihipStream_tbEUlRKdE_EESV_SZ_S10_mS11_S14_bEUlT_E_NS1_11comp_targetILNS1_3genE0ELNS1_11target_archE4294967295ELNS1_3gpuE0ELNS1_3repE0EEENS1_30default_config_static_selectorELNS0_4arch9wavefront6targetE1EEEvSY_.numbered_sgpr, 0
	.set _ZN7rocprim17ROCPRIM_400000_NS6detail17trampoline_kernelINS0_14default_configENS1_29binary_search_config_selectorIdiEEZNS1_14transform_implILb0ES3_S5_N6thrust23THRUST_200600_302600_NS6detail15normal_iteratorINS8_7pointerIdNS8_11hip_rocprim5par_tENS8_11use_defaultESE_EEEENSA_INSB_IiSD_SE_SE_EEEEZNS1_13binary_searchIS3_S5_NSA_INS8_10device_ptrIdEEEESG_SI_NS1_16binary_search_opENS9_16wrapped_functionINS8_6system6detail7generic6detail18binary_search_lessEbEEEE10hipError_tPvRmT1_T2_T3_mmT4_T5_P12ihipStream_tbEUlRKdE_EESV_SZ_S10_mS11_S14_bEUlT_E_NS1_11comp_targetILNS1_3genE0ELNS1_11target_archE4294967295ELNS1_3gpuE0ELNS1_3repE0EEENS1_30default_config_static_selectorELNS0_4arch9wavefront6targetE1EEEvSY_.num_named_barrier, 0
	.set _ZN7rocprim17ROCPRIM_400000_NS6detail17trampoline_kernelINS0_14default_configENS1_29binary_search_config_selectorIdiEEZNS1_14transform_implILb0ES3_S5_N6thrust23THRUST_200600_302600_NS6detail15normal_iteratorINS8_7pointerIdNS8_11hip_rocprim5par_tENS8_11use_defaultESE_EEEENSA_INSB_IiSD_SE_SE_EEEEZNS1_13binary_searchIS3_S5_NSA_INS8_10device_ptrIdEEEESG_SI_NS1_16binary_search_opENS9_16wrapped_functionINS8_6system6detail7generic6detail18binary_search_lessEbEEEE10hipError_tPvRmT1_T2_T3_mmT4_T5_P12ihipStream_tbEUlRKdE_EESV_SZ_S10_mS11_S14_bEUlT_E_NS1_11comp_targetILNS1_3genE0ELNS1_11target_archE4294967295ELNS1_3gpuE0ELNS1_3repE0EEENS1_30default_config_static_selectorELNS0_4arch9wavefront6targetE1EEEvSY_.private_seg_size, 0
	.set _ZN7rocprim17ROCPRIM_400000_NS6detail17trampoline_kernelINS0_14default_configENS1_29binary_search_config_selectorIdiEEZNS1_14transform_implILb0ES3_S5_N6thrust23THRUST_200600_302600_NS6detail15normal_iteratorINS8_7pointerIdNS8_11hip_rocprim5par_tENS8_11use_defaultESE_EEEENSA_INSB_IiSD_SE_SE_EEEEZNS1_13binary_searchIS3_S5_NSA_INS8_10device_ptrIdEEEESG_SI_NS1_16binary_search_opENS9_16wrapped_functionINS8_6system6detail7generic6detail18binary_search_lessEbEEEE10hipError_tPvRmT1_T2_T3_mmT4_T5_P12ihipStream_tbEUlRKdE_EESV_SZ_S10_mS11_S14_bEUlT_E_NS1_11comp_targetILNS1_3genE0ELNS1_11target_archE4294967295ELNS1_3gpuE0ELNS1_3repE0EEENS1_30default_config_static_selectorELNS0_4arch9wavefront6targetE1EEEvSY_.uses_vcc, 0
	.set _ZN7rocprim17ROCPRIM_400000_NS6detail17trampoline_kernelINS0_14default_configENS1_29binary_search_config_selectorIdiEEZNS1_14transform_implILb0ES3_S5_N6thrust23THRUST_200600_302600_NS6detail15normal_iteratorINS8_7pointerIdNS8_11hip_rocprim5par_tENS8_11use_defaultESE_EEEENSA_INSB_IiSD_SE_SE_EEEEZNS1_13binary_searchIS3_S5_NSA_INS8_10device_ptrIdEEEESG_SI_NS1_16binary_search_opENS9_16wrapped_functionINS8_6system6detail7generic6detail18binary_search_lessEbEEEE10hipError_tPvRmT1_T2_T3_mmT4_T5_P12ihipStream_tbEUlRKdE_EESV_SZ_S10_mS11_S14_bEUlT_E_NS1_11comp_targetILNS1_3genE0ELNS1_11target_archE4294967295ELNS1_3gpuE0ELNS1_3repE0EEENS1_30default_config_static_selectorELNS0_4arch9wavefront6targetE1EEEvSY_.uses_flat_scratch, 0
	.set _ZN7rocprim17ROCPRIM_400000_NS6detail17trampoline_kernelINS0_14default_configENS1_29binary_search_config_selectorIdiEEZNS1_14transform_implILb0ES3_S5_N6thrust23THRUST_200600_302600_NS6detail15normal_iteratorINS8_7pointerIdNS8_11hip_rocprim5par_tENS8_11use_defaultESE_EEEENSA_INSB_IiSD_SE_SE_EEEEZNS1_13binary_searchIS3_S5_NSA_INS8_10device_ptrIdEEEESG_SI_NS1_16binary_search_opENS9_16wrapped_functionINS8_6system6detail7generic6detail18binary_search_lessEbEEEE10hipError_tPvRmT1_T2_T3_mmT4_T5_P12ihipStream_tbEUlRKdE_EESV_SZ_S10_mS11_S14_bEUlT_E_NS1_11comp_targetILNS1_3genE0ELNS1_11target_archE4294967295ELNS1_3gpuE0ELNS1_3repE0EEENS1_30default_config_static_selectorELNS0_4arch9wavefront6targetE1EEEvSY_.has_dyn_sized_stack, 0
	.set _ZN7rocprim17ROCPRIM_400000_NS6detail17trampoline_kernelINS0_14default_configENS1_29binary_search_config_selectorIdiEEZNS1_14transform_implILb0ES3_S5_N6thrust23THRUST_200600_302600_NS6detail15normal_iteratorINS8_7pointerIdNS8_11hip_rocprim5par_tENS8_11use_defaultESE_EEEENSA_INSB_IiSD_SE_SE_EEEEZNS1_13binary_searchIS3_S5_NSA_INS8_10device_ptrIdEEEESG_SI_NS1_16binary_search_opENS9_16wrapped_functionINS8_6system6detail7generic6detail18binary_search_lessEbEEEE10hipError_tPvRmT1_T2_T3_mmT4_T5_P12ihipStream_tbEUlRKdE_EESV_SZ_S10_mS11_S14_bEUlT_E_NS1_11comp_targetILNS1_3genE0ELNS1_11target_archE4294967295ELNS1_3gpuE0ELNS1_3repE0EEENS1_30default_config_static_selectorELNS0_4arch9wavefront6targetE1EEEvSY_.has_recursion, 0
	.set _ZN7rocprim17ROCPRIM_400000_NS6detail17trampoline_kernelINS0_14default_configENS1_29binary_search_config_selectorIdiEEZNS1_14transform_implILb0ES3_S5_N6thrust23THRUST_200600_302600_NS6detail15normal_iteratorINS8_7pointerIdNS8_11hip_rocprim5par_tENS8_11use_defaultESE_EEEENSA_INSB_IiSD_SE_SE_EEEEZNS1_13binary_searchIS3_S5_NSA_INS8_10device_ptrIdEEEESG_SI_NS1_16binary_search_opENS9_16wrapped_functionINS8_6system6detail7generic6detail18binary_search_lessEbEEEE10hipError_tPvRmT1_T2_T3_mmT4_T5_P12ihipStream_tbEUlRKdE_EESV_SZ_S10_mS11_S14_bEUlT_E_NS1_11comp_targetILNS1_3genE0ELNS1_11target_archE4294967295ELNS1_3gpuE0ELNS1_3repE0EEENS1_30default_config_static_selectorELNS0_4arch9wavefront6targetE1EEEvSY_.has_indirect_call, 0
	.section	.AMDGPU.csdata,"",@progbits
; Kernel info:
; codeLenInByte = 0
; TotalNumSgprs: 4
; NumVgprs: 0
; ScratchSize: 0
; MemoryBound: 0
; FloatMode: 240
; IeeeMode: 1
; LDSByteSize: 0 bytes/workgroup (compile time only)
; SGPRBlocks: 0
; VGPRBlocks: 0
; NumSGPRsForWavesPerEU: 4
; NumVGPRsForWavesPerEU: 1
; Occupancy: 10
; WaveLimiterHint : 0
; COMPUTE_PGM_RSRC2:SCRATCH_EN: 0
; COMPUTE_PGM_RSRC2:USER_SGPR: 6
; COMPUTE_PGM_RSRC2:TRAP_HANDLER: 0
; COMPUTE_PGM_RSRC2:TGID_X_EN: 1
; COMPUTE_PGM_RSRC2:TGID_Y_EN: 0
; COMPUTE_PGM_RSRC2:TGID_Z_EN: 0
; COMPUTE_PGM_RSRC2:TIDIG_COMP_CNT: 0
	.section	.text._ZN7rocprim17ROCPRIM_400000_NS6detail17trampoline_kernelINS0_14default_configENS1_29binary_search_config_selectorIdiEEZNS1_14transform_implILb0ES3_S5_N6thrust23THRUST_200600_302600_NS6detail15normal_iteratorINS8_7pointerIdNS8_11hip_rocprim5par_tENS8_11use_defaultESE_EEEENSA_INSB_IiSD_SE_SE_EEEEZNS1_13binary_searchIS3_S5_NSA_INS8_10device_ptrIdEEEESG_SI_NS1_16binary_search_opENS9_16wrapped_functionINS8_6system6detail7generic6detail18binary_search_lessEbEEEE10hipError_tPvRmT1_T2_T3_mmT4_T5_P12ihipStream_tbEUlRKdE_EESV_SZ_S10_mS11_S14_bEUlT_E_NS1_11comp_targetILNS1_3genE5ELNS1_11target_archE942ELNS1_3gpuE9ELNS1_3repE0EEENS1_30default_config_static_selectorELNS0_4arch9wavefront6targetE1EEEvSY_,"axG",@progbits,_ZN7rocprim17ROCPRIM_400000_NS6detail17trampoline_kernelINS0_14default_configENS1_29binary_search_config_selectorIdiEEZNS1_14transform_implILb0ES3_S5_N6thrust23THRUST_200600_302600_NS6detail15normal_iteratorINS8_7pointerIdNS8_11hip_rocprim5par_tENS8_11use_defaultESE_EEEENSA_INSB_IiSD_SE_SE_EEEEZNS1_13binary_searchIS3_S5_NSA_INS8_10device_ptrIdEEEESG_SI_NS1_16binary_search_opENS9_16wrapped_functionINS8_6system6detail7generic6detail18binary_search_lessEbEEEE10hipError_tPvRmT1_T2_T3_mmT4_T5_P12ihipStream_tbEUlRKdE_EESV_SZ_S10_mS11_S14_bEUlT_E_NS1_11comp_targetILNS1_3genE5ELNS1_11target_archE942ELNS1_3gpuE9ELNS1_3repE0EEENS1_30default_config_static_selectorELNS0_4arch9wavefront6targetE1EEEvSY_,comdat
	.protected	_ZN7rocprim17ROCPRIM_400000_NS6detail17trampoline_kernelINS0_14default_configENS1_29binary_search_config_selectorIdiEEZNS1_14transform_implILb0ES3_S5_N6thrust23THRUST_200600_302600_NS6detail15normal_iteratorINS8_7pointerIdNS8_11hip_rocprim5par_tENS8_11use_defaultESE_EEEENSA_INSB_IiSD_SE_SE_EEEEZNS1_13binary_searchIS3_S5_NSA_INS8_10device_ptrIdEEEESG_SI_NS1_16binary_search_opENS9_16wrapped_functionINS8_6system6detail7generic6detail18binary_search_lessEbEEEE10hipError_tPvRmT1_T2_T3_mmT4_T5_P12ihipStream_tbEUlRKdE_EESV_SZ_S10_mS11_S14_bEUlT_E_NS1_11comp_targetILNS1_3genE5ELNS1_11target_archE942ELNS1_3gpuE9ELNS1_3repE0EEENS1_30default_config_static_selectorELNS0_4arch9wavefront6targetE1EEEvSY_ ; -- Begin function _ZN7rocprim17ROCPRIM_400000_NS6detail17trampoline_kernelINS0_14default_configENS1_29binary_search_config_selectorIdiEEZNS1_14transform_implILb0ES3_S5_N6thrust23THRUST_200600_302600_NS6detail15normal_iteratorINS8_7pointerIdNS8_11hip_rocprim5par_tENS8_11use_defaultESE_EEEENSA_INSB_IiSD_SE_SE_EEEEZNS1_13binary_searchIS3_S5_NSA_INS8_10device_ptrIdEEEESG_SI_NS1_16binary_search_opENS9_16wrapped_functionINS8_6system6detail7generic6detail18binary_search_lessEbEEEE10hipError_tPvRmT1_T2_T3_mmT4_T5_P12ihipStream_tbEUlRKdE_EESV_SZ_S10_mS11_S14_bEUlT_E_NS1_11comp_targetILNS1_3genE5ELNS1_11target_archE942ELNS1_3gpuE9ELNS1_3repE0EEENS1_30default_config_static_selectorELNS0_4arch9wavefront6targetE1EEEvSY_
	.globl	_ZN7rocprim17ROCPRIM_400000_NS6detail17trampoline_kernelINS0_14default_configENS1_29binary_search_config_selectorIdiEEZNS1_14transform_implILb0ES3_S5_N6thrust23THRUST_200600_302600_NS6detail15normal_iteratorINS8_7pointerIdNS8_11hip_rocprim5par_tENS8_11use_defaultESE_EEEENSA_INSB_IiSD_SE_SE_EEEEZNS1_13binary_searchIS3_S5_NSA_INS8_10device_ptrIdEEEESG_SI_NS1_16binary_search_opENS9_16wrapped_functionINS8_6system6detail7generic6detail18binary_search_lessEbEEEE10hipError_tPvRmT1_T2_T3_mmT4_T5_P12ihipStream_tbEUlRKdE_EESV_SZ_S10_mS11_S14_bEUlT_E_NS1_11comp_targetILNS1_3genE5ELNS1_11target_archE942ELNS1_3gpuE9ELNS1_3repE0EEENS1_30default_config_static_selectorELNS0_4arch9wavefront6targetE1EEEvSY_
	.p2align	8
	.type	_ZN7rocprim17ROCPRIM_400000_NS6detail17trampoline_kernelINS0_14default_configENS1_29binary_search_config_selectorIdiEEZNS1_14transform_implILb0ES3_S5_N6thrust23THRUST_200600_302600_NS6detail15normal_iteratorINS8_7pointerIdNS8_11hip_rocprim5par_tENS8_11use_defaultESE_EEEENSA_INSB_IiSD_SE_SE_EEEEZNS1_13binary_searchIS3_S5_NSA_INS8_10device_ptrIdEEEESG_SI_NS1_16binary_search_opENS9_16wrapped_functionINS8_6system6detail7generic6detail18binary_search_lessEbEEEE10hipError_tPvRmT1_T2_T3_mmT4_T5_P12ihipStream_tbEUlRKdE_EESV_SZ_S10_mS11_S14_bEUlT_E_NS1_11comp_targetILNS1_3genE5ELNS1_11target_archE942ELNS1_3gpuE9ELNS1_3repE0EEENS1_30default_config_static_selectorELNS0_4arch9wavefront6targetE1EEEvSY_,@function
_ZN7rocprim17ROCPRIM_400000_NS6detail17trampoline_kernelINS0_14default_configENS1_29binary_search_config_selectorIdiEEZNS1_14transform_implILb0ES3_S5_N6thrust23THRUST_200600_302600_NS6detail15normal_iteratorINS8_7pointerIdNS8_11hip_rocprim5par_tENS8_11use_defaultESE_EEEENSA_INSB_IiSD_SE_SE_EEEEZNS1_13binary_searchIS3_S5_NSA_INS8_10device_ptrIdEEEESG_SI_NS1_16binary_search_opENS9_16wrapped_functionINS8_6system6detail7generic6detail18binary_search_lessEbEEEE10hipError_tPvRmT1_T2_T3_mmT4_T5_P12ihipStream_tbEUlRKdE_EESV_SZ_S10_mS11_S14_bEUlT_E_NS1_11comp_targetILNS1_3genE5ELNS1_11target_archE942ELNS1_3gpuE9ELNS1_3repE0EEENS1_30default_config_static_selectorELNS0_4arch9wavefront6targetE1EEEvSY_: ; @_ZN7rocprim17ROCPRIM_400000_NS6detail17trampoline_kernelINS0_14default_configENS1_29binary_search_config_selectorIdiEEZNS1_14transform_implILb0ES3_S5_N6thrust23THRUST_200600_302600_NS6detail15normal_iteratorINS8_7pointerIdNS8_11hip_rocprim5par_tENS8_11use_defaultESE_EEEENSA_INSB_IiSD_SE_SE_EEEEZNS1_13binary_searchIS3_S5_NSA_INS8_10device_ptrIdEEEESG_SI_NS1_16binary_search_opENS9_16wrapped_functionINS8_6system6detail7generic6detail18binary_search_lessEbEEEE10hipError_tPvRmT1_T2_T3_mmT4_T5_P12ihipStream_tbEUlRKdE_EESV_SZ_S10_mS11_S14_bEUlT_E_NS1_11comp_targetILNS1_3genE5ELNS1_11target_archE942ELNS1_3gpuE9ELNS1_3repE0EEENS1_30default_config_static_selectorELNS0_4arch9wavefront6targetE1EEEvSY_
; %bb.0:
	.section	.rodata,"a",@progbits
	.p2align	6, 0x0
	.amdhsa_kernel _ZN7rocprim17ROCPRIM_400000_NS6detail17trampoline_kernelINS0_14default_configENS1_29binary_search_config_selectorIdiEEZNS1_14transform_implILb0ES3_S5_N6thrust23THRUST_200600_302600_NS6detail15normal_iteratorINS8_7pointerIdNS8_11hip_rocprim5par_tENS8_11use_defaultESE_EEEENSA_INSB_IiSD_SE_SE_EEEEZNS1_13binary_searchIS3_S5_NSA_INS8_10device_ptrIdEEEESG_SI_NS1_16binary_search_opENS9_16wrapped_functionINS8_6system6detail7generic6detail18binary_search_lessEbEEEE10hipError_tPvRmT1_T2_T3_mmT4_T5_P12ihipStream_tbEUlRKdE_EESV_SZ_S10_mS11_S14_bEUlT_E_NS1_11comp_targetILNS1_3genE5ELNS1_11target_archE942ELNS1_3gpuE9ELNS1_3repE0EEENS1_30default_config_static_selectorELNS0_4arch9wavefront6targetE1EEEvSY_
		.amdhsa_group_segment_fixed_size 0
		.amdhsa_private_segment_fixed_size 0
		.amdhsa_kernarg_size 56
		.amdhsa_user_sgpr_count 6
		.amdhsa_user_sgpr_private_segment_buffer 1
		.amdhsa_user_sgpr_dispatch_ptr 0
		.amdhsa_user_sgpr_queue_ptr 0
		.amdhsa_user_sgpr_kernarg_segment_ptr 1
		.amdhsa_user_sgpr_dispatch_id 0
		.amdhsa_user_sgpr_flat_scratch_init 0
		.amdhsa_user_sgpr_private_segment_size 0
		.amdhsa_uses_dynamic_stack 0
		.amdhsa_system_sgpr_private_segment_wavefront_offset 0
		.amdhsa_system_sgpr_workgroup_id_x 1
		.amdhsa_system_sgpr_workgroup_id_y 0
		.amdhsa_system_sgpr_workgroup_id_z 0
		.amdhsa_system_sgpr_workgroup_info 0
		.amdhsa_system_vgpr_workitem_id 0
		.amdhsa_next_free_vgpr 1
		.amdhsa_next_free_sgpr 0
		.amdhsa_reserve_vcc 0
		.amdhsa_reserve_flat_scratch 0
		.amdhsa_float_round_mode_32 0
		.amdhsa_float_round_mode_16_64 0
		.amdhsa_float_denorm_mode_32 3
		.amdhsa_float_denorm_mode_16_64 3
		.amdhsa_dx10_clamp 1
		.amdhsa_ieee_mode 1
		.amdhsa_fp16_overflow 0
		.amdhsa_exception_fp_ieee_invalid_op 0
		.amdhsa_exception_fp_denorm_src 0
		.amdhsa_exception_fp_ieee_div_zero 0
		.amdhsa_exception_fp_ieee_overflow 0
		.amdhsa_exception_fp_ieee_underflow 0
		.amdhsa_exception_fp_ieee_inexact 0
		.amdhsa_exception_int_div_zero 0
	.end_amdhsa_kernel
	.section	.text._ZN7rocprim17ROCPRIM_400000_NS6detail17trampoline_kernelINS0_14default_configENS1_29binary_search_config_selectorIdiEEZNS1_14transform_implILb0ES3_S5_N6thrust23THRUST_200600_302600_NS6detail15normal_iteratorINS8_7pointerIdNS8_11hip_rocprim5par_tENS8_11use_defaultESE_EEEENSA_INSB_IiSD_SE_SE_EEEEZNS1_13binary_searchIS3_S5_NSA_INS8_10device_ptrIdEEEESG_SI_NS1_16binary_search_opENS9_16wrapped_functionINS8_6system6detail7generic6detail18binary_search_lessEbEEEE10hipError_tPvRmT1_T2_T3_mmT4_T5_P12ihipStream_tbEUlRKdE_EESV_SZ_S10_mS11_S14_bEUlT_E_NS1_11comp_targetILNS1_3genE5ELNS1_11target_archE942ELNS1_3gpuE9ELNS1_3repE0EEENS1_30default_config_static_selectorELNS0_4arch9wavefront6targetE1EEEvSY_,"axG",@progbits,_ZN7rocprim17ROCPRIM_400000_NS6detail17trampoline_kernelINS0_14default_configENS1_29binary_search_config_selectorIdiEEZNS1_14transform_implILb0ES3_S5_N6thrust23THRUST_200600_302600_NS6detail15normal_iteratorINS8_7pointerIdNS8_11hip_rocprim5par_tENS8_11use_defaultESE_EEEENSA_INSB_IiSD_SE_SE_EEEEZNS1_13binary_searchIS3_S5_NSA_INS8_10device_ptrIdEEEESG_SI_NS1_16binary_search_opENS9_16wrapped_functionINS8_6system6detail7generic6detail18binary_search_lessEbEEEE10hipError_tPvRmT1_T2_T3_mmT4_T5_P12ihipStream_tbEUlRKdE_EESV_SZ_S10_mS11_S14_bEUlT_E_NS1_11comp_targetILNS1_3genE5ELNS1_11target_archE942ELNS1_3gpuE9ELNS1_3repE0EEENS1_30default_config_static_selectorELNS0_4arch9wavefront6targetE1EEEvSY_,comdat
.Lfunc_end627:
	.size	_ZN7rocprim17ROCPRIM_400000_NS6detail17trampoline_kernelINS0_14default_configENS1_29binary_search_config_selectorIdiEEZNS1_14transform_implILb0ES3_S5_N6thrust23THRUST_200600_302600_NS6detail15normal_iteratorINS8_7pointerIdNS8_11hip_rocprim5par_tENS8_11use_defaultESE_EEEENSA_INSB_IiSD_SE_SE_EEEEZNS1_13binary_searchIS3_S5_NSA_INS8_10device_ptrIdEEEESG_SI_NS1_16binary_search_opENS9_16wrapped_functionINS8_6system6detail7generic6detail18binary_search_lessEbEEEE10hipError_tPvRmT1_T2_T3_mmT4_T5_P12ihipStream_tbEUlRKdE_EESV_SZ_S10_mS11_S14_bEUlT_E_NS1_11comp_targetILNS1_3genE5ELNS1_11target_archE942ELNS1_3gpuE9ELNS1_3repE0EEENS1_30default_config_static_selectorELNS0_4arch9wavefront6targetE1EEEvSY_, .Lfunc_end627-_ZN7rocprim17ROCPRIM_400000_NS6detail17trampoline_kernelINS0_14default_configENS1_29binary_search_config_selectorIdiEEZNS1_14transform_implILb0ES3_S5_N6thrust23THRUST_200600_302600_NS6detail15normal_iteratorINS8_7pointerIdNS8_11hip_rocprim5par_tENS8_11use_defaultESE_EEEENSA_INSB_IiSD_SE_SE_EEEEZNS1_13binary_searchIS3_S5_NSA_INS8_10device_ptrIdEEEESG_SI_NS1_16binary_search_opENS9_16wrapped_functionINS8_6system6detail7generic6detail18binary_search_lessEbEEEE10hipError_tPvRmT1_T2_T3_mmT4_T5_P12ihipStream_tbEUlRKdE_EESV_SZ_S10_mS11_S14_bEUlT_E_NS1_11comp_targetILNS1_3genE5ELNS1_11target_archE942ELNS1_3gpuE9ELNS1_3repE0EEENS1_30default_config_static_selectorELNS0_4arch9wavefront6targetE1EEEvSY_
                                        ; -- End function
	.set _ZN7rocprim17ROCPRIM_400000_NS6detail17trampoline_kernelINS0_14default_configENS1_29binary_search_config_selectorIdiEEZNS1_14transform_implILb0ES3_S5_N6thrust23THRUST_200600_302600_NS6detail15normal_iteratorINS8_7pointerIdNS8_11hip_rocprim5par_tENS8_11use_defaultESE_EEEENSA_INSB_IiSD_SE_SE_EEEEZNS1_13binary_searchIS3_S5_NSA_INS8_10device_ptrIdEEEESG_SI_NS1_16binary_search_opENS9_16wrapped_functionINS8_6system6detail7generic6detail18binary_search_lessEbEEEE10hipError_tPvRmT1_T2_T3_mmT4_T5_P12ihipStream_tbEUlRKdE_EESV_SZ_S10_mS11_S14_bEUlT_E_NS1_11comp_targetILNS1_3genE5ELNS1_11target_archE942ELNS1_3gpuE9ELNS1_3repE0EEENS1_30default_config_static_selectorELNS0_4arch9wavefront6targetE1EEEvSY_.num_vgpr, 0
	.set _ZN7rocprim17ROCPRIM_400000_NS6detail17trampoline_kernelINS0_14default_configENS1_29binary_search_config_selectorIdiEEZNS1_14transform_implILb0ES3_S5_N6thrust23THRUST_200600_302600_NS6detail15normal_iteratorINS8_7pointerIdNS8_11hip_rocprim5par_tENS8_11use_defaultESE_EEEENSA_INSB_IiSD_SE_SE_EEEEZNS1_13binary_searchIS3_S5_NSA_INS8_10device_ptrIdEEEESG_SI_NS1_16binary_search_opENS9_16wrapped_functionINS8_6system6detail7generic6detail18binary_search_lessEbEEEE10hipError_tPvRmT1_T2_T3_mmT4_T5_P12ihipStream_tbEUlRKdE_EESV_SZ_S10_mS11_S14_bEUlT_E_NS1_11comp_targetILNS1_3genE5ELNS1_11target_archE942ELNS1_3gpuE9ELNS1_3repE0EEENS1_30default_config_static_selectorELNS0_4arch9wavefront6targetE1EEEvSY_.num_agpr, 0
	.set _ZN7rocprim17ROCPRIM_400000_NS6detail17trampoline_kernelINS0_14default_configENS1_29binary_search_config_selectorIdiEEZNS1_14transform_implILb0ES3_S5_N6thrust23THRUST_200600_302600_NS6detail15normal_iteratorINS8_7pointerIdNS8_11hip_rocprim5par_tENS8_11use_defaultESE_EEEENSA_INSB_IiSD_SE_SE_EEEEZNS1_13binary_searchIS3_S5_NSA_INS8_10device_ptrIdEEEESG_SI_NS1_16binary_search_opENS9_16wrapped_functionINS8_6system6detail7generic6detail18binary_search_lessEbEEEE10hipError_tPvRmT1_T2_T3_mmT4_T5_P12ihipStream_tbEUlRKdE_EESV_SZ_S10_mS11_S14_bEUlT_E_NS1_11comp_targetILNS1_3genE5ELNS1_11target_archE942ELNS1_3gpuE9ELNS1_3repE0EEENS1_30default_config_static_selectorELNS0_4arch9wavefront6targetE1EEEvSY_.numbered_sgpr, 0
	.set _ZN7rocprim17ROCPRIM_400000_NS6detail17trampoline_kernelINS0_14default_configENS1_29binary_search_config_selectorIdiEEZNS1_14transform_implILb0ES3_S5_N6thrust23THRUST_200600_302600_NS6detail15normal_iteratorINS8_7pointerIdNS8_11hip_rocprim5par_tENS8_11use_defaultESE_EEEENSA_INSB_IiSD_SE_SE_EEEEZNS1_13binary_searchIS3_S5_NSA_INS8_10device_ptrIdEEEESG_SI_NS1_16binary_search_opENS9_16wrapped_functionINS8_6system6detail7generic6detail18binary_search_lessEbEEEE10hipError_tPvRmT1_T2_T3_mmT4_T5_P12ihipStream_tbEUlRKdE_EESV_SZ_S10_mS11_S14_bEUlT_E_NS1_11comp_targetILNS1_3genE5ELNS1_11target_archE942ELNS1_3gpuE9ELNS1_3repE0EEENS1_30default_config_static_selectorELNS0_4arch9wavefront6targetE1EEEvSY_.num_named_barrier, 0
	.set _ZN7rocprim17ROCPRIM_400000_NS6detail17trampoline_kernelINS0_14default_configENS1_29binary_search_config_selectorIdiEEZNS1_14transform_implILb0ES3_S5_N6thrust23THRUST_200600_302600_NS6detail15normal_iteratorINS8_7pointerIdNS8_11hip_rocprim5par_tENS8_11use_defaultESE_EEEENSA_INSB_IiSD_SE_SE_EEEEZNS1_13binary_searchIS3_S5_NSA_INS8_10device_ptrIdEEEESG_SI_NS1_16binary_search_opENS9_16wrapped_functionINS8_6system6detail7generic6detail18binary_search_lessEbEEEE10hipError_tPvRmT1_T2_T3_mmT4_T5_P12ihipStream_tbEUlRKdE_EESV_SZ_S10_mS11_S14_bEUlT_E_NS1_11comp_targetILNS1_3genE5ELNS1_11target_archE942ELNS1_3gpuE9ELNS1_3repE0EEENS1_30default_config_static_selectorELNS0_4arch9wavefront6targetE1EEEvSY_.private_seg_size, 0
	.set _ZN7rocprim17ROCPRIM_400000_NS6detail17trampoline_kernelINS0_14default_configENS1_29binary_search_config_selectorIdiEEZNS1_14transform_implILb0ES3_S5_N6thrust23THRUST_200600_302600_NS6detail15normal_iteratorINS8_7pointerIdNS8_11hip_rocprim5par_tENS8_11use_defaultESE_EEEENSA_INSB_IiSD_SE_SE_EEEEZNS1_13binary_searchIS3_S5_NSA_INS8_10device_ptrIdEEEESG_SI_NS1_16binary_search_opENS9_16wrapped_functionINS8_6system6detail7generic6detail18binary_search_lessEbEEEE10hipError_tPvRmT1_T2_T3_mmT4_T5_P12ihipStream_tbEUlRKdE_EESV_SZ_S10_mS11_S14_bEUlT_E_NS1_11comp_targetILNS1_3genE5ELNS1_11target_archE942ELNS1_3gpuE9ELNS1_3repE0EEENS1_30default_config_static_selectorELNS0_4arch9wavefront6targetE1EEEvSY_.uses_vcc, 0
	.set _ZN7rocprim17ROCPRIM_400000_NS6detail17trampoline_kernelINS0_14default_configENS1_29binary_search_config_selectorIdiEEZNS1_14transform_implILb0ES3_S5_N6thrust23THRUST_200600_302600_NS6detail15normal_iteratorINS8_7pointerIdNS8_11hip_rocprim5par_tENS8_11use_defaultESE_EEEENSA_INSB_IiSD_SE_SE_EEEEZNS1_13binary_searchIS3_S5_NSA_INS8_10device_ptrIdEEEESG_SI_NS1_16binary_search_opENS9_16wrapped_functionINS8_6system6detail7generic6detail18binary_search_lessEbEEEE10hipError_tPvRmT1_T2_T3_mmT4_T5_P12ihipStream_tbEUlRKdE_EESV_SZ_S10_mS11_S14_bEUlT_E_NS1_11comp_targetILNS1_3genE5ELNS1_11target_archE942ELNS1_3gpuE9ELNS1_3repE0EEENS1_30default_config_static_selectorELNS0_4arch9wavefront6targetE1EEEvSY_.uses_flat_scratch, 0
	.set _ZN7rocprim17ROCPRIM_400000_NS6detail17trampoline_kernelINS0_14default_configENS1_29binary_search_config_selectorIdiEEZNS1_14transform_implILb0ES3_S5_N6thrust23THRUST_200600_302600_NS6detail15normal_iteratorINS8_7pointerIdNS8_11hip_rocprim5par_tENS8_11use_defaultESE_EEEENSA_INSB_IiSD_SE_SE_EEEEZNS1_13binary_searchIS3_S5_NSA_INS8_10device_ptrIdEEEESG_SI_NS1_16binary_search_opENS9_16wrapped_functionINS8_6system6detail7generic6detail18binary_search_lessEbEEEE10hipError_tPvRmT1_T2_T3_mmT4_T5_P12ihipStream_tbEUlRKdE_EESV_SZ_S10_mS11_S14_bEUlT_E_NS1_11comp_targetILNS1_3genE5ELNS1_11target_archE942ELNS1_3gpuE9ELNS1_3repE0EEENS1_30default_config_static_selectorELNS0_4arch9wavefront6targetE1EEEvSY_.has_dyn_sized_stack, 0
	.set _ZN7rocprim17ROCPRIM_400000_NS6detail17trampoline_kernelINS0_14default_configENS1_29binary_search_config_selectorIdiEEZNS1_14transform_implILb0ES3_S5_N6thrust23THRUST_200600_302600_NS6detail15normal_iteratorINS8_7pointerIdNS8_11hip_rocprim5par_tENS8_11use_defaultESE_EEEENSA_INSB_IiSD_SE_SE_EEEEZNS1_13binary_searchIS3_S5_NSA_INS8_10device_ptrIdEEEESG_SI_NS1_16binary_search_opENS9_16wrapped_functionINS8_6system6detail7generic6detail18binary_search_lessEbEEEE10hipError_tPvRmT1_T2_T3_mmT4_T5_P12ihipStream_tbEUlRKdE_EESV_SZ_S10_mS11_S14_bEUlT_E_NS1_11comp_targetILNS1_3genE5ELNS1_11target_archE942ELNS1_3gpuE9ELNS1_3repE0EEENS1_30default_config_static_selectorELNS0_4arch9wavefront6targetE1EEEvSY_.has_recursion, 0
	.set _ZN7rocprim17ROCPRIM_400000_NS6detail17trampoline_kernelINS0_14default_configENS1_29binary_search_config_selectorIdiEEZNS1_14transform_implILb0ES3_S5_N6thrust23THRUST_200600_302600_NS6detail15normal_iteratorINS8_7pointerIdNS8_11hip_rocprim5par_tENS8_11use_defaultESE_EEEENSA_INSB_IiSD_SE_SE_EEEEZNS1_13binary_searchIS3_S5_NSA_INS8_10device_ptrIdEEEESG_SI_NS1_16binary_search_opENS9_16wrapped_functionINS8_6system6detail7generic6detail18binary_search_lessEbEEEE10hipError_tPvRmT1_T2_T3_mmT4_T5_P12ihipStream_tbEUlRKdE_EESV_SZ_S10_mS11_S14_bEUlT_E_NS1_11comp_targetILNS1_3genE5ELNS1_11target_archE942ELNS1_3gpuE9ELNS1_3repE0EEENS1_30default_config_static_selectorELNS0_4arch9wavefront6targetE1EEEvSY_.has_indirect_call, 0
	.section	.AMDGPU.csdata,"",@progbits
; Kernel info:
; codeLenInByte = 0
; TotalNumSgprs: 4
; NumVgprs: 0
; ScratchSize: 0
; MemoryBound: 0
; FloatMode: 240
; IeeeMode: 1
; LDSByteSize: 0 bytes/workgroup (compile time only)
; SGPRBlocks: 0
; VGPRBlocks: 0
; NumSGPRsForWavesPerEU: 4
; NumVGPRsForWavesPerEU: 1
; Occupancy: 10
; WaveLimiterHint : 0
; COMPUTE_PGM_RSRC2:SCRATCH_EN: 0
; COMPUTE_PGM_RSRC2:USER_SGPR: 6
; COMPUTE_PGM_RSRC2:TRAP_HANDLER: 0
; COMPUTE_PGM_RSRC2:TGID_X_EN: 1
; COMPUTE_PGM_RSRC2:TGID_Y_EN: 0
; COMPUTE_PGM_RSRC2:TGID_Z_EN: 0
; COMPUTE_PGM_RSRC2:TIDIG_COMP_CNT: 0
	.section	.text._ZN7rocprim17ROCPRIM_400000_NS6detail17trampoline_kernelINS0_14default_configENS1_29binary_search_config_selectorIdiEEZNS1_14transform_implILb0ES3_S5_N6thrust23THRUST_200600_302600_NS6detail15normal_iteratorINS8_7pointerIdNS8_11hip_rocprim5par_tENS8_11use_defaultESE_EEEENSA_INSB_IiSD_SE_SE_EEEEZNS1_13binary_searchIS3_S5_NSA_INS8_10device_ptrIdEEEESG_SI_NS1_16binary_search_opENS9_16wrapped_functionINS8_6system6detail7generic6detail18binary_search_lessEbEEEE10hipError_tPvRmT1_T2_T3_mmT4_T5_P12ihipStream_tbEUlRKdE_EESV_SZ_S10_mS11_S14_bEUlT_E_NS1_11comp_targetILNS1_3genE4ELNS1_11target_archE910ELNS1_3gpuE8ELNS1_3repE0EEENS1_30default_config_static_selectorELNS0_4arch9wavefront6targetE1EEEvSY_,"axG",@progbits,_ZN7rocprim17ROCPRIM_400000_NS6detail17trampoline_kernelINS0_14default_configENS1_29binary_search_config_selectorIdiEEZNS1_14transform_implILb0ES3_S5_N6thrust23THRUST_200600_302600_NS6detail15normal_iteratorINS8_7pointerIdNS8_11hip_rocprim5par_tENS8_11use_defaultESE_EEEENSA_INSB_IiSD_SE_SE_EEEEZNS1_13binary_searchIS3_S5_NSA_INS8_10device_ptrIdEEEESG_SI_NS1_16binary_search_opENS9_16wrapped_functionINS8_6system6detail7generic6detail18binary_search_lessEbEEEE10hipError_tPvRmT1_T2_T3_mmT4_T5_P12ihipStream_tbEUlRKdE_EESV_SZ_S10_mS11_S14_bEUlT_E_NS1_11comp_targetILNS1_3genE4ELNS1_11target_archE910ELNS1_3gpuE8ELNS1_3repE0EEENS1_30default_config_static_selectorELNS0_4arch9wavefront6targetE1EEEvSY_,comdat
	.protected	_ZN7rocprim17ROCPRIM_400000_NS6detail17trampoline_kernelINS0_14default_configENS1_29binary_search_config_selectorIdiEEZNS1_14transform_implILb0ES3_S5_N6thrust23THRUST_200600_302600_NS6detail15normal_iteratorINS8_7pointerIdNS8_11hip_rocprim5par_tENS8_11use_defaultESE_EEEENSA_INSB_IiSD_SE_SE_EEEEZNS1_13binary_searchIS3_S5_NSA_INS8_10device_ptrIdEEEESG_SI_NS1_16binary_search_opENS9_16wrapped_functionINS8_6system6detail7generic6detail18binary_search_lessEbEEEE10hipError_tPvRmT1_T2_T3_mmT4_T5_P12ihipStream_tbEUlRKdE_EESV_SZ_S10_mS11_S14_bEUlT_E_NS1_11comp_targetILNS1_3genE4ELNS1_11target_archE910ELNS1_3gpuE8ELNS1_3repE0EEENS1_30default_config_static_selectorELNS0_4arch9wavefront6targetE1EEEvSY_ ; -- Begin function _ZN7rocprim17ROCPRIM_400000_NS6detail17trampoline_kernelINS0_14default_configENS1_29binary_search_config_selectorIdiEEZNS1_14transform_implILb0ES3_S5_N6thrust23THRUST_200600_302600_NS6detail15normal_iteratorINS8_7pointerIdNS8_11hip_rocprim5par_tENS8_11use_defaultESE_EEEENSA_INSB_IiSD_SE_SE_EEEEZNS1_13binary_searchIS3_S5_NSA_INS8_10device_ptrIdEEEESG_SI_NS1_16binary_search_opENS9_16wrapped_functionINS8_6system6detail7generic6detail18binary_search_lessEbEEEE10hipError_tPvRmT1_T2_T3_mmT4_T5_P12ihipStream_tbEUlRKdE_EESV_SZ_S10_mS11_S14_bEUlT_E_NS1_11comp_targetILNS1_3genE4ELNS1_11target_archE910ELNS1_3gpuE8ELNS1_3repE0EEENS1_30default_config_static_selectorELNS0_4arch9wavefront6targetE1EEEvSY_
	.globl	_ZN7rocprim17ROCPRIM_400000_NS6detail17trampoline_kernelINS0_14default_configENS1_29binary_search_config_selectorIdiEEZNS1_14transform_implILb0ES3_S5_N6thrust23THRUST_200600_302600_NS6detail15normal_iteratorINS8_7pointerIdNS8_11hip_rocprim5par_tENS8_11use_defaultESE_EEEENSA_INSB_IiSD_SE_SE_EEEEZNS1_13binary_searchIS3_S5_NSA_INS8_10device_ptrIdEEEESG_SI_NS1_16binary_search_opENS9_16wrapped_functionINS8_6system6detail7generic6detail18binary_search_lessEbEEEE10hipError_tPvRmT1_T2_T3_mmT4_T5_P12ihipStream_tbEUlRKdE_EESV_SZ_S10_mS11_S14_bEUlT_E_NS1_11comp_targetILNS1_3genE4ELNS1_11target_archE910ELNS1_3gpuE8ELNS1_3repE0EEENS1_30default_config_static_selectorELNS0_4arch9wavefront6targetE1EEEvSY_
	.p2align	8
	.type	_ZN7rocprim17ROCPRIM_400000_NS6detail17trampoline_kernelINS0_14default_configENS1_29binary_search_config_selectorIdiEEZNS1_14transform_implILb0ES3_S5_N6thrust23THRUST_200600_302600_NS6detail15normal_iteratorINS8_7pointerIdNS8_11hip_rocprim5par_tENS8_11use_defaultESE_EEEENSA_INSB_IiSD_SE_SE_EEEEZNS1_13binary_searchIS3_S5_NSA_INS8_10device_ptrIdEEEESG_SI_NS1_16binary_search_opENS9_16wrapped_functionINS8_6system6detail7generic6detail18binary_search_lessEbEEEE10hipError_tPvRmT1_T2_T3_mmT4_T5_P12ihipStream_tbEUlRKdE_EESV_SZ_S10_mS11_S14_bEUlT_E_NS1_11comp_targetILNS1_3genE4ELNS1_11target_archE910ELNS1_3gpuE8ELNS1_3repE0EEENS1_30default_config_static_selectorELNS0_4arch9wavefront6targetE1EEEvSY_,@function
_ZN7rocprim17ROCPRIM_400000_NS6detail17trampoline_kernelINS0_14default_configENS1_29binary_search_config_selectorIdiEEZNS1_14transform_implILb0ES3_S5_N6thrust23THRUST_200600_302600_NS6detail15normal_iteratorINS8_7pointerIdNS8_11hip_rocprim5par_tENS8_11use_defaultESE_EEEENSA_INSB_IiSD_SE_SE_EEEEZNS1_13binary_searchIS3_S5_NSA_INS8_10device_ptrIdEEEESG_SI_NS1_16binary_search_opENS9_16wrapped_functionINS8_6system6detail7generic6detail18binary_search_lessEbEEEE10hipError_tPvRmT1_T2_T3_mmT4_T5_P12ihipStream_tbEUlRKdE_EESV_SZ_S10_mS11_S14_bEUlT_E_NS1_11comp_targetILNS1_3genE4ELNS1_11target_archE910ELNS1_3gpuE8ELNS1_3repE0EEENS1_30default_config_static_selectorELNS0_4arch9wavefront6targetE1EEEvSY_: ; @_ZN7rocprim17ROCPRIM_400000_NS6detail17trampoline_kernelINS0_14default_configENS1_29binary_search_config_selectorIdiEEZNS1_14transform_implILb0ES3_S5_N6thrust23THRUST_200600_302600_NS6detail15normal_iteratorINS8_7pointerIdNS8_11hip_rocprim5par_tENS8_11use_defaultESE_EEEENSA_INSB_IiSD_SE_SE_EEEEZNS1_13binary_searchIS3_S5_NSA_INS8_10device_ptrIdEEEESG_SI_NS1_16binary_search_opENS9_16wrapped_functionINS8_6system6detail7generic6detail18binary_search_lessEbEEEE10hipError_tPvRmT1_T2_T3_mmT4_T5_P12ihipStream_tbEUlRKdE_EESV_SZ_S10_mS11_S14_bEUlT_E_NS1_11comp_targetILNS1_3genE4ELNS1_11target_archE910ELNS1_3gpuE8ELNS1_3repE0EEENS1_30default_config_static_selectorELNS0_4arch9wavefront6targetE1EEEvSY_
; %bb.0:
	.section	.rodata,"a",@progbits
	.p2align	6, 0x0
	.amdhsa_kernel _ZN7rocprim17ROCPRIM_400000_NS6detail17trampoline_kernelINS0_14default_configENS1_29binary_search_config_selectorIdiEEZNS1_14transform_implILb0ES3_S5_N6thrust23THRUST_200600_302600_NS6detail15normal_iteratorINS8_7pointerIdNS8_11hip_rocprim5par_tENS8_11use_defaultESE_EEEENSA_INSB_IiSD_SE_SE_EEEEZNS1_13binary_searchIS3_S5_NSA_INS8_10device_ptrIdEEEESG_SI_NS1_16binary_search_opENS9_16wrapped_functionINS8_6system6detail7generic6detail18binary_search_lessEbEEEE10hipError_tPvRmT1_T2_T3_mmT4_T5_P12ihipStream_tbEUlRKdE_EESV_SZ_S10_mS11_S14_bEUlT_E_NS1_11comp_targetILNS1_3genE4ELNS1_11target_archE910ELNS1_3gpuE8ELNS1_3repE0EEENS1_30default_config_static_selectorELNS0_4arch9wavefront6targetE1EEEvSY_
		.amdhsa_group_segment_fixed_size 0
		.amdhsa_private_segment_fixed_size 0
		.amdhsa_kernarg_size 56
		.amdhsa_user_sgpr_count 6
		.amdhsa_user_sgpr_private_segment_buffer 1
		.amdhsa_user_sgpr_dispatch_ptr 0
		.amdhsa_user_sgpr_queue_ptr 0
		.amdhsa_user_sgpr_kernarg_segment_ptr 1
		.amdhsa_user_sgpr_dispatch_id 0
		.amdhsa_user_sgpr_flat_scratch_init 0
		.amdhsa_user_sgpr_private_segment_size 0
		.amdhsa_uses_dynamic_stack 0
		.amdhsa_system_sgpr_private_segment_wavefront_offset 0
		.amdhsa_system_sgpr_workgroup_id_x 1
		.amdhsa_system_sgpr_workgroup_id_y 0
		.amdhsa_system_sgpr_workgroup_id_z 0
		.amdhsa_system_sgpr_workgroup_info 0
		.amdhsa_system_vgpr_workitem_id 0
		.amdhsa_next_free_vgpr 1
		.amdhsa_next_free_sgpr 0
		.amdhsa_reserve_vcc 0
		.amdhsa_reserve_flat_scratch 0
		.amdhsa_float_round_mode_32 0
		.amdhsa_float_round_mode_16_64 0
		.amdhsa_float_denorm_mode_32 3
		.amdhsa_float_denorm_mode_16_64 3
		.amdhsa_dx10_clamp 1
		.amdhsa_ieee_mode 1
		.amdhsa_fp16_overflow 0
		.amdhsa_exception_fp_ieee_invalid_op 0
		.amdhsa_exception_fp_denorm_src 0
		.amdhsa_exception_fp_ieee_div_zero 0
		.amdhsa_exception_fp_ieee_overflow 0
		.amdhsa_exception_fp_ieee_underflow 0
		.amdhsa_exception_fp_ieee_inexact 0
		.amdhsa_exception_int_div_zero 0
	.end_amdhsa_kernel
	.section	.text._ZN7rocprim17ROCPRIM_400000_NS6detail17trampoline_kernelINS0_14default_configENS1_29binary_search_config_selectorIdiEEZNS1_14transform_implILb0ES3_S5_N6thrust23THRUST_200600_302600_NS6detail15normal_iteratorINS8_7pointerIdNS8_11hip_rocprim5par_tENS8_11use_defaultESE_EEEENSA_INSB_IiSD_SE_SE_EEEEZNS1_13binary_searchIS3_S5_NSA_INS8_10device_ptrIdEEEESG_SI_NS1_16binary_search_opENS9_16wrapped_functionINS8_6system6detail7generic6detail18binary_search_lessEbEEEE10hipError_tPvRmT1_T2_T3_mmT4_T5_P12ihipStream_tbEUlRKdE_EESV_SZ_S10_mS11_S14_bEUlT_E_NS1_11comp_targetILNS1_3genE4ELNS1_11target_archE910ELNS1_3gpuE8ELNS1_3repE0EEENS1_30default_config_static_selectorELNS0_4arch9wavefront6targetE1EEEvSY_,"axG",@progbits,_ZN7rocprim17ROCPRIM_400000_NS6detail17trampoline_kernelINS0_14default_configENS1_29binary_search_config_selectorIdiEEZNS1_14transform_implILb0ES3_S5_N6thrust23THRUST_200600_302600_NS6detail15normal_iteratorINS8_7pointerIdNS8_11hip_rocprim5par_tENS8_11use_defaultESE_EEEENSA_INSB_IiSD_SE_SE_EEEEZNS1_13binary_searchIS3_S5_NSA_INS8_10device_ptrIdEEEESG_SI_NS1_16binary_search_opENS9_16wrapped_functionINS8_6system6detail7generic6detail18binary_search_lessEbEEEE10hipError_tPvRmT1_T2_T3_mmT4_T5_P12ihipStream_tbEUlRKdE_EESV_SZ_S10_mS11_S14_bEUlT_E_NS1_11comp_targetILNS1_3genE4ELNS1_11target_archE910ELNS1_3gpuE8ELNS1_3repE0EEENS1_30default_config_static_selectorELNS0_4arch9wavefront6targetE1EEEvSY_,comdat
.Lfunc_end628:
	.size	_ZN7rocprim17ROCPRIM_400000_NS6detail17trampoline_kernelINS0_14default_configENS1_29binary_search_config_selectorIdiEEZNS1_14transform_implILb0ES3_S5_N6thrust23THRUST_200600_302600_NS6detail15normal_iteratorINS8_7pointerIdNS8_11hip_rocprim5par_tENS8_11use_defaultESE_EEEENSA_INSB_IiSD_SE_SE_EEEEZNS1_13binary_searchIS3_S5_NSA_INS8_10device_ptrIdEEEESG_SI_NS1_16binary_search_opENS9_16wrapped_functionINS8_6system6detail7generic6detail18binary_search_lessEbEEEE10hipError_tPvRmT1_T2_T3_mmT4_T5_P12ihipStream_tbEUlRKdE_EESV_SZ_S10_mS11_S14_bEUlT_E_NS1_11comp_targetILNS1_3genE4ELNS1_11target_archE910ELNS1_3gpuE8ELNS1_3repE0EEENS1_30default_config_static_selectorELNS0_4arch9wavefront6targetE1EEEvSY_, .Lfunc_end628-_ZN7rocprim17ROCPRIM_400000_NS6detail17trampoline_kernelINS0_14default_configENS1_29binary_search_config_selectorIdiEEZNS1_14transform_implILb0ES3_S5_N6thrust23THRUST_200600_302600_NS6detail15normal_iteratorINS8_7pointerIdNS8_11hip_rocprim5par_tENS8_11use_defaultESE_EEEENSA_INSB_IiSD_SE_SE_EEEEZNS1_13binary_searchIS3_S5_NSA_INS8_10device_ptrIdEEEESG_SI_NS1_16binary_search_opENS9_16wrapped_functionINS8_6system6detail7generic6detail18binary_search_lessEbEEEE10hipError_tPvRmT1_T2_T3_mmT4_T5_P12ihipStream_tbEUlRKdE_EESV_SZ_S10_mS11_S14_bEUlT_E_NS1_11comp_targetILNS1_3genE4ELNS1_11target_archE910ELNS1_3gpuE8ELNS1_3repE0EEENS1_30default_config_static_selectorELNS0_4arch9wavefront6targetE1EEEvSY_
                                        ; -- End function
	.set _ZN7rocprim17ROCPRIM_400000_NS6detail17trampoline_kernelINS0_14default_configENS1_29binary_search_config_selectorIdiEEZNS1_14transform_implILb0ES3_S5_N6thrust23THRUST_200600_302600_NS6detail15normal_iteratorINS8_7pointerIdNS8_11hip_rocprim5par_tENS8_11use_defaultESE_EEEENSA_INSB_IiSD_SE_SE_EEEEZNS1_13binary_searchIS3_S5_NSA_INS8_10device_ptrIdEEEESG_SI_NS1_16binary_search_opENS9_16wrapped_functionINS8_6system6detail7generic6detail18binary_search_lessEbEEEE10hipError_tPvRmT1_T2_T3_mmT4_T5_P12ihipStream_tbEUlRKdE_EESV_SZ_S10_mS11_S14_bEUlT_E_NS1_11comp_targetILNS1_3genE4ELNS1_11target_archE910ELNS1_3gpuE8ELNS1_3repE0EEENS1_30default_config_static_selectorELNS0_4arch9wavefront6targetE1EEEvSY_.num_vgpr, 0
	.set _ZN7rocprim17ROCPRIM_400000_NS6detail17trampoline_kernelINS0_14default_configENS1_29binary_search_config_selectorIdiEEZNS1_14transform_implILb0ES3_S5_N6thrust23THRUST_200600_302600_NS6detail15normal_iteratorINS8_7pointerIdNS8_11hip_rocprim5par_tENS8_11use_defaultESE_EEEENSA_INSB_IiSD_SE_SE_EEEEZNS1_13binary_searchIS3_S5_NSA_INS8_10device_ptrIdEEEESG_SI_NS1_16binary_search_opENS9_16wrapped_functionINS8_6system6detail7generic6detail18binary_search_lessEbEEEE10hipError_tPvRmT1_T2_T3_mmT4_T5_P12ihipStream_tbEUlRKdE_EESV_SZ_S10_mS11_S14_bEUlT_E_NS1_11comp_targetILNS1_3genE4ELNS1_11target_archE910ELNS1_3gpuE8ELNS1_3repE0EEENS1_30default_config_static_selectorELNS0_4arch9wavefront6targetE1EEEvSY_.num_agpr, 0
	.set _ZN7rocprim17ROCPRIM_400000_NS6detail17trampoline_kernelINS0_14default_configENS1_29binary_search_config_selectorIdiEEZNS1_14transform_implILb0ES3_S5_N6thrust23THRUST_200600_302600_NS6detail15normal_iteratorINS8_7pointerIdNS8_11hip_rocprim5par_tENS8_11use_defaultESE_EEEENSA_INSB_IiSD_SE_SE_EEEEZNS1_13binary_searchIS3_S5_NSA_INS8_10device_ptrIdEEEESG_SI_NS1_16binary_search_opENS9_16wrapped_functionINS8_6system6detail7generic6detail18binary_search_lessEbEEEE10hipError_tPvRmT1_T2_T3_mmT4_T5_P12ihipStream_tbEUlRKdE_EESV_SZ_S10_mS11_S14_bEUlT_E_NS1_11comp_targetILNS1_3genE4ELNS1_11target_archE910ELNS1_3gpuE8ELNS1_3repE0EEENS1_30default_config_static_selectorELNS0_4arch9wavefront6targetE1EEEvSY_.numbered_sgpr, 0
	.set _ZN7rocprim17ROCPRIM_400000_NS6detail17trampoline_kernelINS0_14default_configENS1_29binary_search_config_selectorIdiEEZNS1_14transform_implILb0ES3_S5_N6thrust23THRUST_200600_302600_NS6detail15normal_iteratorINS8_7pointerIdNS8_11hip_rocprim5par_tENS8_11use_defaultESE_EEEENSA_INSB_IiSD_SE_SE_EEEEZNS1_13binary_searchIS3_S5_NSA_INS8_10device_ptrIdEEEESG_SI_NS1_16binary_search_opENS9_16wrapped_functionINS8_6system6detail7generic6detail18binary_search_lessEbEEEE10hipError_tPvRmT1_T2_T3_mmT4_T5_P12ihipStream_tbEUlRKdE_EESV_SZ_S10_mS11_S14_bEUlT_E_NS1_11comp_targetILNS1_3genE4ELNS1_11target_archE910ELNS1_3gpuE8ELNS1_3repE0EEENS1_30default_config_static_selectorELNS0_4arch9wavefront6targetE1EEEvSY_.num_named_barrier, 0
	.set _ZN7rocprim17ROCPRIM_400000_NS6detail17trampoline_kernelINS0_14default_configENS1_29binary_search_config_selectorIdiEEZNS1_14transform_implILb0ES3_S5_N6thrust23THRUST_200600_302600_NS6detail15normal_iteratorINS8_7pointerIdNS8_11hip_rocprim5par_tENS8_11use_defaultESE_EEEENSA_INSB_IiSD_SE_SE_EEEEZNS1_13binary_searchIS3_S5_NSA_INS8_10device_ptrIdEEEESG_SI_NS1_16binary_search_opENS9_16wrapped_functionINS8_6system6detail7generic6detail18binary_search_lessEbEEEE10hipError_tPvRmT1_T2_T3_mmT4_T5_P12ihipStream_tbEUlRKdE_EESV_SZ_S10_mS11_S14_bEUlT_E_NS1_11comp_targetILNS1_3genE4ELNS1_11target_archE910ELNS1_3gpuE8ELNS1_3repE0EEENS1_30default_config_static_selectorELNS0_4arch9wavefront6targetE1EEEvSY_.private_seg_size, 0
	.set _ZN7rocprim17ROCPRIM_400000_NS6detail17trampoline_kernelINS0_14default_configENS1_29binary_search_config_selectorIdiEEZNS1_14transform_implILb0ES3_S5_N6thrust23THRUST_200600_302600_NS6detail15normal_iteratorINS8_7pointerIdNS8_11hip_rocprim5par_tENS8_11use_defaultESE_EEEENSA_INSB_IiSD_SE_SE_EEEEZNS1_13binary_searchIS3_S5_NSA_INS8_10device_ptrIdEEEESG_SI_NS1_16binary_search_opENS9_16wrapped_functionINS8_6system6detail7generic6detail18binary_search_lessEbEEEE10hipError_tPvRmT1_T2_T3_mmT4_T5_P12ihipStream_tbEUlRKdE_EESV_SZ_S10_mS11_S14_bEUlT_E_NS1_11comp_targetILNS1_3genE4ELNS1_11target_archE910ELNS1_3gpuE8ELNS1_3repE0EEENS1_30default_config_static_selectorELNS0_4arch9wavefront6targetE1EEEvSY_.uses_vcc, 0
	.set _ZN7rocprim17ROCPRIM_400000_NS6detail17trampoline_kernelINS0_14default_configENS1_29binary_search_config_selectorIdiEEZNS1_14transform_implILb0ES3_S5_N6thrust23THRUST_200600_302600_NS6detail15normal_iteratorINS8_7pointerIdNS8_11hip_rocprim5par_tENS8_11use_defaultESE_EEEENSA_INSB_IiSD_SE_SE_EEEEZNS1_13binary_searchIS3_S5_NSA_INS8_10device_ptrIdEEEESG_SI_NS1_16binary_search_opENS9_16wrapped_functionINS8_6system6detail7generic6detail18binary_search_lessEbEEEE10hipError_tPvRmT1_T2_T3_mmT4_T5_P12ihipStream_tbEUlRKdE_EESV_SZ_S10_mS11_S14_bEUlT_E_NS1_11comp_targetILNS1_3genE4ELNS1_11target_archE910ELNS1_3gpuE8ELNS1_3repE0EEENS1_30default_config_static_selectorELNS0_4arch9wavefront6targetE1EEEvSY_.uses_flat_scratch, 0
	.set _ZN7rocprim17ROCPRIM_400000_NS6detail17trampoline_kernelINS0_14default_configENS1_29binary_search_config_selectorIdiEEZNS1_14transform_implILb0ES3_S5_N6thrust23THRUST_200600_302600_NS6detail15normal_iteratorINS8_7pointerIdNS8_11hip_rocprim5par_tENS8_11use_defaultESE_EEEENSA_INSB_IiSD_SE_SE_EEEEZNS1_13binary_searchIS3_S5_NSA_INS8_10device_ptrIdEEEESG_SI_NS1_16binary_search_opENS9_16wrapped_functionINS8_6system6detail7generic6detail18binary_search_lessEbEEEE10hipError_tPvRmT1_T2_T3_mmT4_T5_P12ihipStream_tbEUlRKdE_EESV_SZ_S10_mS11_S14_bEUlT_E_NS1_11comp_targetILNS1_3genE4ELNS1_11target_archE910ELNS1_3gpuE8ELNS1_3repE0EEENS1_30default_config_static_selectorELNS0_4arch9wavefront6targetE1EEEvSY_.has_dyn_sized_stack, 0
	.set _ZN7rocprim17ROCPRIM_400000_NS6detail17trampoline_kernelINS0_14default_configENS1_29binary_search_config_selectorIdiEEZNS1_14transform_implILb0ES3_S5_N6thrust23THRUST_200600_302600_NS6detail15normal_iteratorINS8_7pointerIdNS8_11hip_rocprim5par_tENS8_11use_defaultESE_EEEENSA_INSB_IiSD_SE_SE_EEEEZNS1_13binary_searchIS3_S5_NSA_INS8_10device_ptrIdEEEESG_SI_NS1_16binary_search_opENS9_16wrapped_functionINS8_6system6detail7generic6detail18binary_search_lessEbEEEE10hipError_tPvRmT1_T2_T3_mmT4_T5_P12ihipStream_tbEUlRKdE_EESV_SZ_S10_mS11_S14_bEUlT_E_NS1_11comp_targetILNS1_3genE4ELNS1_11target_archE910ELNS1_3gpuE8ELNS1_3repE0EEENS1_30default_config_static_selectorELNS0_4arch9wavefront6targetE1EEEvSY_.has_recursion, 0
	.set _ZN7rocprim17ROCPRIM_400000_NS6detail17trampoline_kernelINS0_14default_configENS1_29binary_search_config_selectorIdiEEZNS1_14transform_implILb0ES3_S5_N6thrust23THRUST_200600_302600_NS6detail15normal_iteratorINS8_7pointerIdNS8_11hip_rocprim5par_tENS8_11use_defaultESE_EEEENSA_INSB_IiSD_SE_SE_EEEEZNS1_13binary_searchIS3_S5_NSA_INS8_10device_ptrIdEEEESG_SI_NS1_16binary_search_opENS9_16wrapped_functionINS8_6system6detail7generic6detail18binary_search_lessEbEEEE10hipError_tPvRmT1_T2_T3_mmT4_T5_P12ihipStream_tbEUlRKdE_EESV_SZ_S10_mS11_S14_bEUlT_E_NS1_11comp_targetILNS1_3genE4ELNS1_11target_archE910ELNS1_3gpuE8ELNS1_3repE0EEENS1_30default_config_static_selectorELNS0_4arch9wavefront6targetE1EEEvSY_.has_indirect_call, 0
	.section	.AMDGPU.csdata,"",@progbits
; Kernel info:
; codeLenInByte = 0
; TotalNumSgprs: 4
; NumVgprs: 0
; ScratchSize: 0
; MemoryBound: 0
; FloatMode: 240
; IeeeMode: 1
; LDSByteSize: 0 bytes/workgroup (compile time only)
; SGPRBlocks: 0
; VGPRBlocks: 0
; NumSGPRsForWavesPerEU: 4
; NumVGPRsForWavesPerEU: 1
; Occupancy: 10
; WaveLimiterHint : 0
; COMPUTE_PGM_RSRC2:SCRATCH_EN: 0
; COMPUTE_PGM_RSRC2:USER_SGPR: 6
; COMPUTE_PGM_RSRC2:TRAP_HANDLER: 0
; COMPUTE_PGM_RSRC2:TGID_X_EN: 1
; COMPUTE_PGM_RSRC2:TGID_Y_EN: 0
; COMPUTE_PGM_RSRC2:TGID_Z_EN: 0
; COMPUTE_PGM_RSRC2:TIDIG_COMP_CNT: 0
	.section	.text._ZN7rocprim17ROCPRIM_400000_NS6detail17trampoline_kernelINS0_14default_configENS1_29binary_search_config_selectorIdiEEZNS1_14transform_implILb0ES3_S5_N6thrust23THRUST_200600_302600_NS6detail15normal_iteratorINS8_7pointerIdNS8_11hip_rocprim5par_tENS8_11use_defaultESE_EEEENSA_INSB_IiSD_SE_SE_EEEEZNS1_13binary_searchIS3_S5_NSA_INS8_10device_ptrIdEEEESG_SI_NS1_16binary_search_opENS9_16wrapped_functionINS8_6system6detail7generic6detail18binary_search_lessEbEEEE10hipError_tPvRmT1_T2_T3_mmT4_T5_P12ihipStream_tbEUlRKdE_EESV_SZ_S10_mS11_S14_bEUlT_E_NS1_11comp_targetILNS1_3genE3ELNS1_11target_archE908ELNS1_3gpuE7ELNS1_3repE0EEENS1_30default_config_static_selectorELNS0_4arch9wavefront6targetE1EEEvSY_,"axG",@progbits,_ZN7rocprim17ROCPRIM_400000_NS6detail17trampoline_kernelINS0_14default_configENS1_29binary_search_config_selectorIdiEEZNS1_14transform_implILb0ES3_S5_N6thrust23THRUST_200600_302600_NS6detail15normal_iteratorINS8_7pointerIdNS8_11hip_rocprim5par_tENS8_11use_defaultESE_EEEENSA_INSB_IiSD_SE_SE_EEEEZNS1_13binary_searchIS3_S5_NSA_INS8_10device_ptrIdEEEESG_SI_NS1_16binary_search_opENS9_16wrapped_functionINS8_6system6detail7generic6detail18binary_search_lessEbEEEE10hipError_tPvRmT1_T2_T3_mmT4_T5_P12ihipStream_tbEUlRKdE_EESV_SZ_S10_mS11_S14_bEUlT_E_NS1_11comp_targetILNS1_3genE3ELNS1_11target_archE908ELNS1_3gpuE7ELNS1_3repE0EEENS1_30default_config_static_selectorELNS0_4arch9wavefront6targetE1EEEvSY_,comdat
	.protected	_ZN7rocprim17ROCPRIM_400000_NS6detail17trampoline_kernelINS0_14default_configENS1_29binary_search_config_selectorIdiEEZNS1_14transform_implILb0ES3_S5_N6thrust23THRUST_200600_302600_NS6detail15normal_iteratorINS8_7pointerIdNS8_11hip_rocprim5par_tENS8_11use_defaultESE_EEEENSA_INSB_IiSD_SE_SE_EEEEZNS1_13binary_searchIS3_S5_NSA_INS8_10device_ptrIdEEEESG_SI_NS1_16binary_search_opENS9_16wrapped_functionINS8_6system6detail7generic6detail18binary_search_lessEbEEEE10hipError_tPvRmT1_T2_T3_mmT4_T5_P12ihipStream_tbEUlRKdE_EESV_SZ_S10_mS11_S14_bEUlT_E_NS1_11comp_targetILNS1_3genE3ELNS1_11target_archE908ELNS1_3gpuE7ELNS1_3repE0EEENS1_30default_config_static_selectorELNS0_4arch9wavefront6targetE1EEEvSY_ ; -- Begin function _ZN7rocprim17ROCPRIM_400000_NS6detail17trampoline_kernelINS0_14default_configENS1_29binary_search_config_selectorIdiEEZNS1_14transform_implILb0ES3_S5_N6thrust23THRUST_200600_302600_NS6detail15normal_iteratorINS8_7pointerIdNS8_11hip_rocprim5par_tENS8_11use_defaultESE_EEEENSA_INSB_IiSD_SE_SE_EEEEZNS1_13binary_searchIS3_S5_NSA_INS8_10device_ptrIdEEEESG_SI_NS1_16binary_search_opENS9_16wrapped_functionINS8_6system6detail7generic6detail18binary_search_lessEbEEEE10hipError_tPvRmT1_T2_T3_mmT4_T5_P12ihipStream_tbEUlRKdE_EESV_SZ_S10_mS11_S14_bEUlT_E_NS1_11comp_targetILNS1_3genE3ELNS1_11target_archE908ELNS1_3gpuE7ELNS1_3repE0EEENS1_30default_config_static_selectorELNS0_4arch9wavefront6targetE1EEEvSY_
	.globl	_ZN7rocprim17ROCPRIM_400000_NS6detail17trampoline_kernelINS0_14default_configENS1_29binary_search_config_selectorIdiEEZNS1_14transform_implILb0ES3_S5_N6thrust23THRUST_200600_302600_NS6detail15normal_iteratorINS8_7pointerIdNS8_11hip_rocprim5par_tENS8_11use_defaultESE_EEEENSA_INSB_IiSD_SE_SE_EEEEZNS1_13binary_searchIS3_S5_NSA_INS8_10device_ptrIdEEEESG_SI_NS1_16binary_search_opENS9_16wrapped_functionINS8_6system6detail7generic6detail18binary_search_lessEbEEEE10hipError_tPvRmT1_T2_T3_mmT4_T5_P12ihipStream_tbEUlRKdE_EESV_SZ_S10_mS11_S14_bEUlT_E_NS1_11comp_targetILNS1_3genE3ELNS1_11target_archE908ELNS1_3gpuE7ELNS1_3repE0EEENS1_30default_config_static_selectorELNS0_4arch9wavefront6targetE1EEEvSY_
	.p2align	8
	.type	_ZN7rocprim17ROCPRIM_400000_NS6detail17trampoline_kernelINS0_14default_configENS1_29binary_search_config_selectorIdiEEZNS1_14transform_implILb0ES3_S5_N6thrust23THRUST_200600_302600_NS6detail15normal_iteratorINS8_7pointerIdNS8_11hip_rocprim5par_tENS8_11use_defaultESE_EEEENSA_INSB_IiSD_SE_SE_EEEEZNS1_13binary_searchIS3_S5_NSA_INS8_10device_ptrIdEEEESG_SI_NS1_16binary_search_opENS9_16wrapped_functionINS8_6system6detail7generic6detail18binary_search_lessEbEEEE10hipError_tPvRmT1_T2_T3_mmT4_T5_P12ihipStream_tbEUlRKdE_EESV_SZ_S10_mS11_S14_bEUlT_E_NS1_11comp_targetILNS1_3genE3ELNS1_11target_archE908ELNS1_3gpuE7ELNS1_3repE0EEENS1_30default_config_static_selectorELNS0_4arch9wavefront6targetE1EEEvSY_,@function
_ZN7rocprim17ROCPRIM_400000_NS6detail17trampoline_kernelINS0_14default_configENS1_29binary_search_config_selectorIdiEEZNS1_14transform_implILb0ES3_S5_N6thrust23THRUST_200600_302600_NS6detail15normal_iteratorINS8_7pointerIdNS8_11hip_rocprim5par_tENS8_11use_defaultESE_EEEENSA_INSB_IiSD_SE_SE_EEEEZNS1_13binary_searchIS3_S5_NSA_INS8_10device_ptrIdEEEESG_SI_NS1_16binary_search_opENS9_16wrapped_functionINS8_6system6detail7generic6detail18binary_search_lessEbEEEE10hipError_tPvRmT1_T2_T3_mmT4_T5_P12ihipStream_tbEUlRKdE_EESV_SZ_S10_mS11_S14_bEUlT_E_NS1_11comp_targetILNS1_3genE3ELNS1_11target_archE908ELNS1_3gpuE7ELNS1_3repE0EEENS1_30default_config_static_selectorELNS0_4arch9wavefront6targetE1EEEvSY_: ; @_ZN7rocprim17ROCPRIM_400000_NS6detail17trampoline_kernelINS0_14default_configENS1_29binary_search_config_selectorIdiEEZNS1_14transform_implILb0ES3_S5_N6thrust23THRUST_200600_302600_NS6detail15normal_iteratorINS8_7pointerIdNS8_11hip_rocprim5par_tENS8_11use_defaultESE_EEEENSA_INSB_IiSD_SE_SE_EEEEZNS1_13binary_searchIS3_S5_NSA_INS8_10device_ptrIdEEEESG_SI_NS1_16binary_search_opENS9_16wrapped_functionINS8_6system6detail7generic6detail18binary_search_lessEbEEEE10hipError_tPvRmT1_T2_T3_mmT4_T5_P12ihipStream_tbEUlRKdE_EESV_SZ_S10_mS11_S14_bEUlT_E_NS1_11comp_targetILNS1_3genE3ELNS1_11target_archE908ELNS1_3gpuE7ELNS1_3repE0EEENS1_30default_config_static_selectorELNS0_4arch9wavefront6targetE1EEEvSY_
; %bb.0:
	.section	.rodata,"a",@progbits
	.p2align	6, 0x0
	.amdhsa_kernel _ZN7rocprim17ROCPRIM_400000_NS6detail17trampoline_kernelINS0_14default_configENS1_29binary_search_config_selectorIdiEEZNS1_14transform_implILb0ES3_S5_N6thrust23THRUST_200600_302600_NS6detail15normal_iteratorINS8_7pointerIdNS8_11hip_rocprim5par_tENS8_11use_defaultESE_EEEENSA_INSB_IiSD_SE_SE_EEEEZNS1_13binary_searchIS3_S5_NSA_INS8_10device_ptrIdEEEESG_SI_NS1_16binary_search_opENS9_16wrapped_functionINS8_6system6detail7generic6detail18binary_search_lessEbEEEE10hipError_tPvRmT1_T2_T3_mmT4_T5_P12ihipStream_tbEUlRKdE_EESV_SZ_S10_mS11_S14_bEUlT_E_NS1_11comp_targetILNS1_3genE3ELNS1_11target_archE908ELNS1_3gpuE7ELNS1_3repE0EEENS1_30default_config_static_selectorELNS0_4arch9wavefront6targetE1EEEvSY_
		.amdhsa_group_segment_fixed_size 0
		.amdhsa_private_segment_fixed_size 0
		.amdhsa_kernarg_size 56
		.amdhsa_user_sgpr_count 6
		.amdhsa_user_sgpr_private_segment_buffer 1
		.amdhsa_user_sgpr_dispatch_ptr 0
		.amdhsa_user_sgpr_queue_ptr 0
		.amdhsa_user_sgpr_kernarg_segment_ptr 1
		.amdhsa_user_sgpr_dispatch_id 0
		.amdhsa_user_sgpr_flat_scratch_init 0
		.amdhsa_user_sgpr_private_segment_size 0
		.amdhsa_uses_dynamic_stack 0
		.amdhsa_system_sgpr_private_segment_wavefront_offset 0
		.amdhsa_system_sgpr_workgroup_id_x 1
		.amdhsa_system_sgpr_workgroup_id_y 0
		.amdhsa_system_sgpr_workgroup_id_z 0
		.amdhsa_system_sgpr_workgroup_info 0
		.amdhsa_system_vgpr_workitem_id 0
		.amdhsa_next_free_vgpr 1
		.amdhsa_next_free_sgpr 0
		.amdhsa_reserve_vcc 0
		.amdhsa_reserve_flat_scratch 0
		.amdhsa_float_round_mode_32 0
		.amdhsa_float_round_mode_16_64 0
		.amdhsa_float_denorm_mode_32 3
		.amdhsa_float_denorm_mode_16_64 3
		.amdhsa_dx10_clamp 1
		.amdhsa_ieee_mode 1
		.amdhsa_fp16_overflow 0
		.amdhsa_exception_fp_ieee_invalid_op 0
		.amdhsa_exception_fp_denorm_src 0
		.amdhsa_exception_fp_ieee_div_zero 0
		.amdhsa_exception_fp_ieee_overflow 0
		.amdhsa_exception_fp_ieee_underflow 0
		.amdhsa_exception_fp_ieee_inexact 0
		.amdhsa_exception_int_div_zero 0
	.end_amdhsa_kernel
	.section	.text._ZN7rocprim17ROCPRIM_400000_NS6detail17trampoline_kernelINS0_14default_configENS1_29binary_search_config_selectorIdiEEZNS1_14transform_implILb0ES3_S5_N6thrust23THRUST_200600_302600_NS6detail15normal_iteratorINS8_7pointerIdNS8_11hip_rocprim5par_tENS8_11use_defaultESE_EEEENSA_INSB_IiSD_SE_SE_EEEEZNS1_13binary_searchIS3_S5_NSA_INS8_10device_ptrIdEEEESG_SI_NS1_16binary_search_opENS9_16wrapped_functionINS8_6system6detail7generic6detail18binary_search_lessEbEEEE10hipError_tPvRmT1_T2_T3_mmT4_T5_P12ihipStream_tbEUlRKdE_EESV_SZ_S10_mS11_S14_bEUlT_E_NS1_11comp_targetILNS1_3genE3ELNS1_11target_archE908ELNS1_3gpuE7ELNS1_3repE0EEENS1_30default_config_static_selectorELNS0_4arch9wavefront6targetE1EEEvSY_,"axG",@progbits,_ZN7rocprim17ROCPRIM_400000_NS6detail17trampoline_kernelINS0_14default_configENS1_29binary_search_config_selectorIdiEEZNS1_14transform_implILb0ES3_S5_N6thrust23THRUST_200600_302600_NS6detail15normal_iteratorINS8_7pointerIdNS8_11hip_rocprim5par_tENS8_11use_defaultESE_EEEENSA_INSB_IiSD_SE_SE_EEEEZNS1_13binary_searchIS3_S5_NSA_INS8_10device_ptrIdEEEESG_SI_NS1_16binary_search_opENS9_16wrapped_functionINS8_6system6detail7generic6detail18binary_search_lessEbEEEE10hipError_tPvRmT1_T2_T3_mmT4_T5_P12ihipStream_tbEUlRKdE_EESV_SZ_S10_mS11_S14_bEUlT_E_NS1_11comp_targetILNS1_3genE3ELNS1_11target_archE908ELNS1_3gpuE7ELNS1_3repE0EEENS1_30default_config_static_selectorELNS0_4arch9wavefront6targetE1EEEvSY_,comdat
.Lfunc_end629:
	.size	_ZN7rocprim17ROCPRIM_400000_NS6detail17trampoline_kernelINS0_14default_configENS1_29binary_search_config_selectorIdiEEZNS1_14transform_implILb0ES3_S5_N6thrust23THRUST_200600_302600_NS6detail15normal_iteratorINS8_7pointerIdNS8_11hip_rocprim5par_tENS8_11use_defaultESE_EEEENSA_INSB_IiSD_SE_SE_EEEEZNS1_13binary_searchIS3_S5_NSA_INS8_10device_ptrIdEEEESG_SI_NS1_16binary_search_opENS9_16wrapped_functionINS8_6system6detail7generic6detail18binary_search_lessEbEEEE10hipError_tPvRmT1_T2_T3_mmT4_T5_P12ihipStream_tbEUlRKdE_EESV_SZ_S10_mS11_S14_bEUlT_E_NS1_11comp_targetILNS1_3genE3ELNS1_11target_archE908ELNS1_3gpuE7ELNS1_3repE0EEENS1_30default_config_static_selectorELNS0_4arch9wavefront6targetE1EEEvSY_, .Lfunc_end629-_ZN7rocprim17ROCPRIM_400000_NS6detail17trampoline_kernelINS0_14default_configENS1_29binary_search_config_selectorIdiEEZNS1_14transform_implILb0ES3_S5_N6thrust23THRUST_200600_302600_NS6detail15normal_iteratorINS8_7pointerIdNS8_11hip_rocprim5par_tENS8_11use_defaultESE_EEEENSA_INSB_IiSD_SE_SE_EEEEZNS1_13binary_searchIS3_S5_NSA_INS8_10device_ptrIdEEEESG_SI_NS1_16binary_search_opENS9_16wrapped_functionINS8_6system6detail7generic6detail18binary_search_lessEbEEEE10hipError_tPvRmT1_T2_T3_mmT4_T5_P12ihipStream_tbEUlRKdE_EESV_SZ_S10_mS11_S14_bEUlT_E_NS1_11comp_targetILNS1_3genE3ELNS1_11target_archE908ELNS1_3gpuE7ELNS1_3repE0EEENS1_30default_config_static_selectorELNS0_4arch9wavefront6targetE1EEEvSY_
                                        ; -- End function
	.set _ZN7rocprim17ROCPRIM_400000_NS6detail17trampoline_kernelINS0_14default_configENS1_29binary_search_config_selectorIdiEEZNS1_14transform_implILb0ES3_S5_N6thrust23THRUST_200600_302600_NS6detail15normal_iteratorINS8_7pointerIdNS8_11hip_rocprim5par_tENS8_11use_defaultESE_EEEENSA_INSB_IiSD_SE_SE_EEEEZNS1_13binary_searchIS3_S5_NSA_INS8_10device_ptrIdEEEESG_SI_NS1_16binary_search_opENS9_16wrapped_functionINS8_6system6detail7generic6detail18binary_search_lessEbEEEE10hipError_tPvRmT1_T2_T3_mmT4_T5_P12ihipStream_tbEUlRKdE_EESV_SZ_S10_mS11_S14_bEUlT_E_NS1_11comp_targetILNS1_3genE3ELNS1_11target_archE908ELNS1_3gpuE7ELNS1_3repE0EEENS1_30default_config_static_selectorELNS0_4arch9wavefront6targetE1EEEvSY_.num_vgpr, 0
	.set _ZN7rocprim17ROCPRIM_400000_NS6detail17trampoline_kernelINS0_14default_configENS1_29binary_search_config_selectorIdiEEZNS1_14transform_implILb0ES3_S5_N6thrust23THRUST_200600_302600_NS6detail15normal_iteratorINS8_7pointerIdNS8_11hip_rocprim5par_tENS8_11use_defaultESE_EEEENSA_INSB_IiSD_SE_SE_EEEEZNS1_13binary_searchIS3_S5_NSA_INS8_10device_ptrIdEEEESG_SI_NS1_16binary_search_opENS9_16wrapped_functionINS8_6system6detail7generic6detail18binary_search_lessEbEEEE10hipError_tPvRmT1_T2_T3_mmT4_T5_P12ihipStream_tbEUlRKdE_EESV_SZ_S10_mS11_S14_bEUlT_E_NS1_11comp_targetILNS1_3genE3ELNS1_11target_archE908ELNS1_3gpuE7ELNS1_3repE0EEENS1_30default_config_static_selectorELNS0_4arch9wavefront6targetE1EEEvSY_.num_agpr, 0
	.set _ZN7rocprim17ROCPRIM_400000_NS6detail17trampoline_kernelINS0_14default_configENS1_29binary_search_config_selectorIdiEEZNS1_14transform_implILb0ES3_S5_N6thrust23THRUST_200600_302600_NS6detail15normal_iteratorINS8_7pointerIdNS8_11hip_rocprim5par_tENS8_11use_defaultESE_EEEENSA_INSB_IiSD_SE_SE_EEEEZNS1_13binary_searchIS3_S5_NSA_INS8_10device_ptrIdEEEESG_SI_NS1_16binary_search_opENS9_16wrapped_functionINS8_6system6detail7generic6detail18binary_search_lessEbEEEE10hipError_tPvRmT1_T2_T3_mmT4_T5_P12ihipStream_tbEUlRKdE_EESV_SZ_S10_mS11_S14_bEUlT_E_NS1_11comp_targetILNS1_3genE3ELNS1_11target_archE908ELNS1_3gpuE7ELNS1_3repE0EEENS1_30default_config_static_selectorELNS0_4arch9wavefront6targetE1EEEvSY_.numbered_sgpr, 0
	.set _ZN7rocprim17ROCPRIM_400000_NS6detail17trampoline_kernelINS0_14default_configENS1_29binary_search_config_selectorIdiEEZNS1_14transform_implILb0ES3_S5_N6thrust23THRUST_200600_302600_NS6detail15normal_iteratorINS8_7pointerIdNS8_11hip_rocprim5par_tENS8_11use_defaultESE_EEEENSA_INSB_IiSD_SE_SE_EEEEZNS1_13binary_searchIS3_S5_NSA_INS8_10device_ptrIdEEEESG_SI_NS1_16binary_search_opENS9_16wrapped_functionINS8_6system6detail7generic6detail18binary_search_lessEbEEEE10hipError_tPvRmT1_T2_T3_mmT4_T5_P12ihipStream_tbEUlRKdE_EESV_SZ_S10_mS11_S14_bEUlT_E_NS1_11comp_targetILNS1_3genE3ELNS1_11target_archE908ELNS1_3gpuE7ELNS1_3repE0EEENS1_30default_config_static_selectorELNS0_4arch9wavefront6targetE1EEEvSY_.num_named_barrier, 0
	.set _ZN7rocprim17ROCPRIM_400000_NS6detail17trampoline_kernelINS0_14default_configENS1_29binary_search_config_selectorIdiEEZNS1_14transform_implILb0ES3_S5_N6thrust23THRUST_200600_302600_NS6detail15normal_iteratorINS8_7pointerIdNS8_11hip_rocprim5par_tENS8_11use_defaultESE_EEEENSA_INSB_IiSD_SE_SE_EEEEZNS1_13binary_searchIS3_S5_NSA_INS8_10device_ptrIdEEEESG_SI_NS1_16binary_search_opENS9_16wrapped_functionINS8_6system6detail7generic6detail18binary_search_lessEbEEEE10hipError_tPvRmT1_T2_T3_mmT4_T5_P12ihipStream_tbEUlRKdE_EESV_SZ_S10_mS11_S14_bEUlT_E_NS1_11comp_targetILNS1_3genE3ELNS1_11target_archE908ELNS1_3gpuE7ELNS1_3repE0EEENS1_30default_config_static_selectorELNS0_4arch9wavefront6targetE1EEEvSY_.private_seg_size, 0
	.set _ZN7rocprim17ROCPRIM_400000_NS6detail17trampoline_kernelINS0_14default_configENS1_29binary_search_config_selectorIdiEEZNS1_14transform_implILb0ES3_S5_N6thrust23THRUST_200600_302600_NS6detail15normal_iteratorINS8_7pointerIdNS8_11hip_rocprim5par_tENS8_11use_defaultESE_EEEENSA_INSB_IiSD_SE_SE_EEEEZNS1_13binary_searchIS3_S5_NSA_INS8_10device_ptrIdEEEESG_SI_NS1_16binary_search_opENS9_16wrapped_functionINS8_6system6detail7generic6detail18binary_search_lessEbEEEE10hipError_tPvRmT1_T2_T3_mmT4_T5_P12ihipStream_tbEUlRKdE_EESV_SZ_S10_mS11_S14_bEUlT_E_NS1_11comp_targetILNS1_3genE3ELNS1_11target_archE908ELNS1_3gpuE7ELNS1_3repE0EEENS1_30default_config_static_selectorELNS0_4arch9wavefront6targetE1EEEvSY_.uses_vcc, 0
	.set _ZN7rocprim17ROCPRIM_400000_NS6detail17trampoline_kernelINS0_14default_configENS1_29binary_search_config_selectorIdiEEZNS1_14transform_implILb0ES3_S5_N6thrust23THRUST_200600_302600_NS6detail15normal_iteratorINS8_7pointerIdNS8_11hip_rocprim5par_tENS8_11use_defaultESE_EEEENSA_INSB_IiSD_SE_SE_EEEEZNS1_13binary_searchIS3_S5_NSA_INS8_10device_ptrIdEEEESG_SI_NS1_16binary_search_opENS9_16wrapped_functionINS8_6system6detail7generic6detail18binary_search_lessEbEEEE10hipError_tPvRmT1_T2_T3_mmT4_T5_P12ihipStream_tbEUlRKdE_EESV_SZ_S10_mS11_S14_bEUlT_E_NS1_11comp_targetILNS1_3genE3ELNS1_11target_archE908ELNS1_3gpuE7ELNS1_3repE0EEENS1_30default_config_static_selectorELNS0_4arch9wavefront6targetE1EEEvSY_.uses_flat_scratch, 0
	.set _ZN7rocprim17ROCPRIM_400000_NS6detail17trampoline_kernelINS0_14default_configENS1_29binary_search_config_selectorIdiEEZNS1_14transform_implILb0ES3_S5_N6thrust23THRUST_200600_302600_NS6detail15normal_iteratorINS8_7pointerIdNS8_11hip_rocprim5par_tENS8_11use_defaultESE_EEEENSA_INSB_IiSD_SE_SE_EEEEZNS1_13binary_searchIS3_S5_NSA_INS8_10device_ptrIdEEEESG_SI_NS1_16binary_search_opENS9_16wrapped_functionINS8_6system6detail7generic6detail18binary_search_lessEbEEEE10hipError_tPvRmT1_T2_T3_mmT4_T5_P12ihipStream_tbEUlRKdE_EESV_SZ_S10_mS11_S14_bEUlT_E_NS1_11comp_targetILNS1_3genE3ELNS1_11target_archE908ELNS1_3gpuE7ELNS1_3repE0EEENS1_30default_config_static_selectorELNS0_4arch9wavefront6targetE1EEEvSY_.has_dyn_sized_stack, 0
	.set _ZN7rocprim17ROCPRIM_400000_NS6detail17trampoline_kernelINS0_14default_configENS1_29binary_search_config_selectorIdiEEZNS1_14transform_implILb0ES3_S5_N6thrust23THRUST_200600_302600_NS6detail15normal_iteratorINS8_7pointerIdNS8_11hip_rocprim5par_tENS8_11use_defaultESE_EEEENSA_INSB_IiSD_SE_SE_EEEEZNS1_13binary_searchIS3_S5_NSA_INS8_10device_ptrIdEEEESG_SI_NS1_16binary_search_opENS9_16wrapped_functionINS8_6system6detail7generic6detail18binary_search_lessEbEEEE10hipError_tPvRmT1_T2_T3_mmT4_T5_P12ihipStream_tbEUlRKdE_EESV_SZ_S10_mS11_S14_bEUlT_E_NS1_11comp_targetILNS1_3genE3ELNS1_11target_archE908ELNS1_3gpuE7ELNS1_3repE0EEENS1_30default_config_static_selectorELNS0_4arch9wavefront6targetE1EEEvSY_.has_recursion, 0
	.set _ZN7rocprim17ROCPRIM_400000_NS6detail17trampoline_kernelINS0_14default_configENS1_29binary_search_config_selectorIdiEEZNS1_14transform_implILb0ES3_S5_N6thrust23THRUST_200600_302600_NS6detail15normal_iteratorINS8_7pointerIdNS8_11hip_rocprim5par_tENS8_11use_defaultESE_EEEENSA_INSB_IiSD_SE_SE_EEEEZNS1_13binary_searchIS3_S5_NSA_INS8_10device_ptrIdEEEESG_SI_NS1_16binary_search_opENS9_16wrapped_functionINS8_6system6detail7generic6detail18binary_search_lessEbEEEE10hipError_tPvRmT1_T2_T3_mmT4_T5_P12ihipStream_tbEUlRKdE_EESV_SZ_S10_mS11_S14_bEUlT_E_NS1_11comp_targetILNS1_3genE3ELNS1_11target_archE908ELNS1_3gpuE7ELNS1_3repE0EEENS1_30default_config_static_selectorELNS0_4arch9wavefront6targetE1EEEvSY_.has_indirect_call, 0
	.section	.AMDGPU.csdata,"",@progbits
; Kernel info:
; codeLenInByte = 0
; TotalNumSgprs: 4
; NumVgprs: 0
; ScratchSize: 0
; MemoryBound: 0
; FloatMode: 240
; IeeeMode: 1
; LDSByteSize: 0 bytes/workgroup (compile time only)
; SGPRBlocks: 0
; VGPRBlocks: 0
; NumSGPRsForWavesPerEU: 4
; NumVGPRsForWavesPerEU: 1
; Occupancy: 10
; WaveLimiterHint : 0
; COMPUTE_PGM_RSRC2:SCRATCH_EN: 0
; COMPUTE_PGM_RSRC2:USER_SGPR: 6
; COMPUTE_PGM_RSRC2:TRAP_HANDLER: 0
; COMPUTE_PGM_RSRC2:TGID_X_EN: 1
; COMPUTE_PGM_RSRC2:TGID_Y_EN: 0
; COMPUTE_PGM_RSRC2:TGID_Z_EN: 0
; COMPUTE_PGM_RSRC2:TIDIG_COMP_CNT: 0
	.section	.text._ZN7rocprim17ROCPRIM_400000_NS6detail17trampoline_kernelINS0_14default_configENS1_29binary_search_config_selectorIdiEEZNS1_14transform_implILb0ES3_S5_N6thrust23THRUST_200600_302600_NS6detail15normal_iteratorINS8_7pointerIdNS8_11hip_rocprim5par_tENS8_11use_defaultESE_EEEENSA_INSB_IiSD_SE_SE_EEEEZNS1_13binary_searchIS3_S5_NSA_INS8_10device_ptrIdEEEESG_SI_NS1_16binary_search_opENS9_16wrapped_functionINS8_6system6detail7generic6detail18binary_search_lessEbEEEE10hipError_tPvRmT1_T2_T3_mmT4_T5_P12ihipStream_tbEUlRKdE_EESV_SZ_S10_mS11_S14_bEUlT_E_NS1_11comp_targetILNS1_3genE2ELNS1_11target_archE906ELNS1_3gpuE6ELNS1_3repE0EEENS1_30default_config_static_selectorELNS0_4arch9wavefront6targetE1EEEvSY_,"axG",@progbits,_ZN7rocprim17ROCPRIM_400000_NS6detail17trampoline_kernelINS0_14default_configENS1_29binary_search_config_selectorIdiEEZNS1_14transform_implILb0ES3_S5_N6thrust23THRUST_200600_302600_NS6detail15normal_iteratorINS8_7pointerIdNS8_11hip_rocprim5par_tENS8_11use_defaultESE_EEEENSA_INSB_IiSD_SE_SE_EEEEZNS1_13binary_searchIS3_S5_NSA_INS8_10device_ptrIdEEEESG_SI_NS1_16binary_search_opENS9_16wrapped_functionINS8_6system6detail7generic6detail18binary_search_lessEbEEEE10hipError_tPvRmT1_T2_T3_mmT4_T5_P12ihipStream_tbEUlRKdE_EESV_SZ_S10_mS11_S14_bEUlT_E_NS1_11comp_targetILNS1_3genE2ELNS1_11target_archE906ELNS1_3gpuE6ELNS1_3repE0EEENS1_30default_config_static_selectorELNS0_4arch9wavefront6targetE1EEEvSY_,comdat
	.protected	_ZN7rocprim17ROCPRIM_400000_NS6detail17trampoline_kernelINS0_14default_configENS1_29binary_search_config_selectorIdiEEZNS1_14transform_implILb0ES3_S5_N6thrust23THRUST_200600_302600_NS6detail15normal_iteratorINS8_7pointerIdNS8_11hip_rocprim5par_tENS8_11use_defaultESE_EEEENSA_INSB_IiSD_SE_SE_EEEEZNS1_13binary_searchIS3_S5_NSA_INS8_10device_ptrIdEEEESG_SI_NS1_16binary_search_opENS9_16wrapped_functionINS8_6system6detail7generic6detail18binary_search_lessEbEEEE10hipError_tPvRmT1_T2_T3_mmT4_T5_P12ihipStream_tbEUlRKdE_EESV_SZ_S10_mS11_S14_bEUlT_E_NS1_11comp_targetILNS1_3genE2ELNS1_11target_archE906ELNS1_3gpuE6ELNS1_3repE0EEENS1_30default_config_static_selectorELNS0_4arch9wavefront6targetE1EEEvSY_ ; -- Begin function _ZN7rocprim17ROCPRIM_400000_NS6detail17trampoline_kernelINS0_14default_configENS1_29binary_search_config_selectorIdiEEZNS1_14transform_implILb0ES3_S5_N6thrust23THRUST_200600_302600_NS6detail15normal_iteratorINS8_7pointerIdNS8_11hip_rocprim5par_tENS8_11use_defaultESE_EEEENSA_INSB_IiSD_SE_SE_EEEEZNS1_13binary_searchIS3_S5_NSA_INS8_10device_ptrIdEEEESG_SI_NS1_16binary_search_opENS9_16wrapped_functionINS8_6system6detail7generic6detail18binary_search_lessEbEEEE10hipError_tPvRmT1_T2_T3_mmT4_T5_P12ihipStream_tbEUlRKdE_EESV_SZ_S10_mS11_S14_bEUlT_E_NS1_11comp_targetILNS1_3genE2ELNS1_11target_archE906ELNS1_3gpuE6ELNS1_3repE0EEENS1_30default_config_static_selectorELNS0_4arch9wavefront6targetE1EEEvSY_
	.globl	_ZN7rocprim17ROCPRIM_400000_NS6detail17trampoline_kernelINS0_14default_configENS1_29binary_search_config_selectorIdiEEZNS1_14transform_implILb0ES3_S5_N6thrust23THRUST_200600_302600_NS6detail15normal_iteratorINS8_7pointerIdNS8_11hip_rocprim5par_tENS8_11use_defaultESE_EEEENSA_INSB_IiSD_SE_SE_EEEEZNS1_13binary_searchIS3_S5_NSA_INS8_10device_ptrIdEEEESG_SI_NS1_16binary_search_opENS9_16wrapped_functionINS8_6system6detail7generic6detail18binary_search_lessEbEEEE10hipError_tPvRmT1_T2_T3_mmT4_T5_P12ihipStream_tbEUlRKdE_EESV_SZ_S10_mS11_S14_bEUlT_E_NS1_11comp_targetILNS1_3genE2ELNS1_11target_archE906ELNS1_3gpuE6ELNS1_3repE0EEENS1_30default_config_static_selectorELNS0_4arch9wavefront6targetE1EEEvSY_
	.p2align	8
	.type	_ZN7rocprim17ROCPRIM_400000_NS6detail17trampoline_kernelINS0_14default_configENS1_29binary_search_config_selectorIdiEEZNS1_14transform_implILb0ES3_S5_N6thrust23THRUST_200600_302600_NS6detail15normal_iteratorINS8_7pointerIdNS8_11hip_rocprim5par_tENS8_11use_defaultESE_EEEENSA_INSB_IiSD_SE_SE_EEEEZNS1_13binary_searchIS3_S5_NSA_INS8_10device_ptrIdEEEESG_SI_NS1_16binary_search_opENS9_16wrapped_functionINS8_6system6detail7generic6detail18binary_search_lessEbEEEE10hipError_tPvRmT1_T2_T3_mmT4_T5_P12ihipStream_tbEUlRKdE_EESV_SZ_S10_mS11_S14_bEUlT_E_NS1_11comp_targetILNS1_3genE2ELNS1_11target_archE906ELNS1_3gpuE6ELNS1_3repE0EEENS1_30default_config_static_selectorELNS0_4arch9wavefront6targetE1EEEvSY_,@function
_ZN7rocprim17ROCPRIM_400000_NS6detail17trampoline_kernelINS0_14default_configENS1_29binary_search_config_selectorIdiEEZNS1_14transform_implILb0ES3_S5_N6thrust23THRUST_200600_302600_NS6detail15normal_iteratorINS8_7pointerIdNS8_11hip_rocprim5par_tENS8_11use_defaultESE_EEEENSA_INSB_IiSD_SE_SE_EEEEZNS1_13binary_searchIS3_S5_NSA_INS8_10device_ptrIdEEEESG_SI_NS1_16binary_search_opENS9_16wrapped_functionINS8_6system6detail7generic6detail18binary_search_lessEbEEEE10hipError_tPvRmT1_T2_T3_mmT4_T5_P12ihipStream_tbEUlRKdE_EESV_SZ_S10_mS11_S14_bEUlT_E_NS1_11comp_targetILNS1_3genE2ELNS1_11target_archE906ELNS1_3gpuE6ELNS1_3repE0EEENS1_30default_config_static_selectorELNS0_4arch9wavefront6targetE1EEEvSY_: ; @_ZN7rocprim17ROCPRIM_400000_NS6detail17trampoline_kernelINS0_14default_configENS1_29binary_search_config_selectorIdiEEZNS1_14transform_implILb0ES3_S5_N6thrust23THRUST_200600_302600_NS6detail15normal_iteratorINS8_7pointerIdNS8_11hip_rocprim5par_tENS8_11use_defaultESE_EEEENSA_INSB_IiSD_SE_SE_EEEEZNS1_13binary_searchIS3_S5_NSA_INS8_10device_ptrIdEEEESG_SI_NS1_16binary_search_opENS9_16wrapped_functionINS8_6system6detail7generic6detail18binary_search_lessEbEEEE10hipError_tPvRmT1_T2_T3_mmT4_T5_P12ihipStream_tbEUlRKdE_EESV_SZ_S10_mS11_S14_bEUlT_E_NS1_11comp_targetILNS1_3genE2ELNS1_11target_archE906ELNS1_3gpuE6ELNS1_3repE0EEENS1_30default_config_static_selectorELNS0_4arch9wavefront6targetE1EEEvSY_
; %bb.0:
	s_load_dwordx4 s[0:3], s[4:5], 0x0
	s_load_dwordx4 s[8:11], s[4:5], 0x18
	s_load_dwordx2 s[14:15], s[4:5], 0x28
	s_load_dword s7, s[4:5], 0x38
	s_waitcnt lgkmcnt(0)
	s_lshl_b64 s[12:13], s[2:3], 3
	s_add_u32 s18, s0, s12
	s_addc_u32 s19, s1, s13
	s_lshl_b32 s12, s6, 8
	s_add_i32 s7, s7, -1
	s_cmp_lg_u32 s6, s7
	s_mov_b32 s13, 0
	s_cbranch_scc0 .LBB630_6
; %bb.1:
	s_lshl_b64 s[0:1], s[12:13], 3
	s_add_u32 s0, s18, s0
	s_addc_u32 s1, s19, s1
	v_lshlrev_b32_e32 v1, 3, v0
	v_mov_b32_e32 v2, s1
	v_add_co_u32_e32 v1, vcc, s0, v1
	v_addc_co_u32_e32 v2, vcc, 0, v2, vcc
	flat_load_dwordx2 v[2:3], v[1:2]
	v_mov_b32_e32 v4, 0
	v_mov_b32_e32 v1, 0
	s_cmp_eq_u64 s[14:15], 0
	s_mov_b64 s[6:7], 0
	v_mov_b32_e32 v5, 0
	s_cbranch_scc1 .LBB630_5
; %bb.2:
	v_mov_b32_e32 v6, s14
	v_mov_b32_e32 v7, s15
	v_mov_b32_e32 v8, s11
.LBB630_3:                              ; =>This Inner Loop Header: Depth=1
	v_sub_co_u32_e32 v9, vcc, v6, v4
	v_subb_co_u32_e32 v10, vcc, v7, v5, vcc
	v_lshrrev_b64 v[11:12], 1, v[9:10]
	v_lshrrev_b64 v[9:10], 6, v[9:10]
	v_add_co_u32_e32 v11, vcc, v11, v4
	v_addc_co_u32_e32 v12, vcc, v12, v5, vcc
	v_add_co_u32_e32 v9, vcc, v11, v9
	v_addc_co_u32_e32 v10, vcc, v12, v10, vcc
	v_lshlrev_b64 v[11:12], 3, v[9:10]
	v_add_co_u32_e32 v11, vcc, s10, v11
	v_addc_co_u32_e32 v12, vcc, v8, v12, vcc
	global_load_dwordx2 v[11:12], v[11:12], off
	s_waitcnt vmcnt(0) lgkmcnt(0)
	v_cmp_lt_f64_e32 vcc, v[11:12], v[2:3]
	v_add_co_u32_e64 v11, s[0:1], 1, v9
	v_addc_co_u32_e64 v12, s[0:1], 0, v10, s[0:1]
	v_cndmask_b32_e32 v7, v10, v7, vcc
	v_cndmask_b32_e32 v6, v9, v6, vcc
	;; [unrolled: 1-line block ×4, first 2 shown]
	v_cmp_ge_u64_e32 vcc, v[4:5], v[6:7]
	s_or_b64 s[6:7], vcc, s[6:7]
	s_andn2_b64 exec, exec, s[6:7]
	s_cbranch_execnz .LBB630_3
; %bb.4:
	s_or_b64 exec, exec, s[6:7]
.LBB630_5:
	v_cmp_eq_u64_e64 s[6:7], s[14:15], v[4:5]
	v_cmp_ne_u64_e64 s[16:17], s[14:15], v[4:5]
	s_branch .LBB630_14
.LBB630_6:
	s_mov_b64 s[16:17], 0
	s_mov_b64 s[6:7], 0
                                        ; implicit-def: $vgpr2_vgpr3
                                        ; implicit-def: $vgpr4_vgpr5
	s_cbranch_execz .LBB630_14
; %bb.7:
	s_load_dword s0, s[4:5], 0x10
                                        ; implicit-def: $vgpr2_vgpr3
                                        ; implicit-def: $vgpr4_vgpr5
	s_waitcnt lgkmcnt(0)
	s_sub_i32 s0, s0, s12
	v_cmp_gt_u32_e32 vcc, s0, v0
	s_and_saveexec_b64 s[4:5], vcc
	s_cbranch_execz .LBB630_13
; %bb.8:
	s_lshl_b64 s[0:1], s[12:13], 3
	s_add_u32 s0, s18, s0
	s_addc_u32 s1, s19, s1
	v_lshlrev_b32_e32 v1, 3, v0
	s_waitcnt vmcnt(0)
	v_mov_b32_e32 v2, s1
	v_add_co_u32_e32 v1, vcc, s0, v1
	v_addc_co_u32_e32 v2, vcc, 0, v2, vcc
	flat_load_dwordx2 v[2:3], v[1:2]
	v_mov_b32_e32 v4, 0
	v_mov_b32_e32 v1, 0
	s_cmp_eq_u64 s[14:15], 0
	s_mov_b64 s[18:19], 0
	v_mov_b32_e32 v5, 0
	s_cbranch_scc1 .LBB630_12
; %bb.9:
	v_mov_b32_e32 v6, s14
	v_mov_b32_e32 v7, s15
	;; [unrolled: 1-line block ×3, first 2 shown]
.LBB630_10:                             ; =>This Inner Loop Header: Depth=1
	v_sub_co_u32_e32 v9, vcc, v6, v4
	v_subb_co_u32_e32 v10, vcc, v7, v5, vcc
	v_lshrrev_b64 v[11:12], 1, v[9:10]
	v_lshrrev_b64 v[9:10], 6, v[9:10]
	v_add_co_u32_e32 v11, vcc, v11, v4
	v_addc_co_u32_e32 v12, vcc, v12, v5, vcc
	v_add_co_u32_e32 v9, vcc, v11, v9
	v_addc_co_u32_e32 v10, vcc, v12, v10, vcc
	v_lshlrev_b64 v[11:12], 3, v[9:10]
	v_add_co_u32_e32 v11, vcc, s10, v11
	v_addc_co_u32_e32 v12, vcc, v8, v12, vcc
	global_load_dwordx2 v[11:12], v[11:12], off
	s_waitcnt vmcnt(0) lgkmcnt(0)
	v_cmp_lt_f64_e32 vcc, v[11:12], v[2:3]
	v_add_co_u32_e64 v11, s[0:1], 1, v9
	v_addc_co_u32_e64 v12, s[0:1], 0, v10, s[0:1]
	v_cndmask_b32_e32 v7, v10, v7, vcc
	v_cndmask_b32_e32 v6, v9, v6, vcc
	;; [unrolled: 1-line block ×4, first 2 shown]
	v_cmp_ge_u64_e32 vcc, v[4:5], v[6:7]
	s_or_b64 s[18:19], vcc, s[18:19]
	s_andn2_b64 exec, exec, s[18:19]
	s_cbranch_execnz .LBB630_10
; %bb.11:
	s_or_b64 exec, exec, s[18:19]
.LBB630_12:
	v_cmp_eq_u64_e32 vcc, s[14:15], v[4:5]
	v_cmp_ne_u64_e64 s[0:1], s[14:15], v[4:5]
	s_andn2_b64 s[6:7], s[6:7], exec
	s_and_b64 s[14:15], vcc, exec
	s_or_b64 s[6:7], s[6:7], s[14:15]
	s_andn2_b64 s[14:15], s[16:17], exec
	s_and_b64 s[0:1], s[0:1], exec
	s_or_b64 s[16:17], s[14:15], s[0:1]
.LBB630_13:
	s_or_b64 exec, exec, s[4:5]
.LBB630_14:
	v_mov_b32_e32 v6, 0
	s_and_saveexec_b64 s[0:1], s[16:17]
	s_cbranch_execnz .LBB630_17
; %bb.15:
	s_or_b64 exec, exec, s[0:1]
	s_and_saveexec_b64 s[0:1], s[6:7]
	s_cbranch_execnz .LBB630_18
.LBB630_16:
	s_endpgm
.LBB630_17:
	v_lshlrev_b64 v[4:5], 3, v[4:5]
	v_mov_b32_e32 v6, s11
	v_add_co_u32_e32 v4, vcc, s10, v4
	v_addc_co_u32_e32 v5, vcc, v6, v5, vcc
	global_load_dwordx2 v[4:5], v[4:5], off
	s_or_b64 s[6:7], s[6:7], exec
	s_waitcnt vmcnt(0) lgkmcnt(0)
	v_cmp_nlt_f64_e32 vcc, v[2:3], v[4:5]
	v_cndmask_b32_e64 v6, 0, 1, vcc
	s_or_b64 exec, exec, s[0:1]
	s_and_saveexec_b64 s[0:1], s[6:7]
	s_cbranch_execz .LBB630_16
.LBB630_18:
	s_lshl_b64 s[0:1], s[2:3], 2
	s_add_u32 s2, s8, s0
	s_addc_u32 s3, s9, s1
	s_lshl_b64 s[0:1], s[12:13], 2
	s_add_u32 s0, s2, s0
	v_lshlrev_b64 v[0:1], 2, v[0:1]
	s_addc_u32 s1, s3, s1
	s_waitcnt vmcnt(0) lgkmcnt(0)
	v_mov_b32_e32 v2, s1
	v_add_co_u32_e32 v0, vcc, s0, v0
	v_addc_co_u32_e32 v1, vcc, v2, v1, vcc
	flat_store_dword v[0:1], v6
	s_endpgm
	.section	.rodata,"a",@progbits
	.p2align	6, 0x0
	.amdhsa_kernel _ZN7rocprim17ROCPRIM_400000_NS6detail17trampoline_kernelINS0_14default_configENS1_29binary_search_config_selectorIdiEEZNS1_14transform_implILb0ES3_S5_N6thrust23THRUST_200600_302600_NS6detail15normal_iteratorINS8_7pointerIdNS8_11hip_rocprim5par_tENS8_11use_defaultESE_EEEENSA_INSB_IiSD_SE_SE_EEEEZNS1_13binary_searchIS3_S5_NSA_INS8_10device_ptrIdEEEESG_SI_NS1_16binary_search_opENS9_16wrapped_functionINS8_6system6detail7generic6detail18binary_search_lessEbEEEE10hipError_tPvRmT1_T2_T3_mmT4_T5_P12ihipStream_tbEUlRKdE_EESV_SZ_S10_mS11_S14_bEUlT_E_NS1_11comp_targetILNS1_3genE2ELNS1_11target_archE906ELNS1_3gpuE6ELNS1_3repE0EEENS1_30default_config_static_selectorELNS0_4arch9wavefront6targetE1EEEvSY_
		.amdhsa_group_segment_fixed_size 0
		.amdhsa_private_segment_fixed_size 0
		.amdhsa_kernarg_size 312
		.amdhsa_user_sgpr_count 6
		.amdhsa_user_sgpr_private_segment_buffer 1
		.amdhsa_user_sgpr_dispatch_ptr 0
		.amdhsa_user_sgpr_queue_ptr 0
		.amdhsa_user_sgpr_kernarg_segment_ptr 1
		.amdhsa_user_sgpr_dispatch_id 0
		.amdhsa_user_sgpr_flat_scratch_init 0
		.amdhsa_user_sgpr_private_segment_size 0
		.amdhsa_uses_dynamic_stack 0
		.amdhsa_system_sgpr_private_segment_wavefront_offset 0
		.amdhsa_system_sgpr_workgroup_id_x 1
		.amdhsa_system_sgpr_workgroup_id_y 0
		.amdhsa_system_sgpr_workgroup_id_z 0
		.amdhsa_system_sgpr_workgroup_info 0
		.amdhsa_system_vgpr_workitem_id 0
		.amdhsa_next_free_vgpr 13
		.amdhsa_next_free_sgpr 20
		.amdhsa_reserve_vcc 1
		.amdhsa_reserve_flat_scratch 0
		.amdhsa_float_round_mode_32 0
		.amdhsa_float_round_mode_16_64 0
		.amdhsa_float_denorm_mode_32 3
		.amdhsa_float_denorm_mode_16_64 3
		.amdhsa_dx10_clamp 1
		.amdhsa_ieee_mode 1
		.amdhsa_fp16_overflow 0
		.amdhsa_exception_fp_ieee_invalid_op 0
		.amdhsa_exception_fp_denorm_src 0
		.amdhsa_exception_fp_ieee_div_zero 0
		.amdhsa_exception_fp_ieee_overflow 0
		.amdhsa_exception_fp_ieee_underflow 0
		.amdhsa_exception_fp_ieee_inexact 0
		.amdhsa_exception_int_div_zero 0
	.end_amdhsa_kernel
	.section	.text._ZN7rocprim17ROCPRIM_400000_NS6detail17trampoline_kernelINS0_14default_configENS1_29binary_search_config_selectorIdiEEZNS1_14transform_implILb0ES3_S5_N6thrust23THRUST_200600_302600_NS6detail15normal_iteratorINS8_7pointerIdNS8_11hip_rocprim5par_tENS8_11use_defaultESE_EEEENSA_INSB_IiSD_SE_SE_EEEEZNS1_13binary_searchIS3_S5_NSA_INS8_10device_ptrIdEEEESG_SI_NS1_16binary_search_opENS9_16wrapped_functionINS8_6system6detail7generic6detail18binary_search_lessEbEEEE10hipError_tPvRmT1_T2_T3_mmT4_T5_P12ihipStream_tbEUlRKdE_EESV_SZ_S10_mS11_S14_bEUlT_E_NS1_11comp_targetILNS1_3genE2ELNS1_11target_archE906ELNS1_3gpuE6ELNS1_3repE0EEENS1_30default_config_static_selectorELNS0_4arch9wavefront6targetE1EEEvSY_,"axG",@progbits,_ZN7rocprim17ROCPRIM_400000_NS6detail17trampoline_kernelINS0_14default_configENS1_29binary_search_config_selectorIdiEEZNS1_14transform_implILb0ES3_S5_N6thrust23THRUST_200600_302600_NS6detail15normal_iteratorINS8_7pointerIdNS8_11hip_rocprim5par_tENS8_11use_defaultESE_EEEENSA_INSB_IiSD_SE_SE_EEEEZNS1_13binary_searchIS3_S5_NSA_INS8_10device_ptrIdEEEESG_SI_NS1_16binary_search_opENS9_16wrapped_functionINS8_6system6detail7generic6detail18binary_search_lessEbEEEE10hipError_tPvRmT1_T2_T3_mmT4_T5_P12ihipStream_tbEUlRKdE_EESV_SZ_S10_mS11_S14_bEUlT_E_NS1_11comp_targetILNS1_3genE2ELNS1_11target_archE906ELNS1_3gpuE6ELNS1_3repE0EEENS1_30default_config_static_selectorELNS0_4arch9wavefront6targetE1EEEvSY_,comdat
.Lfunc_end630:
	.size	_ZN7rocprim17ROCPRIM_400000_NS6detail17trampoline_kernelINS0_14default_configENS1_29binary_search_config_selectorIdiEEZNS1_14transform_implILb0ES3_S5_N6thrust23THRUST_200600_302600_NS6detail15normal_iteratorINS8_7pointerIdNS8_11hip_rocprim5par_tENS8_11use_defaultESE_EEEENSA_INSB_IiSD_SE_SE_EEEEZNS1_13binary_searchIS3_S5_NSA_INS8_10device_ptrIdEEEESG_SI_NS1_16binary_search_opENS9_16wrapped_functionINS8_6system6detail7generic6detail18binary_search_lessEbEEEE10hipError_tPvRmT1_T2_T3_mmT4_T5_P12ihipStream_tbEUlRKdE_EESV_SZ_S10_mS11_S14_bEUlT_E_NS1_11comp_targetILNS1_3genE2ELNS1_11target_archE906ELNS1_3gpuE6ELNS1_3repE0EEENS1_30default_config_static_selectorELNS0_4arch9wavefront6targetE1EEEvSY_, .Lfunc_end630-_ZN7rocprim17ROCPRIM_400000_NS6detail17trampoline_kernelINS0_14default_configENS1_29binary_search_config_selectorIdiEEZNS1_14transform_implILb0ES3_S5_N6thrust23THRUST_200600_302600_NS6detail15normal_iteratorINS8_7pointerIdNS8_11hip_rocprim5par_tENS8_11use_defaultESE_EEEENSA_INSB_IiSD_SE_SE_EEEEZNS1_13binary_searchIS3_S5_NSA_INS8_10device_ptrIdEEEESG_SI_NS1_16binary_search_opENS9_16wrapped_functionINS8_6system6detail7generic6detail18binary_search_lessEbEEEE10hipError_tPvRmT1_T2_T3_mmT4_T5_P12ihipStream_tbEUlRKdE_EESV_SZ_S10_mS11_S14_bEUlT_E_NS1_11comp_targetILNS1_3genE2ELNS1_11target_archE906ELNS1_3gpuE6ELNS1_3repE0EEENS1_30default_config_static_selectorELNS0_4arch9wavefront6targetE1EEEvSY_
                                        ; -- End function
	.set _ZN7rocprim17ROCPRIM_400000_NS6detail17trampoline_kernelINS0_14default_configENS1_29binary_search_config_selectorIdiEEZNS1_14transform_implILb0ES3_S5_N6thrust23THRUST_200600_302600_NS6detail15normal_iteratorINS8_7pointerIdNS8_11hip_rocprim5par_tENS8_11use_defaultESE_EEEENSA_INSB_IiSD_SE_SE_EEEEZNS1_13binary_searchIS3_S5_NSA_INS8_10device_ptrIdEEEESG_SI_NS1_16binary_search_opENS9_16wrapped_functionINS8_6system6detail7generic6detail18binary_search_lessEbEEEE10hipError_tPvRmT1_T2_T3_mmT4_T5_P12ihipStream_tbEUlRKdE_EESV_SZ_S10_mS11_S14_bEUlT_E_NS1_11comp_targetILNS1_3genE2ELNS1_11target_archE906ELNS1_3gpuE6ELNS1_3repE0EEENS1_30default_config_static_selectorELNS0_4arch9wavefront6targetE1EEEvSY_.num_vgpr, 13
	.set _ZN7rocprim17ROCPRIM_400000_NS6detail17trampoline_kernelINS0_14default_configENS1_29binary_search_config_selectorIdiEEZNS1_14transform_implILb0ES3_S5_N6thrust23THRUST_200600_302600_NS6detail15normal_iteratorINS8_7pointerIdNS8_11hip_rocprim5par_tENS8_11use_defaultESE_EEEENSA_INSB_IiSD_SE_SE_EEEEZNS1_13binary_searchIS3_S5_NSA_INS8_10device_ptrIdEEEESG_SI_NS1_16binary_search_opENS9_16wrapped_functionINS8_6system6detail7generic6detail18binary_search_lessEbEEEE10hipError_tPvRmT1_T2_T3_mmT4_T5_P12ihipStream_tbEUlRKdE_EESV_SZ_S10_mS11_S14_bEUlT_E_NS1_11comp_targetILNS1_3genE2ELNS1_11target_archE906ELNS1_3gpuE6ELNS1_3repE0EEENS1_30default_config_static_selectorELNS0_4arch9wavefront6targetE1EEEvSY_.num_agpr, 0
	.set _ZN7rocprim17ROCPRIM_400000_NS6detail17trampoline_kernelINS0_14default_configENS1_29binary_search_config_selectorIdiEEZNS1_14transform_implILb0ES3_S5_N6thrust23THRUST_200600_302600_NS6detail15normal_iteratorINS8_7pointerIdNS8_11hip_rocprim5par_tENS8_11use_defaultESE_EEEENSA_INSB_IiSD_SE_SE_EEEEZNS1_13binary_searchIS3_S5_NSA_INS8_10device_ptrIdEEEESG_SI_NS1_16binary_search_opENS9_16wrapped_functionINS8_6system6detail7generic6detail18binary_search_lessEbEEEE10hipError_tPvRmT1_T2_T3_mmT4_T5_P12ihipStream_tbEUlRKdE_EESV_SZ_S10_mS11_S14_bEUlT_E_NS1_11comp_targetILNS1_3genE2ELNS1_11target_archE906ELNS1_3gpuE6ELNS1_3repE0EEENS1_30default_config_static_selectorELNS0_4arch9wavefront6targetE1EEEvSY_.numbered_sgpr, 20
	.set _ZN7rocprim17ROCPRIM_400000_NS6detail17trampoline_kernelINS0_14default_configENS1_29binary_search_config_selectorIdiEEZNS1_14transform_implILb0ES3_S5_N6thrust23THRUST_200600_302600_NS6detail15normal_iteratorINS8_7pointerIdNS8_11hip_rocprim5par_tENS8_11use_defaultESE_EEEENSA_INSB_IiSD_SE_SE_EEEEZNS1_13binary_searchIS3_S5_NSA_INS8_10device_ptrIdEEEESG_SI_NS1_16binary_search_opENS9_16wrapped_functionINS8_6system6detail7generic6detail18binary_search_lessEbEEEE10hipError_tPvRmT1_T2_T3_mmT4_T5_P12ihipStream_tbEUlRKdE_EESV_SZ_S10_mS11_S14_bEUlT_E_NS1_11comp_targetILNS1_3genE2ELNS1_11target_archE906ELNS1_3gpuE6ELNS1_3repE0EEENS1_30default_config_static_selectorELNS0_4arch9wavefront6targetE1EEEvSY_.num_named_barrier, 0
	.set _ZN7rocprim17ROCPRIM_400000_NS6detail17trampoline_kernelINS0_14default_configENS1_29binary_search_config_selectorIdiEEZNS1_14transform_implILb0ES3_S5_N6thrust23THRUST_200600_302600_NS6detail15normal_iteratorINS8_7pointerIdNS8_11hip_rocprim5par_tENS8_11use_defaultESE_EEEENSA_INSB_IiSD_SE_SE_EEEEZNS1_13binary_searchIS3_S5_NSA_INS8_10device_ptrIdEEEESG_SI_NS1_16binary_search_opENS9_16wrapped_functionINS8_6system6detail7generic6detail18binary_search_lessEbEEEE10hipError_tPvRmT1_T2_T3_mmT4_T5_P12ihipStream_tbEUlRKdE_EESV_SZ_S10_mS11_S14_bEUlT_E_NS1_11comp_targetILNS1_3genE2ELNS1_11target_archE906ELNS1_3gpuE6ELNS1_3repE0EEENS1_30default_config_static_selectorELNS0_4arch9wavefront6targetE1EEEvSY_.private_seg_size, 0
	.set _ZN7rocprim17ROCPRIM_400000_NS6detail17trampoline_kernelINS0_14default_configENS1_29binary_search_config_selectorIdiEEZNS1_14transform_implILb0ES3_S5_N6thrust23THRUST_200600_302600_NS6detail15normal_iteratorINS8_7pointerIdNS8_11hip_rocprim5par_tENS8_11use_defaultESE_EEEENSA_INSB_IiSD_SE_SE_EEEEZNS1_13binary_searchIS3_S5_NSA_INS8_10device_ptrIdEEEESG_SI_NS1_16binary_search_opENS9_16wrapped_functionINS8_6system6detail7generic6detail18binary_search_lessEbEEEE10hipError_tPvRmT1_T2_T3_mmT4_T5_P12ihipStream_tbEUlRKdE_EESV_SZ_S10_mS11_S14_bEUlT_E_NS1_11comp_targetILNS1_3genE2ELNS1_11target_archE906ELNS1_3gpuE6ELNS1_3repE0EEENS1_30default_config_static_selectorELNS0_4arch9wavefront6targetE1EEEvSY_.uses_vcc, 1
	.set _ZN7rocprim17ROCPRIM_400000_NS6detail17trampoline_kernelINS0_14default_configENS1_29binary_search_config_selectorIdiEEZNS1_14transform_implILb0ES3_S5_N6thrust23THRUST_200600_302600_NS6detail15normal_iteratorINS8_7pointerIdNS8_11hip_rocprim5par_tENS8_11use_defaultESE_EEEENSA_INSB_IiSD_SE_SE_EEEEZNS1_13binary_searchIS3_S5_NSA_INS8_10device_ptrIdEEEESG_SI_NS1_16binary_search_opENS9_16wrapped_functionINS8_6system6detail7generic6detail18binary_search_lessEbEEEE10hipError_tPvRmT1_T2_T3_mmT4_T5_P12ihipStream_tbEUlRKdE_EESV_SZ_S10_mS11_S14_bEUlT_E_NS1_11comp_targetILNS1_3genE2ELNS1_11target_archE906ELNS1_3gpuE6ELNS1_3repE0EEENS1_30default_config_static_selectorELNS0_4arch9wavefront6targetE1EEEvSY_.uses_flat_scratch, 0
	.set _ZN7rocprim17ROCPRIM_400000_NS6detail17trampoline_kernelINS0_14default_configENS1_29binary_search_config_selectorIdiEEZNS1_14transform_implILb0ES3_S5_N6thrust23THRUST_200600_302600_NS6detail15normal_iteratorINS8_7pointerIdNS8_11hip_rocprim5par_tENS8_11use_defaultESE_EEEENSA_INSB_IiSD_SE_SE_EEEEZNS1_13binary_searchIS3_S5_NSA_INS8_10device_ptrIdEEEESG_SI_NS1_16binary_search_opENS9_16wrapped_functionINS8_6system6detail7generic6detail18binary_search_lessEbEEEE10hipError_tPvRmT1_T2_T3_mmT4_T5_P12ihipStream_tbEUlRKdE_EESV_SZ_S10_mS11_S14_bEUlT_E_NS1_11comp_targetILNS1_3genE2ELNS1_11target_archE906ELNS1_3gpuE6ELNS1_3repE0EEENS1_30default_config_static_selectorELNS0_4arch9wavefront6targetE1EEEvSY_.has_dyn_sized_stack, 0
	.set _ZN7rocprim17ROCPRIM_400000_NS6detail17trampoline_kernelINS0_14default_configENS1_29binary_search_config_selectorIdiEEZNS1_14transform_implILb0ES3_S5_N6thrust23THRUST_200600_302600_NS6detail15normal_iteratorINS8_7pointerIdNS8_11hip_rocprim5par_tENS8_11use_defaultESE_EEEENSA_INSB_IiSD_SE_SE_EEEEZNS1_13binary_searchIS3_S5_NSA_INS8_10device_ptrIdEEEESG_SI_NS1_16binary_search_opENS9_16wrapped_functionINS8_6system6detail7generic6detail18binary_search_lessEbEEEE10hipError_tPvRmT1_T2_T3_mmT4_T5_P12ihipStream_tbEUlRKdE_EESV_SZ_S10_mS11_S14_bEUlT_E_NS1_11comp_targetILNS1_3genE2ELNS1_11target_archE906ELNS1_3gpuE6ELNS1_3repE0EEENS1_30default_config_static_selectorELNS0_4arch9wavefront6targetE1EEEvSY_.has_recursion, 0
	.set _ZN7rocprim17ROCPRIM_400000_NS6detail17trampoline_kernelINS0_14default_configENS1_29binary_search_config_selectorIdiEEZNS1_14transform_implILb0ES3_S5_N6thrust23THRUST_200600_302600_NS6detail15normal_iteratorINS8_7pointerIdNS8_11hip_rocprim5par_tENS8_11use_defaultESE_EEEENSA_INSB_IiSD_SE_SE_EEEEZNS1_13binary_searchIS3_S5_NSA_INS8_10device_ptrIdEEEESG_SI_NS1_16binary_search_opENS9_16wrapped_functionINS8_6system6detail7generic6detail18binary_search_lessEbEEEE10hipError_tPvRmT1_T2_T3_mmT4_T5_P12ihipStream_tbEUlRKdE_EESV_SZ_S10_mS11_S14_bEUlT_E_NS1_11comp_targetILNS1_3genE2ELNS1_11target_archE906ELNS1_3gpuE6ELNS1_3repE0EEENS1_30default_config_static_selectorELNS0_4arch9wavefront6targetE1EEEvSY_.has_indirect_call, 0
	.section	.AMDGPU.csdata,"",@progbits
; Kernel info:
; codeLenInByte = 712
; TotalNumSgprs: 24
; NumVgprs: 13
; ScratchSize: 0
; MemoryBound: 0
; FloatMode: 240
; IeeeMode: 1
; LDSByteSize: 0 bytes/workgroup (compile time only)
; SGPRBlocks: 2
; VGPRBlocks: 3
; NumSGPRsForWavesPerEU: 24
; NumVGPRsForWavesPerEU: 13
; Occupancy: 10
; WaveLimiterHint : 0
; COMPUTE_PGM_RSRC2:SCRATCH_EN: 0
; COMPUTE_PGM_RSRC2:USER_SGPR: 6
; COMPUTE_PGM_RSRC2:TRAP_HANDLER: 0
; COMPUTE_PGM_RSRC2:TGID_X_EN: 1
; COMPUTE_PGM_RSRC2:TGID_Y_EN: 0
; COMPUTE_PGM_RSRC2:TGID_Z_EN: 0
; COMPUTE_PGM_RSRC2:TIDIG_COMP_CNT: 0
	.section	.text._ZN7rocprim17ROCPRIM_400000_NS6detail17trampoline_kernelINS0_14default_configENS1_29binary_search_config_selectorIdiEEZNS1_14transform_implILb0ES3_S5_N6thrust23THRUST_200600_302600_NS6detail15normal_iteratorINS8_7pointerIdNS8_11hip_rocprim5par_tENS8_11use_defaultESE_EEEENSA_INSB_IiSD_SE_SE_EEEEZNS1_13binary_searchIS3_S5_NSA_INS8_10device_ptrIdEEEESG_SI_NS1_16binary_search_opENS9_16wrapped_functionINS8_6system6detail7generic6detail18binary_search_lessEbEEEE10hipError_tPvRmT1_T2_T3_mmT4_T5_P12ihipStream_tbEUlRKdE_EESV_SZ_S10_mS11_S14_bEUlT_E_NS1_11comp_targetILNS1_3genE10ELNS1_11target_archE1201ELNS1_3gpuE5ELNS1_3repE0EEENS1_30default_config_static_selectorELNS0_4arch9wavefront6targetE1EEEvSY_,"axG",@progbits,_ZN7rocprim17ROCPRIM_400000_NS6detail17trampoline_kernelINS0_14default_configENS1_29binary_search_config_selectorIdiEEZNS1_14transform_implILb0ES3_S5_N6thrust23THRUST_200600_302600_NS6detail15normal_iteratorINS8_7pointerIdNS8_11hip_rocprim5par_tENS8_11use_defaultESE_EEEENSA_INSB_IiSD_SE_SE_EEEEZNS1_13binary_searchIS3_S5_NSA_INS8_10device_ptrIdEEEESG_SI_NS1_16binary_search_opENS9_16wrapped_functionINS8_6system6detail7generic6detail18binary_search_lessEbEEEE10hipError_tPvRmT1_T2_T3_mmT4_T5_P12ihipStream_tbEUlRKdE_EESV_SZ_S10_mS11_S14_bEUlT_E_NS1_11comp_targetILNS1_3genE10ELNS1_11target_archE1201ELNS1_3gpuE5ELNS1_3repE0EEENS1_30default_config_static_selectorELNS0_4arch9wavefront6targetE1EEEvSY_,comdat
	.protected	_ZN7rocprim17ROCPRIM_400000_NS6detail17trampoline_kernelINS0_14default_configENS1_29binary_search_config_selectorIdiEEZNS1_14transform_implILb0ES3_S5_N6thrust23THRUST_200600_302600_NS6detail15normal_iteratorINS8_7pointerIdNS8_11hip_rocprim5par_tENS8_11use_defaultESE_EEEENSA_INSB_IiSD_SE_SE_EEEEZNS1_13binary_searchIS3_S5_NSA_INS8_10device_ptrIdEEEESG_SI_NS1_16binary_search_opENS9_16wrapped_functionINS8_6system6detail7generic6detail18binary_search_lessEbEEEE10hipError_tPvRmT1_T2_T3_mmT4_T5_P12ihipStream_tbEUlRKdE_EESV_SZ_S10_mS11_S14_bEUlT_E_NS1_11comp_targetILNS1_3genE10ELNS1_11target_archE1201ELNS1_3gpuE5ELNS1_3repE0EEENS1_30default_config_static_selectorELNS0_4arch9wavefront6targetE1EEEvSY_ ; -- Begin function _ZN7rocprim17ROCPRIM_400000_NS6detail17trampoline_kernelINS0_14default_configENS1_29binary_search_config_selectorIdiEEZNS1_14transform_implILb0ES3_S5_N6thrust23THRUST_200600_302600_NS6detail15normal_iteratorINS8_7pointerIdNS8_11hip_rocprim5par_tENS8_11use_defaultESE_EEEENSA_INSB_IiSD_SE_SE_EEEEZNS1_13binary_searchIS3_S5_NSA_INS8_10device_ptrIdEEEESG_SI_NS1_16binary_search_opENS9_16wrapped_functionINS8_6system6detail7generic6detail18binary_search_lessEbEEEE10hipError_tPvRmT1_T2_T3_mmT4_T5_P12ihipStream_tbEUlRKdE_EESV_SZ_S10_mS11_S14_bEUlT_E_NS1_11comp_targetILNS1_3genE10ELNS1_11target_archE1201ELNS1_3gpuE5ELNS1_3repE0EEENS1_30default_config_static_selectorELNS0_4arch9wavefront6targetE1EEEvSY_
	.globl	_ZN7rocprim17ROCPRIM_400000_NS6detail17trampoline_kernelINS0_14default_configENS1_29binary_search_config_selectorIdiEEZNS1_14transform_implILb0ES3_S5_N6thrust23THRUST_200600_302600_NS6detail15normal_iteratorINS8_7pointerIdNS8_11hip_rocprim5par_tENS8_11use_defaultESE_EEEENSA_INSB_IiSD_SE_SE_EEEEZNS1_13binary_searchIS3_S5_NSA_INS8_10device_ptrIdEEEESG_SI_NS1_16binary_search_opENS9_16wrapped_functionINS8_6system6detail7generic6detail18binary_search_lessEbEEEE10hipError_tPvRmT1_T2_T3_mmT4_T5_P12ihipStream_tbEUlRKdE_EESV_SZ_S10_mS11_S14_bEUlT_E_NS1_11comp_targetILNS1_3genE10ELNS1_11target_archE1201ELNS1_3gpuE5ELNS1_3repE0EEENS1_30default_config_static_selectorELNS0_4arch9wavefront6targetE1EEEvSY_
	.p2align	8
	.type	_ZN7rocprim17ROCPRIM_400000_NS6detail17trampoline_kernelINS0_14default_configENS1_29binary_search_config_selectorIdiEEZNS1_14transform_implILb0ES3_S5_N6thrust23THRUST_200600_302600_NS6detail15normal_iteratorINS8_7pointerIdNS8_11hip_rocprim5par_tENS8_11use_defaultESE_EEEENSA_INSB_IiSD_SE_SE_EEEEZNS1_13binary_searchIS3_S5_NSA_INS8_10device_ptrIdEEEESG_SI_NS1_16binary_search_opENS9_16wrapped_functionINS8_6system6detail7generic6detail18binary_search_lessEbEEEE10hipError_tPvRmT1_T2_T3_mmT4_T5_P12ihipStream_tbEUlRKdE_EESV_SZ_S10_mS11_S14_bEUlT_E_NS1_11comp_targetILNS1_3genE10ELNS1_11target_archE1201ELNS1_3gpuE5ELNS1_3repE0EEENS1_30default_config_static_selectorELNS0_4arch9wavefront6targetE1EEEvSY_,@function
_ZN7rocprim17ROCPRIM_400000_NS6detail17trampoline_kernelINS0_14default_configENS1_29binary_search_config_selectorIdiEEZNS1_14transform_implILb0ES3_S5_N6thrust23THRUST_200600_302600_NS6detail15normal_iteratorINS8_7pointerIdNS8_11hip_rocprim5par_tENS8_11use_defaultESE_EEEENSA_INSB_IiSD_SE_SE_EEEEZNS1_13binary_searchIS3_S5_NSA_INS8_10device_ptrIdEEEESG_SI_NS1_16binary_search_opENS9_16wrapped_functionINS8_6system6detail7generic6detail18binary_search_lessEbEEEE10hipError_tPvRmT1_T2_T3_mmT4_T5_P12ihipStream_tbEUlRKdE_EESV_SZ_S10_mS11_S14_bEUlT_E_NS1_11comp_targetILNS1_3genE10ELNS1_11target_archE1201ELNS1_3gpuE5ELNS1_3repE0EEENS1_30default_config_static_selectorELNS0_4arch9wavefront6targetE1EEEvSY_: ; @_ZN7rocprim17ROCPRIM_400000_NS6detail17trampoline_kernelINS0_14default_configENS1_29binary_search_config_selectorIdiEEZNS1_14transform_implILb0ES3_S5_N6thrust23THRUST_200600_302600_NS6detail15normal_iteratorINS8_7pointerIdNS8_11hip_rocprim5par_tENS8_11use_defaultESE_EEEENSA_INSB_IiSD_SE_SE_EEEEZNS1_13binary_searchIS3_S5_NSA_INS8_10device_ptrIdEEEESG_SI_NS1_16binary_search_opENS9_16wrapped_functionINS8_6system6detail7generic6detail18binary_search_lessEbEEEE10hipError_tPvRmT1_T2_T3_mmT4_T5_P12ihipStream_tbEUlRKdE_EESV_SZ_S10_mS11_S14_bEUlT_E_NS1_11comp_targetILNS1_3genE10ELNS1_11target_archE1201ELNS1_3gpuE5ELNS1_3repE0EEENS1_30default_config_static_selectorELNS0_4arch9wavefront6targetE1EEEvSY_
; %bb.0:
	.section	.rodata,"a",@progbits
	.p2align	6, 0x0
	.amdhsa_kernel _ZN7rocprim17ROCPRIM_400000_NS6detail17trampoline_kernelINS0_14default_configENS1_29binary_search_config_selectorIdiEEZNS1_14transform_implILb0ES3_S5_N6thrust23THRUST_200600_302600_NS6detail15normal_iteratorINS8_7pointerIdNS8_11hip_rocprim5par_tENS8_11use_defaultESE_EEEENSA_INSB_IiSD_SE_SE_EEEEZNS1_13binary_searchIS3_S5_NSA_INS8_10device_ptrIdEEEESG_SI_NS1_16binary_search_opENS9_16wrapped_functionINS8_6system6detail7generic6detail18binary_search_lessEbEEEE10hipError_tPvRmT1_T2_T3_mmT4_T5_P12ihipStream_tbEUlRKdE_EESV_SZ_S10_mS11_S14_bEUlT_E_NS1_11comp_targetILNS1_3genE10ELNS1_11target_archE1201ELNS1_3gpuE5ELNS1_3repE0EEENS1_30default_config_static_selectorELNS0_4arch9wavefront6targetE1EEEvSY_
		.amdhsa_group_segment_fixed_size 0
		.amdhsa_private_segment_fixed_size 0
		.amdhsa_kernarg_size 56
		.amdhsa_user_sgpr_count 6
		.amdhsa_user_sgpr_private_segment_buffer 1
		.amdhsa_user_sgpr_dispatch_ptr 0
		.amdhsa_user_sgpr_queue_ptr 0
		.amdhsa_user_sgpr_kernarg_segment_ptr 1
		.amdhsa_user_sgpr_dispatch_id 0
		.amdhsa_user_sgpr_flat_scratch_init 0
		.amdhsa_user_sgpr_private_segment_size 0
		.amdhsa_uses_dynamic_stack 0
		.amdhsa_system_sgpr_private_segment_wavefront_offset 0
		.amdhsa_system_sgpr_workgroup_id_x 1
		.amdhsa_system_sgpr_workgroup_id_y 0
		.amdhsa_system_sgpr_workgroup_id_z 0
		.amdhsa_system_sgpr_workgroup_info 0
		.amdhsa_system_vgpr_workitem_id 0
		.amdhsa_next_free_vgpr 1
		.amdhsa_next_free_sgpr 0
		.amdhsa_reserve_vcc 0
		.amdhsa_reserve_flat_scratch 0
		.amdhsa_float_round_mode_32 0
		.amdhsa_float_round_mode_16_64 0
		.amdhsa_float_denorm_mode_32 3
		.amdhsa_float_denorm_mode_16_64 3
		.amdhsa_dx10_clamp 1
		.amdhsa_ieee_mode 1
		.amdhsa_fp16_overflow 0
		.amdhsa_exception_fp_ieee_invalid_op 0
		.amdhsa_exception_fp_denorm_src 0
		.amdhsa_exception_fp_ieee_div_zero 0
		.amdhsa_exception_fp_ieee_overflow 0
		.amdhsa_exception_fp_ieee_underflow 0
		.amdhsa_exception_fp_ieee_inexact 0
		.amdhsa_exception_int_div_zero 0
	.end_amdhsa_kernel
	.section	.text._ZN7rocprim17ROCPRIM_400000_NS6detail17trampoline_kernelINS0_14default_configENS1_29binary_search_config_selectorIdiEEZNS1_14transform_implILb0ES3_S5_N6thrust23THRUST_200600_302600_NS6detail15normal_iteratorINS8_7pointerIdNS8_11hip_rocprim5par_tENS8_11use_defaultESE_EEEENSA_INSB_IiSD_SE_SE_EEEEZNS1_13binary_searchIS3_S5_NSA_INS8_10device_ptrIdEEEESG_SI_NS1_16binary_search_opENS9_16wrapped_functionINS8_6system6detail7generic6detail18binary_search_lessEbEEEE10hipError_tPvRmT1_T2_T3_mmT4_T5_P12ihipStream_tbEUlRKdE_EESV_SZ_S10_mS11_S14_bEUlT_E_NS1_11comp_targetILNS1_3genE10ELNS1_11target_archE1201ELNS1_3gpuE5ELNS1_3repE0EEENS1_30default_config_static_selectorELNS0_4arch9wavefront6targetE1EEEvSY_,"axG",@progbits,_ZN7rocprim17ROCPRIM_400000_NS6detail17trampoline_kernelINS0_14default_configENS1_29binary_search_config_selectorIdiEEZNS1_14transform_implILb0ES3_S5_N6thrust23THRUST_200600_302600_NS6detail15normal_iteratorINS8_7pointerIdNS8_11hip_rocprim5par_tENS8_11use_defaultESE_EEEENSA_INSB_IiSD_SE_SE_EEEEZNS1_13binary_searchIS3_S5_NSA_INS8_10device_ptrIdEEEESG_SI_NS1_16binary_search_opENS9_16wrapped_functionINS8_6system6detail7generic6detail18binary_search_lessEbEEEE10hipError_tPvRmT1_T2_T3_mmT4_T5_P12ihipStream_tbEUlRKdE_EESV_SZ_S10_mS11_S14_bEUlT_E_NS1_11comp_targetILNS1_3genE10ELNS1_11target_archE1201ELNS1_3gpuE5ELNS1_3repE0EEENS1_30default_config_static_selectorELNS0_4arch9wavefront6targetE1EEEvSY_,comdat
.Lfunc_end631:
	.size	_ZN7rocprim17ROCPRIM_400000_NS6detail17trampoline_kernelINS0_14default_configENS1_29binary_search_config_selectorIdiEEZNS1_14transform_implILb0ES3_S5_N6thrust23THRUST_200600_302600_NS6detail15normal_iteratorINS8_7pointerIdNS8_11hip_rocprim5par_tENS8_11use_defaultESE_EEEENSA_INSB_IiSD_SE_SE_EEEEZNS1_13binary_searchIS3_S5_NSA_INS8_10device_ptrIdEEEESG_SI_NS1_16binary_search_opENS9_16wrapped_functionINS8_6system6detail7generic6detail18binary_search_lessEbEEEE10hipError_tPvRmT1_T2_T3_mmT4_T5_P12ihipStream_tbEUlRKdE_EESV_SZ_S10_mS11_S14_bEUlT_E_NS1_11comp_targetILNS1_3genE10ELNS1_11target_archE1201ELNS1_3gpuE5ELNS1_3repE0EEENS1_30default_config_static_selectorELNS0_4arch9wavefront6targetE1EEEvSY_, .Lfunc_end631-_ZN7rocprim17ROCPRIM_400000_NS6detail17trampoline_kernelINS0_14default_configENS1_29binary_search_config_selectorIdiEEZNS1_14transform_implILb0ES3_S5_N6thrust23THRUST_200600_302600_NS6detail15normal_iteratorINS8_7pointerIdNS8_11hip_rocprim5par_tENS8_11use_defaultESE_EEEENSA_INSB_IiSD_SE_SE_EEEEZNS1_13binary_searchIS3_S5_NSA_INS8_10device_ptrIdEEEESG_SI_NS1_16binary_search_opENS9_16wrapped_functionINS8_6system6detail7generic6detail18binary_search_lessEbEEEE10hipError_tPvRmT1_T2_T3_mmT4_T5_P12ihipStream_tbEUlRKdE_EESV_SZ_S10_mS11_S14_bEUlT_E_NS1_11comp_targetILNS1_3genE10ELNS1_11target_archE1201ELNS1_3gpuE5ELNS1_3repE0EEENS1_30default_config_static_selectorELNS0_4arch9wavefront6targetE1EEEvSY_
                                        ; -- End function
	.set _ZN7rocprim17ROCPRIM_400000_NS6detail17trampoline_kernelINS0_14default_configENS1_29binary_search_config_selectorIdiEEZNS1_14transform_implILb0ES3_S5_N6thrust23THRUST_200600_302600_NS6detail15normal_iteratorINS8_7pointerIdNS8_11hip_rocprim5par_tENS8_11use_defaultESE_EEEENSA_INSB_IiSD_SE_SE_EEEEZNS1_13binary_searchIS3_S5_NSA_INS8_10device_ptrIdEEEESG_SI_NS1_16binary_search_opENS9_16wrapped_functionINS8_6system6detail7generic6detail18binary_search_lessEbEEEE10hipError_tPvRmT1_T2_T3_mmT4_T5_P12ihipStream_tbEUlRKdE_EESV_SZ_S10_mS11_S14_bEUlT_E_NS1_11comp_targetILNS1_3genE10ELNS1_11target_archE1201ELNS1_3gpuE5ELNS1_3repE0EEENS1_30default_config_static_selectorELNS0_4arch9wavefront6targetE1EEEvSY_.num_vgpr, 0
	.set _ZN7rocprim17ROCPRIM_400000_NS6detail17trampoline_kernelINS0_14default_configENS1_29binary_search_config_selectorIdiEEZNS1_14transform_implILb0ES3_S5_N6thrust23THRUST_200600_302600_NS6detail15normal_iteratorINS8_7pointerIdNS8_11hip_rocprim5par_tENS8_11use_defaultESE_EEEENSA_INSB_IiSD_SE_SE_EEEEZNS1_13binary_searchIS3_S5_NSA_INS8_10device_ptrIdEEEESG_SI_NS1_16binary_search_opENS9_16wrapped_functionINS8_6system6detail7generic6detail18binary_search_lessEbEEEE10hipError_tPvRmT1_T2_T3_mmT4_T5_P12ihipStream_tbEUlRKdE_EESV_SZ_S10_mS11_S14_bEUlT_E_NS1_11comp_targetILNS1_3genE10ELNS1_11target_archE1201ELNS1_3gpuE5ELNS1_3repE0EEENS1_30default_config_static_selectorELNS0_4arch9wavefront6targetE1EEEvSY_.num_agpr, 0
	.set _ZN7rocprim17ROCPRIM_400000_NS6detail17trampoline_kernelINS0_14default_configENS1_29binary_search_config_selectorIdiEEZNS1_14transform_implILb0ES3_S5_N6thrust23THRUST_200600_302600_NS6detail15normal_iteratorINS8_7pointerIdNS8_11hip_rocprim5par_tENS8_11use_defaultESE_EEEENSA_INSB_IiSD_SE_SE_EEEEZNS1_13binary_searchIS3_S5_NSA_INS8_10device_ptrIdEEEESG_SI_NS1_16binary_search_opENS9_16wrapped_functionINS8_6system6detail7generic6detail18binary_search_lessEbEEEE10hipError_tPvRmT1_T2_T3_mmT4_T5_P12ihipStream_tbEUlRKdE_EESV_SZ_S10_mS11_S14_bEUlT_E_NS1_11comp_targetILNS1_3genE10ELNS1_11target_archE1201ELNS1_3gpuE5ELNS1_3repE0EEENS1_30default_config_static_selectorELNS0_4arch9wavefront6targetE1EEEvSY_.numbered_sgpr, 0
	.set _ZN7rocprim17ROCPRIM_400000_NS6detail17trampoline_kernelINS0_14default_configENS1_29binary_search_config_selectorIdiEEZNS1_14transform_implILb0ES3_S5_N6thrust23THRUST_200600_302600_NS6detail15normal_iteratorINS8_7pointerIdNS8_11hip_rocprim5par_tENS8_11use_defaultESE_EEEENSA_INSB_IiSD_SE_SE_EEEEZNS1_13binary_searchIS3_S5_NSA_INS8_10device_ptrIdEEEESG_SI_NS1_16binary_search_opENS9_16wrapped_functionINS8_6system6detail7generic6detail18binary_search_lessEbEEEE10hipError_tPvRmT1_T2_T3_mmT4_T5_P12ihipStream_tbEUlRKdE_EESV_SZ_S10_mS11_S14_bEUlT_E_NS1_11comp_targetILNS1_3genE10ELNS1_11target_archE1201ELNS1_3gpuE5ELNS1_3repE0EEENS1_30default_config_static_selectorELNS0_4arch9wavefront6targetE1EEEvSY_.num_named_barrier, 0
	.set _ZN7rocprim17ROCPRIM_400000_NS6detail17trampoline_kernelINS0_14default_configENS1_29binary_search_config_selectorIdiEEZNS1_14transform_implILb0ES3_S5_N6thrust23THRUST_200600_302600_NS6detail15normal_iteratorINS8_7pointerIdNS8_11hip_rocprim5par_tENS8_11use_defaultESE_EEEENSA_INSB_IiSD_SE_SE_EEEEZNS1_13binary_searchIS3_S5_NSA_INS8_10device_ptrIdEEEESG_SI_NS1_16binary_search_opENS9_16wrapped_functionINS8_6system6detail7generic6detail18binary_search_lessEbEEEE10hipError_tPvRmT1_T2_T3_mmT4_T5_P12ihipStream_tbEUlRKdE_EESV_SZ_S10_mS11_S14_bEUlT_E_NS1_11comp_targetILNS1_3genE10ELNS1_11target_archE1201ELNS1_3gpuE5ELNS1_3repE0EEENS1_30default_config_static_selectorELNS0_4arch9wavefront6targetE1EEEvSY_.private_seg_size, 0
	.set _ZN7rocprim17ROCPRIM_400000_NS6detail17trampoline_kernelINS0_14default_configENS1_29binary_search_config_selectorIdiEEZNS1_14transform_implILb0ES3_S5_N6thrust23THRUST_200600_302600_NS6detail15normal_iteratorINS8_7pointerIdNS8_11hip_rocprim5par_tENS8_11use_defaultESE_EEEENSA_INSB_IiSD_SE_SE_EEEEZNS1_13binary_searchIS3_S5_NSA_INS8_10device_ptrIdEEEESG_SI_NS1_16binary_search_opENS9_16wrapped_functionINS8_6system6detail7generic6detail18binary_search_lessEbEEEE10hipError_tPvRmT1_T2_T3_mmT4_T5_P12ihipStream_tbEUlRKdE_EESV_SZ_S10_mS11_S14_bEUlT_E_NS1_11comp_targetILNS1_3genE10ELNS1_11target_archE1201ELNS1_3gpuE5ELNS1_3repE0EEENS1_30default_config_static_selectorELNS0_4arch9wavefront6targetE1EEEvSY_.uses_vcc, 0
	.set _ZN7rocprim17ROCPRIM_400000_NS6detail17trampoline_kernelINS0_14default_configENS1_29binary_search_config_selectorIdiEEZNS1_14transform_implILb0ES3_S5_N6thrust23THRUST_200600_302600_NS6detail15normal_iteratorINS8_7pointerIdNS8_11hip_rocprim5par_tENS8_11use_defaultESE_EEEENSA_INSB_IiSD_SE_SE_EEEEZNS1_13binary_searchIS3_S5_NSA_INS8_10device_ptrIdEEEESG_SI_NS1_16binary_search_opENS9_16wrapped_functionINS8_6system6detail7generic6detail18binary_search_lessEbEEEE10hipError_tPvRmT1_T2_T3_mmT4_T5_P12ihipStream_tbEUlRKdE_EESV_SZ_S10_mS11_S14_bEUlT_E_NS1_11comp_targetILNS1_3genE10ELNS1_11target_archE1201ELNS1_3gpuE5ELNS1_3repE0EEENS1_30default_config_static_selectorELNS0_4arch9wavefront6targetE1EEEvSY_.uses_flat_scratch, 0
	.set _ZN7rocprim17ROCPRIM_400000_NS6detail17trampoline_kernelINS0_14default_configENS1_29binary_search_config_selectorIdiEEZNS1_14transform_implILb0ES3_S5_N6thrust23THRUST_200600_302600_NS6detail15normal_iteratorINS8_7pointerIdNS8_11hip_rocprim5par_tENS8_11use_defaultESE_EEEENSA_INSB_IiSD_SE_SE_EEEEZNS1_13binary_searchIS3_S5_NSA_INS8_10device_ptrIdEEEESG_SI_NS1_16binary_search_opENS9_16wrapped_functionINS8_6system6detail7generic6detail18binary_search_lessEbEEEE10hipError_tPvRmT1_T2_T3_mmT4_T5_P12ihipStream_tbEUlRKdE_EESV_SZ_S10_mS11_S14_bEUlT_E_NS1_11comp_targetILNS1_3genE10ELNS1_11target_archE1201ELNS1_3gpuE5ELNS1_3repE0EEENS1_30default_config_static_selectorELNS0_4arch9wavefront6targetE1EEEvSY_.has_dyn_sized_stack, 0
	.set _ZN7rocprim17ROCPRIM_400000_NS6detail17trampoline_kernelINS0_14default_configENS1_29binary_search_config_selectorIdiEEZNS1_14transform_implILb0ES3_S5_N6thrust23THRUST_200600_302600_NS6detail15normal_iteratorINS8_7pointerIdNS8_11hip_rocprim5par_tENS8_11use_defaultESE_EEEENSA_INSB_IiSD_SE_SE_EEEEZNS1_13binary_searchIS3_S5_NSA_INS8_10device_ptrIdEEEESG_SI_NS1_16binary_search_opENS9_16wrapped_functionINS8_6system6detail7generic6detail18binary_search_lessEbEEEE10hipError_tPvRmT1_T2_T3_mmT4_T5_P12ihipStream_tbEUlRKdE_EESV_SZ_S10_mS11_S14_bEUlT_E_NS1_11comp_targetILNS1_3genE10ELNS1_11target_archE1201ELNS1_3gpuE5ELNS1_3repE0EEENS1_30default_config_static_selectorELNS0_4arch9wavefront6targetE1EEEvSY_.has_recursion, 0
	.set _ZN7rocprim17ROCPRIM_400000_NS6detail17trampoline_kernelINS0_14default_configENS1_29binary_search_config_selectorIdiEEZNS1_14transform_implILb0ES3_S5_N6thrust23THRUST_200600_302600_NS6detail15normal_iteratorINS8_7pointerIdNS8_11hip_rocprim5par_tENS8_11use_defaultESE_EEEENSA_INSB_IiSD_SE_SE_EEEEZNS1_13binary_searchIS3_S5_NSA_INS8_10device_ptrIdEEEESG_SI_NS1_16binary_search_opENS9_16wrapped_functionINS8_6system6detail7generic6detail18binary_search_lessEbEEEE10hipError_tPvRmT1_T2_T3_mmT4_T5_P12ihipStream_tbEUlRKdE_EESV_SZ_S10_mS11_S14_bEUlT_E_NS1_11comp_targetILNS1_3genE10ELNS1_11target_archE1201ELNS1_3gpuE5ELNS1_3repE0EEENS1_30default_config_static_selectorELNS0_4arch9wavefront6targetE1EEEvSY_.has_indirect_call, 0
	.section	.AMDGPU.csdata,"",@progbits
; Kernel info:
; codeLenInByte = 0
; TotalNumSgprs: 4
; NumVgprs: 0
; ScratchSize: 0
; MemoryBound: 0
; FloatMode: 240
; IeeeMode: 1
; LDSByteSize: 0 bytes/workgroup (compile time only)
; SGPRBlocks: 0
; VGPRBlocks: 0
; NumSGPRsForWavesPerEU: 4
; NumVGPRsForWavesPerEU: 1
; Occupancy: 10
; WaveLimiterHint : 0
; COMPUTE_PGM_RSRC2:SCRATCH_EN: 0
; COMPUTE_PGM_RSRC2:USER_SGPR: 6
; COMPUTE_PGM_RSRC2:TRAP_HANDLER: 0
; COMPUTE_PGM_RSRC2:TGID_X_EN: 1
; COMPUTE_PGM_RSRC2:TGID_Y_EN: 0
; COMPUTE_PGM_RSRC2:TGID_Z_EN: 0
; COMPUTE_PGM_RSRC2:TIDIG_COMP_CNT: 0
	.section	.text._ZN7rocprim17ROCPRIM_400000_NS6detail17trampoline_kernelINS0_14default_configENS1_29binary_search_config_selectorIdiEEZNS1_14transform_implILb0ES3_S5_N6thrust23THRUST_200600_302600_NS6detail15normal_iteratorINS8_7pointerIdNS8_11hip_rocprim5par_tENS8_11use_defaultESE_EEEENSA_INSB_IiSD_SE_SE_EEEEZNS1_13binary_searchIS3_S5_NSA_INS8_10device_ptrIdEEEESG_SI_NS1_16binary_search_opENS9_16wrapped_functionINS8_6system6detail7generic6detail18binary_search_lessEbEEEE10hipError_tPvRmT1_T2_T3_mmT4_T5_P12ihipStream_tbEUlRKdE_EESV_SZ_S10_mS11_S14_bEUlT_E_NS1_11comp_targetILNS1_3genE10ELNS1_11target_archE1200ELNS1_3gpuE4ELNS1_3repE0EEENS1_30default_config_static_selectorELNS0_4arch9wavefront6targetE1EEEvSY_,"axG",@progbits,_ZN7rocprim17ROCPRIM_400000_NS6detail17trampoline_kernelINS0_14default_configENS1_29binary_search_config_selectorIdiEEZNS1_14transform_implILb0ES3_S5_N6thrust23THRUST_200600_302600_NS6detail15normal_iteratorINS8_7pointerIdNS8_11hip_rocprim5par_tENS8_11use_defaultESE_EEEENSA_INSB_IiSD_SE_SE_EEEEZNS1_13binary_searchIS3_S5_NSA_INS8_10device_ptrIdEEEESG_SI_NS1_16binary_search_opENS9_16wrapped_functionINS8_6system6detail7generic6detail18binary_search_lessEbEEEE10hipError_tPvRmT1_T2_T3_mmT4_T5_P12ihipStream_tbEUlRKdE_EESV_SZ_S10_mS11_S14_bEUlT_E_NS1_11comp_targetILNS1_3genE10ELNS1_11target_archE1200ELNS1_3gpuE4ELNS1_3repE0EEENS1_30default_config_static_selectorELNS0_4arch9wavefront6targetE1EEEvSY_,comdat
	.protected	_ZN7rocprim17ROCPRIM_400000_NS6detail17trampoline_kernelINS0_14default_configENS1_29binary_search_config_selectorIdiEEZNS1_14transform_implILb0ES3_S5_N6thrust23THRUST_200600_302600_NS6detail15normal_iteratorINS8_7pointerIdNS8_11hip_rocprim5par_tENS8_11use_defaultESE_EEEENSA_INSB_IiSD_SE_SE_EEEEZNS1_13binary_searchIS3_S5_NSA_INS8_10device_ptrIdEEEESG_SI_NS1_16binary_search_opENS9_16wrapped_functionINS8_6system6detail7generic6detail18binary_search_lessEbEEEE10hipError_tPvRmT1_T2_T3_mmT4_T5_P12ihipStream_tbEUlRKdE_EESV_SZ_S10_mS11_S14_bEUlT_E_NS1_11comp_targetILNS1_3genE10ELNS1_11target_archE1200ELNS1_3gpuE4ELNS1_3repE0EEENS1_30default_config_static_selectorELNS0_4arch9wavefront6targetE1EEEvSY_ ; -- Begin function _ZN7rocprim17ROCPRIM_400000_NS6detail17trampoline_kernelINS0_14default_configENS1_29binary_search_config_selectorIdiEEZNS1_14transform_implILb0ES3_S5_N6thrust23THRUST_200600_302600_NS6detail15normal_iteratorINS8_7pointerIdNS8_11hip_rocprim5par_tENS8_11use_defaultESE_EEEENSA_INSB_IiSD_SE_SE_EEEEZNS1_13binary_searchIS3_S5_NSA_INS8_10device_ptrIdEEEESG_SI_NS1_16binary_search_opENS9_16wrapped_functionINS8_6system6detail7generic6detail18binary_search_lessEbEEEE10hipError_tPvRmT1_T2_T3_mmT4_T5_P12ihipStream_tbEUlRKdE_EESV_SZ_S10_mS11_S14_bEUlT_E_NS1_11comp_targetILNS1_3genE10ELNS1_11target_archE1200ELNS1_3gpuE4ELNS1_3repE0EEENS1_30default_config_static_selectorELNS0_4arch9wavefront6targetE1EEEvSY_
	.globl	_ZN7rocprim17ROCPRIM_400000_NS6detail17trampoline_kernelINS0_14default_configENS1_29binary_search_config_selectorIdiEEZNS1_14transform_implILb0ES3_S5_N6thrust23THRUST_200600_302600_NS6detail15normal_iteratorINS8_7pointerIdNS8_11hip_rocprim5par_tENS8_11use_defaultESE_EEEENSA_INSB_IiSD_SE_SE_EEEEZNS1_13binary_searchIS3_S5_NSA_INS8_10device_ptrIdEEEESG_SI_NS1_16binary_search_opENS9_16wrapped_functionINS8_6system6detail7generic6detail18binary_search_lessEbEEEE10hipError_tPvRmT1_T2_T3_mmT4_T5_P12ihipStream_tbEUlRKdE_EESV_SZ_S10_mS11_S14_bEUlT_E_NS1_11comp_targetILNS1_3genE10ELNS1_11target_archE1200ELNS1_3gpuE4ELNS1_3repE0EEENS1_30default_config_static_selectorELNS0_4arch9wavefront6targetE1EEEvSY_
	.p2align	8
	.type	_ZN7rocprim17ROCPRIM_400000_NS6detail17trampoline_kernelINS0_14default_configENS1_29binary_search_config_selectorIdiEEZNS1_14transform_implILb0ES3_S5_N6thrust23THRUST_200600_302600_NS6detail15normal_iteratorINS8_7pointerIdNS8_11hip_rocprim5par_tENS8_11use_defaultESE_EEEENSA_INSB_IiSD_SE_SE_EEEEZNS1_13binary_searchIS3_S5_NSA_INS8_10device_ptrIdEEEESG_SI_NS1_16binary_search_opENS9_16wrapped_functionINS8_6system6detail7generic6detail18binary_search_lessEbEEEE10hipError_tPvRmT1_T2_T3_mmT4_T5_P12ihipStream_tbEUlRKdE_EESV_SZ_S10_mS11_S14_bEUlT_E_NS1_11comp_targetILNS1_3genE10ELNS1_11target_archE1200ELNS1_3gpuE4ELNS1_3repE0EEENS1_30default_config_static_selectorELNS0_4arch9wavefront6targetE1EEEvSY_,@function
_ZN7rocprim17ROCPRIM_400000_NS6detail17trampoline_kernelINS0_14default_configENS1_29binary_search_config_selectorIdiEEZNS1_14transform_implILb0ES3_S5_N6thrust23THRUST_200600_302600_NS6detail15normal_iteratorINS8_7pointerIdNS8_11hip_rocprim5par_tENS8_11use_defaultESE_EEEENSA_INSB_IiSD_SE_SE_EEEEZNS1_13binary_searchIS3_S5_NSA_INS8_10device_ptrIdEEEESG_SI_NS1_16binary_search_opENS9_16wrapped_functionINS8_6system6detail7generic6detail18binary_search_lessEbEEEE10hipError_tPvRmT1_T2_T3_mmT4_T5_P12ihipStream_tbEUlRKdE_EESV_SZ_S10_mS11_S14_bEUlT_E_NS1_11comp_targetILNS1_3genE10ELNS1_11target_archE1200ELNS1_3gpuE4ELNS1_3repE0EEENS1_30default_config_static_selectorELNS0_4arch9wavefront6targetE1EEEvSY_: ; @_ZN7rocprim17ROCPRIM_400000_NS6detail17trampoline_kernelINS0_14default_configENS1_29binary_search_config_selectorIdiEEZNS1_14transform_implILb0ES3_S5_N6thrust23THRUST_200600_302600_NS6detail15normal_iteratorINS8_7pointerIdNS8_11hip_rocprim5par_tENS8_11use_defaultESE_EEEENSA_INSB_IiSD_SE_SE_EEEEZNS1_13binary_searchIS3_S5_NSA_INS8_10device_ptrIdEEEESG_SI_NS1_16binary_search_opENS9_16wrapped_functionINS8_6system6detail7generic6detail18binary_search_lessEbEEEE10hipError_tPvRmT1_T2_T3_mmT4_T5_P12ihipStream_tbEUlRKdE_EESV_SZ_S10_mS11_S14_bEUlT_E_NS1_11comp_targetILNS1_3genE10ELNS1_11target_archE1200ELNS1_3gpuE4ELNS1_3repE0EEENS1_30default_config_static_selectorELNS0_4arch9wavefront6targetE1EEEvSY_
; %bb.0:
	.section	.rodata,"a",@progbits
	.p2align	6, 0x0
	.amdhsa_kernel _ZN7rocprim17ROCPRIM_400000_NS6detail17trampoline_kernelINS0_14default_configENS1_29binary_search_config_selectorIdiEEZNS1_14transform_implILb0ES3_S5_N6thrust23THRUST_200600_302600_NS6detail15normal_iteratorINS8_7pointerIdNS8_11hip_rocprim5par_tENS8_11use_defaultESE_EEEENSA_INSB_IiSD_SE_SE_EEEEZNS1_13binary_searchIS3_S5_NSA_INS8_10device_ptrIdEEEESG_SI_NS1_16binary_search_opENS9_16wrapped_functionINS8_6system6detail7generic6detail18binary_search_lessEbEEEE10hipError_tPvRmT1_T2_T3_mmT4_T5_P12ihipStream_tbEUlRKdE_EESV_SZ_S10_mS11_S14_bEUlT_E_NS1_11comp_targetILNS1_3genE10ELNS1_11target_archE1200ELNS1_3gpuE4ELNS1_3repE0EEENS1_30default_config_static_selectorELNS0_4arch9wavefront6targetE1EEEvSY_
		.amdhsa_group_segment_fixed_size 0
		.amdhsa_private_segment_fixed_size 0
		.amdhsa_kernarg_size 56
		.amdhsa_user_sgpr_count 6
		.amdhsa_user_sgpr_private_segment_buffer 1
		.amdhsa_user_sgpr_dispatch_ptr 0
		.amdhsa_user_sgpr_queue_ptr 0
		.amdhsa_user_sgpr_kernarg_segment_ptr 1
		.amdhsa_user_sgpr_dispatch_id 0
		.amdhsa_user_sgpr_flat_scratch_init 0
		.amdhsa_user_sgpr_private_segment_size 0
		.amdhsa_uses_dynamic_stack 0
		.amdhsa_system_sgpr_private_segment_wavefront_offset 0
		.amdhsa_system_sgpr_workgroup_id_x 1
		.amdhsa_system_sgpr_workgroup_id_y 0
		.amdhsa_system_sgpr_workgroup_id_z 0
		.amdhsa_system_sgpr_workgroup_info 0
		.amdhsa_system_vgpr_workitem_id 0
		.amdhsa_next_free_vgpr 1
		.amdhsa_next_free_sgpr 0
		.amdhsa_reserve_vcc 0
		.amdhsa_reserve_flat_scratch 0
		.amdhsa_float_round_mode_32 0
		.amdhsa_float_round_mode_16_64 0
		.amdhsa_float_denorm_mode_32 3
		.amdhsa_float_denorm_mode_16_64 3
		.amdhsa_dx10_clamp 1
		.amdhsa_ieee_mode 1
		.amdhsa_fp16_overflow 0
		.amdhsa_exception_fp_ieee_invalid_op 0
		.amdhsa_exception_fp_denorm_src 0
		.amdhsa_exception_fp_ieee_div_zero 0
		.amdhsa_exception_fp_ieee_overflow 0
		.amdhsa_exception_fp_ieee_underflow 0
		.amdhsa_exception_fp_ieee_inexact 0
		.amdhsa_exception_int_div_zero 0
	.end_amdhsa_kernel
	.section	.text._ZN7rocprim17ROCPRIM_400000_NS6detail17trampoline_kernelINS0_14default_configENS1_29binary_search_config_selectorIdiEEZNS1_14transform_implILb0ES3_S5_N6thrust23THRUST_200600_302600_NS6detail15normal_iteratorINS8_7pointerIdNS8_11hip_rocprim5par_tENS8_11use_defaultESE_EEEENSA_INSB_IiSD_SE_SE_EEEEZNS1_13binary_searchIS3_S5_NSA_INS8_10device_ptrIdEEEESG_SI_NS1_16binary_search_opENS9_16wrapped_functionINS8_6system6detail7generic6detail18binary_search_lessEbEEEE10hipError_tPvRmT1_T2_T3_mmT4_T5_P12ihipStream_tbEUlRKdE_EESV_SZ_S10_mS11_S14_bEUlT_E_NS1_11comp_targetILNS1_3genE10ELNS1_11target_archE1200ELNS1_3gpuE4ELNS1_3repE0EEENS1_30default_config_static_selectorELNS0_4arch9wavefront6targetE1EEEvSY_,"axG",@progbits,_ZN7rocprim17ROCPRIM_400000_NS6detail17trampoline_kernelINS0_14default_configENS1_29binary_search_config_selectorIdiEEZNS1_14transform_implILb0ES3_S5_N6thrust23THRUST_200600_302600_NS6detail15normal_iteratorINS8_7pointerIdNS8_11hip_rocprim5par_tENS8_11use_defaultESE_EEEENSA_INSB_IiSD_SE_SE_EEEEZNS1_13binary_searchIS3_S5_NSA_INS8_10device_ptrIdEEEESG_SI_NS1_16binary_search_opENS9_16wrapped_functionINS8_6system6detail7generic6detail18binary_search_lessEbEEEE10hipError_tPvRmT1_T2_T3_mmT4_T5_P12ihipStream_tbEUlRKdE_EESV_SZ_S10_mS11_S14_bEUlT_E_NS1_11comp_targetILNS1_3genE10ELNS1_11target_archE1200ELNS1_3gpuE4ELNS1_3repE0EEENS1_30default_config_static_selectorELNS0_4arch9wavefront6targetE1EEEvSY_,comdat
.Lfunc_end632:
	.size	_ZN7rocprim17ROCPRIM_400000_NS6detail17trampoline_kernelINS0_14default_configENS1_29binary_search_config_selectorIdiEEZNS1_14transform_implILb0ES3_S5_N6thrust23THRUST_200600_302600_NS6detail15normal_iteratorINS8_7pointerIdNS8_11hip_rocprim5par_tENS8_11use_defaultESE_EEEENSA_INSB_IiSD_SE_SE_EEEEZNS1_13binary_searchIS3_S5_NSA_INS8_10device_ptrIdEEEESG_SI_NS1_16binary_search_opENS9_16wrapped_functionINS8_6system6detail7generic6detail18binary_search_lessEbEEEE10hipError_tPvRmT1_T2_T3_mmT4_T5_P12ihipStream_tbEUlRKdE_EESV_SZ_S10_mS11_S14_bEUlT_E_NS1_11comp_targetILNS1_3genE10ELNS1_11target_archE1200ELNS1_3gpuE4ELNS1_3repE0EEENS1_30default_config_static_selectorELNS0_4arch9wavefront6targetE1EEEvSY_, .Lfunc_end632-_ZN7rocprim17ROCPRIM_400000_NS6detail17trampoline_kernelINS0_14default_configENS1_29binary_search_config_selectorIdiEEZNS1_14transform_implILb0ES3_S5_N6thrust23THRUST_200600_302600_NS6detail15normal_iteratorINS8_7pointerIdNS8_11hip_rocprim5par_tENS8_11use_defaultESE_EEEENSA_INSB_IiSD_SE_SE_EEEEZNS1_13binary_searchIS3_S5_NSA_INS8_10device_ptrIdEEEESG_SI_NS1_16binary_search_opENS9_16wrapped_functionINS8_6system6detail7generic6detail18binary_search_lessEbEEEE10hipError_tPvRmT1_T2_T3_mmT4_T5_P12ihipStream_tbEUlRKdE_EESV_SZ_S10_mS11_S14_bEUlT_E_NS1_11comp_targetILNS1_3genE10ELNS1_11target_archE1200ELNS1_3gpuE4ELNS1_3repE0EEENS1_30default_config_static_selectorELNS0_4arch9wavefront6targetE1EEEvSY_
                                        ; -- End function
	.set _ZN7rocprim17ROCPRIM_400000_NS6detail17trampoline_kernelINS0_14default_configENS1_29binary_search_config_selectorIdiEEZNS1_14transform_implILb0ES3_S5_N6thrust23THRUST_200600_302600_NS6detail15normal_iteratorINS8_7pointerIdNS8_11hip_rocprim5par_tENS8_11use_defaultESE_EEEENSA_INSB_IiSD_SE_SE_EEEEZNS1_13binary_searchIS3_S5_NSA_INS8_10device_ptrIdEEEESG_SI_NS1_16binary_search_opENS9_16wrapped_functionINS8_6system6detail7generic6detail18binary_search_lessEbEEEE10hipError_tPvRmT1_T2_T3_mmT4_T5_P12ihipStream_tbEUlRKdE_EESV_SZ_S10_mS11_S14_bEUlT_E_NS1_11comp_targetILNS1_3genE10ELNS1_11target_archE1200ELNS1_3gpuE4ELNS1_3repE0EEENS1_30default_config_static_selectorELNS0_4arch9wavefront6targetE1EEEvSY_.num_vgpr, 0
	.set _ZN7rocprim17ROCPRIM_400000_NS6detail17trampoline_kernelINS0_14default_configENS1_29binary_search_config_selectorIdiEEZNS1_14transform_implILb0ES3_S5_N6thrust23THRUST_200600_302600_NS6detail15normal_iteratorINS8_7pointerIdNS8_11hip_rocprim5par_tENS8_11use_defaultESE_EEEENSA_INSB_IiSD_SE_SE_EEEEZNS1_13binary_searchIS3_S5_NSA_INS8_10device_ptrIdEEEESG_SI_NS1_16binary_search_opENS9_16wrapped_functionINS8_6system6detail7generic6detail18binary_search_lessEbEEEE10hipError_tPvRmT1_T2_T3_mmT4_T5_P12ihipStream_tbEUlRKdE_EESV_SZ_S10_mS11_S14_bEUlT_E_NS1_11comp_targetILNS1_3genE10ELNS1_11target_archE1200ELNS1_3gpuE4ELNS1_3repE0EEENS1_30default_config_static_selectorELNS0_4arch9wavefront6targetE1EEEvSY_.num_agpr, 0
	.set _ZN7rocprim17ROCPRIM_400000_NS6detail17trampoline_kernelINS0_14default_configENS1_29binary_search_config_selectorIdiEEZNS1_14transform_implILb0ES3_S5_N6thrust23THRUST_200600_302600_NS6detail15normal_iteratorINS8_7pointerIdNS8_11hip_rocprim5par_tENS8_11use_defaultESE_EEEENSA_INSB_IiSD_SE_SE_EEEEZNS1_13binary_searchIS3_S5_NSA_INS8_10device_ptrIdEEEESG_SI_NS1_16binary_search_opENS9_16wrapped_functionINS8_6system6detail7generic6detail18binary_search_lessEbEEEE10hipError_tPvRmT1_T2_T3_mmT4_T5_P12ihipStream_tbEUlRKdE_EESV_SZ_S10_mS11_S14_bEUlT_E_NS1_11comp_targetILNS1_3genE10ELNS1_11target_archE1200ELNS1_3gpuE4ELNS1_3repE0EEENS1_30default_config_static_selectorELNS0_4arch9wavefront6targetE1EEEvSY_.numbered_sgpr, 0
	.set _ZN7rocprim17ROCPRIM_400000_NS6detail17trampoline_kernelINS0_14default_configENS1_29binary_search_config_selectorIdiEEZNS1_14transform_implILb0ES3_S5_N6thrust23THRUST_200600_302600_NS6detail15normal_iteratorINS8_7pointerIdNS8_11hip_rocprim5par_tENS8_11use_defaultESE_EEEENSA_INSB_IiSD_SE_SE_EEEEZNS1_13binary_searchIS3_S5_NSA_INS8_10device_ptrIdEEEESG_SI_NS1_16binary_search_opENS9_16wrapped_functionINS8_6system6detail7generic6detail18binary_search_lessEbEEEE10hipError_tPvRmT1_T2_T3_mmT4_T5_P12ihipStream_tbEUlRKdE_EESV_SZ_S10_mS11_S14_bEUlT_E_NS1_11comp_targetILNS1_3genE10ELNS1_11target_archE1200ELNS1_3gpuE4ELNS1_3repE0EEENS1_30default_config_static_selectorELNS0_4arch9wavefront6targetE1EEEvSY_.num_named_barrier, 0
	.set _ZN7rocprim17ROCPRIM_400000_NS6detail17trampoline_kernelINS0_14default_configENS1_29binary_search_config_selectorIdiEEZNS1_14transform_implILb0ES3_S5_N6thrust23THRUST_200600_302600_NS6detail15normal_iteratorINS8_7pointerIdNS8_11hip_rocprim5par_tENS8_11use_defaultESE_EEEENSA_INSB_IiSD_SE_SE_EEEEZNS1_13binary_searchIS3_S5_NSA_INS8_10device_ptrIdEEEESG_SI_NS1_16binary_search_opENS9_16wrapped_functionINS8_6system6detail7generic6detail18binary_search_lessEbEEEE10hipError_tPvRmT1_T2_T3_mmT4_T5_P12ihipStream_tbEUlRKdE_EESV_SZ_S10_mS11_S14_bEUlT_E_NS1_11comp_targetILNS1_3genE10ELNS1_11target_archE1200ELNS1_3gpuE4ELNS1_3repE0EEENS1_30default_config_static_selectorELNS0_4arch9wavefront6targetE1EEEvSY_.private_seg_size, 0
	.set _ZN7rocprim17ROCPRIM_400000_NS6detail17trampoline_kernelINS0_14default_configENS1_29binary_search_config_selectorIdiEEZNS1_14transform_implILb0ES3_S5_N6thrust23THRUST_200600_302600_NS6detail15normal_iteratorINS8_7pointerIdNS8_11hip_rocprim5par_tENS8_11use_defaultESE_EEEENSA_INSB_IiSD_SE_SE_EEEEZNS1_13binary_searchIS3_S5_NSA_INS8_10device_ptrIdEEEESG_SI_NS1_16binary_search_opENS9_16wrapped_functionINS8_6system6detail7generic6detail18binary_search_lessEbEEEE10hipError_tPvRmT1_T2_T3_mmT4_T5_P12ihipStream_tbEUlRKdE_EESV_SZ_S10_mS11_S14_bEUlT_E_NS1_11comp_targetILNS1_3genE10ELNS1_11target_archE1200ELNS1_3gpuE4ELNS1_3repE0EEENS1_30default_config_static_selectorELNS0_4arch9wavefront6targetE1EEEvSY_.uses_vcc, 0
	.set _ZN7rocprim17ROCPRIM_400000_NS6detail17trampoline_kernelINS0_14default_configENS1_29binary_search_config_selectorIdiEEZNS1_14transform_implILb0ES3_S5_N6thrust23THRUST_200600_302600_NS6detail15normal_iteratorINS8_7pointerIdNS8_11hip_rocprim5par_tENS8_11use_defaultESE_EEEENSA_INSB_IiSD_SE_SE_EEEEZNS1_13binary_searchIS3_S5_NSA_INS8_10device_ptrIdEEEESG_SI_NS1_16binary_search_opENS9_16wrapped_functionINS8_6system6detail7generic6detail18binary_search_lessEbEEEE10hipError_tPvRmT1_T2_T3_mmT4_T5_P12ihipStream_tbEUlRKdE_EESV_SZ_S10_mS11_S14_bEUlT_E_NS1_11comp_targetILNS1_3genE10ELNS1_11target_archE1200ELNS1_3gpuE4ELNS1_3repE0EEENS1_30default_config_static_selectorELNS0_4arch9wavefront6targetE1EEEvSY_.uses_flat_scratch, 0
	.set _ZN7rocprim17ROCPRIM_400000_NS6detail17trampoline_kernelINS0_14default_configENS1_29binary_search_config_selectorIdiEEZNS1_14transform_implILb0ES3_S5_N6thrust23THRUST_200600_302600_NS6detail15normal_iteratorINS8_7pointerIdNS8_11hip_rocprim5par_tENS8_11use_defaultESE_EEEENSA_INSB_IiSD_SE_SE_EEEEZNS1_13binary_searchIS3_S5_NSA_INS8_10device_ptrIdEEEESG_SI_NS1_16binary_search_opENS9_16wrapped_functionINS8_6system6detail7generic6detail18binary_search_lessEbEEEE10hipError_tPvRmT1_T2_T3_mmT4_T5_P12ihipStream_tbEUlRKdE_EESV_SZ_S10_mS11_S14_bEUlT_E_NS1_11comp_targetILNS1_3genE10ELNS1_11target_archE1200ELNS1_3gpuE4ELNS1_3repE0EEENS1_30default_config_static_selectorELNS0_4arch9wavefront6targetE1EEEvSY_.has_dyn_sized_stack, 0
	.set _ZN7rocprim17ROCPRIM_400000_NS6detail17trampoline_kernelINS0_14default_configENS1_29binary_search_config_selectorIdiEEZNS1_14transform_implILb0ES3_S5_N6thrust23THRUST_200600_302600_NS6detail15normal_iteratorINS8_7pointerIdNS8_11hip_rocprim5par_tENS8_11use_defaultESE_EEEENSA_INSB_IiSD_SE_SE_EEEEZNS1_13binary_searchIS3_S5_NSA_INS8_10device_ptrIdEEEESG_SI_NS1_16binary_search_opENS9_16wrapped_functionINS8_6system6detail7generic6detail18binary_search_lessEbEEEE10hipError_tPvRmT1_T2_T3_mmT4_T5_P12ihipStream_tbEUlRKdE_EESV_SZ_S10_mS11_S14_bEUlT_E_NS1_11comp_targetILNS1_3genE10ELNS1_11target_archE1200ELNS1_3gpuE4ELNS1_3repE0EEENS1_30default_config_static_selectorELNS0_4arch9wavefront6targetE1EEEvSY_.has_recursion, 0
	.set _ZN7rocprim17ROCPRIM_400000_NS6detail17trampoline_kernelINS0_14default_configENS1_29binary_search_config_selectorIdiEEZNS1_14transform_implILb0ES3_S5_N6thrust23THRUST_200600_302600_NS6detail15normal_iteratorINS8_7pointerIdNS8_11hip_rocprim5par_tENS8_11use_defaultESE_EEEENSA_INSB_IiSD_SE_SE_EEEEZNS1_13binary_searchIS3_S5_NSA_INS8_10device_ptrIdEEEESG_SI_NS1_16binary_search_opENS9_16wrapped_functionINS8_6system6detail7generic6detail18binary_search_lessEbEEEE10hipError_tPvRmT1_T2_T3_mmT4_T5_P12ihipStream_tbEUlRKdE_EESV_SZ_S10_mS11_S14_bEUlT_E_NS1_11comp_targetILNS1_3genE10ELNS1_11target_archE1200ELNS1_3gpuE4ELNS1_3repE0EEENS1_30default_config_static_selectorELNS0_4arch9wavefront6targetE1EEEvSY_.has_indirect_call, 0
	.section	.AMDGPU.csdata,"",@progbits
; Kernel info:
; codeLenInByte = 0
; TotalNumSgprs: 4
; NumVgprs: 0
; ScratchSize: 0
; MemoryBound: 0
; FloatMode: 240
; IeeeMode: 1
; LDSByteSize: 0 bytes/workgroup (compile time only)
; SGPRBlocks: 0
; VGPRBlocks: 0
; NumSGPRsForWavesPerEU: 4
; NumVGPRsForWavesPerEU: 1
; Occupancy: 10
; WaveLimiterHint : 0
; COMPUTE_PGM_RSRC2:SCRATCH_EN: 0
; COMPUTE_PGM_RSRC2:USER_SGPR: 6
; COMPUTE_PGM_RSRC2:TRAP_HANDLER: 0
; COMPUTE_PGM_RSRC2:TGID_X_EN: 1
; COMPUTE_PGM_RSRC2:TGID_Y_EN: 0
; COMPUTE_PGM_RSRC2:TGID_Z_EN: 0
; COMPUTE_PGM_RSRC2:TIDIG_COMP_CNT: 0
	.section	.text._ZN7rocprim17ROCPRIM_400000_NS6detail17trampoline_kernelINS0_14default_configENS1_29binary_search_config_selectorIdiEEZNS1_14transform_implILb0ES3_S5_N6thrust23THRUST_200600_302600_NS6detail15normal_iteratorINS8_7pointerIdNS8_11hip_rocprim5par_tENS8_11use_defaultESE_EEEENSA_INSB_IiSD_SE_SE_EEEEZNS1_13binary_searchIS3_S5_NSA_INS8_10device_ptrIdEEEESG_SI_NS1_16binary_search_opENS9_16wrapped_functionINS8_6system6detail7generic6detail18binary_search_lessEbEEEE10hipError_tPvRmT1_T2_T3_mmT4_T5_P12ihipStream_tbEUlRKdE_EESV_SZ_S10_mS11_S14_bEUlT_E_NS1_11comp_targetILNS1_3genE9ELNS1_11target_archE1100ELNS1_3gpuE3ELNS1_3repE0EEENS1_30default_config_static_selectorELNS0_4arch9wavefront6targetE1EEEvSY_,"axG",@progbits,_ZN7rocprim17ROCPRIM_400000_NS6detail17trampoline_kernelINS0_14default_configENS1_29binary_search_config_selectorIdiEEZNS1_14transform_implILb0ES3_S5_N6thrust23THRUST_200600_302600_NS6detail15normal_iteratorINS8_7pointerIdNS8_11hip_rocprim5par_tENS8_11use_defaultESE_EEEENSA_INSB_IiSD_SE_SE_EEEEZNS1_13binary_searchIS3_S5_NSA_INS8_10device_ptrIdEEEESG_SI_NS1_16binary_search_opENS9_16wrapped_functionINS8_6system6detail7generic6detail18binary_search_lessEbEEEE10hipError_tPvRmT1_T2_T3_mmT4_T5_P12ihipStream_tbEUlRKdE_EESV_SZ_S10_mS11_S14_bEUlT_E_NS1_11comp_targetILNS1_3genE9ELNS1_11target_archE1100ELNS1_3gpuE3ELNS1_3repE0EEENS1_30default_config_static_selectorELNS0_4arch9wavefront6targetE1EEEvSY_,comdat
	.protected	_ZN7rocprim17ROCPRIM_400000_NS6detail17trampoline_kernelINS0_14default_configENS1_29binary_search_config_selectorIdiEEZNS1_14transform_implILb0ES3_S5_N6thrust23THRUST_200600_302600_NS6detail15normal_iteratorINS8_7pointerIdNS8_11hip_rocprim5par_tENS8_11use_defaultESE_EEEENSA_INSB_IiSD_SE_SE_EEEEZNS1_13binary_searchIS3_S5_NSA_INS8_10device_ptrIdEEEESG_SI_NS1_16binary_search_opENS9_16wrapped_functionINS8_6system6detail7generic6detail18binary_search_lessEbEEEE10hipError_tPvRmT1_T2_T3_mmT4_T5_P12ihipStream_tbEUlRKdE_EESV_SZ_S10_mS11_S14_bEUlT_E_NS1_11comp_targetILNS1_3genE9ELNS1_11target_archE1100ELNS1_3gpuE3ELNS1_3repE0EEENS1_30default_config_static_selectorELNS0_4arch9wavefront6targetE1EEEvSY_ ; -- Begin function _ZN7rocprim17ROCPRIM_400000_NS6detail17trampoline_kernelINS0_14default_configENS1_29binary_search_config_selectorIdiEEZNS1_14transform_implILb0ES3_S5_N6thrust23THRUST_200600_302600_NS6detail15normal_iteratorINS8_7pointerIdNS8_11hip_rocprim5par_tENS8_11use_defaultESE_EEEENSA_INSB_IiSD_SE_SE_EEEEZNS1_13binary_searchIS3_S5_NSA_INS8_10device_ptrIdEEEESG_SI_NS1_16binary_search_opENS9_16wrapped_functionINS8_6system6detail7generic6detail18binary_search_lessEbEEEE10hipError_tPvRmT1_T2_T3_mmT4_T5_P12ihipStream_tbEUlRKdE_EESV_SZ_S10_mS11_S14_bEUlT_E_NS1_11comp_targetILNS1_3genE9ELNS1_11target_archE1100ELNS1_3gpuE3ELNS1_3repE0EEENS1_30default_config_static_selectorELNS0_4arch9wavefront6targetE1EEEvSY_
	.globl	_ZN7rocprim17ROCPRIM_400000_NS6detail17trampoline_kernelINS0_14default_configENS1_29binary_search_config_selectorIdiEEZNS1_14transform_implILb0ES3_S5_N6thrust23THRUST_200600_302600_NS6detail15normal_iteratorINS8_7pointerIdNS8_11hip_rocprim5par_tENS8_11use_defaultESE_EEEENSA_INSB_IiSD_SE_SE_EEEEZNS1_13binary_searchIS3_S5_NSA_INS8_10device_ptrIdEEEESG_SI_NS1_16binary_search_opENS9_16wrapped_functionINS8_6system6detail7generic6detail18binary_search_lessEbEEEE10hipError_tPvRmT1_T2_T3_mmT4_T5_P12ihipStream_tbEUlRKdE_EESV_SZ_S10_mS11_S14_bEUlT_E_NS1_11comp_targetILNS1_3genE9ELNS1_11target_archE1100ELNS1_3gpuE3ELNS1_3repE0EEENS1_30default_config_static_selectorELNS0_4arch9wavefront6targetE1EEEvSY_
	.p2align	8
	.type	_ZN7rocprim17ROCPRIM_400000_NS6detail17trampoline_kernelINS0_14default_configENS1_29binary_search_config_selectorIdiEEZNS1_14transform_implILb0ES3_S5_N6thrust23THRUST_200600_302600_NS6detail15normal_iteratorINS8_7pointerIdNS8_11hip_rocprim5par_tENS8_11use_defaultESE_EEEENSA_INSB_IiSD_SE_SE_EEEEZNS1_13binary_searchIS3_S5_NSA_INS8_10device_ptrIdEEEESG_SI_NS1_16binary_search_opENS9_16wrapped_functionINS8_6system6detail7generic6detail18binary_search_lessEbEEEE10hipError_tPvRmT1_T2_T3_mmT4_T5_P12ihipStream_tbEUlRKdE_EESV_SZ_S10_mS11_S14_bEUlT_E_NS1_11comp_targetILNS1_3genE9ELNS1_11target_archE1100ELNS1_3gpuE3ELNS1_3repE0EEENS1_30default_config_static_selectorELNS0_4arch9wavefront6targetE1EEEvSY_,@function
_ZN7rocprim17ROCPRIM_400000_NS6detail17trampoline_kernelINS0_14default_configENS1_29binary_search_config_selectorIdiEEZNS1_14transform_implILb0ES3_S5_N6thrust23THRUST_200600_302600_NS6detail15normal_iteratorINS8_7pointerIdNS8_11hip_rocprim5par_tENS8_11use_defaultESE_EEEENSA_INSB_IiSD_SE_SE_EEEEZNS1_13binary_searchIS3_S5_NSA_INS8_10device_ptrIdEEEESG_SI_NS1_16binary_search_opENS9_16wrapped_functionINS8_6system6detail7generic6detail18binary_search_lessEbEEEE10hipError_tPvRmT1_T2_T3_mmT4_T5_P12ihipStream_tbEUlRKdE_EESV_SZ_S10_mS11_S14_bEUlT_E_NS1_11comp_targetILNS1_3genE9ELNS1_11target_archE1100ELNS1_3gpuE3ELNS1_3repE0EEENS1_30default_config_static_selectorELNS0_4arch9wavefront6targetE1EEEvSY_: ; @_ZN7rocprim17ROCPRIM_400000_NS6detail17trampoline_kernelINS0_14default_configENS1_29binary_search_config_selectorIdiEEZNS1_14transform_implILb0ES3_S5_N6thrust23THRUST_200600_302600_NS6detail15normal_iteratorINS8_7pointerIdNS8_11hip_rocprim5par_tENS8_11use_defaultESE_EEEENSA_INSB_IiSD_SE_SE_EEEEZNS1_13binary_searchIS3_S5_NSA_INS8_10device_ptrIdEEEESG_SI_NS1_16binary_search_opENS9_16wrapped_functionINS8_6system6detail7generic6detail18binary_search_lessEbEEEE10hipError_tPvRmT1_T2_T3_mmT4_T5_P12ihipStream_tbEUlRKdE_EESV_SZ_S10_mS11_S14_bEUlT_E_NS1_11comp_targetILNS1_3genE9ELNS1_11target_archE1100ELNS1_3gpuE3ELNS1_3repE0EEENS1_30default_config_static_selectorELNS0_4arch9wavefront6targetE1EEEvSY_
; %bb.0:
	.section	.rodata,"a",@progbits
	.p2align	6, 0x0
	.amdhsa_kernel _ZN7rocprim17ROCPRIM_400000_NS6detail17trampoline_kernelINS0_14default_configENS1_29binary_search_config_selectorIdiEEZNS1_14transform_implILb0ES3_S5_N6thrust23THRUST_200600_302600_NS6detail15normal_iteratorINS8_7pointerIdNS8_11hip_rocprim5par_tENS8_11use_defaultESE_EEEENSA_INSB_IiSD_SE_SE_EEEEZNS1_13binary_searchIS3_S5_NSA_INS8_10device_ptrIdEEEESG_SI_NS1_16binary_search_opENS9_16wrapped_functionINS8_6system6detail7generic6detail18binary_search_lessEbEEEE10hipError_tPvRmT1_T2_T3_mmT4_T5_P12ihipStream_tbEUlRKdE_EESV_SZ_S10_mS11_S14_bEUlT_E_NS1_11comp_targetILNS1_3genE9ELNS1_11target_archE1100ELNS1_3gpuE3ELNS1_3repE0EEENS1_30default_config_static_selectorELNS0_4arch9wavefront6targetE1EEEvSY_
		.amdhsa_group_segment_fixed_size 0
		.amdhsa_private_segment_fixed_size 0
		.amdhsa_kernarg_size 56
		.amdhsa_user_sgpr_count 6
		.amdhsa_user_sgpr_private_segment_buffer 1
		.amdhsa_user_sgpr_dispatch_ptr 0
		.amdhsa_user_sgpr_queue_ptr 0
		.amdhsa_user_sgpr_kernarg_segment_ptr 1
		.amdhsa_user_sgpr_dispatch_id 0
		.amdhsa_user_sgpr_flat_scratch_init 0
		.amdhsa_user_sgpr_private_segment_size 0
		.amdhsa_uses_dynamic_stack 0
		.amdhsa_system_sgpr_private_segment_wavefront_offset 0
		.amdhsa_system_sgpr_workgroup_id_x 1
		.amdhsa_system_sgpr_workgroup_id_y 0
		.amdhsa_system_sgpr_workgroup_id_z 0
		.amdhsa_system_sgpr_workgroup_info 0
		.amdhsa_system_vgpr_workitem_id 0
		.amdhsa_next_free_vgpr 1
		.amdhsa_next_free_sgpr 0
		.amdhsa_reserve_vcc 0
		.amdhsa_reserve_flat_scratch 0
		.amdhsa_float_round_mode_32 0
		.amdhsa_float_round_mode_16_64 0
		.amdhsa_float_denorm_mode_32 3
		.amdhsa_float_denorm_mode_16_64 3
		.amdhsa_dx10_clamp 1
		.amdhsa_ieee_mode 1
		.amdhsa_fp16_overflow 0
		.amdhsa_exception_fp_ieee_invalid_op 0
		.amdhsa_exception_fp_denorm_src 0
		.amdhsa_exception_fp_ieee_div_zero 0
		.amdhsa_exception_fp_ieee_overflow 0
		.amdhsa_exception_fp_ieee_underflow 0
		.amdhsa_exception_fp_ieee_inexact 0
		.amdhsa_exception_int_div_zero 0
	.end_amdhsa_kernel
	.section	.text._ZN7rocprim17ROCPRIM_400000_NS6detail17trampoline_kernelINS0_14default_configENS1_29binary_search_config_selectorIdiEEZNS1_14transform_implILb0ES3_S5_N6thrust23THRUST_200600_302600_NS6detail15normal_iteratorINS8_7pointerIdNS8_11hip_rocprim5par_tENS8_11use_defaultESE_EEEENSA_INSB_IiSD_SE_SE_EEEEZNS1_13binary_searchIS3_S5_NSA_INS8_10device_ptrIdEEEESG_SI_NS1_16binary_search_opENS9_16wrapped_functionINS8_6system6detail7generic6detail18binary_search_lessEbEEEE10hipError_tPvRmT1_T2_T3_mmT4_T5_P12ihipStream_tbEUlRKdE_EESV_SZ_S10_mS11_S14_bEUlT_E_NS1_11comp_targetILNS1_3genE9ELNS1_11target_archE1100ELNS1_3gpuE3ELNS1_3repE0EEENS1_30default_config_static_selectorELNS0_4arch9wavefront6targetE1EEEvSY_,"axG",@progbits,_ZN7rocprim17ROCPRIM_400000_NS6detail17trampoline_kernelINS0_14default_configENS1_29binary_search_config_selectorIdiEEZNS1_14transform_implILb0ES3_S5_N6thrust23THRUST_200600_302600_NS6detail15normal_iteratorINS8_7pointerIdNS8_11hip_rocprim5par_tENS8_11use_defaultESE_EEEENSA_INSB_IiSD_SE_SE_EEEEZNS1_13binary_searchIS3_S5_NSA_INS8_10device_ptrIdEEEESG_SI_NS1_16binary_search_opENS9_16wrapped_functionINS8_6system6detail7generic6detail18binary_search_lessEbEEEE10hipError_tPvRmT1_T2_T3_mmT4_T5_P12ihipStream_tbEUlRKdE_EESV_SZ_S10_mS11_S14_bEUlT_E_NS1_11comp_targetILNS1_3genE9ELNS1_11target_archE1100ELNS1_3gpuE3ELNS1_3repE0EEENS1_30default_config_static_selectorELNS0_4arch9wavefront6targetE1EEEvSY_,comdat
.Lfunc_end633:
	.size	_ZN7rocprim17ROCPRIM_400000_NS6detail17trampoline_kernelINS0_14default_configENS1_29binary_search_config_selectorIdiEEZNS1_14transform_implILb0ES3_S5_N6thrust23THRUST_200600_302600_NS6detail15normal_iteratorINS8_7pointerIdNS8_11hip_rocprim5par_tENS8_11use_defaultESE_EEEENSA_INSB_IiSD_SE_SE_EEEEZNS1_13binary_searchIS3_S5_NSA_INS8_10device_ptrIdEEEESG_SI_NS1_16binary_search_opENS9_16wrapped_functionINS8_6system6detail7generic6detail18binary_search_lessEbEEEE10hipError_tPvRmT1_T2_T3_mmT4_T5_P12ihipStream_tbEUlRKdE_EESV_SZ_S10_mS11_S14_bEUlT_E_NS1_11comp_targetILNS1_3genE9ELNS1_11target_archE1100ELNS1_3gpuE3ELNS1_3repE0EEENS1_30default_config_static_selectorELNS0_4arch9wavefront6targetE1EEEvSY_, .Lfunc_end633-_ZN7rocprim17ROCPRIM_400000_NS6detail17trampoline_kernelINS0_14default_configENS1_29binary_search_config_selectorIdiEEZNS1_14transform_implILb0ES3_S5_N6thrust23THRUST_200600_302600_NS6detail15normal_iteratorINS8_7pointerIdNS8_11hip_rocprim5par_tENS8_11use_defaultESE_EEEENSA_INSB_IiSD_SE_SE_EEEEZNS1_13binary_searchIS3_S5_NSA_INS8_10device_ptrIdEEEESG_SI_NS1_16binary_search_opENS9_16wrapped_functionINS8_6system6detail7generic6detail18binary_search_lessEbEEEE10hipError_tPvRmT1_T2_T3_mmT4_T5_P12ihipStream_tbEUlRKdE_EESV_SZ_S10_mS11_S14_bEUlT_E_NS1_11comp_targetILNS1_3genE9ELNS1_11target_archE1100ELNS1_3gpuE3ELNS1_3repE0EEENS1_30default_config_static_selectorELNS0_4arch9wavefront6targetE1EEEvSY_
                                        ; -- End function
	.set _ZN7rocprim17ROCPRIM_400000_NS6detail17trampoline_kernelINS0_14default_configENS1_29binary_search_config_selectorIdiEEZNS1_14transform_implILb0ES3_S5_N6thrust23THRUST_200600_302600_NS6detail15normal_iteratorINS8_7pointerIdNS8_11hip_rocprim5par_tENS8_11use_defaultESE_EEEENSA_INSB_IiSD_SE_SE_EEEEZNS1_13binary_searchIS3_S5_NSA_INS8_10device_ptrIdEEEESG_SI_NS1_16binary_search_opENS9_16wrapped_functionINS8_6system6detail7generic6detail18binary_search_lessEbEEEE10hipError_tPvRmT1_T2_T3_mmT4_T5_P12ihipStream_tbEUlRKdE_EESV_SZ_S10_mS11_S14_bEUlT_E_NS1_11comp_targetILNS1_3genE9ELNS1_11target_archE1100ELNS1_3gpuE3ELNS1_3repE0EEENS1_30default_config_static_selectorELNS0_4arch9wavefront6targetE1EEEvSY_.num_vgpr, 0
	.set _ZN7rocprim17ROCPRIM_400000_NS6detail17trampoline_kernelINS0_14default_configENS1_29binary_search_config_selectorIdiEEZNS1_14transform_implILb0ES3_S5_N6thrust23THRUST_200600_302600_NS6detail15normal_iteratorINS8_7pointerIdNS8_11hip_rocprim5par_tENS8_11use_defaultESE_EEEENSA_INSB_IiSD_SE_SE_EEEEZNS1_13binary_searchIS3_S5_NSA_INS8_10device_ptrIdEEEESG_SI_NS1_16binary_search_opENS9_16wrapped_functionINS8_6system6detail7generic6detail18binary_search_lessEbEEEE10hipError_tPvRmT1_T2_T3_mmT4_T5_P12ihipStream_tbEUlRKdE_EESV_SZ_S10_mS11_S14_bEUlT_E_NS1_11comp_targetILNS1_3genE9ELNS1_11target_archE1100ELNS1_3gpuE3ELNS1_3repE0EEENS1_30default_config_static_selectorELNS0_4arch9wavefront6targetE1EEEvSY_.num_agpr, 0
	.set _ZN7rocprim17ROCPRIM_400000_NS6detail17trampoline_kernelINS0_14default_configENS1_29binary_search_config_selectorIdiEEZNS1_14transform_implILb0ES3_S5_N6thrust23THRUST_200600_302600_NS6detail15normal_iteratorINS8_7pointerIdNS8_11hip_rocprim5par_tENS8_11use_defaultESE_EEEENSA_INSB_IiSD_SE_SE_EEEEZNS1_13binary_searchIS3_S5_NSA_INS8_10device_ptrIdEEEESG_SI_NS1_16binary_search_opENS9_16wrapped_functionINS8_6system6detail7generic6detail18binary_search_lessEbEEEE10hipError_tPvRmT1_T2_T3_mmT4_T5_P12ihipStream_tbEUlRKdE_EESV_SZ_S10_mS11_S14_bEUlT_E_NS1_11comp_targetILNS1_3genE9ELNS1_11target_archE1100ELNS1_3gpuE3ELNS1_3repE0EEENS1_30default_config_static_selectorELNS0_4arch9wavefront6targetE1EEEvSY_.numbered_sgpr, 0
	.set _ZN7rocprim17ROCPRIM_400000_NS6detail17trampoline_kernelINS0_14default_configENS1_29binary_search_config_selectorIdiEEZNS1_14transform_implILb0ES3_S5_N6thrust23THRUST_200600_302600_NS6detail15normal_iteratorINS8_7pointerIdNS8_11hip_rocprim5par_tENS8_11use_defaultESE_EEEENSA_INSB_IiSD_SE_SE_EEEEZNS1_13binary_searchIS3_S5_NSA_INS8_10device_ptrIdEEEESG_SI_NS1_16binary_search_opENS9_16wrapped_functionINS8_6system6detail7generic6detail18binary_search_lessEbEEEE10hipError_tPvRmT1_T2_T3_mmT4_T5_P12ihipStream_tbEUlRKdE_EESV_SZ_S10_mS11_S14_bEUlT_E_NS1_11comp_targetILNS1_3genE9ELNS1_11target_archE1100ELNS1_3gpuE3ELNS1_3repE0EEENS1_30default_config_static_selectorELNS0_4arch9wavefront6targetE1EEEvSY_.num_named_barrier, 0
	.set _ZN7rocprim17ROCPRIM_400000_NS6detail17trampoline_kernelINS0_14default_configENS1_29binary_search_config_selectorIdiEEZNS1_14transform_implILb0ES3_S5_N6thrust23THRUST_200600_302600_NS6detail15normal_iteratorINS8_7pointerIdNS8_11hip_rocprim5par_tENS8_11use_defaultESE_EEEENSA_INSB_IiSD_SE_SE_EEEEZNS1_13binary_searchIS3_S5_NSA_INS8_10device_ptrIdEEEESG_SI_NS1_16binary_search_opENS9_16wrapped_functionINS8_6system6detail7generic6detail18binary_search_lessEbEEEE10hipError_tPvRmT1_T2_T3_mmT4_T5_P12ihipStream_tbEUlRKdE_EESV_SZ_S10_mS11_S14_bEUlT_E_NS1_11comp_targetILNS1_3genE9ELNS1_11target_archE1100ELNS1_3gpuE3ELNS1_3repE0EEENS1_30default_config_static_selectorELNS0_4arch9wavefront6targetE1EEEvSY_.private_seg_size, 0
	.set _ZN7rocprim17ROCPRIM_400000_NS6detail17trampoline_kernelINS0_14default_configENS1_29binary_search_config_selectorIdiEEZNS1_14transform_implILb0ES3_S5_N6thrust23THRUST_200600_302600_NS6detail15normal_iteratorINS8_7pointerIdNS8_11hip_rocprim5par_tENS8_11use_defaultESE_EEEENSA_INSB_IiSD_SE_SE_EEEEZNS1_13binary_searchIS3_S5_NSA_INS8_10device_ptrIdEEEESG_SI_NS1_16binary_search_opENS9_16wrapped_functionINS8_6system6detail7generic6detail18binary_search_lessEbEEEE10hipError_tPvRmT1_T2_T3_mmT4_T5_P12ihipStream_tbEUlRKdE_EESV_SZ_S10_mS11_S14_bEUlT_E_NS1_11comp_targetILNS1_3genE9ELNS1_11target_archE1100ELNS1_3gpuE3ELNS1_3repE0EEENS1_30default_config_static_selectorELNS0_4arch9wavefront6targetE1EEEvSY_.uses_vcc, 0
	.set _ZN7rocprim17ROCPRIM_400000_NS6detail17trampoline_kernelINS0_14default_configENS1_29binary_search_config_selectorIdiEEZNS1_14transform_implILb0ES3_S5_N6thrust23THRUST_200600_302600_NS6detail15normal_iteratorINS8_7pointerIdNS8_11hip_rocprim5par_tENS8_11use_defaultESE_EEEENSA_INSB_IiSD_SE_SE_EEEEZNS1_13binary_searchIS3_S5_NSA_INS8_10device_ptrIdEEEESG_SI_NS1_16binary_search_opENS9_16wrapped_functionINS8_6system6detail7generic6detail18binary_search_lessEbEEEE10hipError_tPvRmT1_T2_T3_mmT4_T5_P12ihipStream_tbEUlRKdE_EESV_SZ_S10_mS11_S14_bEUlT_E_NS1_11comp_targetILNS1_3genE9ELNS1_11target_archE1100ELNS1_3gpuE3ELNS1_3repE0EEENS1_30default_config_static_selectorELNS0_4arch9wavefront6targetE1EEEvSY_.uses_flat_scratch, 0
	.set _ZN7rocprim17ROCPRIM_400000_NS6detail17trampoline_kernelINS0_14default_configENS1_29binary_search_config_selectorIdiEEZNS1_14transform_implILb0ES3_S5_N6thrust23THRUST_200600_302600_NS6detail15normal_iteratorINS8_7pointerIdNS8_11hip_rocprim5par_tENS8_11use_defaultESE_EEEENSA_INSB_IiSD_SE_SE_EEEEZNS1_13binary_searchIS3_S5_NSA_INS8_10device_ptrIdEEEESG_SI_NS1_16binary_search_opENS9_16wrapped_functionINS8_6system6detail7generic6detail18binary_search_lessEbEEEE10hipError_tPvRmT1_T2_T3_mmT4_T5_P12ihipStream_tbEUlRKdE_EESV_SZ_S10_mS11_S14_bEUlT_E_NS1_11comp_targetILNS1_3genE9ELNS1_11target_archE1100ELNS1_3gpuE3ELNS1_3repE0EEENS1_30default_config_static_selectorELNS0_4arch9wavefront6targetE1EEEvSY_.has_dyn_sized_stack, 0
	.set _ZN7rocprim17ROCPRIM_400000_NS6detail17trampoline_kernelINS0_14default_configENS1_29binary_search_config_selectorIdiEEZNS1_14transform_implILb0ES3_S5_N6thrust23THRUST_200600_302600_NS6detail15normal_iteratorINS8_7pointerIdNS8_11hip_rocprim5par_tENS8_11use_defaultESE_EEEENSA_INSB_IiSD_SE_SE_EEEEZNS1_13binary_searchIS3_S5_NSA_INS8_10device_ptrIdEEEESG_SI_NS1_16binary_search_opENS9_16wrapped_functionINS8_6system6detail7generic6detail18binary_search_lessEbEEEE10hipError_tPvRmT1_T2_T3_mmT4_T5_P12ihipStream_tbEUlRKdE_EESV_SZ_S10_mS11_S14_bEUlT_E_NS1_11comp_targetILNS1_3genE9ELNS1_11target_archE1100ELNS1_3gpuE3ELNS1_3repE0EEENS1_30default_config_static_selectorELNS0_4arch9wavefront6targetE1EEEvSY_.has_recursion, 0
	.set _ZN7rocprim17ROCPRIM_400000_NS6detail17trampoline_kernelINS0_14default_configENS1_29binary_search_config_selectorIdiEEZNS1_14transform_implILb0ES3_S5_N6thrust23THRUST_200600_302600_NS6detail15normal_iteratorINS8_7pointerIdNS8_11hip_rocprim5par_tENS8_11use_defaultESE_EEEENSA_INSB_IiSD_SE_SE_EEEEZNS1_13binary_searchIS3_S5_NSA_INS8_10device_ptrIdEEEESG_SI_NS1_16binary_search_opENS9_16wrapped_functionINS8_6system6detail7generic6detail18binary_search_lessEbEEEE10hipError_tPvRmT1_T2_T3_mmT4_T5_P12ihipStream_tbEUlRKdE_EESV_SZ_S10_mS11_S14_bEUlT_E_NS1_11comp_targetILNS1_3genE9ELNS1_11target_archE1100ELNS1_3gpuE3ELNS1_3repE0EEENS1_30default_config_static_selectorELNS0_4arch9wavefront6targetE1EEEvSY_.has_indirect_call, 0
	.section	.AMDGPU.csdata,"",@progbits
; Kernel info:
; codeLenInByte = 0
; TotalNumSgprs: 4
; NumVgprs: 0
; ScratchSize: 0
; MemoryBound: 0
; FloatMode: 240
; IeeeMode: 1
; LDSByteSize: 0 bytes/workgroup (compile time only)
; SGPRBlocks: 0
; VGPRBlocks: 0
; NumSGPRsForWavesPerEU: 4
; NumVGPRsForWavesPerEU: 1
; Occupancy: 10
; WaveLimiterHint : 0
; COMPUTE_PGM_RSRC2:SCRATCH_EN: 0
; COMPUTE_PGM_RSRC2:USER_SGPR: 6
; COMPUTE_PGM_RSRC2:TRAP_HANDLER: 0
; COMPUTE_PGM_RSRC2:TGID_X_EN: 1
; COMPUTE_PGM_RSRC2:TGID_Y_EN: 0
; COMPUTE_PGM_RSRC2:TGID_Z_EN: 0
; COMPUTE_PGM_RSRC2:TIDIG_COMP_CNT: 0
	.section	.text._ZN7rocprim17ROCPRIM_400000_NS6detail17trampoline_kernelINS0_14default_configENS1_29binary_search_config_selectorIdiEEZNS1_14transform_implILb0ES3_S5_N6thrust23THRUST_200600_302600_NS6detail15normal_iteratorINS8_7pointerIdNS8_11hip_rocprim5par_tENS8_11use_defaultESE_EEEENSA_INSB_IiSD_SE_SE_EEEEZNS1_13binary_searchIS3_S5_NSA_INS8_10device_ptrIdEEEESG_SI_NS1_16binary_search_opENS9_16wrapped_functionINS8_6system6detail7generic6detail18binary_search_lessEbEEEE10hipError_tPvRmT1_T2_T3_mmT4_T5_P12ihipStream_tbEUlRKdE_EESV_SZ_S10_mS11_S14_bEUlT_E_NS1_11comp_targetILNS1_3genE8ELNS1_11target_archE1030ELNS1_3gpuE2ELNS1_3repE0EEENS1_30default_config_static_selectorELNS0_4arch9wavefront6targetE1EEEvSY_,"axG",@progbits,_ZN7rocprim17ROCPRIM_400000_NS6detail17trampoline_kernelINS0_14default_configENS1_29binary_search_config_selectorIdiEEZNS1_14transform_implILb0ES3_S5_N6thrust23THRUST_200600_302600_NS6detail15normal_iteratorINS8_7pointerIdNS8_11hip_rocprim5par_tENS8_11use_defaultESE_EEEENSA_INSB_IiSD_SE_SE_EEEEZNS1_13binary_searchIS3_S5_NSA_INS8_10device_ptrIdEEEESG_SI_NS1_16binary_search_opENS9_16wrapped_functionINS8_6system6detail7generic6detail18binary_search_lessEbEEEE10hipError_tPvRmT1_T2_T3_mmT4_T5_P12ihipStream_tbEUlRKdE_EESV_SZ_S10_mS11_S14_bEUlT_E_NS1_11comp_targetILNS1_3genE8ELNS1_11target_archE1030ELNS1_3gpuE2ELNS1_3repE0EEENS1_30default_config_static_selectorELNS0_4arch9wavefront6targetE1EEEvSY_,comdat
	.protected	_ZN7rocprim17ROCPRIM_400000_NS6detail17trampoline_kernelINS0_14default_configENS1_29binary_search_config_selectorIdiEEZNS1_14transform_implILb0ES3_S5_N6thrust23THRUST_200600_302600_NS6detail15normal_iteratorINS8_7pointerIdNS8_11hip_rocprim5par_tENS8_11use_defaultESE_EEEENSA_INSB_IiSD_SE_SE_EEEEZNS1_13binary_searchIS3_S5_NSA_INS8_10device_ptrIdEEEESG_SI_NS1_16binary_search_opENS9_16wrapped_functionINS8_6system6detail7generic6detail18binary_search_lessEbEEEE10hipError_tPvRmT1_T2_T3_mmT4_T5_P12ihipStream_tbEUlRKdE_EESV_SZ_S10_mS11_S14_bEUlT_E_NS1_11comp_targetILNS1_3genE8ELNS1_11target_archE1030ELNS1_3gpuE2ELNS1_3repE0EEENS1_30default_config_static_selectorELNS0_4arch9wavefront6targetE1EEEvSY_ ; -- Begin function _ZN7rocprim17ROCPRIM_400000_NS6detail17trampoline_kernelINS0_14default_configENS1_29binary_search_config_selectorIdiEEZNS1_14transform_implILb0ES3_S5_N6thrust23THRUST_200600_302600_NS6detail15normal_iteratorINS8_7pointerIdNS8_11hip_rocprim5par_tENS8_11use_defaultESE_EEEENSA_INSB_IiSD_SE_SE_EEEEZNS1_13binary_searchIS3_S5_NSA_INS8_10device_ptrIdEEEESG_SI_NS1_16binary_search_opENS9_16wrapped_functionINS8_6system6detail7generic6detail18binary_search_lessEbEEEE10hipError_tPvRmT1_T2_T3_mmT4_T5_P12ihipStream_tbEUlRKdE_EESV_SZ_S10_mS11_S14_bEUlT_E_NS1_11comp_targetILNS1_3genE8ELNS1_11target_archE1030ELNS1_3gpuE2ELNS1_3repE0EEENS1_30default_config_static_selectorELNS0_4arch9wavefront6targetE1EEEvSY_
	.globl	_ZN7rocprim17ROCPRIM_400000_NS6detail17trampoline_kernelINS0_14default_configENS1_29binary_search_config_selectorIdiEEZNS1_14transform_implILb0ES3_S5_N6thrust23THRUST_200600_302600_NS6detail15normal_iteratorINS8_7pointerIdNS8_11hip_rocprim5par_tENS8_11use_defaultESE_EEEENSA_INSB_IiSD_SE_SE_EEEEZNS1_13binary_searchIS3_S5_NSA_INS8_10device_ptrIdEEEESG_SI_NS1_16binary_search_opENS9_16wrapped_functionINS8_6system6detail7generic6detail18binary_search_lessEbEEEE10hipError_tPvRmT1_T2_T3_mmT4_T5_P12ihipStream_tbEUlRKdE_EESV_SZ_S10_mS11_S14_bEUlT_E_NS1_11comp_targetILNS1_3genE8ELNS1_11target_archE1030ELNS1_3gpuE2ELNS1_3repE0EEENS1_30default_config_static_selectorELNS0_4arch9wavefront6targetE1EEEvSY_
	.p2align	8
	.type	_ZN7rocprim17ROCPRIM_400000_NS6detail17trampoline_kernelINS0_14default_configENS1_29binary_search_config_selectorIdiEEZNS1_14transform_implILb0ES3_S5_N6thrust23THRUST_200600_302600_NS6detail15normal_iteratorINS8_7pointerIdNS8_11hip_rocprim5par_tENS8_11use_defaultESE_EEEENSA_INSB_IiSD_SE_SE_EEEEZNS1_13binary_searchIS3_S5_NSA_INS8_10device_ptrIdEEEESG_SI_NS1_16binary_search_opENS9_16wrapped_functionINS8_6system6detail7generic6detail18binary_search_lessEbEEEE10hipError_tPvRmT1_T2_T3_mmT4_T5_P12ihipStream_tbEUlRKdE_EESV_SZ_S10_mS11_S14_bEUlT_E_NS1_11comp_targetILNS1_3genE8ELNS1_11target_archE1030ELNS1_3gpuE2ELNS1_3repE0EEENS1_30default_config_static_selectorELNS0_4arch9wavefront6targetE1EEEvSY_,@function
_ZN7rocprim17ROCPRIM_400000_NS6detail17trampoline_kernelINS0_14default_configENS1_29binary_search_config_selectorIdiEEZNS1_14transform_implILb0ES3_S5_N6thrust23THRUST_200600_302600_NS6detail15normal_iteratorINS8_7pointerIdNS8_11hip_rocprim5par_tENS8_11use_defaultESE_EEEENSA_INSB_IiSD_SE_SE_EEEEZNS1_13binary_searchIS3_S5_NSA_INS8_10device_ptrIdEEEESG_SI_NS1_16binary_search_opENS9_16wrapped_functionINS8_6system6detail7generic6detail18binary_search_lessEbEEEE10hipError_tPvRmT1_T2_T3_mmT4_T5_P12ihipStream_tbEUlRKdE_EESV_SZ_S10_mS11_S14_bEUlT_E_NS1_11comp_targetILNS1_3genE8ELNS1_11target_archE1030ELNS1_3gpuE2ELNS1_3repE0EEENS1_30default_config_static_selectorELNS0_4arch9wavefront6targetE1EEEvSY_: ; @_ZN7rocprim17ROCPRIM_400000_NS6detail17trampoline_kernelINS0_14default_configENS1_29binary_search_config_selectorIdiEEZNS1_14transform_implILb0ES3_S5_N6thrust23THRUST_200600_302600_NS6detail15normal_iteratorINS8_7pointerIdNS8_11hip_rocprim5par_tENS8_11use_defaultESE_EEEENSA_INSB_IiSD_SE_SE_EEEEZNS1_13binary_searchIS3_S5_NSA_INS8_10device_ptrIdEEEESG_SI_NS1_16binary_search_opENS9_16wrapped_functionINS8_6system6detail7generic6detail18binary_search_lessEbEEEE10hipError_tPvRmT1_T2_T3_mmT4_T5_P12ihipStream_tbEUlRKdE_EESV_SZ_S10_mS11_S14_bEUlT_E_NS1_11comp_targetILNS1_3genE8ELNS1_11target_archE1030ELNS1_3gpuE2ELNS1_3repE0EEENS1_30default_config_static_selectorELNS0_4arch9wavefront6targetE1EEEvSY_
; %bb.0:
	.section	.rodata,"a",@progbits
	.p2align	6, 0x0
	.amdhsa_kernel _ZN7rocprim17ROCPRIM_400000_NS6detail17trampoline_kernelINS0_14default_configENS1_29binary_search_config_selectorIdiEEZNS1_14transform_implILb0ES3_S5_N6thrust23THRUST_200600_302600_NS6detail15normal_iteratorINS8_7pointerIdNS8_11hip_rocprim5par_tENS8_11use_defaultESE_EEEENSA_INSB_IiSD_SE_SE_EEEEZNS1_13binary_searchIS3_S5_NSA_INS8_10device_ptrIdEEEESG_SI_NS1_16binary_search_opENS9_16wrapped_functionINS8_6system6detail7generic6detail18binary_search_lessEbEEEE10hipError_tPvRmT1_T2_T3_mmT4_T5_P12ihipStream_tbEUlRKdE_EESV_SZ_S10_mS11_S14_bEUlT_E_NS1_11comp_targetILNS1_3genE8ELNS1_11target_archE1030ELNS1_3gpuE2ELNS1_3repE0EEENS1_30default_config_static_selectorELNS0_4arch9wavefront6targetE1EEEvSY_
		.amdhsa_group_segment_fixed_size 0
		.amdhsa_private_segment_fixed_size 0
		.amdhsa_kernarg_size 56
		.amdhsa_user_sgpr_count 6
		.amdhsa_user_sgpr_private_segment_buffer 1
		.amdhsa_user_sgpr_dispatch_ptr 0
		.amdhsa_user_sgpr_queue_ptr 0
		.amdhsa_user_sgpr_kernarg_segment_ptr 1
		.amdhsa_user_sgpr_dispatch_id 0
		.amdhsa_user_sgpr_flat_scratch_init 0
		.amdhsa_user_sgpr_private_segment_size 0
		.amdhsa_uses_dynamic_stack 0
		.amdhsa_system_sgpr_private_segment_wavefront_offset 0
		.amdhsa_system_sgpr_workgroup_id_x 1
		.amdhsa_system_sgpr_workgroup_id_y 0
		.amdhsa_system_sgpr_workgroup_id_z 0
		.amdhsa_system_sgpr_workgroup_info 0
		.amdhsa_system_vgpr_workitem_id 0
		.amdhsa_next_free_vgpr 1
		.amdhsa_next_free_sgpr 0
		.amdhsa_reserve_vcc 0
		.amdhsa_reserve_flat_scratch 0
		.amdhsa_float_round_mode_32 0
		.amdhsa_float_round_mode_16_64 0
		.amdhsa_float_denorm_mode_32 3
		.amdhsa_float_denorm_mode_16_64 3
		.amdhsa_dx10_clamp 1
		.amdhsa_ieee_mode 1
		.amdhsa_fp16_overflow 0
		.amdhsa_exception_fp_ieee_invalid_op 0
		.amdhsa_exception_fp_denorm_src 0
		.amdhsa_exception_fp_ieee_div_zero 0
		.amdhsa_exception_fp_ieee_overflow 0
		.amdhsa_exception_fp_ieee_underflow 0
		.amdhsa_exception_fp_ieee_inexact 0
		.amdhsa_exception_int_div_zero 0
	.end_amdhsa_kernel
	.section	.text._ZN7rocprim17ROCPRIM_400000_NS6detail17trampoline_kernelINS0_14default_configENS1_29binary_search_config_selectorIdiEEZNS1_14transform_implILb0ES3_S5_N6thrust23THRUST_200600_302600_NS6detail15normal_iteratorINS8_7pointerIdNS8_11hip_rocprim5par_tENS8_11use_defaultESE_EEEENSA_INSB_IiSD_SE_SE_EEEEZNS1_13binary_searchIS3_S5_NSA_INS8_10device_ptrIdEEEESG_SI_NS1_16binary_search_opENS9_16wrapped_functionINS8_6system6detail7generic6detail18binary_search_lessEbEEEE10hipError_tPvRmT1_T2_T3_mmT4_T5_P12ihipStream_tbEUlRKdE_EESV_SZ_S10_mS11_S14_bEUlT_E_NS1_11comp_targetILNS1_3genE8ELNS1_11target_archE1030ELNS1_3gpuE2ELNS1_3repE0EEENS1_30default_config_static_selectorELNS0_4arch9wavefront6targetE1EEEvSY_,"axG",@progbits,_ZN7rocprim17ROCPRIM_400000_NS6detail17trampoline_kernelINS0_14default_configENS1_29binary_search_config_selectorIdiEEZNS1_14transform_implILb0ES3_S5_N6thrust23THRUST_200600_302600_NS6detail15normal_iteratorINS8_7pointerIdNS8_11hip_rocprim5par_tENS8_11use_defaultESE_EEEENSA_INSB_IiSD_SE_SE_EEEEZNS1_13binary_searchIS3_S5_NSA_INS8_10device_ptrIdEEEESG_SI_NS1_16binary_search_opENS9_16wrapped_functionINS8_6system6detail7generic6detail18binary_search_lessEbEEEE10hipError_tPvRmT1_T2_T3_mmT4_T5_P12ihipStream_tbEUlRKdE_EESV_SZ_S10_mS11_S14_bEUlT_E_NS1_11comp_targetILNS1_3genE8ELNS1_11target_archE1030ELNS1_3gpuE2ELNS1_3repE0EEENS1_30default_config_static_selectorELNS0_4arch9wavefront6targetE1EEEvSY_,comdat
.Lfunc_end634:
	.size	_ZN7rocprim17ROCPRIM_400000_NS6detail17trampoline_kernelINS0_14default_configENS1_29binary_search_config_selectorIdiEEZNS1_14transform_implILb0ES3_S5_N6thrust23THRUST_200600_302600_NS6detail15normal_iteratorINS8_7pointerIdNS8_11hip_rocprim5par_tENS8_11use_defaultESE_EEEENSA_INSB_IiSD_SE_SE_EEEEZNS1_13binary_searchIS3_S5_NSA_INS8_10device_ptrIdEEEESG_SI_NS1_16binary_search_opENS9_16wrapped_functionINS8_6system6detail7generic6detail18binary_search_lessEbEEEE10hipError_tPvRmT1_T2_T3_mmT4_T5_P12ihipStream_tbEUlRKdE_EESV_SZ_S10_mS11_S14_bEUlT_E_NS1_11comp_targetILNS1_3genE8ELNS1_11target_archE1030ELNS1_3gpuE2ELNS1_3repE0EEENS1_30default_config_static_selectorELNS0_4arch9wavefront6targetE1EEEvSY_, .Lfunc_end634-_ZN7rocprim17ROCPRIM_400000_NS6detail17trampoline_kernelINS0_14default_configENS1_29binary_search_config_selectorIdiEEZNS1_14transform_implILb0ES3_S5_N6thrust23THRUST_200600_302600_NS6detail15normal_iteratorINS8_7pointerIdNS8_11hip_rocprim5par_tENS8_11use_defaultESE_EEEENSA_INSB_IiSD_SE_SE_EEEEZNS1_13binary_searchIS3_S5_NSA_INS8_10device_ptrIdEEEESG_SI_NS1_16binary_search_opENS9_16wrapped_functionINS8_6system6detail7generic6detail18binary_search_lessEbEEEE10hipError_tPvRmT1_T2_T3_mmT4_T5_P12ihipStream_tbEUlRKdE_EESV_SZ_S10_mS11_S14_bEUlT_E_NS1_11comp_targetILNS1_3genE8ELNS1_11target_archE1030ELNS1_3gpuE2ELNS1_3repE0EEENS1_30default_config_static_selectorELNS0_4arch9wavefront6targetE1EEEvSY_
                                        ; -- End function
	.set _ZN7rocprim17ROCPRIM_400000_NS6detail17trampoline_kernelINS0_14default_configENS1_29binary_search_config_selectorIdiEEZNS1_14transform_implILb0ES3_S5_N6thrust23THRUST_200600_302600_NS6detail15normal_iteratorINS8_7pointerIdNS8_11hip_rocprim5par_tENS8_11use_defaultESE_EEEENSA_INSB_IiSD_SE_SE_EEEEZNS1_13binary_searchIS3_S5_NSA_INS8_10device_ptrIdEEEESG_SI_NS1_16binary_search_opENS9_16wrapped_functionINS8_6system6detail7generic6detail18binary_search_lessEbEEEE10hipError_tPvRmT1_T2_T3_mmT4_T5_P12ihipStream_tbEUlRKdE_EESV_SZ_S10_mS11_S14_bEUlT_E_NS1_11comp_targetILNS1_3genE8ELNS1_11target_archE1030ELNS1_3gpuE2ELNS1_3repE0EEENS1_30default_config_static_selectorELNS0_4arch9wavefront6targetE1EEEvSY_.num_vgpr, 0
	.set _ZN7rocprim17ROCPRIM_400000_NS6detail17trampoline_kernelINS0_14default_configENS1_29binary_search_config_selectorIdiEEZNS1_14transform_implILb0ES3_S5_N6thrust23THRUST_200600_302600_NS6detail15normal_iteratorINS8_7pointerIdNS8_11hip_rocprim5par_tENS8_11use_defaultESE_EEEENSA_INSB_IiSD_SE_SE_EEEEZNS1_13binary_searchIS3_S5_NSA_INS8_10device_ptrIdEEEESG_SI_NS1_16binary_search_opENS9_16wrapped_functionINS8_6system6detail7generic6detail18binary_search_lessEbEEEE10hipError_tPvRmT1_T2_T3_mmT4_T5_P12ihipStream_tbEUlRKdE_EESV_SZ_S10_mS11_S14_bEUlT_E_NS1_11comp_targetILNS1_3genE8ELNS1_11target_archE1030ELNS1_3gpuE2ELNS1_3repE0EEENS1_30default_config_static_selectorELNS0_4arch9wavefront6targetE1EEEvSY_.num_agpr, 0
	.set _ZN7rocprim17ROCPRIM_400000_NS6detail17trampoline_kernelINS0_14default_configENS1_29binary_search_config_selectorIdiEEZNS1_14transform_implILb0ES3_S5_N6thrust23THRUST_200600_302600_NS6detail15normal_iteratorINS8_7pointerIdNS8_11hip_rocprim5par_tENS8_11use_defaultESE_EEEENSA_INSB_IiSD_SE_SE_EEEEZNS1_13binary_searchIS3_S5_NSA_INS8_10device_ptrIdEEEESG_SI_NS1_16binary_search_opENS9_16wrapped_functionINS8_6system6detail7generic6detail18binary_search_lessEbEEEE10hipError_tPvRmT1_T2_T3_mmT4_T5_P12ihipStream_tbEUlRKdE_EESV_SZ_S10_mS11_S14_bEUlT_E_NS1_11comp_targetILNS1_3genE8ELNS1_11target_archE1030ELNS1_3gpuE2ELNS1_3repE0EEENS1_30default_config_static_selectorELNS0_4arch9wavefront6targetE1EEEvSY_.numbered_sgpr, 0
	.set _ZN7rocprim17ROCPRIM_400000_NS6detail17trampoline_kernelINS0_14default_configENS1_29binary_search_config_selectorIdiEEZNS1_14transform_implILb0ES3_S5_N6thrust23THRUST_200600_302600_NS6detail15normal_iteratorINS8_7pointerIdNS8_11hip_rocprim5par_tENS8_11use_defaultESE_EEEENSA_INSB_IiSD_SE_SE_EEEEZNS1_13binary_searchIS3_S5_NSA_INS8_10device_ptrIdEEEESG_SI_NS1_16binary_search_opENS9_16wrapped_functionINS8_6system6detail7generic6detail18binary_search_lessEbEEEE10hipError_tPvRmT1_T2_T3_mmT4_T5_P12ihipStream_tbEUlRKdE_EESV_SZ_S10_mS11_S14_bEUlT_E_NS1_11comp_targetILNS1_3genE8ELNS1_11target_archE1030ELNS1_3gpuE2ELNS1_3repE0EEENS1_30default_config_static_selectorELNS0_4arch9wavefront6targetE1EEEvSY_.num_named_barrier, 0
	.set _ZN7rocprim17ROCPRIM_400000_NS6detail17trampoline_kernelINS0_14default_configENS1_29binary_search_config_selectorIdiEEZNS1_14transform_implILb0ES3_S5_N6thrust23THRUST_200600_302600_NS6detail15normal_iteratorINS8_7pointerIdNS8_11hip_rocprim5par_tENS8_11use_defaultESE_EEEENSA_INSB_IiSD_SE_SE_EEEEZNS1_13binary_searchIS3_S5_NSA_INS8_10device_ptrIdEEEESG_SI_NS1_16binary_search_opENS9_16wrapped_functionINS8_6system6detail7generic6detail18binary_search_lessEbEEEE10hipError_tPvRmT1_T2_T3_mmT4_T5_P12ihipStream_tbEUlRKdE_EESV_SZ_S10_mS11_S14_bEUlT_E_NS1_11comp_targetILNS1_3genE8ELNS1_11target_archE1030ELNS1_3gpuE2ELNS1_3repE0EEENS1_30default_config_static_selectorELNS0_4arch9wavefront6targetE1EEEvSY_.private_seg_size, 0
	.set _ZN7rocprim17ROCPRIM_400000_NS6detail17trampoline_kernelINS0_14default_configENS1_29binary_search_config_selectorIdiEEZNS1_14transform_implILb0ES3_S5_N6thrust23THRUST_200600_302600_NS6detail15normal_iteratorINS8_7pointerIdNS8_11hip_rocprim5par_tENS8_11use_defaultESE_EEEENSA_INSB_IiSD_SE_SE_EEEEZNS1_13binary_searchIS3_S5_NSA_INS8_10device_ptrIdEEEESG_SI_NS1_16binary_search_opENS9_16wrapped_functionINS8_6system6detail7generic6detail18binary_search_lessEbEEEE10hipError_tPvRmT1_T2_T3_mmT4_T5_P12ihipStream_tbEUlRKdE_EESV_SZ_S10_mS11_S14_bEUlT_E_NS1_11comp_targetILNS1_3genE8ELNS1_11target_archE1030ELNS1_3gpuE2ELNS1_3repE0EEENS1_30default_config_static_selectorELNS0_4arch9wavefront6targetE1EEEvSY_.uses_vcc, 0
	.set _ZN7rocprim17ROCPRIM_400000_NS6detail17trampoline_kernelINS0_14default_configENS1_29binary_search_config_selectorIdiEEZNS1_14transform_implILb0ES3_S5_N6thrust23THRUST_200600_302600_NS6detail15normal_iteratorINS8_7pointerIdNS8_11hip_rocprim5par_tENS8_11use_defaultESE_EEEENSA_INSB_IiSD_SE_SE_EEEEZNS1_13binary_searchIS3_S5_NSA_INS8_10device_ptrIdEEEESG_SI_NS1_16binary_search_opENS9_16wrapped_functionINS8_6system6detail7generic6detail18binary_search_lessEbEEEE10hipError_tPvRmT1_T2_T3_mmT4_T5_P12ihipStream_tbEUlRKdE_EESV_SZ_S10_mS11_S14_bEUlT_E_NS1_11comp_targetILNS1_3genE8ELNS1_11target_archE1030ELNS1_3gpuE2ELNS1_3repE0EEENS1_30default_config_static_selectorELNS0_4arch9wavefront6targetE1EEEvSY_.uses_flat_scratch, 0
	.set _ZN7rocprim17ROCPRIM_400000_NS6detail17trampoline_kernelINS0_14default_configENS1_29binary_search_config_selectorIdiEEZNS1_14transform_implILb0ES3_S5_N6thrust23THRUST_200600_302600_NS6detail15normal_iteratorINS8_7pointerIdNS8_11hip_rocprim5par_tENS8_11use_defaultESE_EEEENSA_INSB_IiSD_SE_SE_EEEEZNS1_13binary_searchIS3_S5_NSA_INS8_10device_ptrIdEEEESG_SI_NS1_16binary_search_opENS9_16wrapped_functionINS8_6system6detail7generic6detail18binary_search_lessEbEEEE10hipError_tPvRmT1_T2_T3_mmT4_T5_P12ihipStream_tbEUlRKdE_EESV_SZ_S10_mS11_S14_bEUlT_E_NS1_11comp_targetILNS1_3genE8ELNS1_11target_archE1030ELNS1_3gpuE2ELNS1_3repE0EEENS1_30default_config_static_selectorELNS0_4arch9wavefront6targetE1EEEvSY_.has_dyn_sized_stack, 0
	.set _ZN7rocprim17ROCPRIM_400000_NS6detail17trampoline_kernelINS0_14default_configENS1_29binary_search_config_selectorIdiEEZNS1_14transform_implILb0ES3_S5_N6thrust23THRUST_200600_302600_NS6detail15normal_iteratorINS8_7pointerIdNS8_11hip_rocprim5par_tENS8_11use_defaultESE_EEEENSA_INSB_IiSD_SE_SE_EEEEZNS1_13binary_searchIS3_S5_NSA_INS8_10device_ptrIdEEEESG_SI_NS1_16binary_search_opENS9_16wrapped_functionINS8_6system6detail7generic6detail18binary_search_lessEbEEEE10hipError_tPvRmT1_T2_T3_mmT4_T5_P12ihipStream_tbEUlRKdE_EESV_SZ_S10_mS11_S14_bEUlT_E_NS1_11comp_targetILNS1_3genE8ELNS1_11target_archE1030ELNS1_3gpuE2ELNS1_3repE0EEENS1_30default_config_static_selectorELNS0_4arch9wavefront6targetE1EEEvSY_.has_recursion, 0
	.set _ZN7rocprim17ROCPRIM_400000_NS6detail17trampoline_kernelINS0_14default_configENS1_29binary_search_config_selectorIdiEEZNS1_14transform_implILb0ES3_S5_N6thrust23THRUST_200600_302600_NS6detail15normal_iteratorINS8_7pointerIdNS8_11hip_rocprim5par_tENS8_11use_defaultESE_EEEENSA_INSB_IiSD_SE_SE_EEEEZNS1_13binary_searchIS3_S5_NSA_INS8_10device_ptrIdEEEESG_SI_NS1_16binary_search_opENS9_16wrapped_functionINS8_6system6detail7generic6detail18binary_search_lessEbEEEE10hipError_tPvRmT1_T2_T3_mmT4_T5_P12ihipStream_tbEUlRKdE_EESV_SZ_S10_mS11_S14_bEUlT_E_NS1_11comp_targetILNS1_3genE8ELNS1_11target_archE1030ELNS1_3gpuE2ELNS1_3repE0EEENS1_30default_config_static_selectorELNS0_4arch9wavefront6targetE1EEEvSY_.has_indirect_call, 0
	.section	.AMDGPU.csdata,"",@progbits
; Kernel info:
; codeLenInByte = 0
; TotalNumSgprs: 4
; NumVgprs: 0
; ScratchSize: 0
; MemoryBound: 0
; FloatMode: 240
; IeeeMode: 1
; LDSByteSize: 0 bytes/workgroup (compile time only)
; SGPRBlocks: 0
; VGPRBlocks: 0
; NumSGPRsForWavesPerEU: 4
; NumVGPRsForWavesPerEU: 1
; Occupancy: 10
; WaveLimiterHint : 0
; COMPUTE_PGM_RSRC2:SCRATCH_EN: 0
; COMPUTE_PGM_RSRC2:USER_SGPR: 6
; COMPUTE_PGM_RSRC2:TRAP_HANDLER: 0
; COMPUTE_PGM_RSRC2:TGID_X_EN: 1
; COMPUTE_PGM_RSRC2:TGID_Y_EN: 0
; COMPUTE_PGM_RSRC2:TGID_Z_EN: 0
; COMPUTE_PGM_RSRC2:TIDIG_COMP_CNT: 0
	.section	.text._ZN7rocprim17ROCPRIM_400000_NS6detail17trampoline_kernelINS0_14default_configENS1_29binary_search_config_selectorIfiEEZNS1_14transform_implILb0ES3_S5_N6thrust23THRUST_200600_302600_NS6detail15normal_iteratorINS8_7pointerIfNS8_11hip_rocprim16par_det_nosync_tENS8_11use_defaultESE_EEEENSA_INSB_IiSD_SE_SE_EEEEZNS1_13binary_searchIS3_S5_NSA_INS8_10device_ptrIfEEEESG_SI_NS1_16binary_search_opENS9_16wrapped_functionINS8_6system6detail7generic6detail18binary_search_lessEbEEEE10hipError_tPvRmT1_T2_T3_mmT4_T5_P12ihipStream_tbEUlRKfE_EESV_SZ_S10_mS11_S14_bEUlT_E_NS1_11comp_targetILNS1_3genE0ELNS1_11target_archE4294967295ELNS1_3gpuE0ELNS1_3repE0EEENS1_30default_config_static_selectorELNS0_4arch9wavefront6targetE1EEEvSY_,"axG",@progbits,_ZN7rocprim17ROCPRIM_400000_NS6detail17trampoline_kernelINS0_14default_configENS1_29binary_search_config_selectorIfiEEZNS1_14transform_implILb0ES3_S5_N6thrust23THRUST_200600_302600_NS6detail15normal_iteratorINS8_7pointerIfNS8_11hip_rocprim16par_det_nosync_tENS8_11use_defaultESE_EEEENSA_INSB_IiSD_SE_SE_EEEEZNS1_13binary_searchIS3_S5_NSA_INS8_10device_ptrIfEEEESG_SI_NS1_16binary_search_opENS9_16wrapped_functionINS8_6system6detail7generic6detail18binary_search_lessEbEEEE10hipError_tPvRmT1_T2_T3_mmT4_T5_P12ihipStream_tbEUlRKfE_EESV_SZ_S10_mS11_S14_bEUlT_E_NS1_11comp_targetILNS1_3genE0ELNS1_11target_archE4294967295ELNS1_3gpuE0ELNS1_3repE0EEENS1_30default_config_static_selectorELNS0_4arch9wavefront6targetE1EEEvSY_,comdat
	.protected	_ZN7rocprim17ROCPRIM_400000_NS6detail17trampoline_kernelINS0_14default_configENS1_29binary_search_config_selectorIfiEEZNS1_14transform_implILb0ES3_S5_N6thrust23THRUST_200600_302600_NS6detail15normal_iteratorINS8_7pointerIfNS8_11hip_rocprim16par_det_nosync_tENS8_11use_defaultESE_EEEENSA_INSB_IiSD_SE_SE_EEEEZNS1_13binary_searchIS3_S5_NSA_INS8_10device_ptrIfEEEESG_SI_NS1_16binary_search_opENS9_16wrapped_functionINS8_6system6detail7generic6detail18binary_search_lessEbEEEE10hipError_tPvRmT1_T2_T3_mmT4_T5_P12ihipStream_tbEUlRKfE_EESV_SZ_S10_mS11_S14_bEUlT_E_NS1_11comp_targetILNS1_3genE0ELNS1_11target_archE4294967295ELNS1_3gpuE0ELNS1_3repE0EEENS1_30default_config_static_selectorELNS0_4arch9wavefront6targetE1EEEvSY_ ; -- Begin function _ZN7rocprim17ROCPRIM_400000_NS6detail17trampoline_kernelINS0_14default_configENS1_29binary_search_config_selectorIfiEEZNS1_14transform_implILb0ES3_S5_N6thrust23THRUST_200600_302600_NS6detail15normal_iteratorINS8_7pointerIfNS8_11hip_rocprim16par_det_nosync_tENS8_11use_defaultESE_EEEENSA_INSB_IiSD_SE_SE_EEEEZNS1_13binary_searchIS3_S5_NSA_INS8_10device_ptrIfEEEESG_SI_NS1_16binary_search_opENS9_16wrapped_functionINS8_6system6detail7generic6detail18binary_search_lessEbEEEE10hipError_tPvRmT1_T2_T3_mmT4_T5_P12ihipStream_tbEUlRKfE_EESV_SZ_S10_mS11_S14_bEUlT_E_NS1_11comp_targetILNS1_3genE0ELNS1_11target_archE4294967295ELNS1_3gpuE0ELNS1_3repE0EEENS1_30default_config_static_selectorELNS0_4arch9wavefront6targetE1EEEvSY_
	.globl	_ZN7rocprim17ROCPRIM_400000_NS6detail17trampoline_kernelINS0_14default_configENS1_29binary_search_config_selectorIfiEEZNS1_14transform_implILb0ES3_S5_N6thrust23THRUST_200600_302600_NS6detail15normal_iteratorINS8_7pointerIfNS8_11hip_rocprim16par_det_nosync_tENS8_11use_defaultESE_EEEENSA_INSB_IiSD_SE_SE_EEEEZNS1_13binary_searchIS3_S5_NSA_INS8_10device_ptrIfEEEESG_SI_NS1_16binary_search_opENS9_16wrapped_functionINS8_6system6detail7generic6detail18binary_search_lessEbEEEE10hipError_tPvRmT1_T2_T3_mmT4_T5_P12ihipStream_tbEUlRKfE_EESV_SZ_S10_mS11_S14_bEUlT_E_NS1_11comp_targetILNS1_3genE0ELNS1_11target_archE4294967295ELNS1_3gpuE0ELNS1_3repE0EEENS1_30default_config_static_selectorELNS0_4arch9wavefront6targetE1EEEvSY_
	.p2align	8
	.type	_ZN7rocprim17ROCPRIM_400000_NS6detail17trampoline_kernelINS0_14default_configENS1_29binary_search_config_selectorIfiEEZNS1_14transform_implILb0ES3_S5_N6thrust23THRUST_200600_302600_NS6detail15normal_iteratorINS8_7pointerIfNS8_11hip_rocprim16par_det_nosync_tENS8_11use_defaultESE_EEEENSA_INSB_IiSD_SE_SE_EEEEZNS1_13binary_searchIS3_S5_NSA_INS8_10device_ptrIfEEEESG_SI_NS1_16binary_search_opENS9_16wrapped_functionINS8_6system6detail7generic6detail18binary_search_lessEbEEEE10hipError_tPvRmT1_T2_T3_mmT4_T5_P12ihipStream_tbEUlRKfE_EESV_SZ_S10_mS11_S14_bEUlT_E_NS1_11comp_targetILNS1_3genE0ELNS1_11target_archE4294967295ELNS1_3gpuE0ELNS1_3repE0EEENS1_30default_config_static_selectorELNS0_4arch9wavefront6targetE1EEEvSY_,@function
_ZN7rocprim17ROCPRIM_400000_NS6detail17trampoline_kernelINS0_14default_configENS1_29binary_search_config_selectorIfiEEZNS1_14transform_implILb0ES3_S5_N6thrust23THRUST_200600_302600_NS6detail15normal_iteratorINS8_7pointerIfNS8_11hip_rocprim16par_det_nosync_tENS8_11use_defaultESE_EEEENSA_INSB_IiSD_SE_SE_EEEEZNS1_13binary_searchIS3_S5_NSA_INS8_10device_ptrIfEEEESG_SI_NS1_16binary_search_opENS9_16wrapped_functionINS8_6system6detail7generic6detail18binary_search_lessEbEEEE10hipError_tPvRmT1_T2_T3_mmT4_T5_P12ihipStream_tbEUlRKfE_EESV_SZ_S10_mS11_S14_bEUlT_E_NS1_11comp_targetILNS1_3genE0ELNS1_11target_archE4294967295ELNS1_3gpuE0ELNS1_3repE0EEENS1_30default_config_static_selectorELNS0_4arch9wavefront6targetE1EEEvSY_: ; @_ZN7rocprim17ROCPRIM_400000_NS6detail17trampoline_kernelINS0_14default_configENS1_29binary_search_config_selectorIfiEEZNS1_14transform_implILb0ES3_S5_N6thrust23THRUST_200600_302600_NS6detail15normal_iteratorINS8_7pointerIfNS8_11hip_rocprim16par_det_nosync_tENS8_11use_defaultESE_EEEENSA_INSB_IiSD_SE_SE_EEEEZNS1_13binary_searchIS3_S5_NSA_INS8_10device_ptrIfEEEESG_SI_NS1_16binary_search_opENS9_16wrapped_functionINS8_6system6detail7generic6detail18binary_search_lessEbEEEE10hipError_tPvRmT1_T2_T3_mmT4_T5_P12ihipStream_tbEUlRKfE_EESV_SZ_S10_mS11_S14_bEUlT_E_NS1_11comp_targetILNS1_3genE0ELNS1_11target_archE4294967295ELNS1_3gpuE0ELNS1_3repE0EEENS1_30default_config_static_selectorELNS0_4arch9wavefront6targetE1EEEvSY_
; %bb.0:
	.section	.rodata,"a",@progbits
	.p2align	6, 0x0
	.amdhsa_kernel _ZN7rocprim17ROCPRIM_400000_NS6detail17trampoline_kernelINS0_14default_configENS1_29binary_search_config_selectorIfiEEZNS1_14transform_implILb0ES3_S5_N6thrust23THRUST_200600_302600_NS6detail15normal_iteratorINS8_7pointerIfNS8_11hip_rocprim16par_det_nosync_tENS8_11use_defaultESE_EEEENSA_INSB_IiSD_SE_SE_EEEEZNS1_13binary_searchIS3_S5_NSA_INS8_10device_ptrIfEEEESG_SI_NS1_16binary_search_opENS9_16wrapped_functionINS8_6system6detail7generic6detail18binary_search_lessEbEEEE10hipError_tPvRmT1_T2_T3_mmT4_T5_P12ihipStream_tbEUlRKfE_EESV_SZ_S10_mS11_S14_bEUlT_E_NS1_11comp_targetILNS1_3genE0ELNS1_11target_archE4294967295ELNS1_3gpuE0ELNS1_3repE0EEENS1_30default_config_static_selectorELNS0_4arch9wavefront6targetE1EEEvSY_
		.amdhsa_group_segment_fixed_size 0
		.amdhsa_private_segment_fixed_size 0
		.amdhsa_kernarg_size 56
		.amdhsa_user_sgpr_count 6
		.amdhsa_user_sgpr_private_segment_buffer 1
		.amdhsa_user_sgpr_dispatch_ptr 0
		.amdhsa_user_sgpr_queue_ptr 0
		.amdhsa_user_sgpr_kernarg_segment_ptr 1
		.amdhsa_user_sgpr_dispatch_id 0
		.amdhsa_user_sgpr_flat_scratch_init 0
		.amdhsa_user_sgpr_private_segment_size 0
		.amdhsa_uses_dynamic_stack 0
		.amdhsa_system_sgpr_private_segment_wavefront_offset 0
		.amdhsa_system_sgpr_workgroup_id_x 1
		.amdhsa_system_sgpr_workgroup_id_y 0
		.amdhsa_system_sgpr_workgroup_id_z 0
		.amdhsa_system_sgpr_workgroup_info 0
		.amdhsa_system_vgpr_workitem_id 0
		.amdhsa_next_free_vgpr 1
		.amdhsa_next_free_sgpr 0
		.amdhsa_reserve_vcc 0
		.amdhsa_reserve_flat_scratch 0
		.amdhsa_float_round_mode_32 0
		.amdhsa_float_round_mode_16_64 0
		.amdhsa_float_denorm_mode_32 3
		.amdhsa_float_denorm_mode_16_64 3
		.amdhsa_dx10_clamp 1
		.amdhsa_ieee_mode 1
		.amdhsa_fp16_overflow 0
		.amdhsa_exception_fp_ieee_invalid_op 0
		.amdhsa_exception_fp_denorm_src 0
		.amdhsa_exception_fp_ieee_div_zero 0
		.amdhsa_exception_fp_ieee_overflow 0
		.amdhsa_exception_fp_ieee_underflow 0
		.amdhsa_exception_fp_ieee_inexact 0
		.amdhsa_exception_int_div_zero 0
	.end_amdhsa_kernel
	.section	.text._ZN7rocprim17ROCPRIM_400000_NS6detail17trampoline_kernelINS0_14default_configENS1_29binary_search_config_selectorIfiEEZNS1_14transform_implILb0ES3_S5_N6thrust23THRUST_200600_302600_NS6detail15normal_iteratorINS8_7pointerIfNS8_11hip_rocprim16par_det_nosync_tENS8_11use_defaultESE_EEEENSA_INSB_IiSD_SE_SE_EEEEZNS1_13binary_searchIS3_S5_NSA_INS8_10device_ptrIfEEEESG_SI_NS1_16binary_search_opENS9_16wrapped_functionINS8_6system6detail7generic6detail18binary_search_lessEbEEEE10hipError_tPvRmT1_T2_T3_mmT4_T5_P12ihipStream_tbEUlRKfE_EESV_SZ_S10_mS11_S14_bEUlT_E_NS1_11comp_targetILNS1_3genE0ELNS1_11target_archE4294967295ELNS1_3gpuE0ELNS1_3repE0EEENS1_30default_config_static_selectorELNS0_4arch9wavefront6targetE1EEEvSY_,"axG",@progbits,_ZN7rocprim17ROCPRIM_400000_NS6detail17trampoline_kernelINS0_14default_configENS1_29binary_search_config_selectorIfiEEZNS1_14transform_implILb0ES3_S5_N6thrust23THRUST_200600_302600_NS6detail15normal_iteratorINS8_7pointerIfNS8_11hip_rocprim16par_det_nosync_tENS8_11use_defaultESE_EEEENSA_INSB_IiSD_SE_SE_EEEEZNS1_13binary_searchIS3_S5_NSA_INS8_10device_ptrIfEEEESG_SI_NS1_16binary_search_opENS9_16wrapped_functionINS8_6system6detail7generic6detail18binary_search_lessEbEEEE10hipError_tPvRmT1_T2_T3_mmT4_T5_P12ihipStream_tbEUlRKfE_EESV_SZ_S10_mS11_S14_bEUlT_E_NS1_11comp_targetILNS1_3genE0ELNS1_11target_archE4294967295ELNS1_3gpuE0ELNS1_3repE0EEENS1_30default_config_static_selectorELNS0_4arch9wavefront6targetE1EEEvSY_,comdat
.Lfunc_end635:
	.size	_ZN7rocprim17ROCPRIM_400000_NS6detail17trampoline_kernelINS0_14default_configENS1_29binary_search_config_selectorIfiEEZNS1_14transform_implILb0ES3_S5_N6thrust23THRUST_200600_302600_NS6detail15normal_iteratorINS8_7pointerIfNS8_11hip_rocprim16par_det_nosync_tENS8_11use_defaultESE_EEEENSA_INSB_IiSD_SE_SE_EEEEZNS1_13binary_searchIS3_S5_NSA_INS8_10device_ptrIfEEEESG_SI_NS1_16binary_search_opENS9_16wrapped_functionINS8_6system6detail7generic6detail18binary_search_lessEbEEEE10hipError_tPvRmT1_T2_T3_mmT4_T5_P12ihipStream_tbEUlRKfE_EESV_SZ_S10_mS11_S14_bEUlT_E_NS1_11comp_targetILNS1_3genE0ELNS1_11target_archE4294967295ELNS1_3gpuE0ELNS1_3repE0EEENS1_30default_config_static_selectorELNS0_4arch9wavefront6targetE1EEEvSY_, .Lfunc_end635-_ZN7rocprim17ROCPRIM_400000_NS6detail17trampoline_kernelINS0_14default_configENS1_29binary_search_config_selectorIfiEEZNS1_14transform_implILb0ES3_S5_N6thrust23THRUST_200600_302600_NS6detail15normal_iteratorINS8_7pointerIfNS8_11hip_rocprim16par_det_nosync_tENS8_11use_defaultESE_EEEENSA_INSB_IiSD_SE_SE_EEEEZNS1_13binary_searchIS3_S5_NSA_INS8_10device_ptrIfEEEESG_SI_NS1_16binary_search_opENS9_16wrapped_functionINS8_6system6detail7generic6detail18binary_search_lessEbEEEE10hipError_tPvRmT1_T2_T3_mmT4_T5_P12ihipStream_tbEUlRKfE_EESV_SZ_S10_mS11_S14_bEUlT_E_NS1_11comp_targetILNS1_3genE0ELNS1_11target_archE4294967295ELNS1_3gpuE0ELNS1_3repE0EEENS1_30default_config_static_selectorELNS0_4arch9wavefront6targetE1EEEvSY_
                                        ; -- End function
	.set _ZN7rocprim17ROCPRIM_400000_NS6detail17trampoline_kernelINS0_14default_configENS1_29binary_search_config_selectorIfiEEZNS1_14transform_implILb0ES3_S5_N6thrust23THRUST_200600_302600_NS6detail15normal_iteratorINS8_7pointerIfNS8_11hip_rocprim16par_det_nosync_tENS8_11use_defaultESE_EEEENSA_INSB_IiSD_SE_SE_EEEEZNS1_13binary_searchIS3_S5_NSA_INS8_10device_ptrIfEEEESG_SI_NS1_16binary_search_opENS9_16wrapped_functionINS8_6system6detail7generic6detail18binary_search_lessEbEEEE10hipError_tPvRmT1_T2_T3_mmT4_T5_P12ihipStream_tbEUlRKfE_EESV_SZ_S10_mS11_S14_bEUlT_E_NS1_11comp_targetILNS1_3genE0ELNS1_11target_archE4294967295ELNS1_3gpuE0ELNS1_3repE0EEENS1_30default_config_static_selectorELNS0_4arch9wavefront6targetE1EEEvSY_.num_vgpr, 0
	.set _ZN7rocprim17ROCPRIM_400000_NS6detail17trampoline_kernelINS0_14default_configENS1_29binary_search_config_selectorIfiEEZNS1_14transform_implILb0ES3_S5_N6thrust23THRUST_200600_302600_NS6detail15normal_iteratorINS8_7pointerIfNS8_11hip_rocprim16par_det_nosync_tENS8_11use_defaultESE_EEEENSA_INSB_IiSD_SE_SE_EEEEZNS1_13binary_searchIS3_S5_NSA_INS8_10device_ptrIfEEEESG_SI_NS1_16binary_search_opENS9_16wrapped_functionINS8_6system6detail7generic6detail18binary_search_lessEbEEEE10hipError_tPvRmT1_T2_T3_mmT4_T5_P12ihipStream_tbEUlRKfE_EESV_SZ_S10_mS11_S14_bEUlT_E_NS1_11comp_targetILNS1_3genE0ELNS1_11target_archE4294967295ELNS1_3gpuE0ELNS1_3repE0EEENS1_30default_config_static_selectorELNS0_4arch9wavefront6targetE1EEEvSY_.num_agpr, 0
	.set _ZN7rocprim17ROCPRIM_400000_NS6detail17trampoline_kernelINS0_14default_configENS1_29binary_search_config_selectorIfiEEZNS1_14transform_implILb0ES3_S5_N6thrust23THRUST_200600_302600_NS6detail15normal_iteratorINS8_7pointerIfNS8_11hip_rocprim16par_det_nosync_tENS8_11use_defaultESE_EEEENSA_INSB_IiSD_SE_SE_EEEEZNS1_13binary_searchIS3_S5_NSA_INS8_10device_ptrIfEEEESG_SI_NS1_16binary_search_opENS9_16wrapped_functionINS8_6system6detail7generic6detail18binary_search_lessEbEEEE10hipError_tPvRmT1_T2_T3_mmT4_T5_P12ihipStream_tbEUlRKfE_EESV_SZ_S10_mS11_S14_bEUlT_E_NS1_11comp_targetILNS1_3genE0ELNS1_11target_archE4294967295ELNS1_3gpuE0ELNS1_3repE0EEENS1_30default_config_static_selectorELNS0_4arch9wavefront6targetE1EEEvSY_.numbered_sgpr, 0
	.set _ZN7rocprim17ROCPRIM_400000_NS6detail17trampoline_kernelINS0_14default_configENS1_29binary_search_config_selectorIfiEEZNS1_14transform_implILb0ES3_S5_N6thrust23THRUST_200600_302600_NS6detail15normal_iteratorINS8_7pointerIfNS8_11hip_rocprim16par_det_nosync_tENS8_11use_defaultESE_EEEENSA_INSB_IiSD_SE_SE_EEEEZNS1_13binary_searchIS3_S5_NSA_INS8_10device_ptrIfEEEESG_SI_NS1_16binary_search_opENS9_16wrapped_functionINS8_6system6detail7generic6detail18binary_search_lessEbEEEE10hipError_tPvRmT1_T2_T3_mmT4_T5_P12ihipStream_tbEUlRKfE_EESV_SZ_S10_mS11_S14_bEUlT_E_NS1_11comp_targetILNS1_3genE0ELNS1_11target_archE4294967295ELNS1_3gpuE0ELNS1_3repE0EEENS1_30default_config_static_selectorELNS0_4arch9wavefront6targetE1EEEvSY_.num_named_barrier, 0
	.set _ZN7rocprim17ROCPRIM_400000_NS6detail17trampoline_kernelINS0_14default_configENS1_29binary_search_config_selectorIfiEEZNS1_14transform_implILb0ES3_S5_N6thrust23THRUST_200600_302600_NS6detail15normal_iteratorINS8_7pointerIfNS8_11hip_rocprim16par_det_nosync_tENS8_11use_defaultESE_EEEENSA_INSB_IiSD_SE_SE_EEEEZNS1_13binary_searchIS3_S5_NSA_INS8_10device_ptrIfEEEESG_SI_NS1_16binary_search_opENS9_16wrapped_functionINS8_6system6detail7generic6detail18binary_search_lessEbEEEE10hipError_tPvRmT1_T2_T3_mmT4_T5_P12ihipStream_tbEUlRKfE_EESV_SZ_S10_mS11_S14_bEUlT_E_NS1_11comp_targetILNS1_3genE0ELNS1_11target_archE4294967295ELNS1_3gpuE0ELNS1_3repE0EEENS1_30default_config_static_selectorELNS0_4arch9wavefront6targetE1EEEvSY_.private_seg_size, 0
	.set _ZN7rocprim17ROCPRIM_400000_NS6detail17trampoline_kernelINS0_14default_configENS1_29binary_search_config_selectorIfiEEZNS1_14transform_implILb0ES3_S5_N6thrust23THRUST_200600_302600_NS6detail15normal_iteratorINS8_7pointerIfNS8_11hip_rocprim16par_det_nosync_tENS8_11use_defaultESE_EEEENSA_INSB_IiSD_SE_SE_EEEEZNS1_13binary_searchIS3_S5_NSA_INS8_10device_ptrIfEEEESG_SI_NS1_16binary_search_opENS9_16wrapped_functionINS8_6system6detail7generic6detail18binary_search_lessEbEEEE10hipError_tPvRmT1_T2_T3_mmT4_T5_P12ihipStream_tbEUlRKfE_EESV_SZ_S10_mS11_S14_bEUlT_E_NS1_11comp_targetILNS1_3genE0ELNS1_11target_archE4294967295ELNS1_3gpuE0ELNS1_3repE0EEENS1_30default_config_static_selectorELNS0_4arch9wavefront6targetE1EEEvSY_.uses_vcc, 0
	.set _ZN7rocprim17ROCPRIM_400000_NS6detail17trampoline_kernelINS0_14default_configENS1_29binary_search_config_selectorIfiEEZNS1_14transform_implILb0ES3_S5_N6thrust23THRUST_200600_302600_NS6detail15normal_iteratorINS8_7pointerIfNS8_11hip_rocprim16par_det_nosync_tENS8_11use_defaultESE_EEEENSA_INSB_IiSD_SE_SE_EEEEZNS1_13binary_searchIS3_S5_NSA_INS8_10device_ptrIfEEEESG_SI_NS1_16binary_search_opENS9_16wrapped_functionINS8_6system6detail7generic6detail18binary_search_lessEbEEEE10hipError_tPvRmT1_T2_T3_mmT4_T5_P12ihipStream_tbEUlRKfE_EESV_SZ_S10_mS11_S14_bEUlT_E_NS1_11comp_targetILNS1_3genE0ELNS1_11target_archE4294967295ELNS1_3gpuE0ELNS1_3repE0EEENS1_30default_config_static_selectorELNS0_4arch9wavefront6targetE1EEEvSY_.uses_flat_scratch, 0
	.set _ZN7rocprim17ROCPRIM_400000_NS6detail17trampoline_kernelINS0_14default_configENS1_29binary_search_config_selectorIfiEEZNS1_14transform_implILb0ES3_S5_N6thrust23THRUST_200600_302600_NS6detail15normal_iteratorINS8_7pointerIfNS8_11hip_rocprim16par_det_nosync_tENS8_11use_defaultESE_EEEENSA_INSB_IiSD_SE_SE_EEEEZNS1_13binary_searchIS3_S5_NSA_INS8_10device_ptrIfEEEESG_SI_NS1_16binary_search_opENS9_16wrapped_functionINS8_6system6detail7generic6detail18binary_search_lessEbEEEE10hipError_tPvRmT1_T2_T3_mmT4_T5_P12ihipStream_tbEUlRKfE_EESV_SZ_S10_mS11_S14_bEUlT_E_NS1_11comp_targetILNS1_3genE0ELNS1_11target_archE4294967295ELNS1_3gpuE0ELNS1_3repE0EEENS1_30default_config_static_selectorELNS0_4arch9wavefront6targetE1EEEvSY_.has_dyn_sized_stack, 0
	.set _ZN7rocprim17ROCPRIM_400000_NS6detail17trampoline_kernelINS0_14default_configENS1_29binary_search_config_selectorIfiEEZNS1_14transform_implILb0ES3_S5_N6thrust23THRUST_200600_302600_NS6detail15normal_iteratorINS8_7pointerIfNS8_11hip_rocprim16par_det_nosync_tENS8_11use_defaultESE_EEEENSA_INSB_IiSD_SE_SE_EEEEZNS1_13binary_searchIS3_S5_NSA_INS8_10device_ptrIfEEEESG_SI_NS1_16binary_search_opENS9_16wrapped_functionINS8_6system6detail7generic6detail18binary_search_lessEbEEEE10hipError_tPvRmT1_T2_T3_mmT4_T5_P12ihipStream_tbEUlRKfE_EESV_SZ_S10_mS11_S14_bEUlT_E_NS1_11comp_targetILNS1_3genE0ELNS1_11target_archE4294967295ELNS1_3gpuE0ELNS1_3repE0EEENS1_30default_config_static_selectorELNS0_4arch9wavefront6targetE1EEEvSY_.has_recursion, 0
	.set _ZN7rocprim17ROCPRIM_400000_NS6detail17trampoline_kernelINS0_14default_configENS1_29binary_search_config_selectorIfiEEZNS1_14transform_implILb0ES3_S5_N6thrust23THRUST_200600_302600_NS6detail15normal_iteratorINS8_7pointerIfNS8_11hip_rocprim16par_det_nosync_tENS8_11use_defaultESE_EEEENSA_INSB_IiSD_SE_SE_EEEEZNS1_13binary_searchIS3_S5_NSA_INS8_10device_ptrIfEEEESG_SI_NS1_16binary_search_opENS9_16wrapped_functionINS8_6system6detail7generic6detail18binary_search_lessEbEEEE10hipError_tPvRmT1_T2_T3_mmT4_T5_P12ihipStream_tbEUlRKfE_EESV_SZ_S10_mS11_S14_bEUlT_E_NS1_11comp_targetILNS1_3genE0ELNS1_11target_archE4294967295ELNS1_3gpuE0ELNS1_3repE0EEENS1_30default_config_static_selectorELNS0_4arch9wavefront6targetE1EEEvSY_.has_indirect_call, 0
	.section	.AMDGPU.csdata,"",@progbits
; Kernel info:
; codeLenInByte = 0
; TotalNumSgprs: 4
; NumVgprs: 0
; ScratchSize: 0
; MemoryBound: 0
; FloatMode: 240
; IeeeMode: 1
; LDSByteSize: 0 bytes/workgroup (compile time only)
; SGPRBlocks: 0
; VGPRBlocks: 0
; NumSGPRsForWavesPerEU: 4
; NumVGPRsForWavesPerEU: 1
; Occupancy: 10
; WaveLimiterHint : 0
; COMPUTE_PGM_RSRC2:SCRATCH_EN: 0
; COMPUTE_PGM_RSRC2:USER_SGPR: 6
; COMPUTE_PGM_RSRC2:TRAP_HANDLER: 0
; COMPUTE_PGM_RSRC2:TGID_X_EN: 1
; COMPUTE_PGM_RSRC2:TGID_Y_EN: 0
; COMPUTE_PGM_RSRC2:TGID_Z_EN: 0
; COMPUTE_PGM_RSRC2:TIDIG_COMP_CNT: 0
	.section	.text._ZN7rocprim17ROCPRIM_400000_NS6detail17trampoline_kernelINS0_14default_configENS1_29binary_search_config_selectorIfiEEZNS1_14transform_implILb0ES3_S5_N6thrust23THRUST_200600_302600_NS6detail15normal_iteratorINS8_7pointerIfNS8_11hip_rocprim16par_det_nosync_tENS8_11use_defaultESE_EEEENSA_INSB_IiSD_SE_SE_EEEEZNS1_13binary_searchIS3_S5_NSA_INS8_10device_ptrIfEEEESG_SI_NS1_16binary_search_opENS9_16wrapped_functionINS8_6system6detail7generic6detail18binary_search_lessEbEEEE10hipError_tPvRmT1_T2_T3_mmT4_T5_P12ihipStream_tbEUlRKfE_EESV_SZ_S10_mS11_S14_bEUlT_E_NS1_11comp_targetILNS1_3genE5ELNS1_11target_archE942ELNS1_3gpuE9ELNS1_3repE0EEENS1_30default_config_static_selectorELNS0_4arch9wavefront6targetE1EEEvSY_,"axG",@progbits,_ZN7rocprim17ROCPRIM_400000_NS6detail17trampoline_kernelINS0_14default_configENS1_29binary_search_config_selectorIfiEEZNS1_14transform_implILb0ES3_S5_N6thrust23THRUST_200600_302600_NS6detail15normal_iteratorINS8_7pointerIfNS8_11hip_rocprim16par_det_nosync_tENS8_11use_defaultESE_EEEENSA_INSB_IiSD_SE_SE_EEEEZNS1_13binary_searchIS3_S5_NSA_INS8_10device_ptrIfEEEESG_SI_NS1_16binary_search_opENS9_16wrapped_functionINS8_6system6detail7generic6detail18binary_search_lessEbEEEE10hipError_tPvRmT1_T2_T3_mmT4_T5_P12ihipStream_tbEUlRKfE_EESV_SZ_S10_mS11_S14_bEUlT_E_NS1_11comp_targetILNS1_3genE5ELNS1_11target_archE942ELNS1_3gpuE9ELNS1_3repE0EEENS1_30default_config_static_selectorELNS0_4arch9wavefront6targetE1EEEvSY_,comdat
	.protected	_ZN7rocprim17ROCPRIM_400000_NS6detail17trampoline_kernelINS0_14default_configENS1_29binary_search_config_selectorIfiEEZNS1_14transform_implILb0ES3_S5_N6thrust23THRUST_200600_302600_NS6detail15normal_iteratorINS8_7pointerIfNS8_11hip_rocprim16par_det_nosync_tENS8_11use_defaultESE_EEEENSA_INSB_IiSD_SE_SE_EEEEZNS1_13binary_searchIS3_S5_NSA_INS8_10device_ptrIfEEEESG_SI_NS1_16binary_search_opENS9_16wrapped_functionINS8_6system6detail7generic6detail18binary_search_lessEbEEEE10hipError_tPvRmT1_T2_T3_mmT4_T5_P12ihipStream_tbEUlRKfE_EESV_SZ_S10_mS11_S14_bEUlT_E_NS1_11comp_targetILNS1_3genE5ELNS1_11target_archE942ELNS1_3gpuE9ELNS1_3repE0EEENS1_30default_config_static_selectorELNS0_4arch9wavefront6targetE1EEEvSY_ ; -- Begin function _ZN7rocprim17ROCPRIM_400000_NS6detail17trampoline_kernelINS0_14default_configENS1_29binary_search_config_selectorIfiEEZNS1_14transform_implILb0ES3_S5_N6thrust23THRUST_200600_302600_NS6detail15normal_iteratorINS8_7pointerIfNS8_11hip_rocprim16par_det_nosync_tENS8_11use_defaultESE_EEEENSA_INSB_IiSD_SE_SE_EEEEZNS1_13binary_searchIS3_S5_NSA_INS8_10device_ptrIfEEEESG_SI_NS1_16binary_search_opENS9_16wrapped_functionINS8_6system6detail7generic6detail18binary_search_lessEbEEEE10hipError_tPvRmT1_T2_T3_mmT4_T5_P12ihipStream_tbEUlRKfE_EESV_SZ_S10_mS11_S14_bEUlT_E_NS1_11comp_targetILNS1_3genE5ELNS1_11target_archE942ELNS1_3gpuE9ELNS1_3repE0EEENS1_30default_config_static_selectorELNS0_4arch9wavefront6targetE1EEEvSY_
	.globl	_ZN7rocprim17ROCPRIM_400000_NS6detail17trampoline_kernelINS0_14default_configENS1_29binary_search_config_selectorIfiEEZNS1_14transform_implILb0ES3_S5_N6thrust23THRUST_200600_302600_NS6detail15normal_iteratorINS8_7pointerIfNS8_11hip_rocprim16par_det_nosync_tENS8_11use_defaultESE_EEEENSA_INSB_IiSD_SE_SE_EEEEZNS1_13binary_searchIS3_S5_NSA_INS8_10device_ptrIfEEEESG_SI_NS1_16binary_search_opENS9_16wrapped_functionINS8_6system6detail7generic6detail18binary_search_lessEbEEEE10hipError_tPvRmT1_T2_T3_mmT4_T5_P12ihipStream_tbEUlRKfE_EESV_SZ_S10_mS11_S14_bEUlT_E_NS1_11comp_targetILNS1_3genE5ELNS1_11target_archE942ELNS1_3gpuE9ELNS1_3repE0EEENS1_30default_config_static_selectorELNS0_4arch9wavefront6targetE1EEEvSY_
	.p2align	8
	.type	_ZN7rocprim17ROCPRIM_400000_NS6detail17trampoline_kernelINS0_14default_configENS1_29binary_search_config_selectorIfiEEZNS1_14transform_implILb0ES3_S5_N6thrust23THRUST_200600_302600_NS6detail15normal_iteratorINS8_7pointerIfNS8_11hip_rocprim16par_det_nosync_tENS8_11use_defaultESE_EEEENSA_INSB_IiSD_SE_SE_EEEEZNS1_13binary_searchIS3_S5_NSA_INS8_10device_ptrIfEEEESG_SI_NS1_16binary_search_opENS9_16wrapped_functionINS8_6system6detail7generic6detail18binary_search_lessEbEEEE10hipError_tPvRmT1_T2_T3_mmT4_T5_P12ihipStream_tbEUlRKfE_EESV_SZ_S10_mS11_S14_bEUlT_E_NS1_11comp_targetILNS1_3genE5ELNS1_11target_archE942ELNS1_3gpuE9ELNS1_3repE0EEENS1_30default_config_static_selectorELNS0_4arch9wavefront6targetE1EEEvSY_,@function
_ZN7rocprim17ROCPRIM_400000_NS6detail17trampoline_kernelINS0_14default_configENS1_29binary_search_config_selectorIfiEEZNS1_14transform_implILb0ES3_S5_N6thrust23THRUST_200600_302600_NS6detail15normal_iteratorINS8_7pointerIfNS8_11hip_rocprim16par_det_nosync_tENS8_11use_defaultESE_EEEENSA_INSB_IiSD_SE_SE_EEEEZNS1_13binary_searchIS3_S5_NSA_INS8_10device_ptrIfEEEESG_SI_NS1_16binary_search_opENS9_16wrapped_functionINS8_6system6detail7generic6detail18binary_search_lessEbEEEE10hipError_tPvRmT1_T2_T3_mmT4_T5_P12ihipStream_tbEUlRKfE_EESV_SZ_S10_mS11_S14_bEUlT_E_NS1_11comp_targetILNS1_3genE5ELNS1_11target_archE942ELNS1_3gpuE9ELNS1_3repE0EEENS1_30default_config_static_selectorELNS0_4arch9wavefront6targetE1EEEvSY_: ; @_ZN7rocprim17ROCPRIM_400000_NS6detail17trampoline_kernelINS0_14default_configENS1_29binary_search_config_selectorIfiEEZNS1_14transform_implILb0ES3_S5_N6thrust23THRUST_200600_302600_NS6detail15normal_iteratorINS8_7pointerIfNS8_11hip_rocprim16par_det_nosync_tENS8_11use_defaultESE_EEEENSA_INSB_IiSD_SE_SE_EEEEZNS1_13binary_searchIS3_S5_NSA_INS8_10device_ptrIfEEEESG_SI_NS1_16binary_search_opENS9_16wrapped_functionINS8_6system6detail7generic6detail18binary_search_lessEbEEEE10hipError_tPvRmT1_T2_T3_mmT4_T5_P12ihipStream_tbEUlRKfE_EESV_SZ_S10_mS11_S14_bEUlT_E_NS1_11comp_targetILNS1_3genE5ELNS1_11target_archE942ELNS1_3gpuE9ELNS1_3repE0EEENS1_30default_config_static_selectorELNS0_4arch9wavefront6targetE1EEEvSY_
; %bb.0:
	.section	.rodata,"a",@progbits
	.p2align	6, 0x0
	.amdhsa_kernel _ZN7rocprim17ROCPRIM_400000_NS6detail17trampoline_kernelINS0_14default_configENS1_29binary_search_config_selectorIfiEEZNS1_14transform_implILb0ES3_S5_N6thrust23THRUST_200600_302600_NS6detail15normal_iteratorINS8_7pointerIfNS8_11hip_rocprim16par_det_nosync_tENS8_11use_defaultESE_EEEENSA_INSB_IiSD_SE_SE_EEEEZNS1_13binary_searchIS3_S5_NSA_INS8_10device_ptrIfEEEESG_SI_NS1_16binary_search_opENS9_16wrapped_functionINS8_6system6detail7generic6detail18binary_search_lessEbEEEE10hipError_tPvRmT1_T2_T3_mmT4_T5_P12ihipStream_tbEUlRKfE_EESV_SZ_S10_mS11_S14_bEUlT_E_NS1_11comp_targetILNS1_3genE5ELNS1_11target_archE942ELNS1_3gpuE9ELNS1_3repE0EEENS1_30default_config_static_selectorELNS0_4arch9wavefront6targetE1EEEvSY_
		.amdhsa_group_segment_fixed_size 0
		.amdhsa_private_segment_fixed_size 0
		.amdhsa_kernarg_size 56
		.amdhsa_user_sgpr_count 6
		.amdhsa_user_sgpr_private_segment_buffer 1
		.amdhsa_user_sgpr_dispatch_ptr 0
		.amdhsa_user_sgpr_queue_ptr 0
		.amdhsa_user_sgpr_kernarg_segment_ptr 1
		.amdhsa_user_sgpr_dispatch_id 0
		.amdhsa_user_sgpr_flat_scratch_init 0
		.amdhsa_user_sgpr_private_segment_size 0
		.amdhsa_uses_dynamic_stack 0
		.amdhsa_system_sgpr_private_segment_wavefront_offset 0
		.amdhsa_system_sgpr_workgroup_id_x 1
		.amdhsa_system_sgpr_workgroup_id_y 0
		.amdhsa_system_sgpr_workgroup_id_z 0
		.amdhsa_system_sgpr_workgroup_info 0
		.amdhsa_system_vgpr_workitem_id 0
		.amdhsa_next_free_vgpr 1
		.amdhsa_next_free_sgpr 0
		.amdhsa_reserve_vcc 0
		.amdhsa_reserve_flat_scratch 0
		.amdhsa_float_round_mode_32 0
		.amdhsa_float_round_mode_16_64 0
		.amdhsa_float_denorm_mode_32 3
		.amdhsa_float_denorm_mode_16_64 3
		.amdhsa_dx10_clamp 1
		.amdhsa_ieee_mode 1
		.amdhsa_fp16_overflow 0
		.amdhsa_exception_fp_ieee_invalid_op 0
		.amdhsa_exception_fp_denorm_src 0
		.amdhsa_exception_fp_ieee_div_zero 0
		.amdhsa_exception_fp_ieee_overflow 0
		.amdhsa_exception_fp_ieee_underflow 0
		.amdhsa_exception_fp_ieee_inexact 0
		.amdhsa_exception_int_div_zero 0
	.end_amdhsa_kernel
	.section	.text._ZN7rocprim17ROCPRIM_400000_NS6detail17trampoline_kernelINS0_14default_configENS1_29binary_search_config_selectorIfiEEZNS1_14transform_implILb0ES3_S5_N6thrust23THRUST_200600_302600_NS6detail15normal_iteratorINS8_7pointerIfNS8_11hip_rocprim16par_det_nosync_tENS8_11use_defaultESE_EEEENSA_INSB_IiSD_SE_SE_EEEEZNS1_13binary_searchIS3_S5_NSA_INS8_10device_ptrIfEEEESG_SI_NS1_16binary_search_opENS9_16wrapped_functionINS8_6system6detail7generic6detail18binary_search_lessEbEEEE10hipError_tPvRmT1_T2_T3_mmT4_T5_P12ihipStream_tbEUlRKfE_EESV_SZ_S10_mS11_S14_bEUlT_E_NS1_11comp_targetILNS1_3genE5ELNS1_11target_archE942ELNS1_3gpuE9ELNS1_3repE0EEENS1_30default_config_static_selectorELNS0_4arch9wavefront6targetE1EEEvSY_,"axG",@progbits,_ZN7rocprim17ROCPRIM_400000_NS6detail17trampoline_kernelINS0_14default_configENS1_29binary_search_config_selectorIfiEEZNS1_14transform_implILb0ES3_S5_N6thrust23THRUST_200600_302600_NS6detail15normal_iteratorINS8_7pointerIfNS8_11hip_rocprim16par_det_nosync_tENS8_11use_defaultESE_EEEENSA_INSB_IiSD_SE_SE_EEEEZNS1_13binary_searchIS3_S5_NSA_INS8_10device_ptrIfEEEESG_SI_NS1_16binary_search_opENS9_16wrapped_functionINS8_6system6detail7generic6detail18binary_search_lessEbEEEE10hipError_tPvRmT1_T2_T3_mmT4_T5_P12ihipStream_tbEUlRKfE_EESV_SZ_S10_mS11_S14_bEUlT_E_NS1_11comp_targetILNS1_3genE5ELNS1_11target_archE942ELNS1_3gpuE9ELNS1_3repE0EEENS1_30default_config_static_selectorELNS0_4arch9wavefront6targetE1EEEvSY_,comdat
.Lfunc_end636:
	.size	_ZN7rocprim17ROCPRIM_400000_NS6detail17trampoline_kernelINS0_14default_configENS1_29binary_search_config_selectorIfiEEZNS1_14transform_implILb0ES3_S5_N6thrust23THRUST_200600_302600_NS6detail15normal_iteratorINS8_7pointerIfNS8_11hip_rocprim16par_det_nosync_tENS8_11use_defaultESE_EEEENSA_INSB_IiSD_SE_SE_EEEEZNS1_13binary_searchIS3_S5_NSA_INS8_10device_ptrIfEEEESG_SI_NS1_16binary_search_opENS9_16wrapped_functionINS8_6system6detail7generic6detail18binary_search_lessEbEEEE10hipError_tPvRmT1_T2_T3_mmT4_T5_P12ihipStream_tbEUlRKfE_EESV_SZ_S10_mS11_S14_bEUlT_E_NS1_11comp_targetILNS1_3genE5ELNS1_11target_archE942ELNS1_3gpuE9ELNS1_3repE0EEENS1_30default_config_static_selectorELNS0_4arch9wavefront6targetE1EEEvSY_, .Lfunc_end636-_ZN7rocprim17ROCPRIM_400000_NS6detail17trampoline_kernelINS0_14default_configENS1_29binary_search_config_selectorIfiEEZNS1_14transform_implILb0ES3_S5_N6thrust23THRUST_200600_302600_NS6detail15normal_iteratorINS8_7pointerIfNS8_11hip_rocprim16par_det_nosync_tENS8_11use_defaultESE_EEEENSA_INSB_IiSD_SE_SE_EEEEZNS1_13binary_searchIS3_S5_NSA_INS8_10device_ptrIfEEEESG_SI_NS1_16binary_search_opENS9_16wrapped_functionINS8_6system6detail7generic6detail18binary_search_lessEbEEEE10hipError_tPvRmT1_T2_T3_mmT4_T5_P12ihipStream_tbEUlRKfE_EESV_SZ_S10_mS11_S14_bEUlT_E_NS1_11comp_targetILNS1_3genE5ELNS1_11target_archE942ELNS1_3gpuE9ELNS1_3repE0EEENS1_30default_config_static_selectorELNS0_4arch9wavefront6targetE1EEEvSY_
                                        ; -- End function
	.set _ZN7rocprim17ROCPRIM_400000_NS6detail17trampoline_kernelINS0_14default_configENS1_29binary_search_config_selectorIfiEEZNS1_14transform_implILb0ES3_S5_N6thrust23THRUST_200600_302600_NS6detail15normal_iteratorINS8_7pointerIfNS8_11hip_rocprim16par_det_nosync_tENS8_11use_defaultESE_EEEENSA_INSB_IiSD_SE_SE_EEEEZNS1_13binary_searchIS3_S5_NSA_INS8_10device_ptrIfEEEESG_SI_NS1_16binary_search_opENS9_16wrapped_functionINS8_6system6detail7generic6detail18binary_search_lessEbEEEE10hipError_tPvRmT1_T2_T3_mmT4_T5_P12ihipStream_tbEUlRKfE_EESV_SZ_S10_mS11_S14_bEUlT_E_NS1_11comp_targetILNS1_3genE5ELNS1_11target_archE942ELNS1_3gpuE9ELNS1_3repE0EEENS1_30default_config_static_selectorELNS0_4arch9wavefront6targetE1EEEvSY_.num_vgpr, 0
	.set _ZN7rocprim17ROCPRIM_400000_NS6detail17trampoline_kernelINS0_14default_configENS1_29binary_search_config_selectorIfiEEZNS1_14transform_implILb0ES3_S5_N6thrust23THRUST_200600_302600_NS6detail15normal_iteratorINS8_7pointerIfNS8_11hip_rocprim16par_det_nosync_tENS8_11use_defaultESE_EEEENSA_INSB_IiSD_SE_SE_EEEEZNS1_13binary_searchIS3_S5_NSA_INS8_10device_ptrIfEEEESG_SI_NS1_16binary_search_opENS9_16wrapped_functionINS8_6system6detail7generic6detail18binary_search_lessEbEEEE10hipError_tPvRmT1_T2_T3_mmT4_T5_P12ihipStream_tbEUlRKfE_EESV_SZ_S10_mS11_S14_bEUlT_E_NS1_11comp_targetILNS1_3genE5ELNS1_11target_archE942ELNS1_3gpuE9ELNS1_3repE0EEENS1_30default_config_static_selectorELNS0_4arch9wavefront6targetE1EEEvSY_.num_agpr, 0
	.set _ZN7rocprim17ROCPRIM_400000_NS6detail17trampoline_kernelINS0_14default_configENS1_29binary_search_config_selectorIfiEEZNS1_14transform_implILb0ES3_S5_N6thrust23THRUST_200600_302600_NS6detail15normal_iteratorINS8_7pointerIfNS8_11hip_rocprim16par_det_nosync_tENS8_11use_defaultESE_EEEENSA_INSB_IiSD_SE_SE_EEEEZNS1_13binary_searchIS3_S5_NSA_INS8_10device_ptrIfEEEESG_SI_NS1_16binary_search_opENS9_16wrapped_functionINS8_6system6detail7generic6detail18binary_search_lessEbEEEE10hipError_tPvRmT1_T2_T3_mmT4_T5_P12ihipStream_tbEUlRKfE_EESV_SZ_S10_mS11_S14_bEUlT_E_NS1_11comp_targetILNS1_3genE5ELNS1_11target_archE942ELNS1_3gpuE9ELNS1_3repE0EEENS1_30default_config_static_selectorELNS0_4arch9wavefront6targetE1EEEvSY_.numbered_sgpr, 0
	.set _ZN7rocprim17ROCPRIM_400000_NS6detail17trampoline_kernelINS0_14default_configENS1_29binary_search_config_selectorIfiEEZNS1_14transform_implILb0ES3_S5_N6thrust23THRUST_200600_302600_NS6detail15normal_iteratorINS8_7pointerIfNS8_11hip_rocprim16par_det_nosync_tENS8_11use_defaultESE_EEEENSA_INSB_IiSD_SE_SE_EEEEZNS1_13binary_searchIS3_S5_NSA_INS8_10device_ptrIfEEEESG_SI_NS1_16binary_search_opENS9_16wrapped_functionINS8_6system6detail7generic6detail18binary_search_lessEbEEEE10hipError_tPvRmT1_T2_T3_mmT4_T5_P12ihipStream_tbEUlRKfE_EESV_SZ_S10_mS11_S14_bEUlT_E_NS1_11comp_targetILNS1_3genE5ELNS1_11target_archE942ELNS1_3gpuE9ELNS1_3repE0EEENS1_30default_config_static_selectorELNS0_4arch9wavefront6targetE1EEEvSY_.num_named_barrier, 0
	.set _ZN7rocprim17ROCPRIM_400000_NS6detail17trampoline_kernelINS0_14default_configENS1_29binary_search_config_selectorIfiEEZNS1_14transform_implILb0ES3_S5_N6thrust23THRUST_200600_302600_NS6detail15normal_iteratorINS8_7pointerIfNS8_11hip_rocprim16par_det_nosync_tENS8_11use_defaultESE_EEEENSA_INSB_IiSD_SE_SE_EEEEZNS1_13binary_searchIS3_S5_NSA_INS8_10device_ptrIfEEEESG_SI_NS1_16binary_search_opENS9_16wrapped_functionINS8_6system6detail7generic6detail18binary_search_lessEbEEEE10hipError_tPvRmT1_T2_T3_mmT4_T5_P12ihipStream_tbEUlRKfE_EESV_SZ_S10_mS11_S14_bEUlT_E_NS1_11comp_targetILNS1_3genE5ELNS1_11target_archE942ELNS1_3gpuE9ELNS1_3repE0EEENS1_30default_config_static_selectorELNS0_4arch9wavefront6targetE1EEEvSY_.private_seg_size, 0
	.set _ZN7rocprim17ROCPRIM_400000_NS6detail17trampoline_kernelINS0_14default_configENS1_29binary_search_config_selectorIfiEEZNS1_14transform_implILb0ES3_S5_N6thrust23THRUST_200600_302600_NS6detail15normal_iteratorINS8_7pointerIfNS8_11hip_rocprim16par_det_nosync_tENS8_11use_defaultESE_EEEENSA_INSB_IiSD_SE_SE_EEEEZNS1_13binary_searchIS3_S5_NSA_INS8_10device_ptrIfEEEESG_SI_NS1_16binary_search_opENS9_16wrapped_functionINS8_6system6detail7generic6detail18binary_search_lessEbEEEE10hipError_tPvRmT1_T2_T3_mmT4_T5_P12ihipStream_tbEUlRKfE_EESV_SZ_S10_mS11_S14_bEUlT_E_NS1_11comp_targetILNS1_3genE5ELNS1_11target_archE942ELNS1_3gpuE9ELNS1_3repE0EEENS1_30default_config_static_selectorELNS0_4arch9wavefront6targetE1EEEvSY_.uses_vcc, 0
	.set _ZN7rocprim17ROCPRIM_400000_NS6detail17trampoline_kernelINS0_14default_configENS1_29binary_search_config_selectorIfiEEZNS1_14transform_implILb0ES3_S5_N6thrust23THRUST_200600_302600_NS6detail15normal_iteratorINS8_7pointerIfNS8_11hip_rocprim16par_det_nosync_tENS8_11use_defaultESE_EEEENSA_INSB_IiSD_SE_SE_EEEEZNS1_13binary_searchIS3_S5_NSA_INS8_10device_ptrIfEEEESG_SI_NS1_16binary_search_opENS9_16wrapped_functionINS8_6system6detail7generic6detail18binary_search_lessEbEEEE10hipError_tPvRmT1_T2_T3_mmT4_T5_P12ihipStream_tbEUlRKfE_EESV_SZ_S10_mS11_S14_bEUlT_E_NS1_11comp_targetILNS1_3genE5ELNS1_11target_archE942ELNS1_3gpuE9ELNS1_3repE0EEENS1_30default_config_static_selectorELNS0_4arch9wavefront6targetE1EEEvSY_.uses_flat_scratch, 0
	.set _ZN7rocprim17ROCPRIM_400000_NS6detail17trampoline_kernelINS0_14default_configENS1_29binary_search_config_selectorIfiEEZNS1_14transform_implILb0ES3_S5_N6thrust23THRUST_200600_302600_NS6detail15normal_iteratorINS8_7pointerIfNS8_11hip_rocprim16par_det_nosync_tENS8_11use_defaultESE_EEEENSA_INSB_IiSD_SE_SE_EEEEZNS1_13binary_searchIS3_S5_NSA_INS8_10device_ptrIfEEEESG_SI_NS1_16binary_search_opENS9_16wrapped_functionINS8_6system6detail7generic6detail18binary_search_lessEbEEEE10hipError_tPvRmT1_T2_T3_mmT4_T5_P12ihipStream_tbEUlRKfE_EESV_SZ_S10_mS11_S14_bEUlT_E_NS1_11comp_targetILNS1_3genE5ELNS1_11target_archE942ELNS1_3gpuE9ELNS1_3repE0EEENS1_30default_config_static_selectorELNS0_4arch9wavefront6targetE1EEEvSY_.has_dyn_sized_stack, 0
	.set _ZN7rocprim17ROCPRIM_400000_NS6detail17trampoline_kernelINS0_14default_configENS1_29binary_search_config_selectorIfiEEZNS1_14transform_implILb0ES3_S5_N6thrust23THRUST_200600_302600_NS6detail15normal_iteratorINS8_7pointerIfNS8_11hip_rocprim16par_det_nosync_tENS8_11use_defaultESE_EEEENSA_INSB_IiSD_SE_SE_EEEEZNS1_13binary_searchIS3_S5_NSA_INS8_10device_ptrIfEEEESG_SI_NS1_16binary_search_opENS9_16wrapped_functionINS8_6system6detail7generic6detail18binary_search_lessEbEEEE10hipError_tPvRmT1_T2_T3_mmT4_T5_P12ihipStream_tbEUlRKfE_EESV_SZ_S10_mS11_S14_bEUlT_E_NS1_11comp_targetILNS1_3genE5ELNS1_11target_archE942ELNS1_3gpuE9ELNS1_3repE0EEENS1_30default_config_static_selectorELNS0_4arch9wavefront6targetE1EEEvSY_.has_recursion, 0
	.set _ZN7rocprim17ROCPRIM_400000_NS6detail17trampoline_kernelINS0_14default_configENS1_29binary_search_config_selectorIfiEEZNS1_14transform_implILb0ES3_S5_N6thrust23THRUST_200600_302600_NS6detail15normal_iteratorINS8_7pointerIfNS8_11hip_rocprim16par_det_nosync_tENS8_11use_defaultESE_EEEENSA_INSB_IiSD_SE_SE_EEEEZNS1_13binary_searchIS3_S5_NSA_INS8_10device_ptrIfEEEESG_SI_NS1_16binary_search_opENS9_16wrapped_functionINS8_6system6detail7generic6detail18binary_search_lessEbEEEE10hipError_tPvRmT1_T2_T3_mmT4_T5_P12ihipStream_tbEUlRKfE_EESV_SZ_S10_mS11_S14_bEUlT_E_NS1_11comp_targetILNS1_3genE5ELNS1_11target_archE942ELNS1_3gpuE9ELNS1_3repE0EEENS1_30default_config_static_selectorELNS0_4arch9wavefront6targetE1EEEvSY_.has_indirect_call, 0
	.section	.AMDGPU.csdata,"",@progbits
; Kernel info:
; codeLenInByte = 0
; TotalNumSgprs: 4
; NumVgprs: 0
; ScratchSize: 0
; MemoryBound: 0
; FloatMode: 240
; IeeeMode: 1
; LDSByteSize: 0 bytes/workgroup (compile time only)
; SGPRBlocks: 0
; VGPRBlocks: 0
; NumSGPRsForWavesPerEU: 4
; NumVGPRsForWavesPerEU: 1
; Occupancy: 10
; WaveLimiterHint : 0
; COMPUTE_PGM_RSRC2:SCRATCH_EN: 0
; COMPUTE_PGM_RSRC2:USER_SGPR: 6
; COMPUTE_PGM_RSRC2:TRAP_HANDLER: 0
; COMPUTE_PGM_RSRC2:TGID_X_EN: 1
; COMPUTE_PGM_RSRC2:TGID_Y_EN: 0
; COMPUTE_PGM_RSRC2:TGID_Z_EN: 0
; COMPUTE_PGM_RSRC2:TIDIG_COMP_CNT: 0
	.section	.text._ZN7rocprim17ROCPRIM_400000_NS6detail17trampoline_kernelINS0_14default_configENS1_29binary_search_config_selectorIfiEEZNS1_14transform_implILb0ES3_S5_N6thrust23THRUST_200600_302600_NS6detail15normal_iteratorINS8_7pointerIfNS8_11hip_rocprim16par_det_nosync_tENS8_11use_defaultESE_EEEENSA_INSB_IiSD_SE_SE_EEEEZNS1_13binary_searchIS3_S5_NSA_INS8_10device_ptrIfEEEESG_SI_NS1_16binary_search_opENS9_16wrapped_functionINS8_6system6detail7generic6detail18binary_search_lessEbEEEE10hipError_tPvRmT1_T2_T3_mmT4_T5_P12ihipStream_tbEUlRKfE_EESV_SZ_S10_mS11_S14_bEUlT_E_NS1_11comp_targetILNS1_3genE4ELNS1_11target_archE910ELNS1_3gpuE8ELNS1_3repE0EEENS1_30default_config_static_selectorELNS0_4arch9wavefront6targetE1EEEvSY_,"axG",@progbits,_ZN7rocprim17ROCPRIM_400000_NS6detail17trampoline_kernelINS0_14default_configENS1_29binary_search_config_selectorIfiEEZNS1_14transform_implILb0ES3_S5_N6thrust23THRUST_200600_302600_NS6detail15normal_iteratorINS8_7pointerIfNS8_11hip_rocprim16par_det_nosync_tENS8_11use_defaultESE_EEEENSA_INSB_IiSD_SE_SE_EEEEZNS1_13binary_searchIS3_S5_NSA_INS8_10device_ptrIfEEEESG_SI_NS1_16binary_search_opENS9_16wrapped_functionINS8_6system6detail7generic6detail18binary_search_lessEbEEEE10hipError_tPvRmT1_T2_T3_mmT4_T5_P12ihipStream_tbEUlRKfE_EESV_SZ_S10_mS11_S14_bEUlT_E_NS1_11comp_targetILNS1_3genE4ELNS1_11target_archE910ELNS1_3gpuE8ELNS1_3repE0EEENS1_30default_config_static_selectorELNS0_4arch9wavefront6targetE1EEEvSY_,comdat
	.protected	_ZN7rocprim17ROCPRIM_400000_NS6detail17trampoline_kernelINS0_14default_configENS1_29binary_search_config_selectorIfiEEZNS1_14transform_implILb0ES3_S5_N6thrust23THRUST_200600_302600_NS6detail15normal_iteratorINS8_7pointerIfNS8_11hip_rocprim16par_det_nosync_tENS8_11use_defaultESE_EEEENSA_INSB_IiSD_SE_SE_EEEEZNS1_13binary_searchIS3_S5_NSA_INS8_10device_ptrIfEEEESG_SI_NS1_16binary_search_opENS9_16wrapped_functionINS8_6system6detail7generic6detail18binary_search_lessEbEEEE10hipError_tPvRmT1_T2_T3_mmT4_T5_P12ihipStream_tbEUlRKfE_EESV_SZ_S10_mS11_S14_bEUlT_E_NS1_11comp_targetILNS1_3genE4ELNS1_11target_archE910ELNS1_3gpuE8ELNS1_3repE0EEENS1_30default_config_static_selectorELNS0_4arch9wavefront6targetE1EEEvSY_ ; -- Begin function _ZN7rocprim17ROCPRIM_400000_NS6detail17trampoline_kernelINS0_14default_configENS1_29binary_search_config_selectorIfiEEZNS1_14transform_implILb0ES3_S5_N6thrust23THRUST_200600_302600_NS6detail15normal_iteratorINS8_7pointerIfNS8_11hip_rocprim16par_det_nosync_tENS8_11use_defaultESE_EEEENSA_INSB_IiSD_SE_SE_EEEEZNS1_13binary_searchIS3_S5_NSA_INS8_10device_ptrIfEEEESG_SI_NS1_16binary_search_opENS9_16wrapped_functionINS8_6system6detail7generic6detail18binary_search_lessEbEEEE10hipError_tPvRmT1_T2_T3_mmT4_T5_P12ihipStream_tbEUlRKfE_EESV_SZ_S10_mS11_S14_bEUlT_E_NS1_11comp_targetILNS1_3genE4ELNS1_11target_archE910ELNS1_3gpuE8ELNS1_3repE0EEENS1_30default_config_static_selectorELNS0_4arch9wavefront6targetE1EEEvSY_
	.globl	_ZN7rocprim17ROCPRIM_400000_NS6detail17trampoline_kernelINS0_14default_configENS1_29binary_search_config_selectorIfiEEZNS1_14transform_implILb0ES3_S5_N6thrust23THRUST_200600_302600_NS6detail15normal_iteratorINS8_7pointerIfNS8_11hip_rocprim16par_det_nosync_tENS8_11use_defaultESE_EEEENSA_INSB_IiSD_SE_SE_EEEEZNS1_13binary_searchIS3_S5_NSA_INS8_10device_ptrIfEEEESG_SI_NS1_16binary_search_opENS9_16wrapped_functionINS8_6system6detail7generic6detail18binary_search_lessEbEEEE10hipError_tPvRmT1_T2_T3_mmT4_T5_P12ihipStream_tbEUlRKfE_EESV_SZ_S10_mS11_S14_bEUlT_E_NS1_11comp_targetILNS1_3genE4ELNS1_11target_archE910ELNS1_3gpuE8ELNS1_3repE0EEENS1_30default_config_static_selectorELNS0_4arch9wavefront6targetE1EEEvSY_
	.p2align	8
	.type	_ZN7rocprim17ROCPRIM_400000_NS6detail17trampoline_kernelINS0_14default_configENS1_29binary_search_config_selectorIfiEEZNS1_14transform_implILb0ES3_S5_N6thrust23THRUST_200600_302600_NS6detail15normal_iteratorINS8_7pointerIfNS8_11hip_rocprim16par_det_nosync_tENS8_11use_defaultESE_EEEENSA_INSB_IiSD_SE_SE_EEEEZNS1_13binary_searchIS3_S5_NSA_INS8_10device_ptrIfEEEESG_SI_NS1_16binary_search_opENS9_16wrapped_functionINS8_6system6detail7generic6detail18binary_search_lessEbEEEE10hipError_tPvRmT1_T2_T3_mmT4_T5_P12ihipStream_tbEUlRKfE_EESV_SZ_S10_mS11_S14_bEUlT_E_NS1_11comp_targetILNS1_3genE4ELNS1_11target_archE910ELNS1_3gpuE8ELNS1_3repE0EEENS1_30default_config_static_selectorELNS0_4arch9wavefront6targetE1EEEvSY_,@function
_ZN7rocprim17ROCPRIM_400000_NS6detail17trampoline_kernelINS0_14default_configENS1_29binary_search_config_selectorIfiEEZNS1_14transform_implILb0ES3_S5_N6thrust23THRUST_200600_302600_NS6detail15normal_iteratorINS8_7pointerIfNS8_11hip_rocprim16par_det_nosync_tENS8_11use_defaultESE_EEEENSA_INSB_IiSD_SE_SE_EEEEZNS1_13binary_searchIS3_S5_NSA_INS8_10device_ptrIfEEEESG_SI_NS1_16binary_search_opENS9_16wrapped_functionINS8_6system6detail7generic6detail18binary_search_lessEbEEEE10hipError_tPvRmT1_T2_T3_mmT4_T5_P12ihipStream_tbEUlRKfE_EESV_SZ_S10_mS11_S14_bEUlT_E_NS1_11comp_targetILNS1_3genE4ELNS1_11target_archE910ELNS1_3gpuE8ELNS1_3repE0EEENS1_30default_config_static_selectorELNS0_4arch9wavefront6targetE1EEEvSY_: ; @_ZN7rocprim17ROCPRIM_400000_NS6detail17trampoline_kernelINS0_14default_configENS1_29binary_search_config_selectorIfiEEZNS1_14transform_implILb0ES3_S5_N6thrust23THRUST_200600_302600_NS6detail15normal_iteratorINS8_7pointerIfNS8_11hip_rocprim16par_det_nosync_tENS8_11use_defaultESE_EEEENSA_INSB_IiSD_SE_SE_EEEEZNS1_13binary_searchIS3_S5_NSA_INS8_10device_ptrIfEEEESG_SI_NS1_16binary_search_opENS9_16wrapped_functionINS8_6system6detail7generic6detail18binary_search_lessEbEEEE10hipError_tPvRmT1_T2_T3_mmT4_T5_P12ihipStream_tbEUlRKfE_EESV_SZ_S10_mS11_S14_bEUlT_E_NS1_11comp_targetILNS1_3genE4ELNS1_11target_archE910ELNS1_3gpuE8ELNS1_3repE0EEENS1_30default_config_static_selectorELNS0_4arch9wavefront6targetE1EEEvSY_
; %bb.0:
	.section	.rodata,"a",@progbits
	.p2align	6, 0x0
	.amdhsa_kernel _ZN7rocprim17ROCPRIM_400000_NS6detail17trampoline_kernelINS0_14default_configENS1_29binary_search_config_selectorIfiEEZNS1_14transform_implILb0ES3_S5_N6thrust23THRUST_200600_302600_NS6detail15normal_iteratorINS8_7pointerIfNS8_11hip_rocprim16par_det_nosync_tENS8_11use_defaultESE_EEEENSA_INSB_IiSD_SE_SE_EEEEZNS1_13binary_searchIS3_S5_NSA_INS8_10device_ptrIfEEEESG_SI_NS1_16binary_search_opENS9_16wrapped_functionINS8_6system6detail7generic6detail18binary_search_lessEbEEEE10hipError_tPvRmT1_T2_T3_mmT4_T5_P12ihipStream_tbEUlRKfE_EESV_SZ_S10_mS11_S14_bEUlT_E_NS1_11comp_targetILNS1_3genE4ELNS1_11target_archE910ELNS1_3gpuE8ELNS1_3repE0EEENS1_30default_config_static_selectorELNS0_4arch9wavefront6targetE1EEEvSY_
		.amdhsa_group_segment_fixed_size 0
		.amdhsa_private_segment_fixed_size 0
		.amdhsa_kernarg_size 56
		.amdhsa_user_sgpr_count 6
		.amdhsa_user_sgpr_private_segment_buffer 1
		.amdhsa_user_sgpr_dispatch_ptr 0
		.amdhsa_user_sgpr_queue_ptr 0
		.amdhsa_user_sgpr_kernarg_segment_ptr 1
		.amdhsa_user_sgpr_dispatch_id 0
		.amdhsa_user_sgpr_flat_scratch_init 0
		.amdhsa_user_sgpr_private_segment_size 0
		.amdhsa_uses_dynamic_stack 0
		.amdhsa_system_sgpr_private_segment_wavefront_offset 0
		.amdhsa_system_sgpr_workgroup_id_x 1
		.amdhsa_system_sgpr_workgroup_id_y 0
		.amdhsa_system_sgpr_workgroup_id_z 0
		.amdhsa_system_sgpr_workgroup_info 0
		.amdhsa_system_vgpr_workitem_id 0
		.amdhsa_next_free_vgpr 1
		.amdhsa_next_free_sgpr 0
		.amdhsa_reserve_vcc 0
		.amdhsa_reserve_flat_scratch 0
		.amdhsa_float_round_mode_32 0
		.amdhsa_float_round_mode_16_64 0
		.amdhsa_float_denorm_mode_32 3
		.amdhsa_float_denorm_mode_16_64 3
		.amdhsa_dx10_clamp 1
		.amdhsa_ieee_mode 1
		.amdhsa_fp16_overflow 0
		.amdhsa_exception_fp_ieee_invalid_op 0
		.amdhsa_exception_fp_denorm_src 0
		.amdhsa_exception_fp_ieee_div_zero 0
		.amdhsa_exception_fp_ieee_overflow 0
		.amdhsa_exception_fp_ieee_underflow 0
		.amdhsa_exception_fp_ieee_inexact 0
		.amdhsa_exception_int_div_zero 0
	.end_amdhsa_kernel
	.section	.text._ZN7rocprim17ROCPRIM_400000_NS6detail17trampoline_kernelINS0_14default_configENS1_29binary_search_config_selectorIfiEEZNS1_14transform_implILb0ES3_S5_N6thrust23THRUST_200600_302600_NS6detail15normal_iteratorINS8_7pointerIfNS8_11hip_rocprim16par_det_nosync_tENS8_11use_defaultESE_EEEENSA_INSB_IiSD_SE_SE_EEEEZNS1_13binary_searchIS3_S5_NSA_INS8_10device_ptrIfEEEESG_SI_NS1_16binary_search_opENS9_16wrapped_functionINS8_6system6detail7generic6detail18binary_search_lessEbEEEE10hipError_tPvRmT1_T2_T3_mmT4_T5_P12ihipStream_tbEUlRKfE_EESV_SZ_S10_mS11_S14_bEUlT_E_NS1_11comp_targetILNS1_3genE4ELNS1_11target_archE910ELNS1_3gpuE8ELNS1_3repE0EEENS1_30default_config_static_selectorELNS0_4arch9wavefront6targetE1EEEvSY_,"axG",@progbits,_ZN7rocprim17ROCPRIM_400000_NS6detail17trampoline_kernelINS0_14default_configENS1_29binary_search_config_selectorIfiEEZNS1_14transform_implILb0ES3_S5_N6thrust23THRUST_200600_302600_NS6detail15normal_iteratorINS8_7pointerIfNS8_11hip_rocprim16par_det_nosync_tENS8_11use_defaultESE_EEEENSA_INSB_IiSD_SE_SE_EEEEZNS1_13binary_searchIS3_S5_NSA_INS8_10device_ptrIfEEEESG_SI_NS1_16binary_search_opENS9_16wrapped_functionINS8_6system6detail7generic6detail18binary_search_lessEbEEEE10hipError_tPvRmT1_T2_T3_mmT4_T5_P12ihipStream_tbEUlRKfE_EESV_SZ_S10_mS11_S14_bEUlT_E_NS1_11comp_targetILNS1_3genE4ELNS1_11target_archE910ELNS1_3gpuE8ELNS1_3repE0EEENS1_30default_config_static_selectorELNS0_4arch9wavefront6targetE1EEEvSY_,comdat
.Lfunc_end637:
	.size	_ZN7rocprim17ROCPRIM_400000_NS6detail17trampoline_kernelINS0_14default_configENS1_29binary_search_config_selectorIfiEEZNS1_14transform_implILb0ES3_S5_N6thrust23THRUST_200600_302600_NS6detail15normal_iteratorINS8_7pointerIfNS8_11hip_rocprim16par_det_nosync_tENS8_11use_defaultESE_EEEENSA_INSB_IiSD_SE_SE_EEEEZNS1_13binary_searchIS3_S5_NSA_INS8_10device_ptrIfEEEESG_SI_NS1_16binary_search_opENS9_16wrapped_functionINS8_6system6detail7generic6detail18binary_search_lessEbEEEE10hipError_tPvRmT1_T2_T3_mmT4_T5_P12ihipStream_tbEUlRKfE_EESV_SZ_S10_mS11_S14_bEUlT_E_NS1_11comp_targetILNS1_3genE4ELNS1_11target_archE910ELNS1_3gpuE8ELNS1_3repE0EEENS1_30default_config_static_selectorELNS0_4arch9wavefront6targetE1EEEvSY_, .Lfunc_end637-_ZN7rocprim17ROCPRIM_400000_NS6detail17trampoline_kernelINS0_14default_configENS1_29binary_search_config_selectorIfiEEZNS1_14transform_implILb0ES3_S5_N6thrust23THRUST_200600_302600_NS6detail15normal_iteratorINS8_7pointerIfNS8_11hip_rocprim16par_det_nosync_tENS8_11use_defaultESE_EEEENSA_INSB_IiSD_SE_SE_EEEEZNS1_13binary_searchIS3_S5_NSA_INS8_10device_ptrIfEEEESG_SI_NS1_16binary_search_opENS9_16wrapped_functionINS8_6system6detail7generic6detail18binary_search_lessEbEEEE10hipError_tPvRmT1_T2_T3_mmT4_T5_P12ihipStream_tbEUlRKfE_EESV_SZ_S10_mS11_S14_bEUlT_E_NS1_11comp_targetILNS1_3genE4ELNS1_11target_archE910ELNS1_3gpuE8ELNS1_3repE0EEENS1_30default_config_static_selectorELNS0_4arch9wavefront6targetE1EEEvSY_
                                        ; -- End function
	.set _ZN7rocprim17ROCPRIM_400000_NS6detail17trampoline_kernelINS0_14default_configENS1_29binary_search_config_selectorIfiEEZNS1_14transform_implILb0ES3_S5_N6thrust23THRUST_200600_302600_NS6detail15normal_iteratorINS8_7pointerIfNS8_11hip_rocprim16par_det_nosync_tENS8_11use_defaultESE_EEEENSA_INSB_IiSD_SE_SE_EEEEZNS1_13binary_searchIS3_S5_NSA_INS8_10device_ptrIfEEEESG_SI_NS1_16binary_search_opENS9_16wrapped_functionINS8_6system6detail7generic6detail18binary_search_lessEbEEEE10hipError_tPvRmT1_T2_T3_mmT4_T5_P12ihipStream_tbEUlRKfE_EESV_SZ_S10_mS11_S14_bEUlT_E_NS1_11comp_targetILNS1_3genE4ELNS1_11target_archE910ELNS1_3gpuE8ELNS1_3repE0EEENS1_30default_config_static_selectorELNS0_4arch9wavefront6targetE1EEEvSY_.num_vgpr, 0
	.set _ZN7rocprim17ROCPRIM_400000_NS6detail17trampoline_kernelINS0_14default_configENS1_29binary_search_config_selectorIfiEEZNS1_14transform_implILb0ES3_S5_N6thrust23THRUST_200600_302600_NS6detail15normal_iteratorINS8_7pointerIfNS8_11hip_rocprim16par_det_nosync_tENS8_11use_defaultESE_EEEENSA_INSB_IiSD_SE_SE_EEEEZNS1_13binary_searchIS3_S5_NSA_INS8_10device_ptrIfEEEESG_SI_NS1_16binary_search_opENS9_16wrapped_functionINS8_6system6detail7generic6detail18binary_search_lessEbEEEE10hipError_tPvRmT1_T2_T3_mmT4_T5_P12ihipStream_tbEUlRKfE_EESV_SZ_S10_mS11_S14_bEUlT_E_NS1_11comp_targetILNS1_3genE4ELNS1_11target_archE910ELNS1_3gpuE8ELNS1_3repE0EEENS1_30default_config_static_selectorELNS0_4arch9wavefront6targetE1EEEvSY_.num_agpr, 0
	.set _ZN7rocprim17ROCPRIM_400000_NS6detail17trampoline_kernelINS0_14default_configENS1_29binary_search_config_selectorIfiEEZNS1_14transform_implILb0ES3_S5_N6thrust23THRUST_200600_302600_NS6detail15normal_iteratorINS8_7pointerIfNS8_11hip_rocprim16par_det_nosync_tENS8_11use_defaultESE_EEEENSA_INSB_IiSD_SE_SE_EEEEZNS1_13binary_searchIS3_S5_NSA_INS8_10device_ptrIfEEEESG_SI_NS1_16binary_search_opENS9_16wrapped_functionINS8_6system6detail7generic6detail18binary_search_lessEbEEEE10hipError_tPvRmT1_T2_T3_mmT4_T5_P12ihipStream_tbEUlRKfE_EESV_SZ_S10_mS11_S14_bEUlT_E_NS1_11comp_targetILNS1_3genE4ELNS1_11target_archE910ELNS1_3gpuE8ELNS1_3repE0EEENS1_30default_config_static_selectorELNS0_4arch9wavefront6targetE1EEEvSY_.numbered_sgpr, 0
	.set _ZN7rocprim17ROCPRIM_400000_NS6detail17trampoline_kernelINS0_14default_configENS1_29binary_search_config_selectorIfiEEZNS1_14transform_implILb0ES3_S5_N6thrust23THRUST_200600_302600_NS6detail15normal_iteratorINS8_7pointerIfNS8_11hip_rocprim16par_det_nosync_tENS8_11use_defaultESE_EEEENSA_INSB_IiSD_SE_SE_EEEEZNS1_13binary_searchIS3_S5_NSA_INS8_10device_ptrIfEEEESG_SI_NS1_16binary_search_opENS9_16wrapped_functionINS8_6system6detail7generic6detail18binary_search_lessEbEEEE10hipError_tPvRmT1_T2_T3_mmT4_T5_P12ihipStream_tbEUlRKfE_EESV_SZ_S10_mS11_S14_bEUlT_E_NS1_11comp_targetILNS1_3genE4ELNS1_11target_archE910ELNS1_3gpuE8ELNS1_3repE0EEENS1_30default_config_static_selectorELNS0_4arch9wavefront6targetE1EEEvSY_.num_named_barrier, 0
	.set _ZN7rocprim17ROCPRIM_400000_NS6detail17trampoline_kernelINS0_14default_configENS1_29binary_search_config_selectorIfiEEZNS1_14transform_implILb0ES3_S5_N6thrust23THRUST_200600_302600_NS6detail15normal_iteratorINS8_7pointerIfNS8_11hip_rocprim16par_det_nosync_tENS8_11use_defaultESE_EEEENSA_INSB_IiSD_SE_SE_EEEEZNS1_13binary_searchIS3_S5_NSA_INS8_10device_ptrIfEEEESG_SI_NS1_16binary_search_opENS9_16wrapped_functionINS8_6system6detail7generic6detail18binary_search_lessEbEEEE10hipError_tPvRmT1_T2_T3_mmT4_T5_P12ihipStream_tbEUlRKfE_EESV_SZ_S10_mS11_S14_bEUlT_E_NS1_11comp_targetILNS1_3genE4ELNS1_11target_archE910ELNS1_3gpuE8ELNS1_3repE0EEENS1_30default_config_static_selectorELNS0_4arch9wavefront6targetE1EEEvSY_.private_seg_size, 0
	.set _ZN7rocprim17ROCPRIM_400000_NS6detail17trampoline_kernelINS0_14default_configENS1_29binary_search_config_selectorIfiEEZNS1_14transform_implILb0ES3_S5_N6thrust23THRUST_200600_302600_NS6detail15normal_iteratorINS8_7pointerIfNS8_11hip_rocprim16par_det_nosync_tENS8_11use_defaultESE_EEEENSA_INSB_IiSD_SE_SE_EEEEZNS1_13binary_searchIS3_S5_NSA_INS8_10device_ptrIfEEEESG_SI_NS1_16binary_search_opENS9_16wrapped_functionINS8_6system6detail7generic6detail18binary_search_lessEbEEEE10hipError_tPvRmT1_T2_T3_mmT4_T5_P12ihipStream_tbEUlRKfE_EESV_SZ_S10_mS11_S14_bEUlT_E_NS1_11comp_targetILNS1_3genE4ELNS1_11target_archE910ELNS1_3gpuE8ELNS1_3repE0EEENS1_30default_config_static_selectorELNS0_4arch9wavefront6targetE1EEEvSY_.uses_vcc, 0
	.set _ZN7rocprim17ROCPRIM_400000_NS6detail17trampoline_kernelINS0_14default_configENS1_29binary_search_config_selectorIfiEEZNS1_14transform_implILb0ES3_S5_N6thrust23THRUST_200600_302600_NS6detail15normal_iteratorINS8_7pointerIfNS8_11hip_rocprim16par_det_nosync_tENS8_11use_defaultESE_EEEENSA_INSB_IiSD_SE_SE_EEEEZNS1_13binary_searchIS3_S5_NSA_INS8_10device_ptrIfEEEESG_SI_NS1_16binary_search_opENS9_16wrapped_functionINS8_6system6detail7generic6detail18binary_search_lessEbEEEE10hipError_tPvRmT1_T2_T3_mmT4_T5_P12ihipStream_tbEUlRKfE_EESV_SZ_S10_mS11_S14_bEUlT_E_NS1_11comp_targetILNS1_3genE4ELNS1_11target_archE910ELNS1_3gpuE8ELNS1_3repE0EEENS1_30default_config_static_selectorELNS0_4arch9wavefront6targetE1EEEvSY_.uses_flat_scratch, 0
	.set _ZN7rocprim17ROCPRIM_400000_NS6detail17trampoline_kernelINS0_14default_configENS1_29binary_search_config_selectorIfiEEZNS1_14transform_implILb0ES3_S5_N6thrust23THRUST_200600_302600_NS6detail15normal_iteratorINS8_7pointerIfNS8_11hip_rocprim16par_det_nosync_tENS8_11use_defaultESE_EEEENSA_INSB_IiSD_SE_SE_EEEEZNS1_13binary_searchIS3_S5_NSA_INS8_10device_ptrIfEEEESG_SI_NS1_16binary_search_opENS9_16wrapped_functionINS8_6system6detail7generic6detail18binary_search_lessEbEEEE10hipError_tPvRmT1_T2_T3_mmT4_T5_P12ihipStream_tbEUlRKfE_EESV_SZ_S10_mS11_S14_bEUlT_E_NS1_11comp_targetILNS1_3genE4ELNS1_11target_archE910ELNS1_3gpuE8ELNS1_3repE0EEENS1_30default_config_static_selectorELNS0_4arch9wavefront6targetE1EEEvSY_.has_dyn_sized_stack, 0
	.set _ZN7rocprim17ROCPRIM_400000_NS6detail17trampoline_kernelINS0_14default_configENS1_29binary_search_config_selectorIfiEEZNS1_14transform_implILb0ES3_S5_N6thrust23THRUST_200600_302600_NS6detail15normal_iteratorINS8_7pointerIfNS8_11hip_rocprim16par_det_nosync_tENS8_11use_defaultESE_EEEENSA_INSB_IiSD_SE_SE_EEEEZNS1_13binary_searchIS3_S5_NSA_INS8_10device_ptrIfEEEESG_SI_NS1_16binary_search_opENS9_16wrapped_functionINS8_6system6detail7generic6detail18binary_search_lessEbEEEE10hipError_tPvRmT1_T2_T3_mmT4_T5_P12ihipStream_tbEUlRKfE_EESV_SZ_S10_mS11_S14_bEUlT_E_NS1_11comp_targetILNS1_3genE4ELNS1_11target_archE910ELNS1_3gpuE8ELNS1_3repE0EEENS1_30default_config_static_selectorELNS0_4arch9wavefront6targetE1EEEvSY_.has_recursion, 0
	.set _ZN7rocprim17ROCPRIM_400000_NS6detail17trampoline_kernelINS0_14default_configENS1_29binary_search_config_selectorIfiEEZNS1_14transform_implILb0ES3_S5_N6thrust23THRUST_200600_302600_NS6detail15normal_iteratorINS8_7pointerIfNS8_11hip_rocprim16par_det_nosync_tENS8_11use_defaultESE_EEEENSA_INSB_IiSD_SE_SE_EEEEZNS1_13binary_searchIS3_S5_NSA_INS8_10device_ptrIfEEEESG_SI_NS1_16binary_search_opENS9_16wrapped_functionINS8_6system6detail7generic6detail18binary_search_lessEbEEEE10hipError_tPvRmT1_T2_T3_mmT4_T5_P12ihipStream_tbEUlRKfE_EESV_SZ_S10_mS11_S14_bEUlT_E_NS1_11comp_targetILNS1_3genE4ELNS1_11target_archE910ELNS1_3gpuE8ELNS1_3repE0EEENS1_30default_config_static_selectorELNS0_4arch9wavefront6targetE1EEEvSY_.has_indirect_call, 0
	.section	.AMDGPU.csdata,"",@progbits
; Kernel info:
; codeLenInByte = 0
; TotalNumSgprs: 4
; NumVgprs: 0
; ScratchSize: 0
; MemoryBound: 0
; FloatMode: 240
; IeeeMode: 1
; LDSByteSize: 0 bytes/workgroup (compile time only)
; SGPRBlocks: 0
; VGPRBlocks: 0
; NumSGPRsForWavesPerEU: 4
; NumVGPRsForWavesPerEU: 1
; Occupancy: 10
; WaveLimiterHint : 0
; COMPUTE_PGM_RSRC2:SCRATCH_EN: 0
; COMPUTE_PGM_RSRC2:USER_SGPR: 6
; COMPUTE_PGM_RSRC2:TRAP_HANDLER: 0
; COMPUTE_PGM_RSRC2:TGID_X_EN: 1
; COMPUTE_PGM_RSRC2:TGID_Y_EN: 0
; COMPUTE_PGM_RSRC2:TGID_Z_EN: 0
; COMPUTE_PGM_RSRC2:TIDIG_COMP_CNT: 0
	.section	.text._ZN7rocprim17ROCPRIM_400000_NS6detail17trampoline_kernelINS0_14default_configENS1_29binary_search_config_selectorIfiEEZNS1_14transform_implILb0ES3_S5_N6thrust23THRUST_200600_302600_NS6detail15normal_iteratorINS8_7pointerIfNS8_11hip_rocprim16par_det_nosync_tENS8_11use_defaultESE_EEEENSA_INSB_IiSD_SE_SE_EEEEZNS1_13binary_searchIS3_S5_NSA_INS8_10device_ptrIfEEEESG_SI_NS1_16binary_search_opENS9_16wrapped_functionINS8_6system6detail7generic6detail18binary_search_lessEbEEEE10hipError_tPvRmT1_T2_T3_mmT4_T5_P12ihipStream_tbEUlRKfE_EESV_SZ_S10_mS11_S14_bEUlT_E_NS1_11comp_targetILNS1_3genE3ELNS1_11target_archE908ELNS1_3gpuE7ELNS1_3repE0EEENS1_30default_config_static_selectorELNS0_4arch9wavefront6targetE1EEEvSY_,"axG",@progbits,_ZN7rocprim17ROCPRIM_400000_NS6detail17trampoline_kernelINS0_14default_configENS1_29binary_search_config_selectorIfiEEZNS1_14transform_implILb0ES3_S5_N6thrust23THRUST_200600_302600_NS6detail15normal_iteratorINS8_7pointerIfNS8_11hip_rocprim16par_det_nosync_tENS8_11use_defaultESE_EEEENSA_INSB_IiSD_SE_SE_EEEEZNS1_13binary_searchIS3_S5_NSA_INS8_10device_ptrIfEEEESG_SI_NS1_16binary_search_opENS9_16wrapped_functionINS8_6system6detail7generic6detail18binary_search_lessEbEEEE10hipError_tPvRmT1_T2_T3_mmT4_T5_P12ihipStream_tbEUlRKfE_EESV_SZ_S10_mS11_S14_bEUlT_E_NS1_11comp_targetILNS1_3genE3ELNS1_11target_archE908ELNS1_3gpuE7ELNS1_3repE0EEENS1_30default_config_static_selectorELNS0_4arch9wavefront6targetE1EEEvSY_,comdat
	.protected	_ZN7rocprim17ROCPRIM_400000_NS6detail17trampoline_kernelINS0_14default_configENS1_29binary_search_config_selectorIfiEEZNS1_14transform_implILb0ES3_S5_N6thrust23THRUST_200600_302600_NS6detail15normal_iteratorINS8_7pointerIfNS8_11hip_rocprim16par_det_nosync_tENS8_11use_defaultESE_EEEENSA_INSB_IiSD_SE_SE_EEEEZNS1_13binary_searchIS3_S5_NSA_INS8_10device_ptrIfEEEESG_SI_NS1_16binary_search_opENS9_16wrapped_functionINS8_6system6detail7generic6detail18binary_search_lessEbEEEE10hipError_tPvRmT1_T2_T3_mmT4_T5_P12ihipStream_tbEUlRKfE_EESV_SZ_S10_mS11_S14_bEUlT_E_NS1_11comp_targetILNS1_3genE3ELNS1_11target_archE908ELNS1_3gpuE7ELNS1_3repE0EEENS1_30default_config_static_selectorELNS0_4arch9wavefront6targetE1EEEvSY_ ; -- Begin function _ZN7rocprim17ROCPRIM_400000_NS6detail17trampoline_kernelINS0_14default_configENS1_29binary_search_config_selectorIfiEEZNS1_14transform_implILb0ES3_S5_N6thrust23THRUST_200600_302600_NS6detail15normal_iteratorINS8_7pointerIfNS8_11hip_rocprim16par_det_nosync_tENS8_11use_defaultESE_EEEENSA_INSB_IiSD_SE_SE_EEEEZNS1_13binary_searchIS3_S5_NSA_INS8_10device_ptrIfEEEESG_SI_NS1_16binary_search_opENS9_16wrapped_functionINS8_6system6detail7generic6detail18binary_search_lessEbEEEE10hipError_tPvRmT1_T2_T3_mmT4_T5_P12ihipStream_tbEUlRKfE_EESV_SZ_S10_mS11_S14_bEUlT_E_NS1_11comp_targetILNS1_3genE3ELNS1_11target_archE908ELNS1_3gpuE7ELNS1_3repE0EEENS1_30default_config_static_selectorELNS0_4arch9wavefront6targetE1EEEvSY_
	.globl	_ZN7rocprim17ROCPRIM_400000_NS6detail17trampoline_kernelINS0_14default_configENS1_29binary_search_config_selectorIfiEEZNS1_14transform_implILb0ES3_S5_N6thrust23THRUST_200600_302600_NS6detail15normal_iteratorINS8_7pointerIfNS8_11hip_rocprim16par_det_nosync_tENS8_11use_defaultESE_EEEENSA_INSB_IiSD_SE_SE_EEEEZNS1_13binary_searchIS3_S5_NSA_INS8_10device_ptrIfEEEESG_SI_NS1_16binary_search_opENS9_16wrapped_functionINS8_6system6detail7generic6detail18binary_search_lessEbEEEE10hipError_tPvRmT1_T2_T3_mmT4_T5_P12ihipStream_tbEUlRKfE_EESV_SZ_S10_mS11_S14_bEUlT_E_NS1_11comp_targetILNS1_3genE3ELNS1_11target_archE908ELNS1_3gpuE7ELNS1_3repE0EEENS1_30default_config_static_selectorELNS0_4arch9wavefront6targetE1EEEvSY_
	.p2align	8
	.type	_ZN7rocprim17ROCPRIM_400000_NS6detail17trampoline_kernelINS0_14default_configENS1_29binary_search_config_selectorIfiEEZNS1_14transform_implILb0ES3_S5_N6thrust23THRUST_200600_302600_NS6detail15normal_iteratorINS8_7pointerIfNS8_11hip_rocprim16par_det_nosync_tENS8_11use_defaultESE_EEEENSA_INSB_IiSD_SE_SE_EEEEZNS1_13binary_searchIS3_S5_NSA_INS8_10device_ptrIfEEEESG_SI_NS1_16binary_search_opENS9_16wrapped_functionINS8_6system6detail7generic6detail18binary_search_lessEbEEEE10hipError_tPvRmT1_T2_T3_mmT4_T5_P12ihipStream_tbEUlRKfE_EESV_SZ_S10_mS11_S14_bEUlT_E_NS1_11comp_targetILNS1_3genE3ELNS1_11target_archE908ELNS1_3gpuE7ELNS1_3repE0EEENS1_30default_config_static_selectorELNS0_4arch9wavefront6targetE1EEEvSY_,@function
_ZN7rocprim17ROCPRIM_400000_NS6detail17trampoline_kernelINS0_14default_configENS1_29binary_search_config_selectorIfiEEZNS1_14transform_implILb0ES3_S5_N6thrust23THRUST_200600_302600_NS6detail15normal_iteratorINS8_7pointerIfNS8_11hip_rocprim16par_det_nosync_tENS8_11use_defaultESE_EEEENSA_INSB_IiSD_SE_SE_EEEEZNS1_13binary_searchIS3_S5_NSA_INS8_10device_ptrIfEEEESG_SI_NS1_16binary_search_opENS9_16wrapped_functionINS8_6system6detail7generic6detail18binary_search_lessEbEEEE10hipError_tPvRmT1_T2_T3_mmT4_T5_P12ihipStream_tbEUlRKfE_EESV_SZ_S10_mS11_S14_bEUlT_E_NS1_11comp_targetILNS1_3genE3ELNS1_11target_archE908ELNS1_3gpuE7ELNS1_3repE0EEENS1_30default_config_static_selectorELNS0_4arch9wavefront6targetE1EEEvSY_: ; @_ZN7rocprim17ROCPRIM_400000_NS6detail17trampoline_kernelINS0_14default_configENS1_29binary_search_config_selectorIfiEEZNS1_14transform_implILb0ES3_S5_N6thrust23THRUST_200600_302600_NS6detail15normal_iteratorINS8_7pointerIfNS8_11hip_rocprim16par_det_nosync_tENS8_11use_defaultESE_EEEENSA_INSB_IiSD_SE_SE_EEEEZNS1_13binary_searchIS3_S5_NSA_INS8_10device_ptrIfEEEESG_SI_NS1_16binary_search_opENS9_16wrapped_functionINS8_6system6detail7generic6detail18binary_search_lessEbEEEE10hipError_tPvRmT1_T2_T3_mmT4_T5_P12ihipStream_tbEUlRKfE_EESV_SZ_S10_mS11_S14_bEUlT_E_NS1_11comp_targetILNS1_3genE3ELNS1_11target_archE908ELNS1_3gpuE7ELNS1_3repE0EEENS1_30default_config_static_selectorELNS0_4arch9wavefront6targetE1EEEvSY_
; %bb.0:
	.section	.rodata,"a",@progbits
	.p2align	6, 0x0
	.amdhsa_kernel _ZN7rocprim17ROCPRIM_400000_NS6detail17trampoline_kernelINS0_14default_configENS1_29binary_search_config_selectorIfiEEZNS1_14transform_implILb0ES3_S5_N6thrust23THRUST_200600_302600_NS6detail15normal_iteratorINS8_7pointerIfNS8_11hip_rocprim16par_det_nosync_tENS8_11use_defaultESE_EEEENSA_INSB_IiSD_SE_SE_EEEEZNS1_13binary_searchIS3_S5_NSA_INS8_10device_ptrIfEEEESG_SI_NS1_16binary_search_opENS9_16wrapped_functionINS8_6system6detail7generic6detail18binary_search_lessEbEEEE10hipError_tPvRmT1_T2_T3_mmT4_T5_P12ihipStream_tbEUlRKfE_EESV_SZ_S10_mS11_S14_bEUlT_E_NS1_11comp_targetILNS1_3genE3ELNS1_11target_archE908ELNS1_3gpuE7ELNS1_3repE0EEENS1_30default_config_static_selectorELNS0_4arch9wavefront6targetE1EEEvSY_
		.amdhsa_group_segment_fixed_size 0
		.amdhsa_private_segment_fixed_size 0
		.amdhsa_kernarg_size 56
		.amdhsa_user_sgpr_count 6
		.amdhsa_user_sgpr_private_segment_buffer 1
		.amdhsa_user_sgpr_dispatch_ptr 0
		.amdhsa_user_sgpr_queue_ptr 0
		.amdhsa_user_sgpr_kernarg_segment_ptr 1
		.amdhsa_user_sgpr_dispatch_id 0
		.amdhsa_user_sgpr_flat_scratch_init 0
		.amdhsa_user_sgpr_private_segment_size 0
		.amdhsa_uses_dynamic_stack 0
		.amdhsa_system_sgpr_private_segment_wavefront_offset 0
		.amdhsa_system_sgpr_workgroup_id_x 1
		.amdhsa_system_sgpr_workgroup_id_y 0
		.amdhsa_system_sgpr_workgroup_id_z 0
		.amdhsa_system_sgpr_workgroup_info 0
		.amdhsa_system_vgpr_workitem_id 0
		.amdhsa_next_free_vgpr 1
		.amdhsa_next_free_sgpr 0
		.amdhsa_reserve_vcc 0
		.amdhsa_reserve_flat_scratch 0
		.amdhsa_float_round_mode_32 0
		.amdhsa_float_round_mode_16_64 0
		.amdhsa_float_denorm_mode_32 3
		.amdhsa_float_denorm_mode_16_64 3
		.amdhsa_dx10_clamp 1
		.amdhsa_ieee_mode 1
		.amdhsa_fp16_overflow 0
		.amdhsa_exception_fp_ieee_invalid_op 0
		.amdhsa_exception_fp_denorm_src 0
		.amdhsa_exception_fp_ieee_div_zero 0
		.amdhsa_exception_fp_ieee_overflow 0
		.amdhsa_exception_fp_ieee_underflow 0
		.amdhsa_exception_fp_ieee_inexact 0
		.amdhsa_exception_int_div_zero 0
	.end_amdhsa_kernel
	.section	.text._ZN7rocprim17ROCPRIM_400000_NS6detail17trampoline_kernelINS0_14default_configENS1_29binary_search_config_selectorIfiEEZNS1_14transform_implILb0ES3_S5_N6thrust23THRUST_200600_302600_NS6detail15normal_iteratorINS8_7pointerIfNS8_11hip_rocprim16par_det_nosync_tENS8_11use_defaultESE_EEEENSA_INSB_IiSD_SE_SE_EEEEZNS1_13binary_searchIS3_S5_NSA_INS8_10device_ptrIfEEEESG_SI_NS1_16binary_search_opENS9_16wrapped_functionINS8_6system6detail7generic6detail18binary_search_lessEbEEEE10hipError_tPvRmT1_T2_T3_mmT4_T5_P12ihipStream_tbEUlRKfE_EESV_SZ_S10_mS11_S14_bEUlT_E_NS1_11comp_targetILNS1_3genE3ELNS1_11target_archE908ELNS1_3gpuE7ELNS1_3repE0EEENS1_30default_config_static_selectorELNS0_4arch9wavefront6targetE1EEEvSY_,"axG",@progbits,_ZN7rocprim17ROCPRIM_400000_NS6detail17trampoline_kernelINS0_14default_configENS1_29binary_search_config_selectorIfiEEZNS1_14transform_implILb0ES3_S5_N6thrust23THRUST_200600_302600_NS6detail15normal_iteratorINS8_7pointerIfNS8_11hip_rocprim16par_det_nosync_tENS8_11use_defaultESE_EEEENSA_INSB_IiSD_SE_SE_EEEEZNS1_13binary_searchIS3_S5_NSA_INS8_10device_ptrIfEEEESG_SI_NS1_16binary_search_opENS9_16wrapped_functionINS8_6system6detail7generic6detail18binary_search_lessEbEEEE10hipError_tPvRmT1_T2_T3_mmT4_T5_P12ihipStream_tbEUlRKfE_EESV_SZ_S10_mS11_S14_bEUlT_E_NS1_11comp_targetILNS1_3genE3ELNS1_11target_archE908ELNS1_3gpuE7ELNS1_3repE0EEENS1_30default_config_static_selectorELNS0_4arch9wavefront6targetE1EEEvSY_,comdat
.Lfunc_end638:
	.size	_ZN7rocprim17ROCPRIM_400000_NS6detail17trampoline_kernelINS0_14default_configENS1_29binary_search_config_selectorIfiEEZNS1_14transform_implILb0ES3_S5_N6thrust23THRUST_200600_302600_NS6detail15normal_iteratorINS8_7pointerIfNS8_11hip_rocprim16par_det_nosync_tENS8_11use_defaultESE_EEEENSA_INSB_IiSD_SE_SE_EEEEZNS1_13binary_searchIS3_S5_NSA_INS8_10device_ptrIfEEEESG_SI_NS1_16binary_search_opENS9_16wrapped_functionINS8_6system6detail7generic6detail18binary_search_lessEbEEEE10hipError_tPvRmT1_T2_T3_mmT4_T5_P12ihipStream_tbEUlRKfE_EESV_SZ_S10_mS11_S14_bEUlT_E_NS1_11comp_targetILNS1_3genE3ELNS1_11target_archE908ELNS1_3gpuE7ELNS1_3repE0EEENS1_30default_config_static_selectorELNS0_4arch9wavefront6targetE1EEEvSY_, .Lfunc_end638-_ZN7rocprim17ROCPRIM_400000_NS6detail17trampoline_kernelINS0_14default_configENS1_29binary_search_config_selectorIfiEEZNS1_14transform_implILb0ES3_S5_N6thrust23THRUST_200600_302600_NS6detail15normal_iteratorINS8_7pointerIfNS8_11hip_rocprim16par_det_nosync_tENS8_11use_defaultESE_EEEENSA_INSB_IiSD_SE_SE_EEEEZNS1_13binary_searchIS3_S5_NSA_INS8_10device_ptrIfEEEESG_SI_NS1_16binary_search_opENS9_16wrapped_functionINS8_6system6detail7generic6detail18binary_search_lessEbEEEE10hipError_tPvRmT1_T2_T3_mmT4_T5_P12ihipStream_tbEUlRKfE_EESV_SZ_S10_mS11_S14_bEUlT_E_NS1_11comp_targetILNS1_3genE3ELNS1_11target_archE908ELNS1_3gpuE7ELNS1_3repE0EEENS1_30default_config_static_selectorELNS0_4arch9wavefront6targetE1EEEvSY_
                                        ; -- End function
	.set _ZN7rocprim17ROCPRIM_400000_NS6detail17trampoline_kernelINS0_14default_configENS1_29binary_search_config_selectorIfiEEZNS1_14transform_implILb0ES3_S5_N6thrust23THRUST_200600_302600_NS6detail15normal_iteratorINS8_7pointerIfNS8_11hip_rocprim16par_det_nosync_tENS8_11use_defaultESE_EEEENSA_INSB_IiSD_SE_SE_EEEEZNS1_13binary_searchIS3_S5_NSA_INS8_10device_ptrIfEEEESG_SI_NS1_16binary_search_opENS9_16wrapped_functionINS8_6system6detail7generic6detail18binary_search_lessEbEEEE10hipError_tPvRmT1_T2_T3_mmT4_T5_P12ihipStream_tbEUlRKfE_EESV_SZ_S10_mS11_S14_bEUlT_E_NS1_11comp_targetILNS1_3genE3ELNS1_11target_archE908ELNS1_3gpuE7ELNS1_3repE0EEENS1_30default_config_static_selectorELNS0_4arch9wavefront6targetE1EEEvSY_.num_vgpr, 0
	.set _ZN7rocprim17ROCPRIM_400000_NS6detail17trampoline_kernelINS0_14default_configENS1_29binary_search_config_selectorIfiEEZNS1_14transform_implILb0ES3_S5_N6thrust23THRUST_200600_302600_NS6detail15normal_iteratorINS8_7pointerIfNS8_11hip_rocprim16par_det_nosync_tENS8_11use_defaultESE_EEEENSA_INSB_IiSD_SE_SE_EEEEZNS1_13binary_searchIS3_S5_NSA_INS8_10device_ptrIfEEEESG_SI_NS1_16binary_search_opENS9_16wrapped_functionINS8_6system6detail7generic6detail18binary_search_lessEbEEEE10hipError_tPvRmT1_T2_T3_mmT4_T5_P12ihipStream_tbEUlRKfE_EESV_SZ_S10_mS11_S14_bEUlT_E_NS1_11comp_targetILNS1_3genE3ELNS1_11target_archE908ELNS1_3gpuE7ELNS1_3repE0EEENS1_30default_config_static_selectorELNS0_4arch9wavefront6targetE1EEEvSY_.num_agpr, 0
	.set _ZN7rocprim17ROCPRIM_400000_NS6detail17trampoline_kernelINS0_14default_configENS1_29binary_search_config_selectorIfiEEZNS1_14transform_implILb0ES3_S5_N6thrust23THRUST_200600_302600_NS6detail15normal_iteratorINS8_7pointerIfNS8_11hip_rocprim16par_det_nosync_tENS8_11use_defaultESE_EEEENSA_INSB_IiSD_SE_SE_EEEEZNS1_13binary_searchIS3_S5_NSA_INS8_10device_ptrIfEEEESG_SI_NS1_16binary_search_opENS9_16wrapped_functionINS8_6system6detail7generic6detail18binary_search_lessEbEEEE10hipError_tPvRmT1_T2_T3_mmT4_T5_P12ihipStream_tbEUlRKfE_EESV_SZ_S10_mS11_S14_bEUlT_E_NS1_11comp_targetILNS1_3genE3ELNS1_11target_archE908ELNS1_3gpuE7ELNS1_3repE0EEENS1_30default_config_static_selectorELNS0_4arch9wavefront6targetE1EEEvSY_.numbered_sgpr, 0
	.set _ZN7rocprim17ROCPRIM_400000_NS6detail17trampoline_kernelINS0_14default_configENS1_29binary_search_config_selectorIfiEEZNS1_14transform_implILb0ES3_S5_N6thrust23THRUST_200600_302600_NS6detail15normal_iteratorINS8_7pointerIfNS8_11hip_rocprim16par_det_nosync_tENS8_11use_defaultESE_EEEENSA_INSB_IiSD_SE_SE_EEEEZNS1_13binary_searchIS3_S5_NSA_INS8_10device_ptrIfEEEESG_SI_NS1_16binary_search_opENS9_16wrapped_functionINS8_6system6detail7generic6detail18binary_search_lessEbEEEE10hipError_tPvRmT1_T2_T3_mmT4_T5_P12ihipStream_tbEUlRKfE_EESV_SZ_S10_mS11_S14_bEUlT_E_NS1_11comp_targetILNS1_3genE3ELNS1_11target_archE908ELNS1_3gpuE7ELNS1_3repE0EEENS1_30default_config_static_selectorELNS0_4arch9wavefront6targetE1EEEvSY_.num_named_barrier, 0
	.set _ZN7rocprim17ROCPRIM_400000_NS6detail17trampoline_kernelINS0_14default_configENS1_29binary_search_config_selectorIfiEEZNS1_14transform_implILb0ES3_S5_N6thrust23THRUST_200600_302600_NS6detail15normal_iteratorINS8_7pointerIfNS8_11hip_rocprim16par_det_nosync_tENS8_11use_defaultESE_EEEENSA_INSB_IiSD_SE_SE_EEEEZNS1_13binary_searchIS3_S5_NSA_INS8_10device_ptrIfEEEESG_SI_NS1_16binary_search_opENS9_16wrapped_functionINS8_6system6detail7generic6detail18binary_search_lessEbEEEE10hipError_tPvRmT1_T2_T3_mmT4_T5_P12ihipStream_tbEUlRKfE_EESV_SZ_S10_mS11_S14_bEUlT_E_NS1_11comp_targetILNS1_3genE3ELNS1_11target_archE908ELNS1_3gpuE7ELNS1_3repE0EEENS1_30default_config_static_selectorELNS0_4arch9wavefront6targetE1EEEvSY_.private_seg_size, 0
	.set _ZN7rocprim17ROCPRIM_400000_NS6detail17trampoline_kernelINS0_14default_configENS1_29binary_search_config_selectorIfiEEZNS1_14transform_implILb0ES3_S5_N6thrust23THRUST_200600_302600_NS6detail15normal_iteratorINS8_7pointerIfNS8_11hip_rocprim16par_det_nosync_tENS8_11use_defaultESE_EEEENSA_INSB_IiSD_SE_SE_EEEEZNS1_13binary_searchIS3_S5_NSA_INS8_10device_ptrIfEEEESG_SI_NS1_16binary_search_opENS9_16wrapped_functionINS8_6system6detail7generic6detail18binary_search_lessEbEEEE10hipError_tPvRmT1_T2_T3_mmT4_T5_P12ihipStream_tbEUlRKfE_EESV_SZ_S10_mS11_S14_bEUlT_E_NS1_11comp_targetILNS1_3genE3ELNS1_11target_archE908ELNS1_3gpuE7ELNS1_3repE0EEENS1_30default_config_static_selectorELNS0_4arch9wavefront6targetE1EEEvSY_.uses_vcc, 0
	.set _ZN7rocprim17ROCPRIM_400000_NS6detail17trampoline_kernelINS0_14default_configENS1_29binary_search_config_selectorIfiEEZNS1_14transform_implILb0ES3_S5_N6thrust23THRUST_200600_302600_NS6detail15normal_iteratorINS8_7pointerIfNS8_11hip_rocprim16par_det_nosync_tENS8_11use_defaultESE_EEEENSA_INSB_IiSD_SE_SE_EEEEZNS1_13binary_searchIS3_S5_NSA_INS8_10device_ptrIfEEEESG_SI_NS1_16binary_search_opENS9_16wrapped_functionINS8_6system6detail7generic6detail18binary_search_lessEbEEEE10hipError_tPvRmT1_T2_T3_mmT4_T5_P12ihipStream_tbEUlRKfE_EESV_SZ_S10_mS11_S14_bEUlT_E_NS1_11comp_targetILNS1_3genE3ELNS1_11target_archE908ELNS1_3gpuE7ELNS1_3repE0EEENS1_30default_config_static_selectorELNS0_4arch9wavefront6targetE1EEEvSY_.uses_flat_scratch, 0
	.set _ZN7rocprim17ROCPRIM_400000_NS6detail17trampoline_kernelINS0_14default_configENS1_29binary_search_config_selectorIfiEEZNS1_14transform_implILb0ES3_S5_N6thrust23THRUST_200600_302600_NS6detail15normal_iteratorINS8_7pointerIfNS8_11hip_rocprim16par_det_nosync_tENS8_11use_defaultESE_EEEENSA_INSB_IiSD_SE_SE_EEEEZNS1_13binary_searchIS3_S5_NSA_INS8_10device_ptrIfEEEESG_SI_NS1_16binary_search_opENS9_16wrapped_functionINS8_6system6detail7generic6detail18binary_search_lessEbEEEE10hipError_tPvRmT1_T2_T3_mmT4_T5_P12ihipStream_tbEUlRKfE_EESV_SZ_S10_mS11_S14_bEUlT_E_NS1_11comp_targetILNS1_3genE3ELNS1_11target_archE908ELNS1_3gpuE7ELNS1_3repE0EEENS1_30default_config_static_selectorELNS0_4arch9wavefront6targetE1EEEvSY_.has_dyn_sized_stack, 0
	.set _ZN7rocprim17ROCPRIM_400000_NS6detail17trampoline_kernelINS0_14default_configENS1_29binary_search_config_selectorIfiEEZNS1_14transform_implILb0ES3_S5_N6thrust23THRUST_200600_302600_NS6detail15normal_iteratorINS8_7pointerIfNS8_11hip_rocprim16par_det_nosync_tENS8_11use_defaultESE_EEEENSA_INSB_IiSD_SE_SE_EEEEZNS1_13binary_searchIS3_S5_NSA_INS8_10device_ptrIfEEEESG_SI_NS1_16binary_search_opENS9_16wrapped_functionINS8_6system6detail7generic6detail18binary_search_lessEbEEEE10hipError_tPvRmT1_T2_T3_mmT4_T5_P12ihipStream_tbEUlRKfE_EESV_SZ_S10_mS11_S14_bEUlT_E_NS1_11comp_targetILNS1_3genE3ELNS1_11target_archE908ELNS1_3gpuE7ELNS1_3repE0EEENS1_30default_config_static_selectorELNS0_4arch9wavefront6targetE1EEEvSY_.has_recursion, 0
	.set _ZN7rocprim17ROCPRIM_400000_NS6detail17trampoline_kernelINS0_14default_configENS1_29binary_search_config_selectorIfiEEZNS1_14transform_implILb0ES3_S5_N6thrust23THRUST_200600_302600_NS6detail15normal_iteratorINS8_7pointerIfNS8_11hip_rocprim16par_det_nosync_tENS8_11use_defaultESE_EEEENSA_INSB_IiSD_SE_SE_EEEEZNS1_13binary_searchIS3_S5_NSA_INS8_10device_ptrIfEEEESG_SI_NS1_16binary_search_opENS9_16wrapped_functionINS8_6system6detail7generic6detail18binary_search_lessEbEEEE10hipError_tPvRmT1_T2_T3_mmT4_T5_P12ihipStream_tbEUlRKfE_EESV_SZ_S10_mS11_S14_bEUlT_E_NS1_11comp_targetILNS1_3genE3ELNS1_11target_archE908ELNS1_3gpuE7ELNS1_3repE0EEENS1_30default_config_static_selectorELNS0_4arch9wavefront6targetE1EEEvSY_.has_indirect_call, 0
	.section	.AMDGPU.csdata,"",@progbits
; Kernel info:
; codeLenInByte = 0
; TotalNumSgprs: 4
; NumVgprs: 0
; ScratchSize: 0
; MemoryBound: 0
; FloatMode: 240
; IeeeMode: 1
; LDSByteSize: 0 bytes/workgroup (compile time only)
; SGPRBlocks: 0
; VGPRBlocks: 0
; NumSGPRsForWavesPerEU: 4
; NumVGPRsForWavesPerEU: 1
; Occupancy: 10
; WaveLimiterHint : 0
; COMPUTE_PGM_RSRC2:SCRATCH_EN: 0
; COMPUTE_PGM_RSRC2:USER_SGPR: 6
; COMPUTE_PGM_RSRC2:TRAP_HANDLER: 0
; COMPUTE_PGM_RSRC2:TGID_X_EN: 1
; COMPUTE_PGM_RSRC2:TGID_Y_EN: 0
; COMPUTE_PGM_RSRC2:TGID_Z_EN: 0
; COMPUTE_PGM_RSRC2:TIDIG_COMP_CNT: 0
	.section	.text._ZN7rocprim17ROCPRIM_400000_NS6detail17trampoline_kernelINS0_14default_configENS1_29binary_search_config_selectorIfiEEZNS1_14transform_implILb0ES3_S5_N6thrust23THRUST_200600_302600_NS6detail15normal_iteratorINS8_7pointerIfNS8_11hip_rocprim16par_det_nosync_tENS8_11use_defaultESE_EEEENSA_INSB_IiSD_SE_SE_EEEEZNS1_13binary_searchIS3_S5_NSA_INS8_10device_ptrIfEEEESG_SI_NS1_16binary_search_opENS9_16wrapped_functionINS8_6system6detail7generic6detail18binary_search_lessEbEEEE10hipError_tPvRmT1_T2_T3_mmT4_T5_P12ihipStream_tbEUlRKfE_EESV_SZ_S10_mS11_S14_bEUlT_E_NS1_11comp_targetILNS1_3genE2ELNS1_11target_archE906ELNS1_3gpuE6ELNS1_3repE0EEENS1_30default_config_static_selectorELNS0_4arch9wavefront6targetE1EEEvSY_,"axG",@progbits,_ZN7rocprim17ROCPRIM_400000_NS6detail17trampoline_kernelINS0_14default_configENS1_29binary_search_config_selectorIfiEEZNS1_14transform_implILb0ES3_S5_N6thrust23THRUST_200600_302600_NS6detail15normal_iteratorINS8_7pointerIfNS8_11hip_rocprim16par_det_nosync_tENS8_11use_defaultESE_EEEENSA_INSB_IiSD_SE_SE_EEEEZNS1_13binary_searchIS3_S5_NSA_INS8_10device_ptrIfEEEESG_SI_NS1_16binary_search_opENS9_16wrapped_functionINS8_6system6detail7generic6detail18binary_search_lessEbEEEE10hipError_tPvRmT1_T2_T3_mmT4_T5_P12ihipStream_tbEUlRKfE_EESV_SZ_S10_mS11_S14_bEUlT_E_NS1_11comp_targetILNS1_3genE2ELNS1_11target_archE906ELNS1_3gpuE6ELNS1_3repE0EEENS1_30default_config_static_selectorELNS0_4arch9wavefront6targetE1EEEvSY_,comdat
	.protected	_ZN7rocprim17ROCPRIM_400000_NS6detail17trampoline_kernelINS0_14default_configENS1_29binary_search_config_selectorIfiEEZNS1_14transform_implILb0ES3_S5_N6thrust23THRUST_200600_302600_NS6detail15normal_iteratorINS8_7pointerIfNS8_11hip_rocprim16par_det_nosync_tENS8_11use_defaultESE_EEEENSA_INSB_IiSD_SE_SE_EEEEZNS1_13binary_searchIS3_S5_NSA_INS8_10device_ptrIfEEEESG_SI_NS1_16binary_search_opENS9_16wrapped_functionINS8_6system6detail7generic6detail18binary_search_lessEbEEEE10hipError_tPvRmT1_T2_T3_mmT4_T5_P12ihipStream_tbEUlRKfE_EESV_SZ_S10_mS11_S14_bEUlT_E_NS1_11comp_targetILNS1_3genE2ELNS1_11target_archE906ELNS1_3gpuE6ELNS1_3repE0EEENS1_30default_config_static_selectorELNS0_4arch9wavefront6targetE1EEEvSY_ ; -- Begin function _ZN7rocprim17ROCPRIM_400000_NS6detail17trampoline_kernelINS0_14default_configENS1_29binary_search_config_selectorIfiEEZNS1_14transform_implILb0ES3_S5_N6thrust23THRUST_200600_302600_NS6detail15normal_iteratorINS8_7pointerIfNS8_11hip_rocprim16par_det_nosync_tENS8_11use_defaultESE_EEEENSA_INSB_IiSD_SE_SE_EEEEZNS1_13binary_searchIS3_S5_NSA_INS8_10device_ptrIfEEEESG_SI_NS1_16binary_search_opENS9_16wrapped_functionINS8_6system6detail7generic6detail18binary_search_lessEbEEEE10hipError_tPvRmT1_T2_T3_mmT4_T5_P12ihipStream_tbEUlRKfE_EESV_SZ_S10_mS11_S14_bEUlT_E_NS1_11comp_targetILNS1_3genE2ELNS1_11target_archE906ELNS1_3gpuE6ELNS1_3repE0EEENS1_30default_config_static_selectorELNS0_4arch9wavefront6targetE1EEEvSY_
	.globl	_ZN7rocprim17ROCPRIM_400000_NS6detail17trampoline_kernelINS0_14default_configENS1_29binary_search_config_selectorIfiEEZNS1_14transform_implILb0ES3_S5_N6thrust23THRUST_200600_302600_NS6detail15normal_iteratorINS8_7pointerIfNS8_11hip_rocprim16par_det_nosync_tENS8_11use_defaultESE_EEEENSA_INSB_IiSD_SE_SE_EEEEZNS1_13binary_searchIS3_S5_NSA_INS8_10device_ptrIfEEEESG_SI_NS1_16binary_search_opENS9_16wrapped_functionINS8_6system6detail7generic6detail18binary_search_lessEbEEEE10hipError_tPvRmT1_T2_T3_mmT4_T5_P12ihipStream_tbEUlRKfE_EESV_SZ_S10_mS11_S14_bEUlT_E_NS1_11comp_targetILNS1_3genE2ELNS1_11target_archE906ELNS1_3gpuE6ELNS1_3repE0EEENS1_30default_config_static_selectorELNS0_4arch9wavefront6targetE1EEEvSY_
	.p2align	8
	.type	_ZN7rocprim17ROCPRIM_400000_NS6detail17trampoline_kernelINS0_14default_configENS1_29binary_search_config_selectorIfiEEZNS1_14transform_implILb0ES3_S5_N6thrust23THRUST_200600_302600_NS6detail15normal_iteratorINS8_7pointerIfNS8_11hip_rocprim16par_det_nosync_tENS8_11use_defaultESE_EEEENSA_INSB_IiSD_SE_SE_EEEEZNS1_13binary_searchIS3_S5_NSA_INS8_10device_ptrIfEEEESG_SI_NS1_16binary_search_opENS9_16wrapped_functionINS8_6system6detail7generic6detail18binary_search_lessEbEEEE10hipError_tPvRmT1_T2_T3_mmT4_T5_P12ihipStream_tbEUlRKfE_EESV_SZ_S10_mS11_S14_bEUlT_E_NS1_11comp_targetILNS1_3genE2ELNS1_11target_archE906ELNS1_3gpuE6ELNS1_3repE0EEENS1_30default_config_static_selectorELNS0_4arch9wavefront6targetE1EEEvSY_,@function
_ZN7rocprim17ROCPRIM_400000_NS6detail17trampoline_kernelINS0_14default_configENS1_29binary_search_config_selectorIfiEEZNS1_14transform_implILb0ES3_S5_N6thrust23THRUST_200600_302600_NS6detail15normal_iteratorINS8_7pointerIfNS8_11hip_rocprim16par_det_nosync_tENS8_11use_defaultESE_EEEENSA_INSB_IiSD_SE_SE_EEEEZNS1_13binary_searchIS3_S5_NSA_INS8_10device_ptrIfEEEESG_SI_NS1_16binary_search_opENS9_16wrapped_functionINS8_6system6detail7generic6detail18binary_search_lessEbEEEE10hipError_tPvRmT1_T2_T3_mmT4_T5_P12ihipStream_tbEUlRKfE_EESV_SZ_S10_mS11_S14_bEUlT_E_NS1_11comp_targetILNS1_3genE2ELNS1_11target_archE906ELNS1_3gpuE6ELNS1_3repE0EEENS1_30default_config_static_selectorELNS0_4arch9wavefront6targetE1EEEvSY_: ; @_ZN7rocprim17ROCPRIM_400000_NS6detail17trampoline_kernelINS0_14default_configENS1_29binary_search_config_selectorIfiEEZNS1_14transform_implILb0ES3_S5_N6thrust23THRUST_200600_302600_NS6detail15normal_iteratorINS8_7pointerIfNS8_11hip_rocprim16par_det_nosync_tENS8_11use_defaultESE_EEEENSA_INSB_IiSD_SE_SE_EEEEZNS1_13binary_searchIS3_S5_NSA_INS8_10device_ptrIfEEEESG_SI_NS1_16binary_search_opENS9_16wrapped_functionINS8_6system6detail7generic6detail18binary_search_lessEbEEEE10hipError_tPvRmT1_T2_T3_mmT4_T5_P12ihipStream_tbEUlRKfE_EESV_SZ_S10_mS11_S14_bEUlT_E_NS1_11comp_targetILNS1_3genE2ELNS1_11target_archE906ELNS1_3gpuE6ELNS1_3repE0EEENS1_30default_config_static_selectorELNS0_4arch9wavefront6targetE1EEEvSY_
; %bb.0:
	s_load_dwordx4 s[12:15], s[4:5], 0x0
	s_load_dwordx4 s[8:11], s[4:5], 0x18
	s_load_dwordx2 s[0:1], s[4:5], 0x28
	s_load_dword s7, s[4:5], 0x38
	s_waitcnt lgkmcnt(0)
	s_lshl_b64 s[2:3], s[14:15], 2
	s_add_u32 s18, s12, s2
	s_addc_u32 s19, s13, s3
	s_lshl_b32 s12, s6, 8
	s_add_i32 s7, s7, -1
	s_cmp_lg_u32 s6, s7
	s_mov_b32 s13, 0
	s_cbranch_scc0 .LBB639_6
; %bb.1:
	s_lshl_b64 s[6:7], s[12:13], 2
	s_add_u32 s6, s18, s6
	s_addc_u32 s7, s19, s7
	v_lshlrev_b32_e32 v1, 2, v0
	v_mov_b32_e32 v2, s7
	v_add_co_u32_e32 v1, vcc, s6, v1
	v_addc_co_u32_e32 v2, vcc, 0, v2, vcc
	flat_load_dword v6, v[1:2]
	v_mov_b32_e32 v2, 0
	v_mov_b32_e32 v1, 0
	s_cmp_eq_u64 s[0:1], 0
	s_mov_b64 s[6:7], 0
	v_mov_b32_e32 v3, 0
	s_cbranch_scc1 .LBB639_5
; %bb.2:
	v_mov_b32_e32 v5, s1
	v_mov_b32_e32 v4, s0
	;; [unrolled: 1-line block ×3, first 2 shown]
.LBB639_3:                              ; =>This Inner Loop Header: Depth=1
	v_sub_co_u32_e32 v8, vcc, v4, v2
	v_subb_co_u32_e32 v9, vcc, v5, v3, vcc
	v_lshrrev_b64 v[10:11], 1, v[8:9]
	v_lshrrev_b64 v[8:9], 6, v[8:9]
	v_add_co_u32_e32 v10, vcc, v10, v2
	v_addc_co_u32_e32 v11, vcc, v11, v3, vcc
	v_add_co_u32_e32 v8, vcc, v10, v8
	v_addc_co_u32_e32 v9, vcc, v11, v9, vcc
	v_lshlrev_b64 v[10:11], 2, v[8:9]
	v_add_co_u32_e32 v10, vcc, s10, v10
	v_addc_co_u32_e32 v11, vcc, v7, v11, vcc
	global_load_dword v10, v[10:11], off
	v_add_co_u32_e32 v11, vcc, 1, v8
	v_addc_co_u32_e32 v12, vcc, 0, v9, vcc
	s_waitcnt vmcnt(0) lgkmcnt(0)
	v_cmp_lt_f32_e32 vcc, v10, v6
	v_cndmask_b32_e32 v5, v9, v5, vcc
	v_cndmask_b32_e32 v4, v8, v4, vcc
	v_cndmask_b32_e32 v3, v3, v12, vcc
	v_cndmask_b32_e32 v2, v2, v11, vcc
	v_cmp_ge_u64_e32 vcc, v[2:3], v[4:5]
	s_or_b64 s[6:7], vcc, s[6:7]
	s_andn2_b64 exec, exec, s[6:7]
	s_cbranch_execnz .LBB639_3
; %bb.4:
	s_or_b64 exec, exec, s[6:7]
.LBB639_5:
	v_cmp_eq_u64_e64 s[6:7], s[0:1], v[2:3]
	v_cmp_ne_u64_e64 s[14:15], s[0:1], v[2:3]
	s_branch .LBB639_14
.LBB639_6:
	s_mov_b64 s[14:15], 0
	s_mov_b64 s[6:7], 0
                                        ; implicit-def: $vgpr6
                                        ; implicit-def: $vgpr2_vgpr3
	s_cbranch_execz .LBB639_14
; %bb.7:
	s_load_dword s4, s[4:5], 0x10
                                        ; implicit-def: $vgpr6
                                        ; implicit-def: $vgpr2_vgpr3
	s_waitcnt lgkmcnt(0)
	s_sub_i32 s4, s4, s12
	v_cmp_gt_u32_e32 vcc, s4, v0
	s_and_saveexec_b64 s[4:5], vcc
	s_cbranch_execz .LBB639_13
; %bb.8:
	s_lshl_b64 s[16:17], s[12:13], 2
	s_add_u32 s16, s18, s16
	s_addc_u32 s17, s19, s17
	v_lshlrev_b32_e32 v1, 2, v0
	v_mov_b32_e32 v2, s17
	v_add_co_u32_e32 v1, vcc, s16, v1
	v_addc_co_u32_e32 v2, vcc, 0, v2, vcc
	s_waitcnt vmcnt(0)
	flat_load_dword v6, v[1:2]
	v_mov_b32_e32 v2, 0
	v_mov_b32_e32 v1, 0
	s_cmp_eq_u64 s[0:1], 0
	s_mov_b64 s[16:17], 0
	v_mov_b32_e32 v3, 0
	s_cbranch_scc1 .LBB639_12
; %bb.9:
	v_mov_b32_e32 v5, s1
	v_mov_b32_e32 v4, s0
	v_mov_b32_e32 v7, s11
.LBB639_10:                             ; =>This Inner Loop Header: Depth=1
	v_sub_co_u32_e32 v8, vcc, v4, v2
	v_subb_co_u32_e32 v9, vcc, v5, v3, vcc
	v_lshrrev_b64 v[10:11], 1, v[8:9]
	v_lshrrev_b64 v[8:9], 6, v[8:9]
	v_add_co_u32_e32 v10, vcc, v10, v2
	v_addc_co_u32_e32 v11, vcc, v11, v3, vcc
	v_add_co_u32_e32 v8, vcc, v10, v8
	v_addc_co_u32_e32 v9, vcc, v11, v9, vcc
	v_lshlrev_b64 v[10:11], 2, v[8:9]
	v_add_co_u32_e32 v10, vcc, s10, v10
	v_addc_co_u32_e32 v11, vcc, v7, v11, vcc
	global_load_dword v10, v[10:11], off
	v_add_co_u32_e32 v11, vcc, 1, v8
	v_addc_co_u32_e32 v12, vcc, 0, v9, vcc
	s_waitcnt vmcnt(0) lgkmcnt(0)
	v_cmp_lt_f32_e32 vcc, v10, v6
	v_cndmask_b32_e32 v5, v9, v5, vcc
	v_cndmask_b32_e32 v4, v8, v4, vcc
	;; [unrolled: 1-line block ×4, first 2 shown]
	v_cmp_ge_u64_e32 vcc, v[2:3], v[4:5]
	s_or_b64 s[16:17], vcc, s[16:17]
	s_andn2_b64 exec, exec, s[16:17]
	s_cbranch_execnz .LBB639_10
; %bb.11:
	s_or_b64 exec, exec, s[16:17]
.LBB639_12:
	v_cmp_eq_u64_e32 vcc, s[0:1], v[2:3]
	v_cmp_ne_u64_e64 s[0:1], s[0:1], v[2:3]
	s_andn2_b64 s[6:7], s[6:7], exec
	s_and_b64 s[16:17], vcc, exec
	s_andn2_b64 s[14:15], s[14:15], exec
	s_and_b64 s[0:1], s[0:1], exec
	s_or_b64 s[6:7], s[6:7], s[16:17]
	s_or_b64 s[14:15], s[14:15], s[0:1]
.LBB639_13:
	s_or_b64 exec, exec, s[4:5]
.LBB639_14:
	v_mov_b32_e32 v4, 0
	s_and_saveexec_b64 s[0:1], s[14:15]
	s_cbranch_execnz .LBB639_17
; %bb.15:
	s_or_b64 exec, exec, s[0:1]
	s_and_saveexec_b64 s[0:1], s[6:7]
	s_cbranch_execnz .LBB639_18
.LBB639_16:
	s_endpgm
.LBB639_17:
	v_lshlrev_b64 v[2:3], 2, v[2:3]
	v_mov_b32_e32 v4, s11
	v_add_co_u32_e32 v2, vcc, s10, v2
	v_addc_co_u32_e32 v3, vcc, v4, v3, vcc
	global_load_dword v2, v[2:3], off
	s_or_b64 s[6:7], s[6:7], exec
	s_waitcnt vmcnt(0) lgkmcnt(0)
	v_cmp_nlt_f32_e32 vcc, v6, v2
	v_cndmask_b32_e64 v4, 0, 1, vcc
	s_or_b64 exec, exec, s[0:1]
	s_and_saveexec_b64 s[0:1], s[6:7]
	s_cbranch_execz .LBB639_16
.LBB639_18:
	s_add_u32 s2, s8, s2
	s_addc_u32 s3, s9, s3
	s_lshl_b64 s[0:1], s[12:13], 2
	s_add_u32 s0, s2, s0
	v_lshlrev_b64 v[0:1], 2, v[0:1]
	s_addc_u32 s1, s3, s1
	v_mov_b32_e32 v2, s1
	v_add_co_u32_e32 v0, vcc, s0, v0
	v_addc_co_u32_e32 v1, vcc, v2, v1, vcc
	flat_store_dword v[0:1], v4
	s_endpgm
	.section	.rodata,"a",@progbits
	.p2align	6, 0x0
	.amdhsa_kernel _ZN7rocprim17ROCPRIM_400000_NS6detail17trampoline_kernelINS0_14default_configENS1_29binary_search_config_selectorIfiEEZNS1_14transform_implILb0ES3_S5_N6thrust23THRUST_200600_302600_NS6detail15normal_iteratorINS8_7pointerIfNS8_11hip_rocprim16par_det_nosync_tENS8_11use_defaultESE_EEEENSA_INSB_IiSD_SE_SE_EEEEZNS1_13binary_searchIS3_S5_NSA_INS8_10device_ptrIfEEEESG_SI_NS1_16binary_search_opENS9_16wrapped_functionINS8_6system6detail7generic6detail18binary_search_lessEbEEEE10hipError_tPvRmT1_T2_T3_mmT4_T5_P12ihipStream_tbEUlRKfE_EESV_SZ_S10_mS11_S14_bEUlT_E_NS1_11comp_targetILNS1_3genE2ELNS1_11target_archE906ELNS1_3gpuE6ELNS1_3repE0EEENS1_30default_config_static_selectorELNS0_4arch9wavefront6targetE1EEEvSY_
		.amdhsa_group_segment_fixed_size 0
		.amdhsa_private_segment_fixed_size 0
		.amdhsa_kernarg_size 312
		.amdhsa_user_sgpr_count 6
		.amdhsa_user_sgpr_private_segment_buffer 1
		.amdhsa_user_sgpr_dispatch_ptr 0
		.amdhsa_user_sgpr_queue_ptr 0
		.amdhsa_user_sgpr_kernarg_segment_ptr 1
		.amdhsa_user_sgpr_dispatch_id 0
		.amdhsa_user_sgpr_flat_scratch_init 0
		.amdhsa_user_sgpr_private_segment_size 0
		.amdhsa_uses_dynamic_stack 0
		.amdhsa_system_sgpr_private_segment_wavefront_offset 0
		.amdhsa_system_sgpr_workgroup_id_x 1
		.amdhsa_system_sgpr_workgroup_id_y 0
		.amdhsa_system_sgpr_workgroup_id_z 0
		.amdhsa_system_sgpr_workgroup_info 0
		.amdhsa_system_vgpr_workitem_id 0
		.amdhsa_next_free_vgpr 13
		.amdhsa_next_free_sgpr 20
		.amdhsa_reserve_vcc 1
		.amdhsa_reserve_flat_scratch 0
		.amdhsa_float_round_mode_32 0
		.amdhsa_float_round_mode_16_64 0
		.amdhsa_float_denorm_mode_32 3
		.amdhsa_float_denorm_mode_16_64 3
		.amdhsa_dx10_clamp 1
		.amdhsa_ieee_mode 1
		.amdhsa_fp16_overflow 0
		.amdhsa_exception_fp_ieee_invalid_op 0
		.amdhsa_exception_fp_denorm_src 0
		.amdhsa_exception_fp_ieee_div_zero 0
		.amdhsa_exception_fp_ieee_overflow 0
		.amdhsa_exception_fp_ieee_underflow 0
		.amdhsa_exception_fp_ieee_inexact 0
		.amdhsa_exception_int_div_zero 0
	.end_amdhsa_kernel
	.section	.text._ZN7rocprim17ROCPRIM_400000_NS6detail17trampoline_kernelINS0_14default_configENS1_29binary_search_config_selectorIfiEEZNS1_14transform_implILb0ES3_S5_N6thrust23THRUST_200600_302600_NS6detail15normal_iteratorINS8_7pointerIfNS8_11hip_rocprim16par_det_nosync_tENS8_11use_defaultESE_EEEENSA_INSB_IiSD_SE_SE_EEEEZNS1_13binary_searchIS3_S5_NSA_INS8_10device_ptrIfEEEESG_SI_NS1_16binary_search_opENS9_16wrapped_functionINS8_6system6detail7generic6detail18binary_search_lessEbEEEE10hipError_tPvRmT1_T2_T3_mmT4_T5_P12ihipStream_tbEUlRKfE_EESV_SZ_S10_mS11_S14_bEUlT_E_NS1_11comp_targetILNS1_3genE2ELNS1_11target_archE906ELNS1_3gpuE6ELNS1_3repE0EEENS1_30default_config_static_selectorELNS0_4arch9wavefront6targetE1EEEvSY_,"axG",@progbits,_ZN7rocprim17ROCPRIM_400000_NS6detail17trampoline_kernelINS0_14default_configENS1_29binary_search_config_selectorIfiEEZNS1_14transform_implILb0ES3_S5_N6thrust23THRUST_200600_302600_NS6detail15normal_iteratorINS8_7pointerIfNS8_11hip_rocprim16par_det_nosync_tENS8_11use_defaultESE_EEEENSA_INSB_IiSD_SE_SE_EEEEZNS1_13binary_searchIS3_S5_NSA_INS8_10device_ptrIfEEEESG_SI_NS1_16binary_search_opENS9_16wrapped_functionINS8_6system6detail7generic6detail18binary_search_lessEbEEEE10hipError_tPvRmT1_T2_T3_mmT4_T5_P12ihipStream_tbEUlRKfE_EESV_SZ_S10_mS11_S14_bEUlT_E_NS1_11comp_targetILNS1_3genE2ELNS1_11target_archE906ELNS1_3gpuE6ELNS1_3repE0EEENS1_30default_config_static_selectorELNS0_4arch9wavefront6targetE1EEEvSY_,comdat
.Lfunc_end639:
	.size	_ZN7rocprim17ROCPRIM_400000_NS6detail17trampoline_kernelINS0_14default_configENS1_29binary_search_config_selectorIfiEEZNS1_14transform_implILb0ES3_S5_N6thrust23THRUST_200600_302600_NS6detail15normal_iteratorINS8_7pointerIfNS8_11hip_rocprim16par_det_nosync_tENS8_11use_defaultESE_EEEENSA_INSB_IiSD_SE_SE_EEEEZNS1_13binary_searchIS3_S5_NSA_INS8_10device_ptrIfEEEESG_SI_NS1_16binary_search_opENS9_16wrapped_functionINS8_6system6detail7generic6detail18binary_search_lessEbEEEE10hipError_tPvRmT1_T2_T3_mmT4_T5_P12ihipStream_tbEUlRKfE_EESV_SZ_S10_mS11_S14_bEUlT_E_NS1_11comp_targetILNS1_3genE2ELNS1_11target_archE906ELNS1_3gpuE6ELNS1_3repE0EEENS1_30default_config_static_selectorELNS0_4arch9wavefront6targetE1EEEvSY_, .Lfunc_end639-_ZN7rocprim17ROCPRIM_400000_NS6detail17trampoline_kernelINS0_14default_configENS1_29binary_search_config_selectorIfiEEZNS1_14transform_implILb0ES3_S5_N6thrust23THRUST_200600_302600_NS6detail15normal_iteratorINS8_7pointerIfNS8_11hip_rocprim16par_det_nosync_tENS8_11use_defaultESE_EEEENSA_INSB_IiSD_SE_SE_EEEEZNS1_13binary_searchIS3_S5_NSA_INS8_10device_ptrIfEEEESG_SI_NS1_16binary_search_opENS9_16wrapped_functionINS8_6system6detail7generic6detail18binary_search_lessEbEEEE10hipError_tPvRmT1_T2_T3_mmT4_T5_P12ihipStream_tbEUlRKfE_EESV_SZ_S10_mS11_S14_bEUlT_E_NS1_11comp_targetILNS1_3genE2ELNS1_11target_archE906ELNS1_3gpuE6ELNS1_3repE0EEENS1_30default_config_static_selectorELNS0_4arch9wavefront6targetE1EEEvSY_
                                        ; -- End function
	.set _ZN7rocprim17ROCPRIM_400000_NS6detail17trampoline_kernelINS0_14default_configENS1_29binary_search_config_selectorIfiEEZNS1_14transform_implILb0ES3_S5_N6thrust23THRUST_200600_302600_NS6detail15normal_iteratorINS8_7pointerIfNS8_11hip_rocprim16par_det_nosync_tENS8_11use_defaultESE_EEEENSA_INSB_IiSD_SE_SE_EEEEZNS1_13binary_searchIS3_S5_NSA_INS8_10device_ptrIfEEEESG_SI_NS1_16binary_search_opENS9_16wrapped_functionINS8_6system6detail7generic6detail18binary_search_lessEbEEEE10hipError_tPvRmT1_T2_T3_mmT4_T5_P12ihipStream_tbEUlRKfE_EESV_SZ_S10_mS11_S14_bEUlT_E_NS1_11comp_targetILNS1_3genE2ELNS1_11target_archE906ELNS1_3gpuE6ELNS1_3repE0EEENS1_30default_config_static_selectorELNS0_4arch9wavefront6targetE1EEEvSY_.num_vgpr, 13
	.set _ZN7rocprim17ROCPRIM_400000_NS6detail17trampoline_kernelINS0_14default_configENS1_29binary_search_config_selectorIfiEEZNS1_14transform_implILb0ES3_S5_N6thrust23THRUST_200600_302600_NS6detail15normal_iteratorINS8_7pointerIfNS8_11hip_rocprim16par_det_nosync_tENS8_11use_defaultESE_EEEENSA_INSB_IiSD_SE_SE_EEEEZNS1_13binary_searchIS3_S5_NSA_INS8_10device_ptrIfEEEESG_SI_NS1_16binary_search_opENS9_16wrapped_functionINS8_6system6detail7generic6detail18binary_search_lessEbEEEE10hipError_tPvRmT1_T2_T3_mmT4_T5_P12ihipStream_tbEUlRKfE_EESV_SZ_S10_mS11_S14_bEUlT_E_NS1_11comp_targetILNS1_3genE2ELNS1_11target_archE906ELNS1_3gpuE6ELNS1_3repE0EEENS1_30default_config_static_selectorELNS0_4arch9wavefront6targetE1EEEvSY_.num_agpr, 0
	.set _ZN7rocprim17ROCPRIM_400000_NS6detail17trampoline_kernelINS0_14default_configENS1_29binary_search_config_selectorIfiEEZNS1_14transform_implILb0ES3_S5_N6thrust23THRUST_200600_302600_NS6detail15normal_iteratorINS8_7pointerIfNS8_11hip_rocprim16par_det_nosync_tENS8_11use_defaultESE_EEEENSA_INSB_IiSD_SE_SE_EEEEZNS1_13binary_searchIS3_S5_NSA_INS8_10device_ptrIfEEEESG_SI_NS1_16binary_search_opENS9_16wrapped_functionINS8_6system6detail7generic6detail18binary_search_lessEbEEEE10hipError_tPvRmT1_T2_T3_mmT4_T5_P12ihipStream_tbEUlRKfE_EESV_SZ_S10_mS11_S14_bEUlT_E_NS1_11comp_targetILNS1_3genE2ELNS1_11target_archE906ELNS1_3gpuE6ELNS1_3repE0EEENS1_30default_config_static_selectorELNS0_4arch9wavefront6targetE1EEEvSY_.numbered_sgpr, 20
	.set _ZN7rocprim17ROCPRIM_400000_NS6detail17trampoline_kernelINS0_14default_configENS1_29binary_search_config_selectorIfiEEZNS1_14transform_implILb0ES3_S5_N6thrust23THRUST_200600_302600_NS6detail15normal_iteratorINS8_7pointerIfNS8_11hip_rocprim16par_det_nosync_tENS8_11use_defaultESE_EEEENSA_INSB_IiSD_SE_SE_EEEEZNS1_13binary_searchIS3_S5_NSA_INS8_10device_ptrIfEEEESG_SI_NS1_16binary_search_opENS9_16wrapped_functionINS8_6system6detail7generic6detail18binary_search_lessEbEEEE10hipError_tPvRmT1_T2_T3_mmT4_T5_P12ihipStream_tbEUlRKfE_EESV_SZ_S10_mS11_S14_bEUlT_E_NS1_11comp_targetILNS1_3genE2ELNS1_11target_archE906ELNS1_3gpuE6ELNS1_3repE0EEENS1_30default_config_static_selectorELNS0_4arch9wavefront6targetE1EEEvSY_.num_named_barrier, 0
	.set _ZN7rocprim17ROCPRIM_400000_NS6detail17trampoline_kernelINS0_14default_configENS1_29binary_search_config_selectorIfiEEZNS1_14transform_implILb0ES3_S5_N6thrust23THRUST_200600_302600_NS6detail15normal_iteratorINS8_7pointerIfNS8_11hip_rocprim16par_det_nosync_tENS8_11use_defaultESE_EEEENSA_INSB_IiSD_SE_SE_EEEEZNS1_13binary_searchIS3_S5_NSA_INS8_10device_ptrIfEEEESG_SI_NS1_16binary_search_opENS9_16wrapped_functionINS8_6system6detail7generic6detail18binary_search_lessEbEEEE10hipError_tPvRmT1_T2_T3_mmT4_T5_P12ihipStream_tbEUlRKfE_EESV_SZ_S10_mS11_S14_bEUlT_E_NS1_11comp_targetILNS1_3genE2ELNS1_11target_archE906ELNS1_3gpuE6ELNS1_3repE0EEENS1_30default_config_static_selectorELNS0_4arch9wavefront6targetE1EEEvSY_.private_seg_size, 0
	.set _ZN7rocprim17ROCPRIM_400000_NS6detail17trampoline_kernelINS0_14default_configENS1_29binary_search_config_selectorIfiEEZNS1_14transform_implILb0ES3_S5_N6thrust23THRUST_200600_302600_NS6detail15normal_iteratorINS8_7pointerIfNS8_11hip_rocprim16par_det_nosync_tENS8_11use_defaultESE_EEEENSA_INSB_IiSD_SE_SE_EEEEZNS1_13binary_searchIS3_S5_NSA_INS8_10device_ptrIfEEEESG_SI_NS1_16binary_search_opENS9_16wrapped_functionINS8_6system6detail7generic6detail18binary_search_lessEbEEEE10hipError_tPvRmT1_T2_T3_mmT4_T5_P12ihipStream_tbEUlRKfE_EESV_SZ_S10_mS11_S14_bEUlT_E_NS1_11comp_targetILNS1_3genE2ELNS1_11target_archE906ELNS1_3gpuE6ELNS1_3repE0EEENS1_30default_config_static_selectorELNS0_4arch9wavefront6targetE1EEEvSY_.uses_vcc, 1
	.set _ZN7rocprim17ROCPRIM_400000_NS6detail17trampoline_kernelINS0_14default_configENS1_29binary_search_config_selectorIfiEEZNS1_14transform_implILb0ES3_S5_N6thrust23THRUST_200600_302600_NS6detail15normal_iteratorINS8_7pointerIfNS8_11hip_rocprim16par_det_nosync_tENS8_11use_defaultESE_EEEENSA_INSB_IiSD_SE_SE_EEEEZNS1_13binary_searchIS3_S5_NSA_INS8_10device_ptrIfEEEESG_SI_NS1_16binary_search_opENS9_16wrapped_functionINS8_6system6detail7generic6detail18binary_search_lessEbEEEE10hipError_tPvRmT1_T2_T3_mmT4_T5_P12ihipStream_tbEUlRKfE_EESV_SZ_S10_mS11_S14_bEUlT_E_NS1_11comp_targetILNS1_3genE2ELNS1_11target_archE906ELNS1_3gpuE6ELNS1_3repE0EEENS1_30default_config_static_selectorELNS0_4arch9wavefront6targetE1EEEvSY_.uses_flat_scratch, 0
	.set _ZN7rocprim17ROCPRIM_400000_NS6detail17trampoline_kernelINS0_14default_configENS1_29binary_search_config_selectorIfiEEZNS1_14transform_implILb0ES3_S5_N6thrust23THRUST_200600_302600_NS6detail15normal_iteratorINS8_7pointerIfNS8_11hip_rocprim16par_det_nosync_tENS8_11use_defaultESE_EEEENSA_INSB_IiSD_SE_SE_EEEEZNS1_13binary_searchIS3_S5_NSA_INS8_10device_ptrIfEEEESG_SI_NS1_16binary_search_opENS9_16wrapped_functionINS8_6system6detail7generic6detail18binary_search_lessEbEEEE10hipError_tPvRmT1_T2_T3_mmT4_T5_P12ihipStream_tbEUlRKfE_EESV_SZ_S10_mS11_S14_bEUlT_E_NS1_11comp_targetILNS1_3genE2ELNS1_11target_archE906ELNS1_3gpuE6ELNS1_3repE0EEENS1_30default_config_static_selectorELNS0_4arch9wavefront6targetE1EEEvSY_.has_dyn_sized_stack, 0
	.set _ZN7rocprim17ROCPRIM_400000_NS6detail17trampoline_kernelINS0_14default_configENS1_29binary_search_config_selectorIfiEEZNS1_14transform_implILb0ES3_S5_N6thrust23THRUST_200600_302600_NS6detail15normal_iteratorINS8_7pointerIfNS8_11hip_rocprim16par_det_nosync_tENS8_11use_defaultESE_EEEENSA_INSB_IiSD_SE_SE_EEEEZNS1_13binary_searchIS3_S5_NSA_INS8_10device_ptrIfEEEESG_SI_NS1_16binary_search_opENS9_16wrapped_functionINS8_6system6detail7generic6detail18binary_search_lessEbEEEE10hipError_tPvRmT1_T2_T3_mmT4_T5_P12ihipStream_tbEUlRKfE_EESV_SZ_S10_mS11_S14_bEUlT_E_NS1_11comp_targetILNS1_3genE2ELNS1_11target_archE906ELNS1_3gpuE6ELNS1_3repE0EEENS1_30default_config_static_selectorELNS0_4arch9wavefront6targetE1EEEvSY_.has_recursion, 0
	.set _ZN7rocprim17ROCPRIM_400000_NS6detail17trampoline_kernelINS0_14default_configENS1_29binary_search_config_selectorIfiEEZNS1_14transform_implILb0ES3_S5_N6thrust23THRUST_200600_302600_NS6detail15normal_iteratorINS8_7pointerIfNS8_11hip_rocprim16par_det_nosync_tENS8_11use_defaultESE_EEEENSA_INSB_IiSD_SE_SE_EEEEZNS1_13binary_searchIS3_S5_NSA_INS8_10device_ptrIfEEEESG_SI_NS1_16binary_search_opENS9_16wrapped_functionINS8_6system6detail7generic6detail18binary_search_lessEbEEEE10hipError_tPvRmT1_T2_T3_mmT4_T5_P12ihipStream_tbEUlRKfE_EESV_SZ_S10_mS11_S14_bEUlT_E_NS1_11comp_targetILNS1_3genE2ELNS1_11target_archE906ELNS1_3gpuE6ELNS1_3repE0EEENS1_30default_config_static_selectorELNS0_4arch9wavefront6targetE1EEEvSY_.has_indirect_call, 0
	.section	.AMDGPU.csdata,"",@progbits
; Kernel info:
; codeLenInByte = 688
; TotalNumSgprs: 24
; NumVgprs: 13
; ScratchSize: 0
; MemoryBound: 0
; FloatMode: 240
; IeeeMode: 1
; LDSByteSize: 0 bytes/workgroup (compile time only)
; SGPRBlocks: 2
; VGPRBlocks: 3
; NumSGPRsForWavesPerEU: 24
; NumVGPRsForWavesPerEU: 13
; Occupancy: 10
; WaveLimiterHint : 0
; COMPUTE_PGM_RSRC2:SCRATCH_EN: 0
; COMPUTE_PGM_RSRC2:USER_SGPR: 6
; COMPUTE_PGM_RSRC2:TRAP_HANDLER: 0
; COMPUTE_PGM_RSRC2:TGID_X_EN: 1
; COMPUTE_PGM_RSRC2:TGID_Y_EN: 0
; COMPUTE_PGM_RSRC2:TGID_Z_EN: 0
; COMPUTE_PGM_RSRC2:TIDIG_COMP_CNT: 0
	.section	.text._ZN7rocprim17ROCPRIM_400000_NS6detail17trampoline_kernelINS0_14default_configENS1_29binary_search_config_selectorIfiEEZNS1_14transform_implILb0ES3_S5_N6thrust23THRUST_200600_302600_NS6detail15normal_iteratorINS8_7pointerIfNS8_11hip_rocprim16par_det_nosync_tENS8_11use_defaultESE_EEEENSA_INSB_IiSD_SE_SE_EEEEZNS1_13binary_searchIS3_S5_NSA_INS8_10device_ptrIfEEEESG_SI_NS1_16binary_search_opENS9_16wrapped_functionINS8_6system6detail7generic6detail18binary_search_lessEbEEEE10hipError_tPvRmT1_T2_T3_mmT4_T5_P12ihipStream_tbEUlRKfE_EESV_SZ_S10_mS11_S14_bEUlT_E_NS1_11comp_targetILNS1_3genE10ELNS1_11target_archE1201ELNS1_3gpuE5ELNS1_3repE0EEENS1_30default_config_static_selectorELNS0_4arch9wavefront6targetE1EEEvSY_,"axG",@progbits,_ZN7rocprim17ROCPRIM_400000_NS6detail17trampoline_kernelINS0_14default_configENS1_29binary_search_config_selectorIfiEEZNS1_14transform_implILb0ES3_S5_N6thrust23THRUST_200600_302600_NS6detail15normal_iteratorINS8_7pointerIfNS8_11hip_rocprim16par_det_nosync_tENS8_11use_defaultESE_EEEENSA_INSB_IiSD_SE_SE_EEEEZNS1_13binary_searchIS3_S5_NSA_INS8_10device_ptrIfEEEESG_SI_NS1_16binary_search_opENS9_16wrapped_functionINS8_6system6detail7generic6detail18binary_search_lessEbEEEE10hipError_tPvRmT1_T2_T3_mmT4_T5_P12ihipStream_tbEUlRKfE_EESV_SZ_S10_mS11_S14_bEUlT_E_NS1_11comp_targetILNS1_3genE10ELNS1_11target_archE1201ELNS1_3gpuE5ELNS1_3repE0EEENS1_30default_config_static_selectorELNS0_4arch9wavefront6targetE1EEEvSY_,comdat
	.protected	_ZN7rocprim17ROCPRIM_400000_NS6detail17trampoline_kernelINS0_14default_configENS1_29binary_search_config_selectorIfiEEZNS1_14transform_implILb0ES3_S5_N6thrust23THRUST_200600_302600_NS6detail15normal_iteratorINS8_7pointerIfNS8_11hip_rocprim16par_det_nosync_tENS8_11use_defaultESE_EEEENSA_INSB_IiSD_SE_SE_EEEEZNS1_13binary_searchIS3_S5_NSA_INS8_10device_ptrIfEEEESG_SI_NS1_16binary_search_opENS9_16wrapped_functionINS8_6system6detail7generic6detail18binary_search_lessEbEEEE10hipError_tPvRmT1_T2_T3_mmT4_T5_P12ihipStream_tbEUlRKfE_EESV_SZ_S10_mS11_S14_bEUlT_E_NS1_11comp_targetILNS1_3genE10ELNS1_11target_archE1201ELNS1_3gpuE5ELNS1_3repE0EEENS1_30default_config_static_selectorELNS0_4arch9wavefront6targetE1EEEvSY_ ; -- Begin function _ZN7rocprim17ROCPRIM_400000_NS6detail17trampoline_kernelINS0_14default_configENS1_29binary_search_config_selectorIfiEEZNS1_14transform_implILb0ES3_S5_N6thrust23THRUST_200600_302600_NS6detail15normal_iteratorINS8_7pointerIfNS8_11hip_rocprim16par_det_nosync_tENS8_11use_defaultESE_EEEENSA_INSB_IiSD_SE_SE_EEEEZNS1_13binary_searchIS3_S5_NSA_INS8_10device_ptrIfEEEESG_SI_NS1_16binary_search_opENS9_16wrapped_functionINS8_6system6detail7generic6detail18binary_search_lessEbEEEE10hipError_tPvRmT1_T2_T3_mmT4_T5_P12ihipStream_tbEUlRKfE_EESV_SZ_S10_mS11_S14_bEUlT_E_NS1_11comp_targetILNS1_3genE10ELNS1_11target_archE1201ELNS1_3gpuE5ELNS1_3repE0EEENS1_30default_config_static_selectorELNS0_4arch9wavefront6targetE1EEEvSY_
	.globl	_ZN7rocprim17ROCPRIM_400000_NS6detail17trampoline_kernelINS0_14default_configENS1_29binary_search_config_selectorIfiEEZNS1_14transform_implILb0ES3_S5_N6thrust23THRUST_200600_302600_NS6detail15normal_iteratorINS8_7pointerIfNS8_11hip_rocprim16par_det_nosync_tENS8_11use_defaultESE_EEEENSA_INSB_IiSD_SE_SE_EEEEZNS1_13binary_searchIS3_S5_NSA_INS8_10device_ptrIfEEEESG_SI_NS1_16binary_search_opENS9_16wrapped_functionINS8_6system6detail7generic6detail18binary_search_lessEbEEEE10hipError_tPvRmT1_T2_T3_mmT4_T5_P12ihipStream_tbEUlRKfE_EESV_SZ_S10_mS11_S14_bEUlT_E_NS1_11comp_targetILNS1_3genE10ELNS1_11target_archE1201ELNS1_3gpuE5ELNS1_3repE0EEENS1_30default_config_static_selectorELNS0_4arch9wavefront6targetE1EEEvSY_
	.p2align	8
	.type	_ZN7rocprim17ROCPRIM_400000_NS6detail17trampoline_kernelINS0_14default_configENS1_29binary_search_config_selectorIfiEEZNS1_14transform_implILb0ES3_S5_N6thrust23THRUST_200600_302600_NS6detail15normal_iteratorINS8_7pointerIfNS8_11hip_rocprim16par_det_nosync_tENS8_11use_defaultESE_EEEENSA_INSB_IiSD_SE_SE_EEEEZNS1_13binary_searchIS3_S5_NSA_INS8_10device_ptrIfEEEESG_SI_NS1_16binary_search_opENS9_16wrapped_functionINS8_6system6detail7generic6detail18binary_search_lessEbEEEE10hipError_tPvRmT1_T2_T3_mmT4_T5_P12ihipStream_tbEUlRKfE_EESV_SZ_S10_mS11_S14_bEUlT_E_NS1_11comp_targetILNS1_3genE10ELNS1_11target_archE1201ELNS1_3gpuE5ELNS1_3repE0EEENS1_30default_config_static_selectorELNS0_4arch9wavefront6targetE1EEEvSY_,@function
_ZN7rocprim17ROCPRIM_400000_NS6detail17trampoline_kernelINS0_14default_configENS1_29binary_search_config_selectorIfiEEZNS1_14transform_implILb0ES3_S5_N6thrust23THRUST_200600_302600_NS6detail15normal_iteratorINS8_7pointerIfNS8_11hip_rocprim16par_det_nosync_tENS8_11use_defaultESE_EEEENSA_INSB_IiSD_SE_SE_EEEEZNS1_13binary_searchIS3_S5_NSA_INS8_10device_ptrIfEEEESG_SI_NS1_16binary_search_opENS9_16wrapped_functionINS8_6system6detail7generic6detail18binary_search_lessEbEEEE10hipError_tPvRmT1_T2_T3_mmT4_T5_P12ihipStream_tbEUlRKfE_EESV_SZ_S10_mS11_S14_bEUlT_E_NS1_11comp_targetILNS1_3genE10ELNS1_11target_archE1201ELNS1_3gpuE5ELNS1_3repE0EEENS1_30default_config_static_selectorELNS0_4arch9wavefront6targetE1EEEvSY_: ; @_ZN7rocprim17ROCPRIM_400000_NS6detail17trampoline_kernelINS0_14default_configENS1_29binary_search_config_selectorIfiEEZNS1_14transform_implILb0ES3_S5_N6thrust23THRUST_200600_302600_NS6detail15normal_iteratorINS8_7pointerIfNS8_11hip_rocprim16par_det_nosync_tENS8_11use_defaultESE_EEEENSA_INSB_IiSD_SE_SE_EEEEZNS1_13binary_searchIS3_S5_NSA_INS8_10device_ptrIfEEEESG_SI_NS1_16binary_search_opENS9_16wrapped_functionINS8_6system6detail7generic6detail18binary_search_lessEbEEEE10hipError_tPvRmT1_T2_T3_mmT4_T5_P12ihipStream_tbEUlRKfE_EESV_SZ_S10_mS11_S14_bEUlT_E_NS1_11comp_targetILNS1_3genE10ELNS1_11target_archE1201ELNS1_3gpuE5ELNS1_3repE0EEENS1_30default_config_static_selectorELNS0_4arch9wavefront6targetE1EEEvSY_
; %bb.0:
	.section	.rodata,"a",@progbits
	.p2align	6, 0x0
	.amdhsa_kernel _ZN7rocprim17ROCPRIM_400000_NS6detail17trampoline_kernelINS0_14default_configENS1_29binary_search_config_selectorIfiEEZNS1_14transform_implILb0ES3_S5_N6thrust23THRUST_200600_302600_NS6detail15normal_iteratorINS8_7pointerIfNS8_11hip_rocprim16par_det_nosync_tENS8_11use_defaultESE_EEEENSA_INSB_IiSD_SE_SE_EEEEZNS1_13binary_searchIS3_S5_NSA_INS8_10device_ptrIfEEEESG_SI_NS1_16binary_search_opENS9_16wrapped_functionINS8_6system6detail7generic6detail18binary_search_lessEbEEEE10hipError_tPvRmT1_T2_T3_mmT4_T5_P12ihipStream_tbEUlRKfE_EESV_SZ_S10_mS11_S14_bEUlT_E_NS1_11comp_targetILNS1_3genE10ELNS1_11target_archE1201ELNS1_3gpuE5ELNS1_3repE0EEENS1_30default_config_static_selectorELNS0_4arch9wavefront6targetE1EEEvSY_
		.amdhsa_group_segment_fixed_size 0
		.amdhsa_private_segment_fixed_size 0
		.amdhsa_kernarg_size 56
		.amdhsa_user_sgpr_count 6
		.amdhsa_user_sgpr_private_segment_buffer 1
		.amdhsa_user_sgpr_dispatch_ptr 0
		.amdhsa_user_sgpr_queue_ptr 0
		.amdhsa_user_sgpr_kernarg_segment_ptr 1
		.amdhsa_user_sgpr_dispatch_id 0
		.amdhsa_user_sgpr_flat_scratch_init 0
		.amdhsa_user_sgpr_private_segment_size 0
		.amdhsa_uses_dynamic_stack 0
		.amdhsa_system_sgpr_private_segment_wavefront_offset 0
		.amdhsa_system_sgpr_workgroup_id_x 1
		.amdhsa_system_sgpr_workgroup_id_y 0
		.amdhsa_system_sgpr_workgroup_id_z 0
		.amdhsa_system_sgpr_workgroup_info 0
		.amdhsa_system_vgpr_workitem_id 0
		.amdhsa_next_free_vgpr 1
		.amdhsa_next_free_sgpr 0
		.amdhsa_reserve_vcc 0
		.amdhsa_reserve_flat_scratch 0
		.amdhsa_float_round_mode_32 0
		.amdhsa_float_round_mode_16_64 0
		.amdhsa_float_denorm_mode_32 3
		.amdhsa_float_denorm_mode_16_64 3
		.amdhsa_dx10_clamp 1
		.amdhsa_ieee_mode 1
		.amdhsa_fp16_overflow 0
		.amdhsa_exception_fp_ieee_invalid_op 0
		.amdhsa_exception_fp_denorm_src 0
		.amdhsa_exception_fp_ieee_div_zero 0
		.amdhsa_exception_fp_ieee_overflow 0
		.amdhsa_exception_fp_ieee_underflow 0
		.amdhsa_exception_fp_ieee_inexact 0
		.amdhsa_exception_int_div_zero 0
	.end_amdhsa_kernel
	.section	.text._ZN7rocprim17ROCPRIM_400000_NS6detail17trampoline_kernelINS0_14default_configENS1_29binary_search_config_selectorIfiEEZNS1_14transform_implILb0ES3_S5_N6thrust23THRUST_200600_302600_NS6detail15normal_iteratorINS8_7pointerIfNS8_11hip_rocprim16par_det_nosync_tENS8_11use_defaultESE_EEEENSA_INSB_IiSD_SE_SE_EEEEZNS1_13binary_searchIS3_S5_NSA_INS8_10device_ptrIfEEEESG_SI_NS1_16binary_search_opENS9_16wrapped_functionINS8_6system6detail7generic6detail18binary_search_lessEbEEEE10hipError_tPvRmT1_T2_T3_mmT4_T5_P12ihipStream_tbEUlRKfE_EESV_SZ_S10_mS11_S14_bEUlT_E_NS1_11comp_targetILNS1_3genE10ELNS1_11target_archE1201ELNS1_3gpuE5ELNS1_3repE0EEENS1_30default_config_static_selectorELNS0_4arch9wavefront6targetE1EEEvSY_,"axG",@progbits,_ZN7rocprim17ROCPRIM_400000_NS6detail17trampoline_kernelINS0_14default_configENS1_29binary_search_config_selectorIfiEEZNS1_14transform_implILb0ES3_S5_N6thrust23THRUST_200600_302600_NS6detail15normal_iteratorINS8_7pointerIfNS8_11hip_rocprim16par_det_nosync_tENS8_11use_defaultESE_EEEENSA_INSB_IiSD_SE_SE_EEEEZNS1_13binary_searchIS3_S5_NSA_INS8_10device_ptrIfEEEESG_SI_NS1_16binary_search_opENS9_16wrapped_functionINS8_6system6detail7generic6detail18binary_search_lessEbEEEE10hipError_tPvRmT1_T2_T3_mmT4_T5_P12ihipStream_tbEUlRKfE_EESV_SZ_S10_mS11_S14_bEUlT_E_NS1_11comp_targetILNS1_3genE10ELNS1_11target_archE1201ELNS1_3gpuE5ELNS1_3repE0EEENS1_30default_config_static_selectorELNS0_4arch9wavefront6targetE1EEEvSY_,comdat
.Lfunc_end640:
	.size	_ZN7rocprim17ROCPRIM_400000_NS6detail17trampoline_kernelINS0_14default_configENS1_29binary_search_config_selectorIfiEEZNS1_14transform_implILb0ES3_S5_N6thrust23THRUST_200600_302600_NS6detail15normal_iteratorINS8_7pointerIfNS8_11hip_rocprim16par_det_nosync_tENS8_11use_defaultESE_EEEENSA_INSB_IiSD_SE_SE_EEEEZNS1_13binary_searchIS3_S5_NSA_INS8_10device_ptrIfEEEESG_SI_NS1_16binary_search_opENS9_16wrapped_functionINS8_6system6detail7generic6detail18binary_search_lessEbEEEE10hipError_tPvRmT1_T2_T3_mmT4_T5_P12ihipStream_tbEUlRKfE_EESV_SZ_S10_mS11_S14_bEUlT_E_NS1_11comp_targetILNS1_3genE10ELNS1_11target_archE1201ELNS1_3gpuE5ELNS1_3repE0EEENS1_30default_config_static_selectorELNS0_4arch9wavefront6targetE1EEEvSY_, .Lfunc_end640-_ZN7rocprim17ROCPRIM_400000_NS6detail17trampoline_kernelINS0_14default_configENS1_29binary_search_config_selectorIfiEEZNS1_14transform_implILb0ES3_S5_N6thrust23THRUST_200600_302600_NS6detail15normal_iteratorINS8_7pointerIfNS8_11hip_rocprim16par_det_nosync_tENS8_11use_defaultESE_EEEENSA_INSB_IiSD_SE_SE_EEEEZNS1_13binary_searchIS3_S5_NSA_INS8_10device_ptrIfEEEESG_SI_NS1_16binary_search_opENS9_16wrapped_functionINS8_6system6detail7generic6detail18binary_search_lessEbEEEE10hipError_tPvRmT1_T2_T3_mmT4_T5_P12ihipStream_tbEUlRKfE_EESV_SZ_S10_mS11_S14_bEUlT_E_NS1_11comp_targetILNS1_3genE10ELNS1_11target_archE1201ELNS1_3gpuE5ELNS1_3repE0EEENS1_30default_config_static_selectorELNS0_4arch9wavefront6targetE1EEEvSY_
                                        ; -- End function
	.set _ZN7rocprim17ROCPRIM_400000_NS6detail17trampoline_kernelINS0_14default_configENS1_29binary_search_config_selectorIfiEEZNS1_14transform_implILb0ES3_S5_N6thrust23THRUST_200600_302600_NS6detail15normal_iteratorINS8_7pointerIfNS8_11hip_rocprim16par_det_nosync_tENS8_11use_defaultESE_EEEENSA_INSB_IiSD_SE_SE_EEEEZNS1_13binary_searchIS3_S5_NSA_INS8_10device_ptrIfEEEESG_SI_NS1_16binary_search_opENS9_16wrapped_functionINS8_6system6detail7generic6detail18binary_search_lessEbEEEE10hipError_tPvRmT1_T2_T3_mmT4_T5_P12ihipStream_tbEUlRKfE_EESV_SZ_S10_mS11_S14_bEUlT_E_NS1_11comp_targetILNS1_3genE10ELNS1_11target_archE1201ELNS1_3gpuE5ELNS1_3repE0EEENS1_30default_config_static_selectorELNS0_4arch9wavefront6targetE1EEEvSY_.num_vgpr, 0
	.set _ZN7rocprim17ROCPRIM_400000_NS6detail17trampoline_kernelINS0_14default_configENS1_29binary_search_config_selectorIfiEEZNS1_14transform_implILb0ES3_S5_N6thrust23THRUST_200600_302600_NS6detail15normal_iteratorINS8_7pointerIfNS8_11hip_rocprim16par_det_nosync_tENS8_11use_defaultESE_EEEENSA_INSB_IiSD_SE_SE_EEEEZNS1_13binary_searchIS3_S5_NSA_INS8_10device_ptrIfEEEESG_SI_NS1_16binary_search_opENS9_16wrapped_functionINS8_6system6detail7generic6detail18binary_search_lessEbEEEE10hipError_tPvRmT1_T2_T3_mmT4_T5_P12ihipStream_tbEUlRKfE_EESV_SZ_S10_mS11_S14_bEUlT_E_NS1_11comp_targetILNS1_3genE10ELNS1_11target_archE1201ELNS1_3gpuE5ELNS1_3repE0EEENS1_30default_config_static_selectorELNS0_4arch9wavefront6targetE1EEEvSY_.num_agpr, 0
	.set _ZN7rocprim17ROCPRIM_400000_NS6detail17trampoline_kernelINS0_14default_configENS1_29binary_search_config_selectorIfiEEZNS1_14transform_implILb0ES3_S5_N6thrust23THRUST_200600_302600_NS6detail15normal_iteratorINS8_7pointerIfNS8_11hip_rocprim16par_det_nosync_tENS8_11use_defaultESE_EEEENSA_INSB_IiSD_SE_SE_EEEEZNS1_13binary_searchIS3_S5_NSA_INS8_10device_ptrIfEEEESG_SI_NS1_16binary_search_opENS9_16wrapped_functionINS8_6system6detail7generic6detail18binary_search_lessEbEEEE10hipError_tPvRmT1_T2_T3_mmT4_T5_P12ihipStream_tbEUlRKfE_EESV_SZ_S10_mS11_S14_bEUlT_E_NS1_11comp_targetILNS1_3genE10ELNS1_11target_archE1201ELNS1_3gpuE5ELNS1_3repE0EEENS1_30default_config_static_selectorELNS0_4arch9wavefront6targetE1EEEvSY_.numbered_sgpr, 0
	.set _ZN7rocprim17ROCPRIM_400000_NS6detail17trampoline_kernelINS0_14default_configENS1_29binary_search_config_selectorIfiEEZNS1_14transform_implILb0ES3_S5_N6thrust23THRUST_200600_302600_NS6detail15normal_iteratorINS8_7pointerIfNS8_11hip_rocprim16par_det_nosync_tENS8_11use_defaultESE_EEEENSA_INSB_IiSD_SE_SE_EEEEZNS1_13binary_searchIS3_S5_NSA_INS8_10device_ptrIfEEEESG_SI_NS1_16binary_search_opENS9_16wrapped_functionINS8_6system6detail7generic6detail18binary_search_lessEbEEEE10hipError_tPvRmT1_T2_T3_mmT4_T5_P12ihipStream_tbEUlRKfE_EESV_SZ_S10_mS11_S14_bEUlT_E_NS1_11comp_targetILNS1_3genE10ELNS1_11target_archE1201ELNS1_3gpuE5ELNS1_3repE0EEENS1_30default_config_static_selectorELNS0_4arch9wavefront6targetE1EEEvSY_.num_named_barrier, 0
	.set _ZN7rocprim17ROCPRIM_400000_NS6detail17trampoline_kernelINS0_14default_configENS1_29binary_search_config_selectorIfiEEZNS1_14transform_implILb0ES3_S5_N6thrust23THRUST_200600_302600_NS6detail15normal_iteratorINS8_7pointerIfNS8_11hip_rocprim16par_det_nosync_tENS8_11use_defaultESE_EEEENSA_INSB_IiSD_SE_SE_EEEEZNS1_13binary_searchIS3_S5_NSA_INS8_10device_ptrIfEEEESG_SI_NS1_16binary_search_opENS9_16wrapped_functionINS8_6system6detail7generic6detail18binary_search_lessEbEEEE10hipError_tPvRmT1_T2_T3_mmT4_T5_P12ihipStream_tbEUlRKfE_EESV_SZ_S10_mS11_S14_bEUlT_E_NS1_11comp_targetILNS1_3genE10ELNS1_11target_archE1201ELNS1_3gpuE5ELNS1_3repE0EEENS1_30default_config_static_selectorELNS0_4arch9wavefront6targetE1EEEvSY_.private_seg_size, 0
	.set _ZN7rocprim17ROCPRIM_400000_NS6detail17trampoline_kernelINS0_14default_configENS1_29binary_search_config_selectorIfiEEZNS1_14transform_implILb0ES3_S5_N6thrust23THRUST_200600_302600_NS6detail15normal_iteratorINS8_7pointerIfNS8_11hip_rocprim16par_det_nosync_tENS8_11use_defaultESE_EEEENSA_INSB_IiSD_SE_SE_EEEEZNS1_13binary_searchIS3_S5_NSA_INS8_10device_ptrIfEEEESG_SI_NS1_16binary_search_opENS9_16wrapped_functionINS8_6system6detail7generic6detail18binary_search_lessEbEEEE10hipError_tPvRmT1_T2_T3_mmT4_T5_P12ihipStream_tbEUlRKfE_EESV_SZ_S10_mS11_S14_bEUlT_E_NS1_11comp_targetILNS1_3genE10ELNS1_11target_archE1201ELNS1_3gpuE5ELNS1_3repE0EEENS1_30default_config_static_selectorELNS0_4arch9wavefront6targetE1EEEvSY_.uses_vcc, 0
	.set _ZN7rocprim17ROCPRIM_400000_NS6detail17trampoline_kernelINS0_14default_configENS1_29binary_search_config_selectorIfiEEZNS1_14transform_implILb0ES3_S5_N6thrust23THRUST_200600_302600_NS6detail15normal_iteratorINS8_7pointerIfNS8_11hip_rocprim16par_det_nosync_tENS8_11use_defaultESE_EEEENSA_INSB_IiSD_SE_SE_EEEEZNS1_13binary_searchIS3_S5_NSA_INS8_10device_ptrIfEEEESG_SI_NS1_16binary_search_opENS9_16wrapped_functionINS8_6system6detail7generic6detail18binary_search_lessEbEEEE10hipError_tPvRmT1_T2_T3_mmT4_T5_P12ihipStream_tbEUlRKfE_EESV_SZ_S10_mS11_S14_bEUlT_E_NS1_11comp_targetILNS1_3genE10ELNS1_11target_archE1201ELNS1_3gpuE5ELNS1_3repE0EEENS1_30default_config_static_selectorELNS0_4arch9wavefront6targetE1EEEvSY_.uses_flat_scratch, 0
	.set _ZN7rocprim17ROCPRIM_400000_NS6detail17trampoline_kernelINS0_14default_configENS1_29binary_search_config_selectorIfiEEZNS1_14transform_implILb0ES3_S5_N6thrust23THRUST_200600_302600_NS6detail15normal_iteratorINS8_7pointerIfNS8_11hip_rocprim16par_det_nosync_tENS8_11use_defaultESE_EEEENSA_INSB_IiSD_SE_SE_EEEEZNS1_13binary_searchIS3_S5_NSA_INS8_10device_ptrIfEEEESG_SI_NS1_16binary_search_opENS9_16wrapped_functionINS8_6system6detail7generic6detail18binary_search_lessEbEEEE10hipError_tPvRmT1_T2_T3_mmT4_T5_P12ihipStream_tbEUlRKfE_EESV_SZ_S10_mS11_S14_bEUlT_E_NS1_11comp_targetILNS1_3genE10ELNS1_11target_archE1201ELNS1_3gpuE5ELNS1_3repE0EEENS1_30default_config_static_selectorELNS0_4arch9wavefront6targetE1EEEvSY_.has_dyn_sized_stack, 0
	.set _ZN7rocprim17ROCPRIM_400000_NS6detail17trampoline_kernelINS0_14default_configENS1_29binary_search_config_selectorIfiEEZNS1_14transform_implILb0ES3_S5_N6thrust23THRUST_200600_302600_NS6detail15normal_iteratorINS8_7pointerIfNS8_11hip_rocprim16par_det_nosync_tENS8_11use_defaultESE_EEEENSA_INSB_IiSD_SE_SE_EEEEZNS1_13binary_searchIS3_S5_NSA_INS8_10device_ptrIfEEEESG_SI_NS1_16binary_search_opENS9_16wrapped_functionINS8_6system6detail7generic6detail18binary_search_lessEbEEEE10hipError_tPvRmT1_T2_T3_mmT4_T5_P12ihipStream_tbEUlRKfE_EESV_SZ_S10_mS11_S14_bEUlT_E_NS1_11comp_targetILNS1_3genE10ELNS1_11target_archE1201ELNS1_3gpuE5ELNS1_3repE0EEENS1_30default_config_static_selectorELNS0_4arch9wavefront6targetE1EEEvSY_.has_recursion, 0
	.set _ZN7rocprim17ROCPRIM_400000_NS6detail17trampoline_kernelINS0_14default_configENS1_29binary_search_config_selectorIfiEEZNS1_14transform_implILb0ES3_S5_N6thrust23THRUST_200600_302600_NS6detail15normal_iteratorINS8_7pointerIfNS8_11hip_rocprim16par_det_nosync_tENS8_11use_defaultESE_EEEENSA_INSB_IiSD_SE_SE_EEEEZNS1_13binary_searchIS3_S5_NSA_INS8_10device_ptrIfEEEESG_SI_NS1_16binary_search_opENS9_16wrapped_functionINS8_6system6detail7generic6detail18binary_search_lessEbEEEE10hipError_tPvRmT1_T2_T3_mmT4_T5_P12ihipStream_tbEUlRKfE_EESV_SZ_S10_mS11_S14_bEUlT_E_NS1_11comp_targetILNS1_3genE10ELNS1_11target_archE1201ELNS1_3gpuE5ELNS1_3repE0EEENS1_30default_config_static_selectorELNS0_4arch9wavefront6targetE1EEEvSY_.has_indirect_call, 0
	.section	.AMDGPU.csdata,"",@progbits
; Kernel info:
; codeLenInByte = 0
; TotalNumSgprs: 4
; NumVgprs: 0
; ScratchSize: 0
; MemoryBound: 0
; FloatMode: 240
; IeeeMode: 1
; LDSByteSize: 0 bytes/workgroup (compile time only)
; SGPRBlocks: 0
; VGPRBlocks: 0
; NumSGPRsForWavesPerEU: 4
; NumVGPRsForWavesPerEU: 1
; Occupancy: 10
; WaveLimiterHint : 0
; COMPUTE_PGM_RSRC2:SCRATCH_EN: 0
; COMPUTE_PGM_RSRC2:USER_SGPR: 6
; COMPUTE_PGM_RSRC2:TRAP_HANDLER: 0
; COMPUTE_PGM_RSRC2:TGID_X_EN: 1
; COMPUTE_PGM_RSRC2:TGID_Y_EN: 0
; COMPUTE_PGM_RSRC2:TGID_Z_EN: 0
; COMPUTE_PGM_RSRC2:TIDIG_COMP_CNT: 0
	.section	.text._ZN7rocprim17ROCPRIM_400000_NS6detail17trampoline_kernelINS0_14default_configENS1_29binary_search_config_selectorIfiEEZNS1_14transform_implILb0ES3_S5_N6thrust23THRUST_200600_302600_NS6detail15normal_iteratorINS8_7pointerIfNS8_11hip_rocprim16par_det_nosync_tENS8_11use_defaultESE_EEEENSA_INSB_IiSD_SE_SE_EEEEZNS1_13binary_searchIS3_S5_NSA_INS8_10device_ptrIfEEEESG_SI_NS1_16binary_search_opENS9_16wrapped_functionINS8_6system6detail7generic6detail18binary_search_lessEbEEEE10hipError_tPvRmT1_T2_T3_mmT4_T5_P12ihipStream_tbEUlRKfE_EESV_SZ_S10_mS11_S14_bEUlT_E_NS1_11comp_targetILNS1_3genE10ELNS1_11target_archE1200ELNS1_3gpuE4ELNS1_3repE0EEENS1_30default_config_static_selectorELNS0_4arch9wavefront6targetE1EEEvSY_,"axG",@progbits,_ZN7rocprim17ROCPRIM_400000_NS6detail17trampoline_kernelINS0_14default_configENS1_29binary_search_config_selectorIfiEEZNS1_14transform_implILb0ES3_S5_N6thrust23THRUST_200600_302600_NS6detail15normal_iteratorINS8_7pointerIfNS8_11hip_rocprim16par_det_nosync_tENS8_11use_defaultESE_EEEENSA_INSB_IiSD_SE_SE_EEEEZNS1_13binary_searchIS3_S5_NSA_INS8_10device_ptrIfEEEESG_SI_NS1_16binary_search_opENS9_16wrapped_functionINS8_6system6detail7generic6detail18binary_search_lessEbEEEE10hipError_tPvRmT1_T2_T3_mmT4_T5_P12ihipStream_tbEUlRKfE_EESV_SZ_S10_mS11_S14_bEUlT_E_NS1_11comp_targetILNS1_3genE10ELNS1_11target_archE1200ELNS1_3gpuE4ELNS1_3repE0EEENS1_30default_config_static_selectorELNS0_4arch9wavefront6targetE1EEEvSY_,comdat
	.protected	_ZN7rocprim17ROCPRIM_400000_NS6detail17trampoline_kernelINS0_14default_configENS1_29binary_search_config_selectorIfiEEZNS1_14transform_implILb0ES3_S5_N6thrust23THRUST_200600_302600_NS6detail15normal_iteratorINS8_7pointerIfNS8_11hip_rocprim16par_det_nosync_tENS8_11use_defaultESE_EEEENSA_INSB_IiSD_SE_SE_EEEEZNS1_13binary_searchIS3_S5_NSA_INS8_10device_ptrIfEEEESG_SI_NS1_16binary_search_opENS9_16wrapped_functionINS8_6system6detail7generic6detail18binary_search_lessEbEEEE10hipError_tPvRmT1_T2_T3_mmT4_T5_P12ihipStream_tbEUlRKfE_EESV_SZ_S10_mS11_S14_bEUlT_E_NS1_11comp_targetILNS1_3genE10ELNS1_11target_archE1200ELNS1_3gpuE4ELNS1_3repE0EEENS1_30default_config_static_selectorELNS0_4arch9wavefront6targetE1EEEvSY_ ; -- Begin function _ZN7rocprim17ROCPRIM_400000_NS6detail17trampoline_kernelINS0_14default_configENS1_29binary_search_config_selectorIfiEEZNS1_14transform_implILb0ES3_S5_N6thrust23THRUST_200600_302600_NS6detail15normal_iteratorINS8_7pointerIfNS8_11hip_rocprim16par_det_nosync_tENS8_11use_defaultESE_EEEENSA_INSB_IiSD_SE_SE_EEEEZNS1_13binary_searchIS3_S5_NSA_INS8_10device_ptrIfEEEESG_SI_NS1_16binary_search_opENS9_16wrapped_functionINS8_6system6detail7generic6detail18binary_search_lessEbEEEE10hipError_tPvRmT1_T2_T3_mmT4_T5_P12ihipStream_tbEUlRKfE_EESV_SZ_S10_mS11_S14_bEUlT_E_NS1_11comp_targetILNS1_3genE10ELNS1_11target_archE1200ELNS1_3gpuE4ELNS1_3repE0EEENS1_30default_config_static_selectorELNS0_4arch9wavefront6targetE1EEEvSY_
	.globl	_ZN7rocprim17ROCPRIM_400000_NS6detail17trampoline_kernelINS0_14default_configENS1_29binary_search_config_selectorIfiEEZNS1_14transform_implILb0ES3_S5_N6thrust23THRUST_200600_302600_NS6detail15normal_iteratorINS8_7pointerIfNS8_11hip_rocprim16par_det_nosync_tENS8_11use_defaultESE_EEEENSA_INSB_IiSD_SE_SE_EEEEZNS1_13binary_searchIS3_S5_NSA_INS8_10device_ptrIfEEEESG_SI_NS1_16binary_search_opENS9_16wrapped_functionINS8_6system6detail7generic6detail18binary_search_lessEbEEEE10hipError_tPvRmT1_T2_T3_mmT4_T5_P12ihipStream_tbEUlRKfE_EESV_SZ_S10_mS11_S14_bEUlT_E_NS1_11comp_targetILNS1_3genE10ELNS1_11target_archE1200ELNS1_3gpuE4ELNS1_3repE0EEENS1_30default_config_static_selectorELNS0_4arch9wavefront6targetE1EEEvSY_
	.p2align	8
	.type	_ZN7rocprim17ROCPRIM_400000_NS6detail17trampoline_kernelINS0_14default_configENS1_29binary_search_config_selectorIfiEEZNS1_14transform_implILb0ES3_S5_N6thrust23THRUST_200600_302600_NS6detail15normal_iteratorINS8_7pointerIfNS8_11hip_rocprim16par_det_nosync_tENS8_11use_defaultESE_EEEENSA_INSB_IiSD_SE_SE_EEEEZNS1_13binary_searchIS3_S5_NSA_INS8_10device_ptrIfEEEESG_SI_NS1_16binary_search_opENS9_16wrapped_functionINS8_6system6detail7generic6detail18binary_search_lessEbEEEE10hipError_tPvRmT1_T2_T3_mmT4_T5_P12ihipStream_tbEUlRKfE_EESV_SZ_S10_mS11_S14_bEUlT_E_NS1_11comp_targetILNS1_3genE10ELNS1_11target_archE1200ELNS1_3gpuE4ELNS1_3repE0EEENS1_30default_config_static_selectorELNS0_4arch9wavefront6targetE1EEEvSY_,@function
_ZN7rocprim17ROCPRIM_400000_NS6detail17trampoline_kernelINS0_14default_configENS1_29binary_search_config_selectorIfiEEZNS1_14transform_implILb0ES3_S5_N6thrust23THRUST_200600_302600_NS6detail15normal_iteratorINS8_7pointerIfNS8_11hip_rocprim16par_det_nosync_tENS8_11use_defaultESE_EEEENSA_INSB_IiSD_SE_SE_EEEEZNS1_13binary_searchIS3_S5_NSA_INS8_10device_ptrIfEEEESG_SI_NS1_16binary_search_opENS9_16wrapped_functionINS8_6system6detail7generic6detail18binary_search_lessEbEEEE10hipError_tPvRmT1_T2_T3_mmT4_T5_P12ihipStream_tbEUlRKfE_EESV_SZ_S10_mS11_S14_bEUlT_E_NS1_11comp_targetILNS1_3genE10ELNS1_11target_archE1200ELNS1_3gpuE4ELNS1_3repE0EEENS1_30default_config_static_selectorELNS0_4arch9wavefront6targetE1EEEvSY_: ; @_ZN7rocprim17ROCPRIM_400000_NS6detail17trampoline_kernelINS0_14default_configENS1_29binary_search_config_selectorIfiEEZNS1_14transform_implILb0ES3_S5_N6thrust23THRUST_200600_302600_NS6detail15normal_iteratorINS8_7pointerIfNS8_11hip_rocprim16par_det_nosync_tENS8_11use_defaultESE_EEEENSA_INSB_IiSD_SE_SE_EEEEZNS1_13binary_searchIS3_S5_NSA_INS8_10device_ptrIfEEEESG_SI_NS1_16binary_search_opENS9_16wrapped_functionINS8_6system6detail7generic6detail18binary_search_lessEbEEEE10hipError_tPvRmT1_T2_T3_mmT4_T5_P12ihipStream_tbEUlRKfE_EESV_SZ_S10_mS11_S14_bEUlT_E_NS1_11comp_targetILNS1_3genE10ELNS1_11target_archE1200ELNS1_3gpuE4ELNS1_3repE0EEENS1_30default_config_static_selectorELNS0_4arch9wavefront6targetE1EEEvSY_
; %bb.0:
	.section	.rodata,"a",@progbits
	.p2align	6, 0x0
	.amdhsa_kernel _ZN7rocprim17ROCPRIM_400000_NS6detail17trampoline_kernelINS0_14default_configENS1_29binary_search_config_selectorIfiEEZNS1_14transform_implILb0ES3_S5_N6thrust23THRUST_200600_302600_NS6detail15normal_iteratorINS8_7pointerIfNS8_11hip_rocprim16par_det_nosync_tENS8_11use_defaultESE_EEEENSA_INSB_IiSD_SE_SE_EEEEZNS1_13binary_searchIS3_S5_NSA_INS8_10device_ptrIfEEEESG_SI_NS1_16binary_search_opENS9_16wrapped_functionINS8_6system6detail7generic6detail18binary_search_lessEbEEEE10hipError_tPvRmT1_T2_T3_mmT4_T5_P12ihipStream_tbEUlRKfE_EESV_SZ_S10_mS11_S14_bEUlT_E_NS1_11comp_targetILNS1_3genE10ELNS1_11target_archE1200ELNS1_3gpuE4ELNS1_3repE0EEENS1_30default_config_static_selectorELNS0_4arch9wavefront6targetE1EEEvSY_
		.amdhsa_group_segment_fixed_size 0
		.amdhsa_private_segment_fixed_size 0
		.amdhsa_kernarg_size 56
		.amdhsa_user_sgpr_count 6
		.amdhsa_user_sgpr_private_segment_buffer 1
		.amdhsa_user_sgpr_dispatch_ptr 0
		.amdhsa_user_sgpr_queue_ptr 0
		.amdhsa_user_sgpr_kernarg_segment_ptr 1
		.amdhsa_user_sgpr_dispatch_id 0
		.amdhsa_user_sgpr_flat_scratch_init 0
		.amdhsa_user_sgpr_private_segment_size 0
		.amdhsa_uses_dynamic_stack 0
		.amdhsa_system_sgpr_private_segment_wavefront_offset 0
		.amdhsa_system_sgpr_workgroup_id_x 1
		.amdhsa_system_sgpr_workgroup_id_y 0
		.amdhsa_system_sgpr_workgroup_id_z 0
		.amdhsa_system_sgpr_workgroup_info 0
		.amdhsa_system_vgpr_workitem_id 0
		.amdhsa_next_free_vgpr 1
		.amdhsa_next_free_sgpr 0
		.amdhsa_reserve_vcc 0
		.amdhsa_reserve_flat_scratch 0
		.amdhsa_float_round_mode_32 0
		.amdhsa_float_round_mode_16_64 0
		.amdhsa_float_denorm_mode_32 3
		.amdhsa_float_denorm_mode_16_64 3
		.amdhsa_dx10_clamp 1
		.amdhsa_ieee_mode 1
		.amdhsa_fp16_overflow 0
		.amdhsa_exception_fp_ieee_invalid_op 0
		.amdhsa_exception_fp_denorm_src 0
		.amdhsa_exception_fp_ieee_div_zero 0
		.amdhsa_exception_fp_ieee_overflow 0
		.amdhsa_exception_fp_ieee_underflow 0
		.amdhsa_exception_fp_ieee_inexact 0
		.amdhsa_exception_int_div_zero 0
	.end_amdhsa_kernel
	.section	.text._ZN7rocprim17ROCPRIM_400000_NS6detail17trampoline_kernelINS0_14default_configENS1_29binary_search_config_selectorIfiEEZNS1_14transform_implILb0ES3_S5_N6thrust23THRUST_200600_302600_NS6detail15normal_iteratorINS8_7pointerIfNS8_11hip_rocprim16par_det_nosync_tENS8_11use_defaultESE_EEEENSA_INSB_IiSD_SE_SE_EEEEZNS1_13binary_searchIS3_S5_NSA_INS8_10device_ptrIfEEEESG_SI_NS1_16binary_search_opENS9_16wrapped_functionINS8_6system6detail7generic6detail18binary_search_lessEbEEEE10hipError_tPvRmT1_T2_T3_mmT4_T5_P12ihipStream_tbEUlRKfE_EESV_SZ_S10_mS11_S14_bEUlT_E_NS1_11comp_targetILNS1_3genE10ELNS1_11target_archE1200ELNS1_3gpuE4ELNS1_3repE0EEENS1_30default_config_static_selectorELNS0_4arch9wavefront6targetE1EEEvSY_,"axG",@progbits,_ZN7rocprim17ROCPRIM_400000_NS6detail17trampoline_kernelINS0_14default_configENS1_29binary_search_config_selectorIfiEEZNS1_14transform_implILb0ES3_S5_N6thrust23THRUST_200600_302600_NS6detail15normal_iteratorINS8_7pointerIfNS8_11hip_rocprim16par_det_nosync_tENS8_11use_defaultESE_EEEENSA_INSB_IiSD_SE_SE_EEEEZNS1_13binary_searchIS3_S5_NSA_INS8_10device_ptrIfEEEESG_SI_NS1_16binary_search_opENS9_16wrapped_functionINS8_6system6detail7generic6detail18binary_search_lessEbEEEE10hipError_tPvRmT1_T2_T3_mmT4_T5_P12ihipStream_tbEUlRKfE_EESV_SZ_S10_mS11_S14_bEUlT_E_NS1_11comp_targetILNS1_3genE10ELNS1_11target_archE1200ELNS1_3gpuE4ELNS1_3repE0EEENS1_30default_config_static_selectorELNS0_4arch9wavefront6targetE1EEEvSY_,comdat
.Lfunc_end641:
	.size	_ZN7rocprim17ROCPRIM_400000_NS6detail17trampoline_kernelINS0_14default_configENS1_29binary_search_config_selectorIfiEEZNS1_14transform_implILb0ES3_S5_N6thrust23THRUST_200600_302600_NS6detail15normal_iteratorINS8_7pointerIfNS8_11hip_rocprim16par_det_nosync_tENS8_11use_defaultESE_EEEENSA_INSB_IiSD_SE_SE_EEEEZNS1_13binary_searchIS3_S5_NSA_INS8_10device_ptrIfEEEESG_SI_NS1_16binary_search_opENS9_16wrapped_functionINS8_6system6detail7generic6detail18binary_search_lessEbEEEE10hipError_tPvRmT1_T2_T3_mmT4_T5_P12ihipStream_tbEUlRKfE_EESV_SZ_S10_mS11_S14_bEUlT_E_NS1_11comp_targetILNS1_3genE10ELNS1_11target_archE1200ELNS1_3gpuE4ELNS1_3repE0EEENS1_30default_config_static_selectorELNS0_4arch9wavefront6targetE1EEEvSY_, .Lfunc_end641-_ZN7rocprim17ROCPRIM_400000_NS6detail17trampoline_kernelINS0_14default_configENS1_29binary_search_config_selectorIfiEEZNS1_14transform_implILb0ES3_S5_N6thrust23THRUST_200600_302600_NS6detail15normal_iteratorINS8_7pointerIfNS8_11hip_rocprim16par_det_nosync_tENS8_11use_defaultESE_EEEENSA_INSB_IiSD_SE_SE_EEEEZNS1_13binary_searchIS3_S5_NSA_INS8_10device_ptrIfEEEESG_SI_NS1_16binary_search_opENS9_16wrapped_functionINS8_6system6detail7generic6detail18binary_search_lessEbEEEE10hipError_tPvRmT1_T2_T3_mmT4_T5_P12ihipStream_tbEUlRKfE_EESV_SZ_S10_mS11_S14_bEUlT_E_NS1_11comp_targetILNS1_3genE10ELNS1_11target_archE1200ELNS1_3gpuE4ELNS1_3repE0EEENS1_30default_config_static_selectorELNS0_4arch9wavefront6targetE1EEEvSY_
                                        ; -- End function
	.set _ZN7rocprim17ROCPRIM_400000_NS6detail17trampoline_kernelINS0_14default_configENS1_29binary_search_config_selectorIfiEEZNS1_14transform_implILb0ES3_S5_N6thrust23THRUST_200600_302600_NS6detail15normal_iteratorINS8_7pointerIfNS8_11hip_rocprim16par_det_nosync_tENS8_11use_defaultESE_EEEENSA_INSB_IiSD_SE_SE_EEEEZNS1_13binary_searchIS3_S5_NSA_INS8_10device_ptrIfEEEESG_SI_NS1_16binary_search_opENS9_16wrapped_functionINS8_6system6detail7generic6detail18binary_search_lessEbEEEE10hipError_tPvRmT1_T2_T3_mmT4_T5_P12ihipStream_tbEUlRKfE_EESV_SZ_S10_mS11_S14_bEUlT_E_NS1_11comp_targetILNS1_3genE10ELNS1_11target_archE1200ELNS1_3gpuE4ELNS1_3repE0EEENS1_30default_config_static_selectorELNS0_4arch9wavefront6targetE1EEEvSY_.num_vgpr, 0
	.set _ZN7rocprim17ROCPRIM_400000_NS6detail17trampoline_kernelINS0_14default_configENS1_29binary_search_config_selectorIfiEEZNS1_14transform_implILb0ES3_S5_N6thrust23THRUST_200600_302600_NS6detail15normal_iteratorINS8_7pointerIfNS8_11hip_rocprim16par_det_nosync_tENS8_11use_defaultESE_EEEENSA_INSB_IiSD_SE_SE_EEEEZNS1_13binary_searchIS3_S5_NSA_INS8_10device_ptrIfEEEESG_SI_NS1_16binary_search_opENS9_16wrapped_functionINS8_6system6detail7generic6detail18binary_search_lessEbEEEE10hipError_tPvRmT1_T2_T3_mmT4_T5_P12ihipStream_tbEUlRKfE_EESV_SZ_S10_mS11_S14_bEUlT_E_NS1_11comp_targetILNS1_3genE10ELNS1_11target_archE1200ELNS1_3gpuE4ELNS1_3repE0EEENS1_30default_config_static_selectorELNS0_4arch9wavefront6targetE1EEEvSY_.num_agpr, 0
	.set _ZN7rocprim17ROCPRIM_400000_NS6detail17trampoline_kernelINS0_14default_configENS1_29binary_search_config_selectorIfiEEZNS1_14transform_implILb0ES3_S5_N6thrust23THRUST_200600_302600_NS6detail15normal_iteratorINS8_7pointerIfNS8_11hip_rocprim16par_det_nosync_tENS8_11use_defaultESE_EEEENSA_INSB_IiSD_SE_SE_EEEEZNS1_13binary_searchIS3_S5_NSA_INS8_10device_ptrIfEEEESG_SI_NS1_16binary_search_opENS9_16wrapped_functionINS8_6system6detail7generic6detail18binary_search_lessEbEEEE10hipError_tPvRmT1_T2_T3_mmT4_T5_P12ihipStream_tbEUlRKfE_EESV_SZ_S10_mS11_S14_bEUlT_E_NS1_11comp_targetILNS1_3genE10ELNS1_11target_archE1200ELNS1_3gpuE4ELNS1_3repE0EEENS1_30default_config_static_selectorELNS0_4arch9wavefront6targetE1EEEvSY_.numbered_sgpr, 0
	.set _ZN7rocprim17ROCPRIM_400000_NS6detail17trampoline_kernelINS0_14default_configENS1_29binary_search_config_selectorIfiEEZNS1_14transform_implILb0ES3_S5_N6thrust23THRUST_200600_302600_NS6detail15normal_iteratorINS8_7pointerIfNS8_11hip_rocprim16par_det_nosync_tENS8_11use_defaultESE_EEEENSA_INSB_IiSD_SE_SE_EEEEZNS1_13binary_searchIS3_S5_NSA_INS8_10device_ptrIfEEEESG_SI_NS1_16binary_search_opENS9_16wrapped_functionINS8_6system6detail7generic6detail18binary_search_lessEbEEEE10hipError_tPvRmT1_T2_T3_mmT4_T5_P12ihipStream_tbEUlRKfE_EESV_SZ_S10_mS11_S14_bEUlT_E_NS1_11comp_targetILNS1_3genE10ELNS1_11target_archE1200ELNS1_3gpuE4ELNS1_3repE0EEENS1_30default_config_static_selectorELNS0_4arch9wavefront6targetE1EEEvSY_.num_named_barrier, 0
	.set _ZN7rocprim17ROCPRIM_400000_NS6detail17trampoline_kernelINS0_14default_configENS1_29binary_search_config_selectorIfiEEZNS1_14transform_implILb0ES3_S5_N6thrust23THRUST_200600_302600_NS6detail15normal_iteratorINS8_7pointerIfNS8_11hip_rocprim16par_det_nosync_tENS8_11use_defaultESE_EEEENSA_INSB_IiSD_SE_SE_EEEEZNS1_13binary_searchIS3_S5_NSA_INS8_10device_ptrIfEEEESG_SI_NS1_16binary_search_opENS9_16wrapped_functionINS8_6system6detail7generic6detail18binary_search_lessEbEEEE10hipError_tPvRmT1_T2_T3_mmT4_T5_P12ihipStream_tbEUlRKfE_EESV_SZ_S10_mS11_S14_bEUlT_E_NS1_11comp_targetILNS1_3genE10ELNS1_11target_archE1200ELNS1_3gpuE4ELNS1_3repE0EEENS1_30default_config_static_selectorELNS0_4arch9wavefront6targetE1EEEvSY_.private_seg_size, 0
	.set _ZN7rocprim17ROCPRIM_400000_NS6detail17trampoline_kernelINS0_14default_configENS1_29binary_search_config_selectorIfiEEZNS1_14transform_implILb0ES3_S5_N6thrust23THRUST_200600_302600_NS6detail15normal_iteratorINS8_7pointerIfNS8_11hip_rocprim16par_det_nosync_tENS8_11use_defaultESE_EEEENSA_INSB_IiSD_SE_SE_EEEEZNS1_13binary_searchIS3_S5_NSA_INS8_10device_ptrIfEEEESG_SI_NS1_16binary_search_opENS9_16wrapped_functionINS8_6system6detail7generic6detail18binary_search_lessEbEEEE10hipError_tPvRmT1_T2_T3_mmT4_T5_P12ihipStream_tbEUlRKfE_EESV_SZ_S10_mS11_S14_bEUlT_E_NS1_11comp_targetILNS1_3genE10ELNS1_11target_archE1200ELNS1_3gpuE4ELNS1_3repE0EEENS1_30default_config_static_selectorELNS0_4arch9wavefront6targetE1EEEvSY_.uses_vcc, 0
	.set _ZN7rocprim17ROCPRIM_400000_NS6detail17trampoline_kernelINS0_14default_configENS1_29binary_search_config_selectorIfiEEZNS1_14transform_implILb0ES3_S5_N6thrust23THRUST_200600_302600_NS6detail15normal_iteratorINS8_7pointerIfNS8_11hip_rocprim16par_det_nosync_tENS8_11use_defaultESE_EEEENSA_INSB_IiSD_SE_SE_EEEEZNS1_13binary_searchIS3_S5_NSA_INS8_10device_ptrIfEEEESG_SI_NS1_16binary_search_opENS9_16wrapped_functionINS8_6system6detail7generic6detail18binary_search_lessEbEEEE10hipError_tPvRmT1_T2_T3_mmT4_T5_P12ihipStream_tbEUlRKfE_EESV_SZ_S10_mS11_S14_bEUlT_E_NS1_11comp_targetILNS1_3genE10ELNS1_11target_archE1200ELNS1_3gpuE4ELNS1_3repE0EEENS1_30default_config_static_selectorELNS0_4arch9wavefront6targetE1EEEvSY_.uses_flat_scratch, 0
	.set _ZN7rocprim17ROCPRIM_400000_NS6detail17trampoline_kernelINS0_14default_configENS1_29binary_search_config_selectorIfiEEZNS1_14transform_implILb0ES3_S5_N6thrust23THRUST_200600_302600_NS6detail15normal_iteratorINS8_7pointerIfNS8_11hip_rocprim16par_det_nosync_tENS8_11use_defaultESE_EEEENSA_INSB_IiSD_SE_SE_EEEEZNS1_13binary_searchIS3_S5_NSA_INS8_10device_ptrIfEEEESG_SI_NS1_16binary_search_opENS9_16wrapped_functionINS8_6system6detail7generic6detail18binary_search_lessEbEEEE10hipError_tPvRmT1_T2_T3_mmT4_T5_P12ihipStream_tbEUlRKfE_EESV_SZ_S10_mS11_S14_bEUlT_E_NS1_11comp_targetILNS1_3genE10ELNS1_11target_archE1200ELNS1_3gpuE4ELNS1_3repE0EEENS1_30default_config_static_selectorELNS0_4arch9wavefront6targetE1EEEvSY_.has_dyn_sized_stack, 0
	.set _ZN7rocprim17ROCPRIM_400000_NS6detail17trampoline_kernelINS0_14default_configENS1_29binary_search_config_selectorIfiEEZNS1_14transform_implILb0ES3_S5_N6thrust23THRUST_200600_302600_NS6detail15normal_iteratorINS8_7pointerIfNS8_11hip_rocprim16par_det_nosync_tENS8_11use_defaultESE_EEEENSA_INSB_IiSD_SE_SE_EEEEZNS1_13binary_searchIS3_S5_NSA_INS8_10device_ptrIfEEEESG_SI_NS1_16binary_search_opENS9_16wrapped_functionINS8_6system6detail7generic6detail18binary_search_lessEbEEEE10hipError_tPvRmT1_T2_T3_mmT4_T5_P12ihipStream_tbEUlRKfE_EESV_SZ_S10_mS11_S14_bEUlT_E_NS1_11comp_targetILNS1_3genE10ELNS1_11target_archE1200ELNS1_3gpuE4ELNS1_3repE0EEENS1_30default_config_static_selectorELNS0_4arch9wavefront6targetE1EEEvSY_.has_recursion, 0
	.set _ZN7rocprim17ROCPRIM_400000_NS6detail17trampoline_kernelINS0_14default_configENS1_29binary_search_config_selectorIfiEEZNS1_14transform_implILb0ES3_S5_N6thrust23THRUST_200600_302600_NS6detail15normal_iteratorINS8_7pointerIfNS8_11hip_rocprim16par_det_nosync_tENS8_11use_defaultESE_EEEENSA_INSB_IiSD_SE_SE_EEEEZNS1_13binary_searchIS3_S5_NSA_INS8_10device_ptrIfEEEESG_SI_NS1_16binary_search_opENS9_16wrapped_functionINS8_6system6detail7generic6detail18binary_search_lessEbEEEE10hipError_tPvRmT1_T2_T3_mmT4_T5_P12ihipStream_tbEUlRKfE_EESV_SZ_S10_mS11_S14_bEUlT_E_NS1_11comp_targetILNS1_3genE10ELNS1_11target_archE1200ELNS1_3gpuE4ELNS1_3repE0EEENS1_30default_config_static_selectorELNS0_4arch9wavefront6targetE1EEEvSY_.has_indirect_call, 0
	.section	.AMDGPU.csdata,"",@progbits
; Kernel info:
; codeLenInByte = 0
; TotalNumSgprs: 4
; NumVgprs: 0
; ScratchSize: 0
; MemoryBound: 0
; FloatMode: 240
; IeeeMode: 1
; LDSByteSize: 0 bytes/workgroup (compile time only)
; SGPRBlocks: 0
; VGPRBlocks: 0
; NumSGPRsForWavesPerEU: 4
; NumVGPRsForWavesPerEU: 1
; Occupancy: 10
; WaveLimiterHint : 0
; COMPUTE_PGM_RSRC2:SCRATCH_EN: 0
; COMPUTE_PGM_RSRC2:USER_SGPR: 6
; COMPUTE_PGM_RSRC2:TRAP_HANDLER: 0
; COMPUTE_PGM_RSRC2:TGID_X_EN: 1
; COMPUTE_PGM_RSRC2:TGID_Y_EN: 0
; COMPUTE_PGM_RSRC2:TGID_Z_EN: 0
; COMPUTE_PGM_RSRC2:TIDIG_COMP_CNT: 0
	.section	.text._ZN7rocprim17ROCPRIM_400000_NS6detail17trampoline_kernelINS0_14default_configENS1_29binary_search_config_selectorIfiEEZNS1_14transform_implILb0ES3_S5_N6thrust23THRUST_200600_302600_NS6detail15normal_iteratorINS8_7pointerIfNS8_11hip_rocprim16par_det_nosync_tENS8_11use_defaultESE_EEEENSA_INSB_IiSD_SE_SE_EEEEZNS1_13binary_searchIS3_S5_NSA_INS8_10device_ptrIfEEEESG_SI_NS1_16binary_search_opENS9_16wrapped_functionINS8_6system6detail7generic6detail18binary_search_lessEbEEEE10hipError_tPvRmT1_T2_T3_mmT4_T5_P12ihipStream_tbEUlRKfE_EESV_SZ_S10_mS11_S14_bEUlT_E_NS1_11comp_targetILNS1_3genE9ELNS1_11target_archE1100ELNS1_3gpuE3ELNS1_3repE0EEENS1_30default_config_static_selectorELNS0_4arch9wavefront6targetE1EEEvSY_,"axG",@progbits,_ZN7rocprim17ROCPRIM_400000_NS6detail17trampoline_kernelINS0_14default_configENS1_29binary_search_config_selectorIfiEEZNS1_14transform_implILb0ES3_S5_N6thrust23THRUST_200600_302600_NS6detail15normal_iteratorINS8_7pointerIfNS8_11hip_rocprim16par_det_nosync_tENS8_11use_defaultESE_EEEENSA_INSB_IiSD_SE_SE_EEEEZNS1_13binary_searchIS3_S5_NSA_INS8_10device_ptrIfEEEESG_SI_NS1_16binary_search_opENS9_16wrapped_functionINS8_6system6detail7generic6detail18binary_search_lessEbEEEE10hipError_tPvRmT1_T2_T3_mmT4_T5_P12ihipStream_tbEUlRKfE_EESV_SZ_S10_mS11_S14_bEUlT_E_NS1_11comp_targetILNS1_3genE9ELNS1_11target_archE1100ELNS1_3gpuE3ELNS1_3repE0EEENS1_30default_config_static_selectorELNS0_4arch9wavefront6targetE1EEEvSY_,comdat
	.protected	_ZN7rocprim17ROCPRIM_400000_NS6detail17trampoline_kernelINS0_14default_configENS1_29binary_search_config_selectorIfiEEZNS1_14transform_implILb0ES3_S5_N6thrust23THRUST_200600_302600_NS6detail15normal_iteratorINS8_7pointerIfNS8_11hip_rocprim16par_det_nosync_tENS8_11use_defaultESE_EEEENSA_INSB_IiSD_SE_SE_EEEEZNS1_13binary_searchIS3_S5_NSA_INS8_10device_ptrIfEEEESG_SI_NS1_16binary_search_opENS9_16wrapped_functionINS8_6system6detail7generic6detail18binary_search_lessEbEEEE10hipError_tPvRmT1_T2_T3_mmT4_T5_P12ihipStream_tbEUlRKfE_EESV_SZ_S10_mS11_S14_bEUlT_E_NS1_11comp_targetILNS1_3genE9ELNS1_11target_archE1100ELNS1_3gpuE3ELNS1_3repE0EEENS1_30default_config_static_selectorELNS0_4arch9wavefront6targetE1EEEvSY_ ; -- Begin function _ZN7rocprim17ROCPRIM_400000_NS6detail17trampoline_kernelINS0_14default_configENS1_29binary_search_config_selectorIfiEEZNS1_14transform_implILb0ES3_S5_N6thrust23THRUST_200600_302600_NS6detail15normal_iteratorINS8_7pointerIfNS8_11hip_rocprim16par_det_nosync_tENS8_11use_defaultESE_EEEENSA_INSB_IiSD_SE_SE_EEEEZNS1_13binary_searchIS3_S5_NSA_INS8_10device_ptrIfEEEESG_SI_NS1_16binary_search_opENS9_16wrapped_functionINS8_6system6detail7generic6detail18binary_search_lessEbEEEE10hipError_tPvRmT1_T2_T3_mmT4_T5_P12ihipStream_tbEUlRKfE_EESV_SZ_S10_mS11_S14_bEUlT_E_NS1_11comp_targetILNS1_3genE9ELNS1_11target_archE1100ELNS1_3gpuE3ELNS1_3repE0EEENS1_30default_config_static_selectorELNS0_4arch9wavefront6targetE1EEEvSY_
	.globl	_ZN7rocprim17ROCPRIM_400000_NS6detail17trampoline_kernelINS0_14default_configENS1_29binary_search_config_selectorIfiEEZNS1_14transform_implILb0ES3_S5_N6thrust23THRUST_200600_302600_NS6detail15normal_iteratorINS8_7pointerIfNS8_11hip_rocprim16par_det_nosync_tENS8_11use_defaultESE_EEEENSA_INSB_IiSD_SE_SE_EEEEZNS1_13binary_searchIS3_S5_NSA_INS8_10device_ptrIfEEEESG_SI_NS1_16binary_search_opENS9_16wrapped_functionINS8_6system6detail7generic6detail18binary_search_lessEbEEEE10hipError_tPvRmT1_T2_T3_mmT4_T5_P12ihipStream_tbEUlRKfE_EESV_SZ_S10_mS11_S14_bEUlT_E_NS1_11comp_targetILNS1_3genE9ELNS1_11target_archE1100ELNS1_3gpuE3ELNS1_3repE0EEENS1_30default_config_static_selectorELNS0_4arch9wavefront6targetE1EEEvSY_
	.p2align	8
	.type	_ZN7rocprim17ROCPRIM_400000_NS6detail17trampoline_kernelINS0_14default_configENS1_29binary_search_config_selectorIfiEEZNS1_14transform_implILb0ES3_S5_N6thrust23THRUST_200600_302600_NS6detail15normal_iteratorINS8_7pointerIfNS8_11hip_rocprim16par_det_nosync_tENS8_11use_defaultESE_EEEENSA_INSB_IiSD_SE_SE_EEEEZNS1_13binary_searchIS3_S5_NSA_INS8_10device_ptrIfEEEESG_SI_NS1_16binary_search_opENS9_16wrapped_functionINS8_6system6detail7generic6detail18binary_search_lessEbEEEE10hipError_tPvRmT1_T2_T3_mmT4_T5_P12ihipStream_tbEUlRKfE_EESV_SZ_S10_mS11_S14_bEUlT_E_NS1_11comp_targetILNS1_3genE9ELNS1_11target_archE1100ELNS1_3gpuE3ELNS1_3repE0EEENS1_30default_config_static_selectorELNS0_4arch9wavefront6targetE1EEEvSY_,@function
_ZN7rocprim17ROCPRIM_400000_NS6detail17trampoline_kernelINS0_14default_configENS1_29binary_search_config_selectorIfiEEZNS1_14transform_implILb0ES3_S5_N6thrust23THRUST_200600_302600_NS6detail15normal_iteratorINS8_7pointerIfNS8_11hip_rocprim16par_det_nosync_tENS8_11use_defaultESE_EEEENSA_INSB_IiSD_SE_SE_EEEEZNS1_13binary_searchIS3_S5_NSA_INS8_10device_ptrIfEEEESG_SI_NS1_16binary_search_opENS9_16wrapped_functionINS8_6system6detail7generic6detail18binary_search_lessEbEEEE10hipError_tPvRmT1_T2_T3_mmT4_T5_P12ihipStream_tbEUlRKfE_EESV_SZ_S10_mS11_S14_bEUlT_E_NS1_11comp_targetILNS1_3genE9ELNS1_11target_archE1100ELNS1_3gpuE3ELNS1_3repE0EEENS1_30default_config_static_selectorELNS0_4arch9wavefront6targetE1EEEvSY_: ; @_ZN7rocprim17ROCPRIM_400000_NS6detail17trampoline_kernelINS0_14default_configENS1_29binary_search_config_selectorIfiEEZNS1_14transform_implILb0ES3_S5_N6thrust23THRUST_200600_302600_NS6detail15normal_iteratorINS8_7pointerIfNS8_11hip_rocprim16par_det_nosync_tENS8_11use_defaultESE_EEEENSA_INSB_IiSD_SE_SE_EEEEZNS1_13binary_searchIS3_S5_NSA_INS8_10device_ptrIfEEEESG_SI_NS1_16binary_search_opENS9_16wrapped_functionINS8_6system6detail7generic6detail18binary_search_lessEbEEEE10hipError_tPvRmT1_T2_T3_mmT4_T5_P12ihipStream_tbEUlRKfE_EESV_SZ_S10_mS11_S14_bEUlT_E_NS1_11comp_targetILNS1_3genE9ELNS1_11target_archE1100ELNS1_3gpuE3ELNS1_3repE0EEENS1_30default_config_static_selectorELNS0_4arch9wavefront6targetE1EEEvSY_
; %bb.0:
	.section	.rodata,"a",@progbits
	.p2align	6, 0x0
	.amdhsa_kernel _ZN7rocprim17ROCPRIM_400000_NS6detail17trampoline_kernelINS0_14default_configENS1_29binary_search_config_selectorIfiEEZNS1_14transform_implILb0ES3_S5_N6thrust23THRUST_200600_302600_NS6detail15normal_iteratorINS8_7pointerIfNS8_11hip_rocprim16par_det_nosync_tENS8_11use_defaultESE_EEEENSA_INSB_IiSD_SE_SE_EEEEZNS1_13binary_searchIS3_S5_NSA_INS8_10device_ptrIfEEEESG_SI_NS1_16binary_search_opENS9_16wrapped_functionINS8_6system6detail7generic6detail18binary_search_lessEbEEEE10hipError_tPvRmT1_T2_T3_mmT4_T5_P12ihipStream_tbEUlRKfE_EESV_SZ_S10_mS11_S14_bEUlT_E_NS1_11comp_targetILNS1_3genE9ELNS1_11target_archE1100ELNS1_3gpuE3ELNS1_3repE0EEENS1_30default_config_static_selectorELNS0_4arch9wavefront6targetE1EEEvSY_
		.amdhsa_group_segment_fixed_size 0
		.amdhsa_private_segment_fixed_size 0
		.amdhsa_kernarg_size 56
		.amdhsa_user_sgpr_count 6
		.amdhsa_user_sgpr_private_segment_buffer 1
		.amdhsa_user_sgpr_dispatch_ptr 0
		.amdhsa_user_sgpr_queue_ptr 0
		.amdhsa_user_sgpr_kernarg_segment_ptr 1
		.amdhsa_user_sgpr_dispatch_id 0
		.amdhsa_user_sgpr_flat_scratch_init 0
		.amdhsa_user_sgpr_private_segment_size 0
		.amdhsa_uses_dynamic_stack 0
		.amdhsa_system_sgpr_private_segment_wavefront_offset 0
		.amdhsa_system_sgpr_workgroup_id_x 1
		.amdhsa_system_sgpr_workgroup_id_y 0
		.amdhsa_system_sgpr_workgroup_id_z 0
		.amdhsa_system_sgpr_workgroup_info 0
		.amdhsa_system_vgpr_workitem_id 0
		.amdhsa_next_free_vgpr 1
		.amdhsa_next_free_sgpr 0
		.amdhsa_reserve_vcc 0
		.amdhsa_reserve_flat_scratch 0
		.amdhsa_float_round_mode_32 0
		.amdhsa_float_round_mode_16_64 0
		.amdhsa_float_denorm_mode_32 3
		.amdhsa_float_denorm_mode_16_64 3
		.amdhsa_dx10_clamp 1
		.amdhsa_ieee_mode 1
		.amdhsa_fp16_overflow 0
		.amdhsa_exception_fp_ieee_invalid_op 0
		.amdhsa_exception_fp_denorm_src 0
		.amdhsa_exception_fp_ieee_div_zero 0
		.amdhsa_exception_fp_ieee_overflow 0
		.amdhsa_exception_fp_ieee_underflow 0
		.amdhsa_exception_fp_ieee_inexact 0
		.amdhsa_exception_int_div_zero 0
	.end_amdhsa_kernel
	.section	.text._ZN7rocprim17ROCPRIM_400000_NS6detail17trampoline_kernelINS0_14default_configENS1_29binary_search_config_selectorIfiEEZNS1_14transform_implILb0ES3_S5_N6thrust23THRUST_200600_302600_NS6detail15normal_iteratorINS8_7pointerIfNS8_11hip_rocprim16par_det_nosync_tENS8_11use_defaultESE_EEEENSA_INSB_IiSD_SE_SE_EEEEZNS1_13binary_searchIS3_S5_NSA_INS8_10device_ptrIfEEEESG_SI_NS1_16binary_search_opENS9_16wrapped_functionINS8_6system6detail7generic6detail18binary_search_lessEbEEEE10hipError_tPvRmT1_T2_T3_mmT4_T5_P12ihipStream_tbEUlRKfE_EESV_SZ_S10_mS11_S14_bEUlT_E_NS1_11comp_targetILNS1_3genE9ELNS1_11target_archE1100ELNS1_3gpuE3ELNS1_3repE0EEENS1_30default_config_static_selectorELNS0_4arch9wavefront6targetE1EEEvSY_,"axG",@progbits,_ZN7rocprim17ROCPRIM_400000_NS6detail17trampoline_kernelINS0_14default_configENS1_29binary_search_config_selectorIfiEEZNS1_14transform_implILb0ES3_S5_N6thrust23THRUST_200600_302600_NS6detail15normal_iteratorINS8_7pointerIfNS8_11hip_rocprim16par_det_nosync_tENS8_11use_defaultESE_EEEENSA_INSB_IiSD_SE_SE_EEEEZNS1_13binary_searchIS3_S5_NSA_INS8_10device_ptrIfEEEESG_SI_NS1_16binary_search_opENS9_16wrapped_functionINS8_6system6detail7generic6detail18binary_search_lessEbEEEE10hipError_tPvRmT1_T2_T3_mmT4_T5_P12ihipStream_tbEUlRKfE_EESV_SZ_S10_mS11_S14_bEUlT_E_NS1_11comp_targetILNS1_3genE9ELNS1_11target_archE1100ELNS1_3gpuE3ELNS1_3repE0EEENS1_30default_config_static_selectorELNS0_4arch9wavefront6targetE1EEEvSY_,comdat
.Lfunc_end642:
	.size	_ZN7rocprim17ROCPRIM_400000_NS6detail17trampoline_kernelINS0_14default_configENS1_29binary_search_config_selectorIfiEEZNS1_14transform_implILb0ES3_S5_N6thrust23THRUST_200600_302600_NS6detail15normal_iteratorINS8_7pointerIfNS8_11hip_rocprim16par_det_nosync_tENS8_11use_defaultESE_EEEENSA_INSB_IiSD_SE_SE_EEEEZNS1_13binary_searchIS3_S5_NSA_INS8_10device_ptrIfEEEESG_SI_NS1_16binary_search_opENS9_16wrapped_functionINS8_6system6detail7generic6detail18binary_search_lessEbEEEE10hipError_tPvRmT1_T2_T3_mmT4_T5_P12ihipStream_tbEUlRKfE_EESV_SZ_S10_mS11_S14_bEUlT_E_NS1_11comp_targetILNS1_3genE9ELNS1_11target_archE1100ELNS1_3gpuE3ELNS1_3repE0EEENS1_30default_config_static_selectorELNS0_4arch9wavefront6targetE1EEEvSY_, .Lfunc_end642-_ZN7rocprim17ROCPRIM_400000_NS6detail17trampoline_kernelINS0_14default_configENS1_29binary_search_config_selectorIfiEEZNS1_14transform_implILb0ES3_S5_N6thrust23THRUST_200600_302600_NS6detail15normal_iteratorINS8_7pointerIfNS8_11hip_rocprim16par_det_nosync_tENS8_11use_defaultESE_EEEENSA_INSB_IiSD_SE_SE_EEEEZNS1_13binary_searchIS3_S5_NSA_INS8_10device_ptrIfEEEESG_SI_NS1_16binary_search_opENS9_16wrapped_functionINS8_6system6detail7generic6detail18binary_search_lessEbEEEE10hipError_tPvRmT1_T2_T3_mmT4_T5_P12ihipStream_tbEUlRKfE_EESV_SZ_S10_mS11_S14_bEUlT_E_NS1_11comp_targetILNS1_3genE9ELNS1_11target_archE1100ELNS1_3gpuE3ELNS1_3repE0EEENS1_30default_config_static_selectorELNS0_4arch9wavefront6targetE1EEEvSY_
                                        ; -- End function
	.set _ZN7rocprim17ROCPRIM_400000_NS6detail17trampoline_kernelINS0_14default_configENS1_29binary_search_config_selectorIfiEEZNS1_14transform_implILb0ES3_S5_N6thrust23THRUST_200600_302600_NS6detail15normal_iteratorINS8_7pointerIfNS8_11hip_rocprim16par_det_nosync_tENS8_11use_defaultESE_EEEENSA_INSB_IiSD_SE_SE_EEEEZNS1_13binary_searchIS3_S5_NSA_INS8_10device_ptrIfEEEESG_SI_NS1_16binary_search_opENS9_16wrapped_functionINS8_6system6detail7generic6detail18binary_search_lessEbEEEE10hipError_tPvRmT1_T2_T3_mmT4_T5_P12ihipStream_tbEUlRKfE_EESV_SZ_S10_mS11_S14_bEUlT_E_NS1_11comp_targetILNS1_3genE9ELNS1_11target_archE1100ELNS1_3gpuE3ELNS1_3repE0EEENS1_30default_config_static_selectorELNS0_4arch9wavefront6targetE1EEEvSY_.num_vgpr, 0
	.set _ZN7rocprim17ROCPRIM_400000_NS6detail17trampoline_kernelINS0_14default_configENS1_29binary_search_config_selectorIfiEEZNS1_14transform_implILb0ES3_S5_N6thrust23THRUST_200600_302600_NS6detail15normal_iteratorINS8_7pointerIfNS8_11hip_rocprim16par_det_nosync_tENS8_11use_defaultESE_EEEENSA_INSB_IiSD_SE_SE_EEEEZNS1_13binary_searchIS3_S5_NSA_INS8_10device_ptrIfEEEESG_SI_NS1_16binary_search_opENS9_16wrapped_functionINS8_6system6detail7generic6detail18binary_search_lessEbEEEE10hipError_tPvRmT1_T2_T3_mmT4_T5_P12ihipStream_tbEUlRKfE_EESV_SZ_S10_mS11_S14_bEUlT_E_NS1_11comp_targetILNS1_3genE9ELNS1_11target_archE1100ELNS1_3gpuE3ELNS1_3repE0EEENS1_30default_config_static_selectorELNS0_4arch9wavefront6targetE1EEEvSY_.num_agpr, 0
	.set _ZN7rocprim17ROCPRIM_400000_NS6detail17trampoline_kernelINS0_14default_configENS1_29binary_search_config_selectorIfiEEZNS1_14transform_implILb0ES3_S5_N6thrust23THRUST_200600_302600_NS6detail15normal_iteratorINS8_7pointerIfNS8_11hip_rocprim16par_det_nosync_tENS8_11use_defaultESE_EEEENSA_INSB_IiSD_SE_SE_EEEEZNS1_13binary_searchIS3_S5_NSA_INS8_10device_ptrIfEEEESG_SI_NS1_16binary_search_opENS9_16wrapped_functionINS8_6system6detail7generic6detail18binary_search_lessEbEEEE10hipError_tPvRmT1_T2_T3_mmT4_T5_P12ihipStream_tbEUlRKfE_EESV_SZ_S10_mS11_S14_bEUlT_E_NS1_11comp_targetILNS1_3genE9ELNS1_11target_archE1100ELNS1_3gpuE3ELNS1_3repE0EEENS1_30default_config_static_selectorELNS0_4arch9wavefront6targetE1EEEvSY_.numbered_sgpr, 0
	.set _ZN7rocprim17ROCPRIM_400000_NS6detail17trampoline_kernelINS0_14default_configENS1_29binary_search_config_selectorIfiEEZNS1_14transform_implILb0ES3_S5_N6thrust23THRUST_200600_302600_NS6detail15normal_iteratorINS8_7pointerIfNS8_11hip_rocprim16par_det_nosync_tENS8_11use_defaultESE_EEEENSA_INSB_IiSD_SE_SE_EEEEZNS1_13binary_searchIS3_S5_NSA_INS8_10device_ptrIfEEEESG_SI_NS1_16binary_search_opENS9_16wrapped_functionINS8_6system6detail7generic6detail18binary_search_lessEbEEEE10hipError_tPvRmT1_T2_T3_mmT4_T5_P12ihipStream_tbEUlRKfE_EESV_SZ_S10_mS11_S14_bEUlT_E_NS1_11comp_targetILNS1_3genE9ELNS1_11target_archE1100ELNS1_3gpuE3ELNS1_3repE0EEENS1_30default_config_static_selectorELNS0_4arch9wavefront6targetE1EEEvSY_.num_named_barrier, 0
	.set _ZN7rocprim17ROCPRIM_400000_NS6detail17trampoline_kernelINS0_14default_configENS1_29binary_search_config_selectorIfiEEZNS1_14transform_implILb0ES3_S5_N6thrust23THRUST_200600_302600_NS6detail15normal_iteratorINS8_7pointerIfNS8_11hip_rocprim16par_det_nosync_tENS8_11use_defaultESE_EEEENSA_INSB_IiSD_SE_SE_EEEEZNS1_13binary_searchIS3_S5_NSA_INS8_10device_ptrIfEEEESG_SI_NS1_16binary_search_opENS9_16wrapped_functionINS8_6system6detail7generic6detail18binary_search_lessEbEEEE10hipError_tPvRmT1_T2_T3_mmT4_T5_P12ihipStream_tbEUlRKfE_EESV_SZ_S10_mS11_S14_bEUlT_E_NS1_11comp_targetILNS1_3genE9ELNS1_11target_archE1100ELNS1_3gpuE3ELNS1_3repE0EEENS1_30default_config_static_selectorELNS0_4arch9wavefront6targetE1EEEvSY_.private_seg_size, 0
	.set _ZN7rocprim17ROCPRIM_400000_NS6detail17trampoline_kernelINS0_14default_configENS1_29binary_search_config_selectorIfiEEZNS1_14transform_implILb0ES3_S5_N6thrust23THRUST_200600_302600_NS6detail15normal_iteratorINS8_7pointerIfNS8_11hip_rocprim16par_det_nosync_tENS8_11use_defaultESE_EEEENSA_INSB_IiSD_SE_SE_EEEEZNS1_13binary_searchIS3_S5_NSA_INS8_10device_ptrIfEEEESG_SI_NS1_16binary_search_opENS9_16wrapped_functionINS8_6system6detail7generic6detail18binary_search_lessEbEEEE10hipError_tPvRmT1_T2_T3_mmT4_T5_P12ihipStream_tbEUlRKfE_EESV_SZ_S10_mS11_S14_bEUlT_E_NS1_11comp_targetILNS1_3genE9ELNS1_11target_archE1100ELNS1_3gpuE3ELNS1_3repE0EEENS1_30default_config_static_selectorELNS0_4arch9wavefront6targetE1EEEvSY_.uses_vcc, 0
	.set _ZN7rocprim17ROCPRIM_400000_NS6detail17trampoline_kernelINS0_14default_configENS1_29binary_search_config_selectorIfiEEZNS1_14transform_implILb0ES3_S5_N6thrust23THRUST_200600_302600_NS6detail15normal_iteratorINS8_7pointerIfNS8_11hip_rocprim16par_det_nosync_tENS8_11use_defaultESE_EEEENSA_INSB_IiSD_SE_SE_EEEEZNS1_13binary_searchIS3_S5_NSA_INS8_10device_ptrIfEEEESG_SI_NS1_16binary_search_opENS9_16wrapped_functionINS8_6system6detail7generic6detail18binary_search_lessEbEEEE10hipError_tPvRmT1_T2_T3_mmT4_T5_P12ihipStream_tbEUlRKfE_EESV_SZ_S10_mS11_S14_bEUlT_E_NS1_11comp_targetILNS1_3genE9ELNS1_11target_archE1100ELNS1_3gpuE3ELNS1_3repE0EEENS1_30default_config_static_selectorELNS0_4arch9wavefront6targetE1EEEvSY_.uses_flat_scratch, 0
	.set _ZN7rocprim17ROCPRIM_400000_NS6detail17trampoline_kernelINS0_14default_configENS1_29binary_search_config_selectorIfiEEZNS1_14transform_implILb0ES3_S5_N6thrust23THRUST_200600_302600_NS6detail15normal_iteratorINS8_7pointerIfNS8_11hip_rocprim16par_det_nosync_tENS8_11use_defaultESE_EEEENSA_INSB_IiSD_SE_SE_EEEEZNS1_13binary_searchIS3_S5_NSA_INS8_10device_ptrIfEEEESG_SI_NS1_16binary_search_opENS9_16wrapped_functionINS8_6system6detail7generic6detail18binary_search_lessEbEEEE10hipError_tPvRmT1_T2_T3_mmT4_T5_P12ihipStream_tbEUlRKfE_EESV_SZ_S10_mS11_S14_bEUlT_E_NS1_11comp_targetILNS1_3genE9ELNS1_11target_archE1100ELNS1_3gpuE3ELNS1_3repE0EEENS1_30default_config_static_selectorELNS0_4arch9wavefront6targetE1EEEvSY_.has_dyn_sized_stack, 0
	.set _ZN7rocprim17ROCPRIM_400000_NS6detail17trampoline_kernelINS0_14default_configENS1_29binary_search_config_selectorIfiEEZNS1_14transform_implILb0ES3_S5_N6thrust23THRUST_200600_302600_NS6detail15normal_iteratorINS8_7pointerIfNS8_11hip_rocprim16par_det_nosync_tENS8_11use_defaultESE_EEEENSA_INSB_IiSD_SE_SE_EEEEZNS1_13binary_searchIS3_S5_NSA_INS8_10device_ptrIfEEEESG_SI_NS1_16binary_search_opENS9_16wrapped_functionINS8_6system6detail7generic6detail18binary_search_lessEbEEEE10hipError_tPvRmT1_T2_T3_mmT4_T5_P12ihipStream_tbEUlRKfE_EESV_SZ_S10_mS11_S14_bEUlT_E_NS1_11comp_targetILNS1_3genE9ELNS1_11target_archE1100ELNS1_3gpuE3ELNS1_3repE0EEENS1_30default_config_static_selectorELNS0_4arch9wavefront6targetE1EEEvSY_.has_recursion, 0
	.set _ZN7rocprim17ROCPRIM_400000_NS6detail17trampoline_kernelINS0_14default_configENS1_29binary_search_config_selectorIfiEEZNS1_14transform_implILb0ES3_S5_N6thrust23THRUST_200600_302600_NS6detail15normal_iteratorINS8_7pointerIfNS8_11hip_rocprim16par_det_nosync_tENS8_11use_defaultESE_EEEENSA_INSB_IiSD_SE_SE_EEEEZNS1_13binary_searchIS3_S5_NSA_INS8_10device_ptrIfEEEESG_SI_NS1_16binary_search_opENS9_16wrapped_functionINS8_6system6detail7generic6detail18binary_search_lessEbEEEE10hipError_tPvRmT1_T2_T3_mmT4_T5_P12ihipStream_tbEUlRKfE_EESV_SZ_S10_mS11_S14_bEUlT_E_NS1_11comp_targetILNS1_3genE9ELNS1_11target_archE1100ELNS1_3gpuE3ELNS1_3repE0EEENS1_30default_config_static_selectorELNS0_4arch9wavefront6targetE1EEEvSY_.has_indirect_call, 0
	.section	.AMDGPU.csdata,"",@progbits
; Kernel info:
; codeLenInByte = 0
; TotalNumSgprs: 4
; NumVgprs: 0
; ScratchSize: 0
; MemoryBound: 0
; FloatMode: 240
; IeeeMode: 1
; LDSByteSize: 0 bytes/workgroup (compile time only)
; SGPRBlocks: 0
; VGPRBlocks: 0
; NumSGPRsForWavesPerEU: 4
; NumVGPRsForWavesPerEU: 1
; Occupancy: 10
; WaveLimiterHint : 0
; COMPUTE_PGM_RSRC2:SCRATCH_EN: 0
; COMPUTE_PGM_RSRC2:USER_SGPR: 6
; COMPUTE_PGM_RSRC2:TRAP_HANDLER: 0
; COMPUTE_PGM_RSRC2:TGID_X_EN: 1
; COMPUTE_PGM_RSRC2:TGID_Y_EN: 0
; COMPUTE_PGM_RSRC2:TGID_Z_EN: 0
; COMPUTE_PGM_RSRC2:TIDIG_COMP_CNT: 0
	.section	.text._ZN7rocprim17ROCPRIM_400000_NS6detail17trampoline_kernelINS0_14default_configENS1_29binary_search_config_selectorIfiEEZNS1_14transform_implILb0ES3_S5_N6thrust23THRUST_200600_302600_NS6detail15normal_iteratorINS8_7pointerIfNS8_11hip_rocprim16par_det_nosync_tENS8_11use_defaultESE_EEEENSA_INSB_IiSD_SE_SE_EEEEZNS1_13binary_searchIS3_S5_NSA_INS8_10device_ptrIfEEEESG_SI_NS1_16binary_search_opENS9_16wrapped_functionINS8_6system6detail7generic6detail18binary_search_lessEbEEEE10hipError_tPvRmT1_T2_T3_mmT4_T5_P12ihipStream_tbEUlRKfE_EESV_SZ_S10_mS11_S14_bEUlT_E_NS1_11comp_targetILNS1_3genE8ELNS1_11target_archE1030ELNS1_3gpuE2ELNS1_3repE0EEENS1_30default_config_static_selectorELNS0_4arch9wavefront6targetE1EEEvSY_,"axG",@progbits,_ZN7rocprim17ROCPRIM_400000_NS6detail17trampoline_kernelINS0_14default_configENS1_29binary_search_config_selectorIfiEEZNS1_14transform_implILb0ES3_S5_N6thrust23THRUST_200600_302600_NS6detail15normal_iteratorINS8_7pointerIfNS8_11hip_rocprim16par_det_nosync_tENS8_11use_defaultESE_EEEENSA_INSB_IiSD_SE_SE_EEEEZNS1_13binary_searchIS3_S5_NSA_INS8_10device_ptrIfEEEESG_SI_NS1_16binary_search_opENS9_16wrapped_functionINS8_6system6detail7generic6detail18binary_search_lessEbEEEE10hipError_tPvRmT1_T2_T3_mmT4_T5_P12ihipStream_tbEUlRKfE_EESV_SZ_S10_mS11_S14_bEUlT_E_NS1_11comp_targetILNS1_3genE8ELNS1_11target_archE1030ELNS1_3gpuE2ELNS1_3repE0EEENS1_30default_config_static_selectorELNS0_4arch9wavefront6targetE1EEEvSY_,comdat
	.protected	_ZN7rocprim17ROCPRIM_400000_NS6detail17trampoline_kernelINS0_14default_configENS1_29binary_search_config_selectorIfiEEZNS1_14transform_implILb0ES3_S5_N6thrust23THRUST_200600_302600_NS6detail15normal_iteratorINS8_7pointerIfNS8_11hip_rocprim16par_det_nosync_tENS8_11use_defaultESE_EEEENSA_INSB_IiSD_SE_SE_EEEEZNS1_13binary_searchIS3_S5_NSA_INS8_10device_ptrIfEEEESG_SI_NS1_16binary_search_opENS9_16wrapped_functionINS8_6system6detail7generic6detail18binary_search_lessEbEEEE10hipError_tPvRmT1_T2_T3_mmT4_T5_P12ihipStream_tbEUlRKfE_EESV_SZ_S10_mS11_S14_bEUlT_E_NS1_11comp_targetILNS1_3genE8ELNS1_11target_archE1030ELNS1_3gpuE2ELNS1_3repE0EEENS1_30default_config_static_selectorELNS0_4arch9wavefront6targetE1EEEvSY_ ; -- Begin function _ZN7rocprim17ROCPRIM_400000_NS6detail17trampoline_kernelINS0_14default_configENS1_29binary_search_config_selectorIfiEEZNS1_14transform_implILb0ES3_S5_N6thrust23THRUST_200600_302600_NS6detail15normal_iteratorINS8_7pointerIfNS8_11hip_rocprim16par_det_nosync_tENS8_11use_defaultESE_EEEENSA_INSB_IiSD_SE_SE_EEEEZNS1_13binary_searchIS3_S5_NSA_INS8_10device_ptrIfEEEESG_SI_NS1_16binary_search_opENS9_16wrapped_functionINS8_6system6detail7generic6detail18binary_search_lessEbEEEE10hipError_tPvRmT1_T2_T3_mmT4_T5_P12ihipStream_tbEUlRKfE_EESV_SZ_S10_mS11_S14_bEUlT_E_NS1_11comp_targetILNS1_3genE8ELNS1_11target_archE1030ELNS1_3gpuE2ELNS1_3repE0EEENS1_30default_config_static_selectorELNS0_4arch9wavefront6targetE1EEEvSY_
	.globl	_ZN7rocprim17ROCPRIM_400000_NS6detail17trampoline_kernelINS0_14default_configENS1_29binary_search_config_selectorIfiEEZNS1_14transform_implILb0ES3_S5_N6thrust23THRUST_200600_302600_NS6detail15normal_iteratorINS8_7pointerIfNS8_11hip_rocprim16par_det_nosync_tENS8_11use_defaultESE_EEEENSA_INSB_IiSD_SE_SE_EEEEZNS1_13binary_searchIS3_S5_NSA_INS8_10device_ptrIfEEEESG_SI_NS1_16binary_search_opENS9_16wrapped_functionINS8_6system6detail7generic6detail18binary_search_lessEbEEEE10hipError_tPvRmT1_T2_T3_mmT4_T5_P12ihipStream_tbEUlRKfE_EESV_SZ_S10_mS11_S14_bEUlT_E_NS1_11comp_targetILNS1_3genE8ELNS1_11target_archE1030ELNS1_3gpuE2ELNS1_3repE0EEENS1_30default_config_static_selectorELNS0_4arch9wavefront6targetE1EEEvSY_
	.p2align	8
	.type	_ZN7rocprim17ROCPRIM_400000_NS6detail17trampoline_kernelINS0_14default_configENS1_29binary_search_config_selectorIfiEEZNS1_14transform_implILb0ES3_S5_N6thrust23THRUST_200600_302600_NS6detail15normal_iteratorINS8_7pointerIfNS8_11hip_rocprim16par_det_nosync_tENS8_11use_defaultESE_EEEENSA_INSB_IiSD_SE_SE_EEEEZNS1_13binary_searchIS3_S5_NSA_INS8_10device_ptrIfEEEESG_SI_NS1_16binary_search_opENS9_16wrapped_functionINS8_6system6detail7generic6detail18binary_search_lessEbEEEE10hipError_tPvRmT1_T2_T3_mmT4_T5_P12ihipStream_tbEUlRKfE_EESV_SZ_S10_mS11_S14_bEUlT_E_NS1_11comp_targetILNS1_3genE8ELNS1_11target_archE1030ELNS1_3gpuE2ELNS1_3repE0EEENS1_30default_config_static_selectorELNS0_4arch9wavefront6targetE1EEEvSY_,@function
_ZN7rocprim17ROCPRIM_400000_NS6detail17trampoline_kernelINS0_14default_configENS1_29binary_search_config_selectorIfiEEZNS1_14transform_implILb0ES3_S5_N6thrust23THRUST_200600_302600_NS6detail15normal_iteratorINS8_7pointerIfNS8_11hip_rocprim16par_det_nosync_tENS8_11use_defaultESE_EEEENSA_INSB_IiSD_SE_SE_EEEEZNS1_13binary_searchIS3_S5_NSA_INS8_10device_ptrIfEEEESG_SI_NS1_16binary_search_opENS9_16wrapped_functionINS8_6system6detail7generic6detail18binary_search_lessEbEEEE10hipError_tPvRmT1_T2_T3_mmT4_T5_P12ihipStream_tbEUlRKfE_EESV_SZ_S10_mS11_S14_bEUlT_E_NS1_11comp_targetILNS1_3genE8ELNS1_11target_archE1030ELNS1_3gpuE2ELNS1_3repE0EEENS1_30default_config_static_selectorELNS0_4arch9wavefront6targetE1EEEvSY_: ; @_ZN7rocprim17ROCPRIM_400000_NS6detail17trampoline_kernelINS0_14default_configENS1_29binary_search_config_selectorIfiEEZNS1_14transform_implILb0ES3_S5_N6thrust23THRUST_200600_302600_NS6detail15normal_iteratorINS8_7pointerIfNS8_11hip_rocprim16par_det_nosync_tENS8_11use_defaultESE_EEEENSA_INSB_IiSD_SE_SE_EEEEZNS1_13binary_searchIS3_S5_NSA_INS8_10device_ptrIfEEEESG_SI_NS1_16binary_search_opENS9_16wrapped_functionINS8_6system6detail7generic6detail18binary_search_lessEbEEEE10hipError_tPvRmT1_T2_T3_mmT4_T5_P12ihipStream_tbEUlRKfE_EESV_SZ_S10_mS11_S14_bEUlT_E_NS1_11comp_targetILNS1_3genE8ELNS1_11target_archE1030ELNS1_3gpuE2ELNS1_3repE0EEENS1_30default_config_static_selectorELNS0_4arch9wavefront6targetE1EEEvSY_
; %bb.0:
	.section	.rodata,"a",@progbits
	.p2align	6, 0x0
	.amdhsa_kernel _ZN7rocprim17ROCPRIM_400000_NS6detail17trampoline_kernelINS0_14default_configENS1_29binary_search_config_selectorIfiEEZNS1_14transform_implILb0ES3_S5_N6thrust23THRUST_200600_302600_NS6detail15normal_iteratorINS8_7pointerIfNS8_11hip_rocprim16par_det_nosync_tENS8_11use_defaultESE_EEEENSA_INSB_IiSD_SE_SE_EEEEZNS1_13binary_searchIS3_S5_NSA_INS8_10device_ptrIfEEEESG_SI_NS1_16binary_search_opENS9_16wrapped_functionINS8_6system6detail7generic6detail18binary_search_lessEbEEEE10hipError_tPvRmT1_T2_T3_mmT4_T5_P12ihipStream_tbEUlRKfE_EESV_SZ_S10_mS11_S14_bEUlT_E_NS1_11comp_targetILNS1_3genE8ELNS1_11target_archE1030ELNS1_3gpuE2ELNS1_3repE0EEENS1_30default_config_static_selectorELNS0_4arch9wavefront6targetE1EEEvSY_
		.amdhsa_group_segment_fixed_size 0
		.amdhsa_private_segment_fixed_size 0
		.amdhsa_kernarg_size 56
		.amdhsa_user_sgpr_count 6
		.amdhsa_user_sgpr_private_segment_buffer 1
		.amdhsa_user_sgpr_dispatch_ptr 0
		.amdhsa_user_sgpr_queue_ptr 0
		.amdhsa_user_sgpr_kernarg_segment_ptr 1
		.amdhsa_user_sgpr_dispatch_id 0
		.amdhsa_user_sgpr_flat_scratch_init 0
		.amdhsa_user_sgpr_private_segment_size 0
		.amdhsa_uses_dynamic_stack 0
		.amdhsa_system_sgpr_private_segment_wavefront_offset 0
		.amdhsa_system_sgpr_workgroup_id_x 1
		.amdhsa_system_sgpr_workgroup_id_y 0
		.amdhsa_system_sgpr_workgroup_id_z 0
		.amdhsa_system_sgpr_workgroup_info 0
		.amdhsa_system_vgpr_workitem_id 0
		.amdhsa_next_free_vgpr 1
		.amdhsa_next_free_sgpr 0
		.amdhsa_reserve_vcc 0
		.amdhsa_reserve_flat_scratch 0
		.amdhsa_float_round_mode_32 0
		.amdhsa_float_round_mode_16_64 0
		.amdhsa_float_denorm_mode_32 3
		.amdhsa_float_denorm_mode_16_64 3
		.amdhsa_dx10_clamp 1
		.amdhsa_ieee_mode 1
		.amdhsa_fp16_overflow 0
		.amdhsa_exception_fp_ieee_invalid_op 0
		.amdhsa_exception_fp_denorm_src 0
		.amdhsa_exception_fp_ieee_div_zero 0
		.amdhsa_exception_fp_ieee_overflow 0
		.amdhsa_exception_fp_ieee_underflow 0
		.amdhsa_exception_fp_ieee_inexact 0
		.amdhsa_exception_int_div_zero 0
	.end_amdhsa_kernel
	.section	.text._ZN7rocprim17ROCPRIM_400000_NS6detail17trampoline_kernelINS0_14default_configENS1_29binary_search_config_selectorIfiEEZNS1_14transform_implILb0ES3_S5_N6thrust23THRUST_200600_302600_NS6detail15normal_iteratorINS8_7pointerIfNS8_11hip_rocprim16par_det_nosync_tENS8_11use_defaultESE_EEEENSA_INSB_IiSD_SE_SE_EEEEZNS1_13binary_searchIS3_S5_NSA_INS8_10device_ptrIfEEEESG_SI_NS1_16binary_search_opENS9_16wrapped_functionINS8_6system6detail7generic6detail18binary_search_lessEbEEEE10hipError_tPvRmT1_T2_T3_mmT4_T5_P12ihipStream_tbEUlRKfE_EESV_SZ_S10_mS11_S14_bEUlT_E_NS1_11comp_targetILNS1_3genE8ELNS1_11target_archE1030ELNS1_3gpuE2ELNS1_3repE0EEENS1_30default_config_static_selectorELNS0_4arch9wavefront6targetE1EEEvSY_,"axG",@progbits,_ZN7rocprim17ROCPRIM_400000_NS6detail17trampoline_kernelINS0_14default_configENS1_29binary_search_config_selectorIfiEEZNS1_14transform_implILb0ES3_S5_N6thrust23THRUST_200600_302600_NS6detail15normal_iteratorINS8_7pointerIfNS8_11hip_rocprim16par_det_nosync_tENS8_11use_defaultESE_EEEENSA_INSB_IiSD_SE_SE_EEEEZNS1_13binary_searchIS3_S5_NSA_INS8_10device_ptrIfEEEESG_SI_NS1_16binary_search_opENS9_16wrapped_functionINS8_6system6detail7generic6detail18binary_search_lessEbEEEE10hipError_tPvRmT1_T2_T3_mmT4_T5_P12ihipStream_tbEUlRKfE_EESV_SZ_S10_mS11_S14_bEUlT_E_NS1_11comp_targetILNS1_3genE8ELNS1_11target_archE1030ELNS1_3gpuE2ELNS1_3repE0EEENS1_30default_config_static_selectorELNS0_4arch9wavefront6targetE1EEEvSY_,comdat
.Lfunc_end643:
	.size	_ZN7rocprim17ROCPRIM_400000_NS6detail17trampoline_kernelINS0_14default_configENS1_29binary_search_config_selectorIfiEEZNS1_14transform_implILb0ES3_S5_N6thrust23THRUST_200600_302600_NS6detail15normal_iteratorINS8_7pointerIfNS8_11hip_rocprim16par_det_nosync_tENS8_11use_defaultESE_EEEENSA_INSB_IiSD_SE_SE_EEEEZNS1_13binary_searchIS3_S5_NSA_INS8_10device_ptrIfEEEESG_SI_NS1_16binary_search_opENS9_16wrapped_functionINS8_6system6detail7generic6detail18binary_search_lessEbEEEE10hipError_tPvRmT1_T2_T3_mmT4_T5_P12ihipStream_tbEUlRKfE_EESV_SZ_S10_mS11_S14_bEUlT_E_NS1_11comp_targetILNS1_3genE8ELNS1_11target_archE1030ELNS1_3gpuE2ELNS1_3repE0EEENS1_30default_config_static_selectorELNS0_4arch9wavefront6targetE1EEEvSY_, .Lfunc_end643-_ZN7rocprim17ROCPRIM_400000_NS6detail17trampoline_kernelINS0_14default_configENS1_29binary_search_config_selectorIfiEEZNS1_14transform_implILb0ES3_S5_N6thrust23THRUST_200600_302600_NS6detail15normal_iteratorINS8_7pointerIfNS8_11hip_rocprim16par_det_nosync_tENS8_11use_defaultESE_EEEENSA_INSB_IiSD_SE_SE_EEEEZNS1_13binary_searchIS3_S5_NSA_INS8_10device_ptrIfEEEESG_SI_NS1_16binary_search_opENS9_16wrapped_functionINS8_6system6detail7generic6detail18binary_search_lessEbEEEE10hipError_tPvRmT1_T2_T3_mmT4_T5_P12ihipStream_tbEUlRKfE_EESV_SZ_S10_mS11_S14_bEUlT_E_NS1_11comp_targetILNS1_3genE8ELNS1_11target_archE1030ELNS1_3gpuE2ELNS1_3repE0EEENS1_30default_config_static_selectorELNS0_4arch9wavefront6targetE1EEEvSY_
                                        ; -- End function
	.set _ZN7rocprim17ROCPRIM_400000_NS6detail17trampoline_kernelINS0_14default_configENS1_29binary_search_config_selectorIfiEEZNS1_14transform_implILb0ES3_S5_N6thrust23THRUST_200600_302600_NS6detail15normal_iteratorINS8_7pointerIfNS8_11hip_rocprim16par_det_nosync_tENS8_11use_defaultESE_EEEENSA_INSB_IiSD_SE_SE_EEEEZNS1_13binary_searchIS3_S5_NSA_INS8_10device_ptrIfEEEESG_SI_NS1_16binary_search_opENS9_16wrapped_functionINS8_6system6detail7generic6detail18binary_search_lessEbEEEE10hipError_tPvRmT1_T2_T3_mmT4_T5_P12ihipStream_tbEUlRKfE_EESV_SZ_S10_mS11_S14_bEUlT_E_NS1_11comp_targetILNS1_3genE8ELNS1_11target_archE1030ELNS1_3gpuE2ELNS1_3repE0EEENS1_30default_config_static_selectorELNS0_4arch9wavefront6targetE1EEEvSY_.num_vgpr, 0
	.set _ZN7rocprim17ROCPRIM_400000_NS6detail17trampoline_kernelINS0_14default_configENS1_29binary_search_config_selectorIfiEEZNS1_14transform_implILb0ES3_S5_N6thrust23THRUST_200600_302600_NS6detail15normal_iteratorINS8_7pointerIfNS8_11hip_rocprim16par_det_nosync_tENS8_11use_defaultESE_EEEENSA_INSB_IiSD_SE_SE_EEEEZNS1_13binary_searchIS3_S5_NSA_INS8_10device_ptrIfEEEESG_SI_NS1_16binary_search_opENS9_16wrapped_functionINS8_6system6detail7generic6detail18binary_search_lessEbEEEE10hipError_tPvRmT1_T2_T3_mmT4_T5_P12ihipStream_tbEUlRKfE_EESV_SZ_S10_mS11_S14_bEUlT_E_NS1_11comp_targetILNS1_3genE8ELNS1_11target_archE1030ELNS1_3gpuE2ELNS1_3repE0EEENS1_30default_config_static_selectorELNS0_4arch9wavefront6targetE1EEEvSY_.num_agpr, 0
	.set _ZN7rocprim17ROCPRIM_400000_NS6detail17trampoline_kernelINS0_14default_configENS1_29binary_search_config_selectorIfiEEZNS1_14transform_implILb0ES3_S5_N6thrust23THRUST_200600_302600_NS6detail15normal_iteratorINS8_7pointerIfNS8_11hip_rocprim16par_det_nosync_tENS8_11use_defaultESE_EEEENSA_INSB_IiSD_SE_SE_EEEEZNS1_13binary_searchIS3_S5_NSA_INS8_10device_ptrIfEEEESG_SI_NS1_16binary_search_opENS9_16wrapped_functionINS8_6system6detail7generic6detail18binary_search_lessEbEEEE10hipError_tPvRmT1_T2_T3_mmT4_T5_P12ihipStream_tbEUlRKfE_EESV_SZ_S10_mS11_S14_bEUlT_E_NS1_11comp_targetILNS1_3genE8ELNS1_11target_archE1030ELNS1_3gpuE2ELNS1_3repE0EEENS1_30default_config_static_selectorELNS0_4arch9wavefront6targetE1EEEvSY_.numbered_sgpr, 0
	.set _ZN7rocprim17ROCPRIM_400000_NS6detail17trampoline_kernelINS0_14default_configENS1_29binary_search_config_selectorIfiEEZNS1_14transform_implILb0ES3_S5_N6thrust23THRUST_200600_302600_NS6detail15normal_iteratorINS8_7pointerIfNS8_11hip_rocprim16par_det_nosync_tENS8_11use_defaultESE_EEEENSA_INSB_IiSD_SE_SE_EEEEZNS1_13binary_searchIS3_S5_NSA_INS8_10device_ptrIfEEEESG_SI_NS1_16binary_search_opENS9_16wrapped_functionINS8_6system6detail7generic6detail18binary_search_lessEbEEEE10hipError_tPvRmT1_T2_T3_mmT4_T5_P12ihipStream_tbEUlRKfE_EESV_SZ_S10_mS11_S14_bEUlT_E_NS1_11comp_targetILNS1_3genE8ELNS1_11target_archE1030ELNS1_3gpuE2ELNS1_3repE0EEENS1_30default_config_static_selectorELNS0_4arch9wavefront6targetE1EEEvSY_.num_named_barrier, 0
	.set _ZN7rocprim17ROCPRIM_400000_NS6detail17trampoline_kernelINS0_14default_configENS1_29binary_search_config_selectorIfiEEZNS1_14transform_implILb0ES3_S5_N6thrust23THRUST_200600_302600_NS6detail15normal_iteratorINS8_7pointerIfNS8_11hip_rocprim16par_det_nosync_tENS8_11use_defaultESE_EEEENSA_INSB_IiSD_SE_SE_EEEEZNS1_13binary_searchIS3_S5_NSA_INS8_10device_ptrIfEEEESG_SI_NS1_16binary_search_opENS9_16wrapped_functionINS8_6system6detail7generic6detail18binary_search_lessEbEEEE10hipError_tPvRmT1_T2_T3_mmT4_T5_P12ihipStream_tbEUlRKfE_EESV_SZ_S10_mS11_S14_bEUlT_E_NS1_11comp_targetILNS1_3genE8ELNS1_11target_archE1030ELNS1_3gpuE2ELNS1_3repE0EEENS1_30default_config_static_selectorELNS0_4arch9wavefront6targetE1EEEvSY_.private_seg_size, 0
	.set _ZN7rocprim17ROCPRIM_400000_NS6detail17trampoline_kernelINS0_14default_configENS1_29binary_search_config_selectorIfiEEZNS1_14transform_implILb0ES3_S5_N6thrust23THRUST_200600_302600_NS6detail15normal_iteratorINS8_7pointerIfNS8_11hip_rocprim16par_det_nosync_tENS8_11use_defaultESE_EEEENSA_INSB_IiSD_SE_SE_EEEEZNS1_13binary_searchIS3_S5_NSA_INS8_10device_ptrIfEEEESG_SI_NS1_16binary_search_opENS9_16wrapped_functionINS8_6system6detail7generic6detail18binary_search_lessEbEEEE10hipError_tPvRmT1_T2_T3_mmT4_T5_P12ihipStream_tbEUlRKfE_EESV_SZ_S10_mS11_S14_bEUlT_E_NS1_11comp_targetILNS1_3genE8ELNS1_11target_archE1030ELNS1_3gpuE2ELNS1_3repE0EEENS1_30default_config_static_selectorELNS0_4arch9wavefront6targetE1EEEvSY_.uses_vcc, 0
	.set _ZN7rocprim17ROCPRIM_400000_NS6detail17trampoline_kernelINS0_14default_configENS1_29binary_search_config_selectorIfiEEZNS1_14transform_implILb0ES3_S5_N6thrust23THRUST_200600_302600_NS6detail15normal_iteratorINS8_7pointerIfNS8_11hip_rocprim16par_det_nosync_tENS8_11use_defaultESE_EEEENSA_INSB_IiSD_SE_SE_EEEEZNS1_13binary_searchIS3_S5_NSA_INS8_10device_ptrIfEEEESG_SI_NS1_16binary_search_opENS9_16wrapped_functionINS8_6system6detail7generic6detail18binary_search_lessEbEEEE10hipError_tPvRmT1_T2_T3_mmT4_T5_P12ihipStream_tbEUlRKfE_EESV_SZ_S10_mS11_S14_bEUlT_E_NS1_11comp_targetILNS1_3genE8ELNS1_11target_archE1030ELNS1_3gpuE2ELNS1_3repE0EEENS1_30default_config_static_selectorELNS0_4arch9wavefront6targetE1EEEvSY_.uses_flat_scratch, 0
	.set _ZN7rocprim17ROCPRIM_400000_NS6detail17trampoline_kernelINS0_14default_configENS1_29binary_search_config_selectorIfiEEZNS1_14transform_implILb0ES3_S5_N6thrust23THRUST_200600_302600_NS6detail15normal_iteratorINS8_7pointerIfNS8_11hip_rocprim16par_det_nosync_tENS8_11use_defaultESE_EEEENSA_INSB_IiSD_SE_SE_EEEEZNS1_13binary_searchIS3_S5_NSA_INS8_10device_ptrIfEEEESG_SI_NS1_16binary_search_opENS9_16wrapped_functionINS8_6system6detail7generic6detail18binary_search_lessEbEEEE10hipError_tPvRmT1_T2_T3_mmT4_T5_P12ihipStream_tbEUlRKfE_EESV_SZ_S10_mS11_S14_bEUlT_E_NS1_11comp_targetILNS1_3genE8ELNS1_11target_archE1030ELNS1_3gpuE2ELNS1_3repE0EEENS1_30default_config_static_selectorELNS0_4arch9wavefront6targetE1EEEvSY_.has_dyn_sized_stack, 0
	.set _ZN7rocprim17ROCPRIM_400000_NS6detail17trampoline_kernelINS0_14default_configENS1_29binary_search_config_selectorIfiEEZNS1_14transform_implILb0ES3_S5_N6thrust23THRUST_200600_302600_NS6detail15normal_iteratorINS8_7pointerIfNS8_11hip_rocprim16par_det_nosync_tENS8_11use_defaultESE_EEEENSA_INSB_IiSD_SE_SE_EEEEZNS1_13binary_searchIS3_S5_NSA_INS8_10device_ptrIfEEEESG_SI_NS1_16binary_search_opENS9_16wrapped_functionINS8_6system6detail7generic6detail18binary_search_lessEbEEEE10hipError_tPvRmT1_T2_T3_mmT4_T5_P12ihipStream_tbEUlRKfE_EESV_SZ_S10_mS11_S14_bEUlT_E_NS1_11comp_targetILNS1_3genE8ELNS1_11target_archE1030ELNS1_3gpuE2ELNS1_3repE0EEENS1_30default_config_static_selectorELNS0_4arch9wavefront6targetE1EEEvSY_.has_recursion, 0
	.set _ZN7rocprim17ROCPRIM_400000_NS6detail17trampoline_kernelINS0_14default_configENS1_29binary_search_config_selectorIfiEEZNS1_14transform_implILb0ES3_S5_N6thrust23THRUST_200600_302600_NS6detail15normal_iteratorINS8_7pointerIfNS8_11hip_rocprim16par_det_nosync_tENS8_11use_defaultESE_EEEENSA_INSB_IiSD_SE_SE_EEEEZNS1_13binary_searchIS3_S5_NSA_INS8_10device_ptrIfEEEESG_SI_NS1_16binary_search_opENS9_16wrapped_functionINS8_6system6detail7generic6detail18binary_search_lessEbEEEE10hipError_tPvRmT1_T2_T3_mmT4_T5_P12ihipStream_tbEUlRKfE_EESV_SZ_S10_mS11_S14_bEUlT_E_NS1_11comp_targetILNS1_3genE8ELNS1_11target_archE1030ELNS1_3gpuE2ELNS1_3repE0EEENS1_30default_config_static_selectorELNS0_4arch9wavefront6targetE1EEEvSY_.has_indirect_call, 0
	.section	.AMDGPU.csdata,"",@progbits
; Kernel info:
; codeLenInByte = 0
; TotalNumSgprs: 4
; NumVgprs: 0
; ScratchSize: 0
; MemoryBound: 0
; FloatMode: 240
; IeeeMode: 1
; LDSByteSize: 0 bytes/workgroup (compile time only)
; SGPRBlocks: 0
; VGPRBlocks: 0
; NumSGPRsForWavesPerEU: 4
; NumVGPRsForWavesPerEU: 1
; Occupancy: 10
; WaveLimiterHint : 0
; COMPUTE_PGM_RSRC2:SCRATCH_EN: 0
; COMPUTE_PGM_RSRC2:USER_SGPR: 6
; COMPUTE_PGM_RSRC2:TRAP_HANDLER: 0
; COMPUTE_PGM_RSRC2:TGID_X_EN: 1
; COMPUTE_PGM_RSRC2:TGID_Y_EN: 0
; COMPUTE_PGM_RSRC2:TGID_Z_EN: 0
; COMPUTE_PGM_RSRC2:TIDIG_COMP_CNT: 0
	.section	.text._ZN7rocprim17ROCPRIM_400000_NS6detail17trampoline_kernelINS0_14default_configENS1_29binary_search_config_selectorIfiEEZNS1_14transform_implILb0ES3_S5_N6thrust23THRUST_200600_302600_NS6detail15normal_iteratorINS8_7pointerIfNS8_11hip_rocprim9par_det_tENS8_11use_defaultESE_EEEENSA_INSB_IiSD_SE_SE_EEEEZNS1_13binary_searchIS3_S5_NSA_INS8_10device_ptrIfEEEESG_SI_NS1_16binary_search_opENS9_16wrapped_functionINS8_6system6detail7generic6detail18binary_search_lessEbEEEE10hipError_tPvRmT1_T2_T3_mmT4_T5_P12ihipStream_tbEUlRKfE_EESV_SZ_S10_mS11_S14_bEUlT_E_NS1_11comp_targetILNS1_3genE0ELNS1_11target_archE4294967295ELNS1_3gpuE0ELNS1_3repE0EEENS1_30default_config_static_selectorELNS0_4arch9wavefront6targetE1EEEvSY_,"axG",@progbits,_ZN7rocprim17ROCPRIM_400000_NS6detail17trampoline_kernelINS0_14default_configENS1_29binary_search_config_selectorIfiEEZNS1_14transform_implILb0ES3_S5_N6thrust23THRUST_200600_302600_NS6detail15normal_iteratorINS8_7pointerIfNS8_11hip_rocprim9par_det_tENS8_11use_defaultESE_EEEENSA_INSB_IiSD_SE_SE_EEEEZNS1_13binary_searchIS3_S5_NSA_INS8_10device_ptrIfEEEESG_SI_NS1_16binary_search_opENS9_16wrapped_functionINS8_6system6detail7generic6detail18binary_search_lessEbEEEE10hipError_tPvRmT1_T2_T3_mmT4_T5_P12ihipStream_tbEUlRKfE_EESV_SZ_S10_mS11_S14_bEUlT_E_NS1_11comp_targetILNS1_3genE0ELNS1_11target_archE4294967295ELNS1_3gpuE0ELNS1_3repE0EEENS1_30default_config_static_selectorELNS0_4arch9wavefront6targetE1EEEvSY_,comdat
	.protected	_ZN7rocprim17ROCPRIM_400000_NS6detail17trampoline_kernelINS0_14default_configENS1_29binary_search_config_selectorIfiEEZNS1_14transform_implILb0ES3_S5_N6thrust23THRUST_200600_302600_NS6detail15normal_iteratorINS8_7pointerIfNS8_11hip_rocprim9par_det_tENS8_11use_defaultESE_EEEENSA_INSB_IiSD_SE_SE_EEEEZNS1_13binary_searchIS3_S5_NSA_INS8_10device_ptrIfEEEESG_SI_NS1_16binary_search_opENS9_16wrapped_functionINS8_6system6detail7generic6detail18binary_search_lessEbEEEE10hipError_tPvRmT1_T2_T3_mmT4_T5_P12ihipStream_tbEUlRKfE_EESV_SZ_S10_mS11_S14_bEUlT_E_NS1_11comp_targetILNS1_3genE0ELNS1_11target_archE4294967295ELNS1_3gpuE0ELNS1_3repE0EEENS1_30default_config_static_selectorELNS0_4arch9wavefront6targetE1EEEvSY_ ; -- Begin function _ZN7rocprim17ROCPRIM_400000_NS6detail17trampoline_kernelINS0_14default_configENS1_29binary_search_config_selectorIfiEEZNS1_14transform_implILb0ES3_S5_N6thrust23THRUST_200600_302600_NS6detail15normal_iteratorINS8_7pointerIfNS8_11hip_rocprim9par_det_tENS8_11use_defaultESE_EEEENSA_INSB_IiSD_SE_SE_EEEEZNS1_13binary_searchIS3_S5_NSA_INS8_10device_ptrIfEEEESG_SI_NS1_16binary_search_opENS9_16wrapped_functionINS8_6system6detail7generic6detail18binary_search_lessEbEEEE10hipError_tPvRmT1_T2_T3_mmT4_T5_P12ihipStream_tbEUlRKfE_EESV_SZ_S10_mS11_S14_bEUlT_E_NS1_11comp_targetILNS1_3genE0ELNS1_11target_archE4294967295ELNS1_3gpuE0ELNS1_3repE0EEENS1_30default_config_static_selectorELNS0_4arch9wavefront6targetE1EEEvSY_
	.globl	_ZN7rocprim17ROCPRIM_400000_NS6detail17trampoline_kernelINS0_14default_configENS1_29binary_search_config_selectorIfiEEZNS1_14transform_implILb0ES3_S5_N6thrust23THRUST_200600_302600_NS6detail15normal_iteratorINS8_7pointerIfNS8_11hip_rocprim9par_det_tENS8_11use_defaultESE_EEEENSA_INSB_IiSD_SE_SE_EEEEZNS1_13binary_searchIS3_S5_NSA_INS8_10device_ptrIfEEEESG_SI_NS1_16binary_search_opENS9_16wrapped_functionINS8_6system6detail7generic6detail18binary_search_lessEbEEEE10hipError_tPvRmT1_T2_T3_mmT4_T5_P12ihipStream_tbEUlRKfE_EESV_SZ_S10_mS11_S14_bEUlT_E_NS1_11comp_targetILNS1_3genE0ELNS1_11target_archE4294967295ELNS1_3gpuE0ELNS1_3repE0EEENS1_30default_config_static_selectorELNS0_4arch9wavefront6targetE1EEEvSY_
	.p2align	8
	.type	_ZN7rocprim17ROCPRIM_400000_NS6detail17trampoline_kernelINS0_14default_configENS1_29binary_search_config_selectorIfiEEZNS1_14transform_implILb0ES3_S5_N6thrust23THRUST_200600_302600_NS6detail15normal_iteratorINS8_7pointerIfNS8_11hip_rocprim9par_det_tENS8_11use_defaultESE_EEEENSA_INSB_IiSD_SE_SE_EEEEZNS1_13binary_searchIS3_S5_NSA_INS8_10device_ptrIfEEEESG_SI_NS1_16binary_search_opENS9_16wrapped_functionINS8_6system6detail7generic6detail18binary_search_lessEbEEEE10hipError_tPvRmT1_T2_T3_mmT4_T5_P12ihipStream_tbEUlRKfE_EESV_SZ_S10_mS11_S14_bEUlT_E_NS1_11comp_targetILNS1_3genE0ELNS1_11target_archE4294967295ELNS1_3gpuE0ELNS1_3repE0EEENS1_30default_config_static_selectorELNS0_4arch9wavefront6targetE1EEEvSY_,@function
_ZN7rocprim17ROCPRIM_400000_NS6detail17trampoline_kernelINS0_14default_configENS1_29binary_search_config_selectorIfiEEZNS1_14transform_implILb0ES3_S5_N6thrust23THRUST_200600_302600_NS6detail15normal_iteratorINS8_7pointerIfNS8_11hip_rocprim9par_det_tENS8_11use_defaultESE_EEEENSA_INSB_IiSD_SE_SE_EEEEZNS1_13binary_searchIS3_S5_NSA_INS8_10device_ptrIfEEEESG_SI_NS1_16binary_search_opENS9_16wrapped_functionINS8_6system6detail7generic6detail18binary_search_lessEbEEEE10hipError_tPvRmT1_T2_T3_mmT4_T5_P12ihipStream_tbEUlRKfE_EESV_SZ_S10_mS11_S14_bEUlT_E_NS1_11comp_targetILNS1_3genE0ELNS1_11target_archE4294967295ELNS1_3gpuE0ELNS1_3repE0EEENS1_30default_config_static_selectorELNS0_4arch9wavefront6targetE1EEEvSY_: ; @_ZN7rocprim17ROCPRIM_400000_NS6detail17trampoline_kernelINS0_14default_configENS1_29binary_search_config_selectorIfiEEZNS1_14transform_implILb0ES3_S5_N6thrust23THRUST_200600_302600_NS6detail15normal_iteratorINS8_7pointerIfNS8_11hip_rocprim9par_det_tENS8_11use_defaultESE_EEEENSA_INSB_IiSD_SE_SE_EEEEZNS1_13binary_searchIS3_S5_NSA_INS8_10device_ptrIfEEEESG_SI_NS1_16binary_search_opENS9_16wrapped_functionINS8_6system6detail7generic6detail18binary_search_lessEbEEEE10hipError_tPvRmT1_T2_T3_mmT4_T5_P12ihipStream_tbEUlRKfE_EESV_SZ_S10_mS11_S14_bEUlT_E_NS1_11comp_targetILNS1_3genE0ELNS1_11target_archE4294967295ELNS1_3gpuE0ELNS1_3repE0EEENS1_30default_config_static_selectorELNS0_4arch9wavefront6targetE1EEEvSY_
; %bb.0:
	.section	.rodata,"a",@progbits
	.p2align	6, 0x0
	.amdhsa_kernel _ZN7rocprim17ROCPRIM_400000_NS6detail17trampoline_kernelINS0_14default_configENS1_29binary_search_config_selectorIfiEEZNS1_14transform_implILb0ES3_S5_N6thrust23THRUST_200600_302600_NS6detail15normal_iteratorINS8_7pointerIfNS8_11hip_rocprim9par_det_tENS8_11use_defaultESE_EEEENSA_INSB_IiSD_SE_SE_EEEEZNS1_13binary_searchIS3_S5_NSA_INS8_10device_ptrIfEEEESG_SI_NS1_16binary_search_opENS9_16wrapped_functionINS8_6system6detail7generic6detail18binary_search_lessEbEEEE10hipError_tPvRmT1_T2_T3_mmT4_T5_P12ihipStream_tbEUlRKfE_EESV_SZ_S10_mS11_S14_bEUlT_E_NS1_11comp_targetILNS1_3genE0ELNS1_11target_archE4294967295ELNS1_3gpuE0ELNS1_3repE0EEENS1_30default_config_static_selectorELNS0_4arch9wavefront6targetE1EEEvSY_
		.amdhsa_group_segment_fixed_size 0
		.amdhsa_private_segment_fixed_size 0
		.amdhsa_kernarg_size 56
		.amdhsa_user_sgpr_count 6
		.amdhsa_user_sgpr_private_segment_buffer 1
		.amdhsa_user_sgpr_dispatch_ptr 0
		.amdhsa_user_sgpr_queue_ptr 0
		.amdhsa_user_sgpr_kernarg_segment_ptr 1
		.amdhsa_user_sgpr_dispatch_id 0
		.amdhsa_user_sgpr_flat_scratch_init 0
		.amdhsa_user_sgpr_private_segment_size 0
		.amdhsa_uses_dynamic_stack 0
		.amdhsa_system_sgpr_private_segment_wavefront_offset 0
		.amdhsa_system_sgpr_workgroup_id_x 1
		.amdhsa_system_sgpr_workgroup_id_y 0
		.amdhsa_system_sgpr_workgroup_id_z 0
		.amdhsa_system_sgpr_workgroup_info 0
		.amdhsa_system_vgpr_workitem_id 0
		.amdhsa_next_free_vgpr 1
		.amdhsa_next_free_sgpr 0
		.amdhsa_reserve_vcc 0
		.amdhsa_reserve_flat_scratch 0
		.amdhsa_float_round_mode_32 0
		.amdhsa_float_round_mode_16_64 0
		.amdhsa_float_denorm_mode_32 3
		.amdhsa_float_denorm_mode_16_64 3
		.amdhsa_dx10_clamp 1
		.amdhsa_ieee_mode 1
		.amdhsa_fp16_overflow 0
		.amdhsa_exception_fp_ieee_invalid_op 0
		.amdhsa_exception_fp_denorm_src 0
		.amdhsa_exception_fp_ieee_div_zero 0
		.amdhsa_exception_fp_ieee_overflow 0
		.amdhsa_exception_fp_ieee_underflow 0
		.amdhsa_exception_fp_ieee_inexact 0
		.amdhsa_exception_int_div_zero 0
	.end_amdhsa_kernel
	.section	.text._ZN7rocprim17ROCPRIM_400000_NS6detail17trampoline_kernelINS0_14default_configENS1_29binary_search_config_selectorIfiEEZNS1_14transform_implILb0ES3_S5_N6thrust23THRUST_200600_302600_NS6detail15normal_iteratorINS8_7pointerIfNS8_11hip_rocprim9par_det_tENS8_11use_defaultESE_EEEENSA_INSB_IiSD_SE_SE_EEEEZNS1_13binary_searchIS3_S5_NSA_INS8_10device_ptrIfEEEESG_SI_NS1_16binary_search_opENS9_16wrapped_functionINS8_6system6detail7generic6detail18binary_search_lessEbEEEE10hipError_tPvRmT1_T2_T3_mmT4_T5_P12ihipStream_tbEUlRKfE_EESV_SZ_S10_mS11_S14_bEUlT_E_NS1_11comp_targetILNS1_3genE0ELNS1_11target_archE4294967295ELNS1_3gpuE0ELNS1_3repE0EEENS1_30default_config_static_selectorELNS0_4arch9wavefront6targetE1EEEvSY_,"axG",@progbits,_ZN7rocprim17ROCPRIM_400000_NS6detail17trampoline_kernelINS0_14default_configENS1_29binary_search_config_selectorIfiEEZNS1_14transform_implILb0ES3_S5_N6thrust23THRUST_200600_302600_NS6detail15normal_iteratorINS8_7pointerIfNS8_11hip_rocprim9par_det_tENS8_11use_defaultESE_EEEENSA_INSB_IiSD_SE_SE_EEEEZNS1_13binary_searchIS3_S5_NSA_INS8_10device_ptrIfEEEESG_SI_NS1_16binary_search_opENS9_16wrapped_functionINS8_6system6detail7generic6detail18binary_search_lessEbEEEE10hipError_tPvRmT1_T2_T3_mmT4_T5_P12ihipStream_tbEUlRKfE_EESV_SZ_S10_mS11_S14_bEUlT_E_NS1_11comp_targetILNS1_3genE0ELNS1_11target_archE4294967295ELNS1_3gpuE0ELNS1_3repE0EEENS1_30default_config_static_selectorELNS0_4arch9wavefront6targetE1EEEvSY_,comdat
.Lfunc_end644:
	.size	_ZN7rocprim17ROCPRIM_400000_NS6detail17trampoline_kernelINS0_14default_configENS1_29binary_search_config_selectorIfiEEZNS1_14transform_implILb0ES3_S5_N6thrust23THRUST_200600_302600_NS6detail15normal_iteratorINS8_7pointerIfNS8_11hip_rocprim9par_det_tENS8_11use_defaultESE_EEEENSA_INSB_IiSD_SE_SE_EEEEZNS1_13binary_searchIS3_S5_NSA_INS8_10device_ptrIfEEEESG_SI_NS1_16binary_search_opENS9_16wrapped_functionINS8_6system6detail7generic6detail18binary_search_lessEbEEEE10hipError_tPvRmT1_T2_T3_mmT4_T5_P12ihipStream_tbEUlRKfE_EESV_SZ_S10_mS11_S14_bEUlT_E_NS1_11comp_targetILNS1_3genE0ELNS1_11target_archE4294967295ELNS1_3gpuE0ELNS1_3repE0EEENS1_30default_config_static_selectorELNS0_4arch9wavefront6targetE1EEEvSY_, .Lfunc_end644-_ZN7rocprim17ROCPRIM_400000_NS6detail17trampoline_kernelINS0_14default_configENS1_29binary_search_config_selectorIfiEEZNS1_14transform_implILb0ES3_S5_N6thrust23THRUST_200600_302600_NS6detail15normal_iteratorINS8_7pointerIfNS8_11hip_rocprim9par_det_tENS8_11use_defaultESE_EEEENSA_INSB_IiSD_SE_SE_EEEEZNS1_13binary_searchIS3_S5_NSA_INS8_10device_ptrIfEEEESG_SI_NS1_16binary_search_opENS9_16wrapped_functionINS8_6system6detail7generic6detail18binary_search_lessEbEEEE10hipError_tPvRmT1_T2_T3_mmT4_T5_P12ihipStream_tbEUlRKfE_EESV_SZ_S10_mS11_S14_bEUlT_E_NS1_11comp_targetILNS1_3genE0ELNS1_11target_archE4294967295ELNS1_3gpuE0ELNS1_3repE0EEENS1_30default_config_static_selectorELNS0_4arch9wavefront6targetE1EEEvSY_
                                        ; -- End function
	.set _ZN7rocprim17ROCPRIM_400000_NS6detail17trampoline_kernelINS0_14default_configENS1_29binary_search_config_selectorIfiEEZNS1_14transform_implILb0ES3_S5_N6thrust23THRUST_200600_302600_NS6detail15normal_iteratorINS8_7pointerIfNS8_11hip_rocprim9par_det_tENS8_11use_defaultESE_EEEENSA_INSB_IiSD_SE_SE_EEEEZNS1_13binary_searchIS3_S5_NSA_INS8_10device_ptrIfEEEESG_SI_NS1_16binary_search_opENS9_16wrapped_functionINS8_6system6detail7generic6detail18binary_search_lessEbEEEE10hipError_tPvRmT1_T2_T3_mmT4_T5_P12ihipStream_tbEUlRKfE_EESV_SZ_S10_mS11_S14_bEUlT_E_NS1_11comp_targetILNS1_3genE0ELNS1_11target_archE4294967295ELNS1_3gpuE0ELNS1_3repE0EEENS1_30default_config_static_selectorELNS0_4arch9wavefront6targetE1EEEvSY_.num_vgpr, 0
	.set _ZN7rocprim17ROCPRIM_400000_NS6detail17trampoline_kernelINS0_14default_configENS1_29binary_search_config_selectorIfiEEZNS1_14transform_implILb0ES3_S5_N6thrust23THRUST_200600_302600_NS6detail15normal_iteratorINS8_7pointerIfNS8_11hip_rocprim9par_det_tENS8_11use_defaultESE_EEEENSA_INSB_IiSD_SE_SE_EEEEZNS1_13binary_searchIS3_S5_NSA_INS8_10device_ptrIfEEEESG_SI_NS1_16binary_search_opENS9_16wrapped_functionINS8_6system6detail7generic6detail18binary_search_lessEbEEEE10hipError_tPvRmT1_T2_T3_mmT4_T5_P12ihipStream_tbEUlRKfE_EESV_SZ_S10_mS11_S14_bEUlT_E_NS1_11comp_targetILNS1_3genE0ELNS1_11target_archE4294967295ELNS1_3gpuE0ELNS1_3repE0EEENS1_30default_config_static_selectorELNS0_4arch9wavefront6targetE1EEEvSY_.num_agpr, 0
	.set _ZN7rocprim17ROCPRIM_400000_NS6detail17trampoline_kernelINS0_14default_configENS1_29binary_search_config_selectorIfiEEZNS1_14transform_implILb0ES3_S5_N6thrust23THRUST_200600_302600_NS6detail15normal_iteratorINS8_7pointerIfNS8_11hip_rocprim9par_det_tENS8_11use_defaultESE_EEEENSA_INSB_IiSD_SE_SE_EEEEZNS1_13binary_searchIS3_S5_NSA_INS8_10device_ptrIfEEEESG_SI_NS1_16binary_search_opENS9_16wrapped_functionINS8_6system6detail7generic6detail18binary_search_lessEbEEEE10hipError_tPvRmT1_T2_T3_mmT4_T5_P12ihipStream_tbEUlRKfE_EESV_SZ_S10_mS11_S14_bEUlT_E_NS1_11comp_targetILNS1_3genE0ELNS1_11target_archE4294967295ELNS1_3gpuE0ELNS1_3repE0EEENS1_30default_config_static_selectorELNS0_4arch9wavefront6targetE1EEEvSY_.numbered_sgpr, 0
	.set _ZN7rocprim17ROCPRIM_400000_NS6detail17trampoline_kernelINS0_14default_configENS1_29binary_search_config_selectorIfiEEZNS1_14transform_implILb0ES3_S5_N6thrust23THRUST_200600_302600_NS6detail15normal_iteratorINS8_7pointerIfNS8_11hip_rocprim9par_det_tENS8_11use_defaultESE_EEEENSA_INSB_IiSD_SE_SE_EEEEZNS1_13binary_searchIS3_S5_NSA_INS8_10device_ptrIfEEEESG_SI_NS1_16binary_search_opENS9_16wrapped_functionINS8_6system6detail7generic6detail18binary_search_lessEbEEEE10hipError_tPvRmT1_T2_T3_mmT4_T5_P12ihipStream_tbEUlRKfE_EESV_SZ_S10_mS11_S14_bEUlT_E_NS1_11comp_targetILNS1_3genE0ELNS1_11target_archE4294967295ELNS1_3gpuE0ELNS1_3repE0EEENS1_30default_config_static_selectorELNS0_4arch9wavefront6targetE1EEEvSY_.num_named_barrier, 0
	.set _ZN7rocprim17ROCPRIM_400000_NS6detail17trampoline_kernelINS0_14default_configENS1_29binary_search_config_selectorIfiEEZNS1_14transform_implILb0ES3_S5_N6thrust23THRUST_200600_302600_NS6detail15normal_iteratorINS8_7pointerIfNS8_11hip_rocprim9par_det_tENS8_11use_defaultESE_EEEENSA_INSB_IiSD_SE_SE_EEEEZNS1_13binary_searchIS3_S5_NSA_INS8_10device_ptrIfEEEESG_SI_NS1_16binary_search_opENS9_16wrapped_functionINS8_6system6detail7generic6detail18binary_search_lessEbEEEE10hipError_tPvRmT1_T2_T3_mmT4_T5_P12ihipStream_tbEUlRKfE_EESV_SZ_S10_mS11_S14_bEUlT_E_NS1_11comp_targetILNS1_3genE0ELNS1_11target_archE4294967295ELNS1_3gpuE0ELNS1_3repE0EEENS1_30default_config_static_selectorELNS0_4arch9wavefront6targetE1EEEvSY_.private_seg_size, 0
	.set _ZN7rocprim17ROCPRIM_400000_NS6detail17trampoline_kernelINS0_14default_configENS1_29binary_search_config_selectorIfiEEZNS1_14transform_implILb0ES3_S5_N6thrust23THRUST_200600_302600_NS6detail15normal_iteratorINS8_7pointerIfNS8_11hip_rocprim9par_det_tENS8_11use_defaultESE_EEEENSA_INSB_IiSD_SE_SE_EEEEZNS1_13binary_searchIS3_S5_NSA_INS8_10device_ptrIfEEEESG_SI_NS1_16binary_search_opENS9_16wrapped_functionINS8_6system6detail7generic6detail18binary_search_lessEbEEEE10hipError_tPvRmT1_T2_T3_mmT4_T5_P12ihipStream_tbEUlRKfE_EESV_SZ_S10_mS11_S14_bEUlT_E_NS1_11comp_targetILNS1_3genE0ELNS1_11target_archE4294967295ELNS1_3gpuE0ELNS1_3repE0EEENS1_30default_config_static_selectorELNS0_4arch9wavefront6targetE1EEEvSY_.uses_vcc, 0
	.set _ZN7rocprim17ROCPRIM_400000_NS6detail17trampoline_kernelINS0_14default_configENS1_29binary_search_config_selectorIfiEEZNS1_14transform_implILb0ES3_S5_N6thrust23THRUST_200600_302600_NS6detail15normal_iteratorINS8_7pointerIfNS8_11hip_rocprim9par_det_tENS8_11use_defaultESE_EEEENSA_INSB_IiSD_SE_SE_EEEEZNS1_13binary_searchIS3_S5_NSA_INS8_10device_ptrIfEEEESG_SI_NS1_16binary_search_opENS9_16wrapped_functionINS8_6system6detail7generic6detail18binary_search_lessEbEEEE10hipError_tPvRmT1_T2_T3_mmT4_T5_P12ihipStream_tbEUlRKfE_EESV_SZ_S10_mS11_S14_bEUlT_E_NS1_11comp_targetILNS1_3genE0ELNS1_11target_archE4294967295ELNS1_3gpuE0ELNS1_3repE0EEENS1_30default_config_static_selectorELNS0_4arch9wavefront6targetE1EEEvSY_.uses_flat_scratch, 0
	.set _ZN7rocprim17ROCPRIM_400000_NS6detail17trampoline_kernelINS0_14default_configENS1_29binary_search_config_selectorIfiEEZNS1_14transform_implILb0ES3_S5_N6thrust23THRUST_200600_302600_NS6detail15normal_iteratorINS8_7pointerIfNS8_11hip_rocprim9par_det_tENS8_11use_defaultESE_EEEENSA_INSB_IiSD_SE_SE_EEEEZNS1_13binary_searchIS3_S5_NSA_INS8_10device_ptrIfEEEESG_SI_NS1_16binary_search_opENS9_16wrapped_functionINS8_6system6detail7generic6detail18binary_search_lessEbEEEE10hipError_tPvRmT1_T2_T3_mmT4_T5_P12ihipStream_tbEUlRKfE_EESV_SZ_S10_mS11_S14_bEUlT_E_NS1_11comp_targetILNS1_3genE0ELNS1_11target_archE4294967295ELNS1_3gpuE0ELNS1_3repE0EEENS1_30default_config_static_selectorELNS0_4arch9wavefront6targetE1EEEvSY_.has_dyn_sized_stack, 0
	.set _ZN7rocprim17ROCPRIM_400000_NS6detail17trampoline_kernelINS0_14default_configENS1_29binary_search_config_selectorIfiEEZNS1_14transform_implILb0ES3_S5_N6thrust23THRUST_200600_302600_NS6detail15normal_iteratorINS8_7pointerIfNS8_11hip_rocprim9par_det_tENS8_11use_defaultESE_EEEENSA_INSB_IiSD_SE_SE_EEEEZNS1_13binary_searchIS3_S5_NSA_INS8_10device_ptrIfEEEESG_SI_NS1_16binary_search_opENS9_16wrapped_functionINS8_6system6detail7generic6detail18binary_search_lessEbEEEE10hipError_tPvRmT1_T2_T3_mmT4_T5_P12ihipStream_tbEUlRKfE_EESV_SZ_S10_mS11_S14_bEUlT_E_NS1_11comp_targetILNS1_3genE0ELNS1_11target_archE4294967295ELNS1_3gpuE0ELNS1_3repE0EEENS1_30default_config_static_selectorELNS0_4arch9wavefront6targetE1EEEvSY_.has_recursion, 0
	.set _ZN7rocprim17ROCPRIM_400000_NS6detail17trampoline_kernelINS0_14default_configENS1_29binary_search_config_selectorIfiEEZNS1_14transform_implILb0ES3_S5_N6thrust23THRUST_200600_302600_NS6detail15normal_iteratorINS8_7pointerIfNS8_11hip_rocprim9par_det_tENS8_11use_defaultESE_EEEENSA_INSB_IiSD_SE_SE_EEEEZNS1_13binary_searchIS3_S5_NSA_INS8_10device_ptrIfEEEESG_SI_NS1_16binary_search_opENS9_16wrapped_functionINS8_6system6detail7generic6detail18binary_search_lessEbEEEE10hipError_tPvRmT1_T2_T3_mmT4_T5_P12ihipStream_tbEUlRKfE_EESV_SZ_S10_mS11_S14_bEUlT_E_NS1_11comp_targetILNS1_3genE0ELNS1_11target_archE4294967295ELNS1_3gpuE0ELNS1_3repE0EEENS1_30default_config_static_selectorELNS0_4arch9wavefront6targetE1EEEvSY_.has_indirect_call, 0
	.section	.AMDGPU.csdata,"",@progbits
; Kernel info:
; codeLenInByte = 0
; TotalNumSgprs: 4
; NumVgprs: 0
; ScratchSize: 0
; MemoryBound: 0
; FloatMode: 240
; IeeeMode: 1
; LDSByteSize: 0 bytes/workgroup (compile time only)
; SGPRBlocks: 0
; VGPRBlocks: 0
; NumSGPRsForWavesPerEU: 4
; NumVGPRsForWavesPerEU: 1
; Occupancy: 10
; WaveLimiterHint : 0
; COMPUTE_PGM_RSRC2:SCRATCH_EN: 0
; COMPUTE_PGM_RSRC2:USER_SGPR: 6
; COMPUTE_PGM_RSRC2:TRAP_HANDLER: 0
; COMPUTE_PGM_RSRC2:TGID_X_EN: 1
; COMPUTE_PGM_RSRC2:TGID_Y_EN: 0
; COMPUTE_PGM_RSRC2:TGID_Z_EN: 0
; COMPUTE_PGM_RSRC2:TIDIG_COMP_CNT: 0
	.section	.text._ZN7rocprim17ROCPRIM_400000_NS6detail17trampoline_kernelINS0_14default_configENS1_29binary_search_config_selectorIfiEEZNS1_14transform_implILb0ES3_S5_N6thrust23THRUST_200600_302600_NS6detail15normal_iteratorINS8_7pointerIfNS8_11hip_rocprim9par_det_tENS8_11use_defaultESE_EEEENSA_INSB_IiSD_SE_SE_EEEEZNS1_13binary_searchIS3_S5_NSA_INS8_10device_ptrIfEEEESG_SI_NS1_16binary_search_opENS9_16wrapped_functionINS8_6system6detail7generic6detail18binary_search_lessEbEEEE10hipError_tPvRmT1_T2_T3_mmT4_T5_P12ihipStream_tbEUlRKfE_EESV_SZ_S10_mS11_S14_bEUlT_E_NS1_11comp_targetILNS1_3genE5ELNS1_11target_archE942ELNS1_3gpuE9ELNS1_3repE0EEENS1_30default_config_static_selectorELNS0_4arch9wavefront6targetE1EEEvSY_,"axG",@progbits,_ZN7rocprim17ROCPRIM_400000_NS6detail17trampoline_kernelINS0_14default_configENS1_29binary_search_config_selectorIfiEEZNS1_14transform_implILb0ES3_S5_N6thrust23THRUST_200600_302600_NS6detail15normal_iteratorINS8_7pointerIfNS8_11hip_rocprim9par_det_tENS8_11use_defaultESE_EEEENSA_INSB_IiSD_SE_SE_EEEEZNS1_13binary_searchIS3_S5_NSA_INS8_10device_ptrIfEEEESG_SI_NS1_16binary_search_opENS9_16wrapped_functionINS8_6system6detail7generic6detail18binary_search_lessEbEEEE10hipError_tPvRmT1_T2_T3_mmT4_T5_P12ihipStream_tbEUlRKfE_EESV_SZ_S10_mS11_S14_bEUlT_E_NS1_11comp_targetILNS1_3genE5ELNS1_11target_archE942ELNS1_3gpuE9ELNS1_3repE0EEENS1_30default_config_static_selectorELNS0_4arch9wavefront6targetE1EEEvSY_,comdat
	.protected	_ZN7rocprim17ROCPRIM_400000_NS6detail17trampoline_kernelINS0_14default_configENS1_29binary_search_config_selectorIfiEEZNS1_14transform_implILb0ES3_S5_N6thrust23THRUST_200600_302600_NS6detail15normal_iteratorINS8_7pointerIfNS8_11hip_rocprim9par_det_tENS8_11use_defaultESE_EEEENSA_INSB_IiSD_SE_SE_EEEEZNS1_13binary_searchIS3_S5_NSA_INS8_10device_ptrIfEEEESG_SI_NS1_16binary_search_opENS9_16wrapped_functionINS8_6system6detail7generic6detail18binary_search_lessEbEEEE10hipError_tPvRmT1_T2_T3_mmT4_T5_P12ihipStream_tbEUlRKfE_EESV_SZ_S10_mS11_S14_bEUlT_E_NS1_11comp_targetILNS1_3genE5ELNS1_11target_archE942ELNS1_3gpuE9ELNS1_3repE0EEENS1_30default_config_static_selectorELNS0_4arch9wavefront6targetE1EEEvSY_ ; -- Begin function _ZN7rocprim17ROCPRIM_400000_NS6detail17trampoline_kernelINS0_14default_configENS1_29binary_search_config_selectorIfiEEZNS1_14transform_implILb0ES3_S5_N6thrust23THRUST_200600_302600_NS6detail15normal_iteratorINS8_7pointerIfNS8_11hip_rocprim9par_det_tENS8_11use_defaultESE_EEEENSA_INSB_IiSD_SE_SE_EEEEZNS1_13binary_searchIS3_S5_NSA_INS8_10device_ptrIfEEEESG_SI_NS1_16binary_search_opENS9_16wrapped_functionINS8_6system6detail7generic6detail18binary_search_lessEbEEEE10hipError_tPvRmT1_T2_T3_mmT4_T5_P12ihipStream_tbEUlRKfE_EESV_SZ_S10_mS11_S14_bEUlT_E_NS1_11comp_targetILNS1_3genE5ELNS1_11target_archE942ELNS1_3gpuE9ELNS1_3repE0EEENS1_30default_config_static_selectorELNS0_4arch9wavefront6targetE1EEEvSY_
	.globl	_ZN7rocprim17ROCPRIM_400000_NS6detail17trampoline_kernelINS0_14default_configENS1_29binary_search_config_selectorIfiEEZNS1_14transform_implILb0ES3_S5_N6thrust23THRUST_200600_302600_NS6detail15normal_iteratorINS8_7pointerIfNS8_11hip_rocprim9par_det_tENS8_11use_defaultESE_EEEENSA_INSB_IiSD_SE_SE_EEEEZNS1_13binary_searchIS3_S5_NSA_INS8_10device_ptrIfEEEESG_SI_NS1_16binary_search_opENS9_16wrapped_functionINS8_6system6detail7generic6detail18binary_search_lessEbEEEE10hipError_tPvRmT1_T2_T3_mmT4_T5_P12ihipStream_tbEUlRKfE_EESV_SZ_S10_mS11_S14_bEUlT_E_NS1_11comp_targetILNS1_3genE5ELNS1_11target_archE942ELNS1_3gpuE9ELNS1_3repE0EEENS1_30default_config_static_selectorELNS0_4arch9wavefront6targetE1EEEvSY_
	.p2align	8
	.type	_ZN7rocprim17ROCPRIM_400000_NS6detail17trampoline_kernelINS0_14default_configENS1_29binary_search_config_selectorIfiEEZNS1_14transform_implILb0ES3_S5_N6thrust23THRUST_200600_302600_NS6detail15normal_iteratorINS8_7pointerIfNS8_11hip_rocprim9par_det_tENS8_11use_defaultESE_EEEENSA_INSB_IiSD_SE_SE_EEEEZNS1_13binary_searchIS3_S5_NSA_INS8_10device_ptrIfEEEESG_SI_NS1_16binary_search_opENS9_16wrapped_functionINS8_6system6detail7generic6detail18binary_search_lessEbEEEE10hipError_tPvRmT1_T2_T3_mmT4_T5_P12ihipStream_tbEUlRKfE_EESV_SZ_S10_mS11_S14_bEUlT_E_NS1_11comp_targetILNS1_3genE5ELNS1_11target_archE942ELNS1_3gpuE9ELNS1_3repE0EEENS1_30default_config_static_selectorELNS0_4arch9wavefront6targetE1EEEvSY_,@function
_ZN7rocprim17ROCPRIM_400000_NS6detail17trampoline_kernelINS0_14default_configENS1_29binary_search_config_selectorIfiEEZNS1_14transform_implILb0ES3_S5_N6thrust23THRUST_200600_302600_NS6detail15normal_iteratorINS8_7pointerIfNS8_11hip_rocprim9par_det_tENS8_11use_defaultESE_EEEENSA_INSB_IiSD_SE_SE_EEEEZNS1_13binary_searchIS3_S5_NSA_INS8_10device_ptrIfEEEESG_SI_NS1_16binary_search_opENS9_16wrapped_functionINS8_6system6detail7generic6detail18binary_search_lessEbEEEE10hipError_tPvRmT1_T2_T3_mmT4_T5_P12ihipStream_tbEUlRKfE_EESV_SZ_S10_mS11_S14_bEUlT_E_NS1_11comp_targetILNS1_3genE5ELNS1_11target_archE942ELNS1_3gpuE9ELNS1_3repE0EEENS1_30default_config_static_selectorELNS0_4arch9wavefront6targetE1EEEvSY_: ; @_ZN7rocprim17ROCPRIM_400000_NS6detail17trampoline_kernelINS0_14default_configENS1_29binary_search_config_selectorIfiEEZNS1_14transform_implILb0ES3_S5_N6thrust23THRUST_200600_302600_NS6detail15normal_iteratorINS8_7pointerIfNS8_11hip_rocprim9par_det_tENS8_11use_defaultESE_EEEENSA_INSB_IiSD_SE_SE_EEEEZNS1_13binary_searchIS3_S5_NSA_INS8_10device_ptrIfEEEESG_SI_NS1_16binary_search_opENS9_16wrapped_functionINS8_6system6detail7generic6detail18binary_search_lessEbEEEE10hipError_tPvRmT1_T2_T3_mmT4_T5_P12ihipStream_tbEUlRKfE_EESV_SZ_S10_mS11_S14_bEUlT_E_NS1_11comp_targetILNS1_3genE5ELNS1_11target_archE942ELNS1_3gpuE9ELNS1_3repE0EEENS1_30default_config_static_selectorELNS0_4arch9wavefront6targetE1EEEvSY_
; %bb.0:
	.section	.rodata,"a",@progbits
	.p2align	6, 0x0
	.amdhsa_kernel _ZN7rocprim17ROCPRIM_400000_NS6detail17trampoline_kernelINS0_14default_configENS1_29binary_search_config_selectorIfiEEZNS1_14transform_implILb0ES3_S5_N6thrust23THRUST_200600_302600_NS6detail15normal_iteratorINS8_7pointerIfNS8_11hip_rocprim9par_det_tENS8_11use_defaultESE_EEEENSA_INSB_IiSD_SE_SE_EEEEZNS1_13binary_searchIS3_S5_NSA_INS8_10device_ptrIfEEEESG_SI_NS1_16binary_search_opENS9_16wrapped_functionINS8_6system6detail7generic6detail18binary_search_lessEbEEEE10hipError_tPvRmT1_T2_T3_mmT4_T5_P12ihipStream_tbEUlRKfE_EESV_SZ_S10_mS11_S14_bEUlT_E_NS1_11comp_targetILNS1_3genE5ELNS1_11target_archE942ELNS1_3gpuE9ELNS1_3repE0EEENS1_30default_config_static_selectorELNS0_4arch9wavefront6targetE1EEEvSY_
		.amdhsa_group_segment_fixed_size 0
		.amdhsa_private_segment_fixed_size 0
		.amdhsa_kernarg_size 56
		.amdhsa_user_sgpr_count 6
		.amdhsa_user_sgpr_private_segment_buffer 1
		.amdhsa_user_sgpr_dispatch_ptr 0
		.amdhsa_user_sgpr_queue_ptr 0
		.amdhsa_user_sgpr_kernarg_segment_ptr 1
		.amdhsa_user_sgpr_dispatch_id 0
		.amdhsa_user_sgpr_flat_scratch_init 0
		.amdhsa_user_sgpr_private_segment_size 0
		.amdhsa_uses_dynamic_stack 0
		.amdhsa_system_sgpr_private_segment_wavefront_offset 0
		.amdhsa_system_sgpr_workgroup_id_x 1
		.amdhsa_system_sgpr_workgroup_id_y 0
		.amdhsa_system_sgpr_workgroup_id_z 0
		.amdhsa_system_sgpr_workgroup_info 0
		.amdhsa_system_vgpr_workitem_id 0
		.amdhsa_next_free_vgpr 1
		.amdhsa_next_free_sgpr 0
		.amdhsa_reserve_vcc 0
		.amdhsa_reserve_flat_scratch 0
		.amdhsa_float_round_mode_32 0
		.amdhsa_float_round_mode_16_64 0
		.amdhsa_float_denorm_mode_32 3
		.amdhsa_float_denorm_mode_16_64 3
		.amdhsa_dx10_clamp 1
		.amdhsa_ieee_mode 1
		.amdhsa_fp16_overflow 0
		.amdhsa_exception_fp_ieee_invalid_op 0
		.amdhsa_exception_fp_denorm_src 0
		.amdhsa_exception_fp_ieee_div_zero 0
		.amdhsa_exception_fp_ieee_overflow 0
		.amdhsa_exception_fp_ieee_underflow 0
		.amdhsa_exception_fp_ieee_inexact 0
		.amdhsa_exception_int_div_zero 0
	.end_amdhsa_kernel
	.section	.text._ZN7rocprim17ROCPRIM_400000_NS6detail17trampoline_kernelINS0_14default_configENS1_29binary_search_config_selectorIfiEEZNS1_14transform_implILb0ES3_S5_N6thrust23THRUST_200600_302600_NS6detail15normal_iteratorINS8_7pointerIfNS8_11hip_rocprim9par_det_tENS8_11use_defaultESE_EEEENSA_INSB_IiSD_SE_SE_EEEEZNS1_13binary_searchIS3_S5_NSA_INS8_10device_ptrIfEEEESG_SI_NS1_16binary_search_opENS9_16wrapped_functionINS8_6system6detail7generic6detail18binary_search_lessEbEEEE10hipError_tPvRmT1_T2_T3_mmT4_T5_P12ihipStream_tbEUlRKfE_EESV_SZ_S10_mS11_S14_bEUlT_E_NS1_11comp_targetILNS1_3genE5ELNS1_11target_archE942ELNS1_3gpuE9ELNS1_3repE0EEENS1_30default_config_static_selectorELNS0_4arch9wavefront6targetE1EEEvSY_,"axG",@progbits,_ZN7rocprim17ROCPRIM_400000_NS6detail17trampoline_kernelINS0_14default_configENS1_29binary_search_config_selectorIfiEEZNS1_14transform_implILb0ES3_S5_N6thrust23THRUST_200600_302600_NS6detail15normal_iteratorINS8_7pointerIfNS8_11hip_rocprim9par_det_tENS8_11use_defaultESE_EEEENSA_INSB_IiSD_SE_SE_EEEEZNS1_13binary_searchIS3_S5_NSA_INS8_10device_ptrIfEEEESG_SI_NS1_16binary_search_opENS9_16wrapped_functionINS8_6system6detail7generic6detail18binary_search_lessEbEEEE10hipError_tPvRmT1_T2_T3_mmT4_T5_P12ihipStream_tbEUlRKfE_EESV_SZ_S10_mS11_S14_bEUlT_E_NS1_11comp_targetILNS1_3genE5ELNS1_11target_archE942ELNS1_3gpuE9ELNS1_3repE0EEENS1_30default_config_static_selectorELNS0_4arch9wavefront6targetE1EEEvSY_,comdat
.Lfunc_end645:
	.size	_ZN7rocprim17ROCPRIM_400000_NS6detail17trampoline_kernelINS0_14default_configENS1_29binary_search_config_selectorIfiEEZNS1_14transform_implILb0ES3_S5_N6thrust23THRUST_200600_302600_NS6detail15normal_iteratorINS8_7pointerIfNS8_11hip_rocprim9par_det_tENS8_11use_defaultESE_EEEENSA_INSB_IiSD_SE_SE_EEEEZNS1_13binary_searchIS3_S5_NSA_INS8_10device_ptrIfEEEESG_SI_NS1_16binary_search_opENS9_16wrapped_functionINS8_6system6detail7generic6detail18binary_search_lessEbEEEE10hipError_tPvRmT1_T2_T3_mmT4_T5_P12ihipStream_tbEUlRKfE_EESV_SZ_S10_mS11_S14_bEUlT_E_NS1_11comp_targetILNS1_3genE5ELNS1_11target_archE942ELNS1_3gpuE9ELNS1_3repE0EEENS1_30default_config_static_selectorELNS0_4arch9wavefront6targetE1EEEvSY_, .Lfunc_end645-_ZN7rocprim17ROCPRIM_400000_NS6detail17trampoline_kernelINS0_14default_configENS1_29binary_search_config_selectorIfiEEZNS1_14transform_implILb0ES3_S5_N6thrust23THRUST_200600_302600_NS6detail15normal_iteratorINS8_7pointerIfNS8_11hip_rocprim9par_det_tENS8_11use_defaultESE_EEEENSA_INSB_IiSD_SE_SE_EEEEZNS1_13binary_searchIS3_S5_NSA_INS8_10device_ptrIfEEEESG_SI_NS1_16binary_search_opENS9_16wrapped_functionINS8_6system6detail7generic6detail18binary_search_lessEbEEEE10hipError_tPvRmT1_T2_T3_mmT4_T5_P12ihipStream_tbEUlRKfE_EESV_SZ_S10_mS11_S14_bEUlT_E_NS1_11comp_targetILNS1_3genE5ELNS1_11target_archE942ELNS1_3gpuE9ELNS1_3repE0EEENS1_30default_config_static_selectorELNS0_4arch9wavefront6targetE1EEEvSY_
                                        ; -- End function
	.set _ZN7rocprim17ROCPRIM_400000_NS6detail17trampoline_kernelINS0_14default_configENS1_29binary_search_config_selectorIfiEEZNS1_14transform_implILb0ES3_S5_N6thrust23THRUST_200600_302600_NS6detail15normal_iteratorINS8_7pointerIfNS8_11hip_rocprim9par_det_tENS8_11use_defaultESE_EEEENSA_INSB_IiSD_SE_SE_EEEEZNS1_13binary_searchIS3_S5_NSA_INS8_10device_ptrIfEEEESG_SI_NS1_16binary_search_opENS9_16wrapped_functionINS8_6system6detail7generic6detail18binary_search_lessEbEEEE10hipError_tPvRmT1_T2_T3_mmT4_T5_P12ihipStream_tbEUlRKfE_EESV_SZ_S10_mS11_S14_bEUlT_E_NS1_11comp_targetILNS1_3genE5ELNS1_11target_archE942ELNS1_3gpuE9ELNS1_3repE0EEENS1_30default_config_static_selectorELNS0_4arch9wavefront6targetE1EEEvSY_.num_vgpr, 0
	.set _ZN7rocprim17ROCPRIM_400000_NS6detail17trampoline_kernelINS0_14default_configENS1_29binary_search_config_selectorIfiEEZNS1_14transform_implILb0ES3_S5_N6thrust23THRUST_200600_302600_NS6detail15normal_iteratorINS8_7pointerIfNS8_11hip_rocprim9par_det_tENS8_11use_defaultESE_EEEENSA_INSB_IiSD_SE_SE_EEEEZNS1_13binary_searchIS3_S5_NSA_INS8_10device_ptrIfEEEESG_SI_NS1_16binary_search_opENS9_16wrapped_functionINS8_6system6detail7generic6detail18binary_search_lessEbEEEE10hipError_tPvRmT1_T2_T3_mmT4_T5_P12ihipStream_tbEUlRKfE_EESV_SZ_S10_mS11_S14_bEUlT_E_NS1_11comp_targetILNS1_3genE5ELNS1_11target_archE942ELNS1_3gpuE9ELNS1_3repE0EEENS1_30default_config_static_selectorELNS0_4arch9wavefront6targetE1EEEvSY_.num_agpr, 0
	.set _ZN7rocprim17ROCPRIM_400000_NS6detail17trampoline_kernelINS0_14default_configENS1_29binary_search_config_selectorIfiEEZNS1_14transform_implILb0ES3_S5_N6thrust23THRUST_200600_302600_NS6detail15normal_iteratorINS8_7pointerIfNS8_11hip_rocprim9par_det_tENS8_11use_defaultESE_EEEENSA_INSB_IiSD_SE_SE_EEEEZNS1_13binary_searchIS3_S5_NSA_INS8_10device_ptrIfEEEESG_SI_NS1_16binary_search_opENS9_16wrapped_functionINS8_6system6detail7generic6detail18binary_search_lessEbEEEE10hipError_tPvRmT1_T2_T3_mmT4_T5_P12ihipStream_tbEUlRKfE_EESV_SZ_S10_mS11_S14_bEUlT_E_NS1_11comp_targetILNS1_3genE5ELNS1_11target_archE942ELNS1_3gpuE9ELNS1_3repE0EEENS1_30default_config_static_selectorELNS0_4arch9wavefront6targetE1EEEvSY_.numbered_sgpr, 0
	.set _ZN7rocprim17ROCPRIM_400000_NS6detail17trampoline_kernelINS0_14default_configENS1_29binary_search_config_selectorIfiEEZNS1_14transform_implILb0ES3_S5_N6thrust23THRUST_200600_302600_NS6detail15normal_iteratorINS8_7pointerIfNS8_11hip_rocprim9par_det_tENS8_11use_defaultESE_EEEENSA_INSB_IiSD_SE_SE_EEEEZNS1_13binary_searchIS3_S5_NSA_INS8_10device_ptrIfEEEESG_SI_NS1_16binary_search_opENS9_16wrapped_functionINS8_6system6detail7generic6detail18binary_search_lessEbEEEE10hipError_tPvRmT1_T2_T3_mmT4_T5_P12ihipStream_tbEUlRKfE_EESV_SZ_S10_mS11_S14_bEUlT_E_NS1_11comp_targetILNS1_3genE5ELNS1_11target_archE942ELNS1_3gpuE9ELNS1_3repE0EEENS1_30default_config_static_selectorELNS0_4arch9wavefront6targetE1EEEvSY_.num_named_barrier, 0
	.set _ZN7rocprim17ROCPRIM_400000_NS6detail17trampoline_kernelINS0_14default_configENS1_29binary_search_config_selectorIfiEEZNS1_14transform_implILb0ES3_S5_N6thrust23THRUST_200600_302600_NS6detail15normal_iteratorINS8_7pointerIfNS8_11hip_rocprim9par_det_tENS8_11use_defaultESE_EEEENSA_INSB_IiSD_SE_SE_EEEEZNS1_13binary_searchIS3_S5_NSA_INS8_10device_ptrIfEEEESG_SI_NS1_16binary_search_opENS9_16wrapped_functionINS8_6system6detail7generic6detail18binary_search_lessEbEEEE10hipError_tPvRmT1_T2_T3_mmT4_T5_P12ihipStream_tbEUlRKfE_EESV_SZ_S10_mS11_S14_bEUlT_E_NS1_11comp_targetILNS1_3genE5ELNS1_11target_archE942ELNS1_3gpuE9ELNS1_3repE0EEENS1_30default_config_static_selectorELNS0_4arch9wavefront6targetE1EEEvSY_.private_seg_size, 0
	.set _ZN7rocprim17ROCPRIM_400000_NS6detail17trampoline_kernelINS0_14default_configENS1_29binary_search_config_selectorIfiEEZNS1_14transform_implILb0ES3_S5_N6thrust23THRUST_200600_302600_NS6detail15normal_iteratorINS8_7pointerIfNS8_11hip_rocprim9par_det_tENS8_11use_defaultESE_EEEENSA_INSB_IiSD_SE_SE_EEEEZNS1_13binary_searchIS3_S5_NSA_INS8_10device_ptrIfEEEESG_SI_NS1_16binary_search_opENS9_16wrapped_functionINS8_6system6detail7generic6detail18binary_search_lessEbEEEE10hipError_tPvRmT1_T2_T3_mmT4_T5_P12ihipStream_tbEUlRKfE_EESV_SZ_S10_mS11_S14_bEUlT_E_NS1_11comp_targetILNS1_3genE5ELNS1_11target_archE942ELNS1_3gpuE9ELNS1_3repE0EEENS1_30default_config_static_selectorELNS0_4arch9wavefront6targetE1EEEvSY_.uses_vcc, 0
	.set _ZN7rocprim17ROCPRIM_400000_NS6detail17trampoline_kernelINS0_14default_configENS1_29binary_search_config_selectorIfiEEZNS1_14transform_implILb0ES3_S5_N6thrust23THRUST_200600_302600_NS6detail15normal_iteratorINS8_7pointerIfNS8_11hip_rocprim9par_det_tENS8_11use_defaultESE_EEEENSA_INSB_IiSD_SE_SE_EEEEZNS1_13binary_searchIS3_S5_NSA_INS8_10device_ptrIfEEEESG_SI_NS1_16binary_search_opENS9_16wrapped_functionINS8_6system6detail7generic6detail18binary_search_lessEbEEEE10hipError_tPvRmT1_T2_T3_mmT4_T5_P12ihipStream_tbEUlRKfE_EESV_SZ_S10_mS11_S14_bEUlT_E_NS1_11comp_targetILNS1_3genE5ELNS1_11target_archE942ELNS1_3gpuE9ELNS1_3repE0EEENS1_30default_config_static_selectorELNS0_4arch9wavefront6targetE1EEEvSY_.uses_flat_scratch, 0
	.set _ZN7rocprim17ROCPRIM_400000_NS6detail17trampoline_kernelINS0_14default_configENS1_29binary_search_config_selectorIfiEEZNS1_14transform_implILb0ES3_S5_N6thrust23THRUST_200600_302600_NS6detail15normal_iteratorINS8_7pointerIfNS8_11hip_rocprim9par_det_tENS8_11use_defaultESE_EEEENSA_INSB_IiSD_SE_SE_EEEEZNS1_13binary_searchIS3_S5_NSA_INS8_10device_ptrIfEEEESG_SI_NS1_16binary_search_opENS9_16wrapped_functionINS8_6system6detail7generic6detail18binary_search_lessEbEEEE10hipError_tPvRmT1_T2_T3_mmT4_T5_P12ihipStream_tbEUlRKfE_EESV_SZ_S10_mS11_S14_bEUlT_E_NS1_11comp_targetILNS1_3genE5ELNS1_11target_archE942ELNS1_3gpuE9ELNS1_3repE0EEENS1_30default_config_static_selectorELNS0_4arch9wavefront6targetE1EEEvSY_.has_dyn_sized_stack, 0
	.set _ZN7rocprim17ROCPRIM_400000_NS6detail17trampoline_kernelINS0_14default_configENS1_29binary_search_config_selectorIfiEEZNS1_14transform_implILb0ES3_S5_N6thrust23THRUST_200600_302600_NS6detail15normal_iteratorINS8_7pointerIfNS8_11hip_rocprim9par_det_tENS8_11use_defaultESE_EEEENSA_INSB_IiSD_SE_SE_EEEEZNS1_13binary_searchIS3_S5_NSA_INS8_10device_ptrIfEEEESG_SI_NS1_16binary_search_opENS9_16wrapped_functionINS8_6system6detail7generic6detail18binary_search_lessEbEEEE10hipError_tPvRmT1_T2_T3_mmT4_T5_P12ihipStream_tbEUlRKfE_EESV_SZ_S10_mS11_S14_bEUlT_E_NS1_11comp_targetILNS1_3genE5ELNS1_11target_archE942ELNS1_3gpuE9ELNS1_3repE0EEENS1_30default_config_static_selectorELNS0_4arch9wavefront6targetE1EEEvSY_.has_recursion, 0
	.set _ZN7rocprim17ROCPRIM_400000_NS6detail17trampoline_kernelINS0_14default_configENS1_29binary_search_config_selectorIfiEEZNS1_14transform_implILb0ES3_S5_N6thrust23THRUST_200600_302600_NS6detail15normal_iteratorINS8_7pointerIfNS8_11hip_rocprim9par_det_tENS8_11use_defaultESE_EEEENSA_INSB_IiSD_SE_SE_EEEEZNS1_13binary_searchIS3_S5_NSA_INS8_10device_ptrIfEEEESG_SI_NS1_16binary_search_opENS9_16wrapped_functionINS8_6system6detail7generic6detail18binary_search_lessEbEEEE10hipError_tPvRmT1_T2_T3_mmT4_T5_P12ihipStream_tbEUlRKfE_EESV_SZ_S10_mS11_S14_bEUlT_E_NS1_11comp_targetILNS1_3genE5ELNS1_11target_archE942ELNS1_3gpuE9ELNS1_3repE0EEENS1_30default_config_static_selectorELNS0_4arch9wavefront6targetE1EEEvSY_.has_indirect_call, 0
	.section	.AMDGPU.csdata,"",@progbits
; Kernel info:
; codeLenInByte = 0
; TotalNumSgprs: 4
; NumVgprs: 0
; ScratchSize: 0
; MemoryBound: 0
; FloatMode: 240
; IeeeMode: 1
; LDSByteSize: 0 bytes/workgroup (compile time only)
; SGPRBlocks: 0
; VGPRBlocks: 0
; NumSGPRsForWavesPerEU: 4
; NumVGPRsForWavesPerEU: 1
; Occupancy: 10
; WaveLimiterHint : 0
; COMPUTE_PGM_RSRC2:SCRATCH_EN: 0
; COMPUTE_PGM_RSRC2:USER_SGPR: 6
; COMPUTE_PGM_RSRC2:TRAP_HANDLER: 0
; COMPUTE_PGM_RSRC2:TGID_X_EN: 1
; COMPUTE_PGM_RSRC2:TGID_Y_EN: 0
; COMPUTE_PGM_RSRC2:TGID_Z_EN: 0
; COMPUTE_PGM_RSRC2:TIDIG_COMP_CNT: 0
	.section	.text._ZN7rocprim17ROCPRIM_400000_NS6detail17trampoline_kernelINS0_14default_configENS1_29binary_search_config_selectorIfiEEZNS1_14transform_implILb0ES3_S5_N6thrust23THRUST_200600_302600_NS6detail15normal_iteratorINS8_7pointerIfNS8_11hip_rocprim9par_det_tENS8_11use_defaultESE_EEEENSA_INSB_IiSD_SE_SE_EEEEZNS1_13binary_searchIS3_S5_NSA_INS8_10device_ptrIfEEEESG_SI_NS1_16binary_search_opENS9_16wrapped_functionINS8_6system6detail7generic6detail18binary_search_lessEbEEEE10hipError_tPvRmT1_T2_T3_mmT4_T5_P12ihipStream_tbEUlRKfE_EESV_SZ_S10_mS11_S14_bEUlT_E_NS1_11comp_targetILNS1_3genE4ELNS1_11target_archE910ELNS1_3gpuE8ELNS1_3repE0EEENS1_30default_config_static_selectorELNS0_4arch9wavefront6targetE1EEEvSY_,"axG",@progbits,_ZN7rocprim17ROCPRIM_400000_NS6detail17trampoline_kernelINS0_14default_configENS1_29binary_search_config_selectorIfiEEZNS1_14transform_implILb0ES3_S5_N6thrust23THRUST_200600_302600_NS6detail15normal_iteratorINS8_7pointerIfNS8_11hip_rocprim9par_det_tENS8_11use_defaultESE_EEEENSA_INSB_IiSD_SE_SE_EEEEZNS1_13binary_searchIS3_S5_NSA_INS8_10device_ptrIfEEEESG_SI_NS1_16binary_search_opENS9_16wrapped_functionINS8_6system6detail7generic6detail18binary_search_lessEbEEEE10hipError_tPvRmT1_T2_T3_mmT4_T5_P12ihipStream_tbEUlRKfE_EESV_SZ_S10_mS11_S14_bEUlT_E_NS1_11comp_targetILNS1_3genE4ELNS1_11target_archE910ELNS1_3gpuE8ELNS1_3repE0EEENS1_30default_config_static_selectorELNS0_4arch9wavefront6targetE1EEEvSY_,comdat
	.protected	_ZN7rocprim17ROCPRIM_400000_NS6detail17trampoline_kernelINS0_14default_configENS1_29binary_search_config_selectorIfiEEZNS1_14transform_implILb0ES3_S5_N6thrust23THRUST_200600_302600_NS6detail15normal_iteratorINS8_7pointerIfNS8_11hip_rocprim9par_det_tENS8_11use_defaultESE_EEEENSA_INSB_IiSD_SE_SE_EEEEZNS1_13binary_searchIS3_S5_NSA_INS8_10device_ptrIfEEEESG_SI_NS1_16binary_search_opENS9_16wrapped_functionINS8_6system6detail7generic6detail18binary_search_lessEbEEEE10hipError_tPvRmT1_T2_T3_mmT4_T5_P12ihipStream_tbEUlRKfE_EESV_SZ_S10_mS11_S14_bEUlT_E_NS1_11comp_targetILNS1_3genE4ELNS1_11target_archE910ELNS1_3gpuE8ELNS1_3repE0EEENS1_30default_config_static_selectorELNS0_4arch9wavefront6targetE1EEEvSY_ ; -- Begin function _ZN7rocprim17ROCPRIM_400000_NS6detail17trampoline_kernelINS0_14default_configENS1_29binary_search_config_selectorIfiEEZNS1_14transform_implILb0ES3_S5_N6thrust23THRUST_200600_302600_NS6detail15normal_iteratorINS8_7pointerIfNS8_11hip_rocprim9par_det_tENS8_11use_defaultESE_EEEENSA_INSB_IiSD_SE_SE_EEEEZNS1_13binary_searchIS3_S5_NSA_INS8_10device_ptrIfEEEESG_SI_NS1_16binary_search_opENS9_16wrapped_functionINS8_6system6detail7generic6detail18binary_search_lessEbEEEE10hipError_tPvRmT1_T2_T3_mmT4_T5_P12ihipStream_tbEUlRKfE_EESV_SZ_S10_mS11_S14_bEUlT_E_NS1_11comp_targetILNS1_3genE4ELNS1_11target_archE910ELNS1_3gpuE8ELNS1_3repE0EEENS1_30default_config_static_selectorELNS0_4arch9wavefront6targetE1EEEvSY_
	.globl	_ZN7rocprim17ROCPRIM_400000_NS6detail17trampoline_kernelINS0_14default_configENS1_29binary_search_config_selectorIfiEEZNS1_14transform_implILb0ES3_S5_N6thrust23THRUST_200600_302600_NS6detail15normal_iteratorINS8_7pointerIfNS8_11hip_rocprim9par_det_tENS8_11use_defaultESE_EEEENSA_INSB_IiSD_SE_SE_EEEEZNS1_13binary_searchIS3_S5_NSA_INS8_10device_ptrIfEEEESG_SI_NS1_16binary_search_opENS9_16wrapped_functionINS8_6system6detail7generic6detail18binary_search_lessEbEEEE10hipError_tPvRmT1_T2_T3_mmT4_T5_P12ihipStream_tbEUlRKfE_EESV_SZ_S10_mS11_S14_bEUlT_E_NS1_11comp_targetILNS1_3genE4ELNS1_11target_archE910ELNS1_3gpuE8ELNS1_3repE0EEENS1_30default_config_static_selectorELNS0_4arch9wavefront6targetE1EEEvSY_
	.p2align	8
	.type	_ZN7rocprim17ROCPRIM_400000_NS6detail17trampoline_kernelINS0_14default_configENS1_29binary_search_config_selectorIfiEEZNS1_14transform_implILb0ES3_S5_N6thrust23THRUST_200600_302600_NS6detail15normal_iteratorINS8_7pointerIfNS8_11hip_rocprim9par_det_tENS8_11use_defaultESE_EEEENSA_INSB_IiSD_SE_SE_EEEEZNS1_13binary_searchIS3_S5_NSA_INS8_10device_ptrIfEEEESG_SI_NS1_16binary_search_opENS9_16wrapped_functionINS8_6system6detail7generic6detail18binary_search_lessEbEEEE10hipError_tPvRmT1_T2_T3_mmT4_T5_P12ihipStream_tbEUlRKfE_EESV_SZ_S10_mS11_S14_bEUlT_E_NS1_11comp_targetILNS1_3genE4ELNS1_11target_archE910ELNS1_3gpuE8ELNS1_3repE0EEENS1_30default_config_static_selectorELNS0_4arch9wavefront6targetE1EEEvSY_,@function
_ZN7rocprim17ROCPRIM_400000_NS6detail17trampoline_kernelINS0_14default_configENS1_29binary_search_config_selectorIfiEEZNS1_14transform_implILb0ES3_S5_N6thrust23THRUST_200600_302600_NS6detail15normal_iteratorINS8_7pointerIfNS8_11hip_rocprim9par_det_tENS8_11use_defaultESE_EEEENSA_INSB_IiSD_SE_SE_EEEEZNS1_13binary_searchIS3_S5_NSA_INS8_10device_ptrIfEEEESG_SI_NS1_16binary_search_opENS9_16wrapped_functionINS8_6system6detail7generic6detail18binary_search_lessEbEEEE10hipError_tPvRmT1_T2_T3_mmT4_T5_P12ihipStream_tbEUlRKfE_EESV_SZ_S10_mS11_S14_bEUlT_E_NS1_11comp_targetILNS1_3genE4ELNS1_11target_archE910ELNS1_3gpuE8ELNS1_3repE0EEENS1_30default_config_static_selectorELNS0_4arch9wavefront6targetE1EEEvSY_: ; @_ZN7rocprim17ROCPRIM_400000_NS6detail17trampoline_kernelINS0_14default_configENS1_29binary_search_config_selectorIfiEEZNS1_14transform_implILb0ES3_S5_N6thrust23THRUST_200600_302600_NS6detail15normal_iteratorINS8_7pointerIfNS8_11hip_rocprim9par_det_tENS8_11use_defaultESE_EEEENSA_INSB_IiSD_SE_SE_EEEEZNS1_13binary_searchIS3_S5_NSA_INS8_10device_ptrIfEEEESG_SI_NS1_16binary_search_opENS9_16wrapped_functionINS8_6system6detail7generic6detail18binary_search_lessEbEEEE10hipError_tPvRmT1_T2_T3_mmT4_T5_P12ihipStream_tbEUlRKfE_EESV_SZ_S10_mS11_S14_bEUlT_E_NS1_11comp_targetILNS1_3genE4ELNS1_11target_archE910ELNS1_3gpuE8ELNS1_3repE0EEENS1_30default_config_static_selectorELNS0_4arch9wavefront6targetE1EEEvSY_
; %bb.0:
	.section	.rodata,"a",@progbits
	.p2align	6, 0x0
	.amdhsa_kernel _ZN7rocprim17ROCPRIM_400000_NS6detail17trampoline_kernelINS0_14default_configENS1_29binary_search_config_selectorIfiEEZNS1_14transform_implILb0ES3_S5_N6thrust23THRUST_200600_302600_NS6detail15normal_iteratorINS8_7pointerIfNS8_11hip_rocprim9par_det_tENS8_11use_defaultESE_EEEENSA_INSB_IiSD_SE_SE_EEEEZNS1_13binary_searchIS3_S5_NSA_INS8_10device_ptrIfEEEESG_SI_NS1_16binary_search_opENS9_16wrapped_functionINS8_6system6detail7generic6detail18binary_search_lessEbEEEE10hipError_tPvRmT1_T2_T3_mmT4_T5_P12ihipStream_tbEUlRKfE_EESV_SZ_S10_mS11_S14_bEUlT_E_NS1_11comp_targetILNS1_3genE4ELNS1_11target_archE910ELNS1_3gpuE8ELNS1_3repE0EEENS1_30default_config_static_selectorELNS0_4arch9wavefront6targetE1EEEvSY_
		.amdhsa_group_segment_fixed_size 0
		.amdhsa_private_segment_fixed_size 0
		.amdhsa_kernarg_size 56
		.amdhsa_user_sgpr_count 6
		.amdhsa_user_sgpr_private_segment_buffer 1
		.amdhsa_user_sgpr_dispatch_ptr 0
		.amdhsa_user_sgpr_queue_ptr 0
		.amdhsa_user_sgpr_kernarg_segment_ptr 1
		.amdhsa_user_sgpr_dispatch_id 0
		.amdhsa_user_sgpr_flat_scratch_init 0
		.amdhsa_user_sgpr_private_segment_size 0
		.amdhsa_uses_dynamic_stack 0
		.amdhsa_system_sgpr_private_segment_wavefront_offset 0
		.amdhsa_system_sgpr_workgroup_id_x 1
		.amdhsa_system_sgpr_workgroup_id_y 0
		.amdhsa_system_sgpr_workgroup_id_z 0
		.amdhsa_system_sgpr_workgroup_info 0
		.amdhsa_system_vgpr_workitem_id 0
		.amdhsa_next_free_vgpr 1
		.amdhsa_next_free_sgpr 0
		.amdhsa_reserve_vcc 0
		.amdhsa_reserve_flat_scratch 0
		.amdhsa_float_round_mode_32 0
		.amdhsa_float_round_mode_16_64 0
		.amdhsa_float_denorm_mode_32 3
		.amdhsa_float_denorm_mode_16_64 3
		.amdhsa_dx10_clamp 1
		.amdhsa_ieee_mode 1
		.amdhsa_fp16_overflow 0
		.amdhsa_exception_fp_ieee_invalid_op 0
		.amdhsa_exception_fp_denorm_src 0
		.amdhsa_exception_fp_ieee_div_zero 0
		.amdhsa_exception_fp_ieee_overflow 0
		.amdhsa_exception_fp_ieee_underflow 0
		.amdhsa_exception_fp_ieee_inexact 0
		.amdhsa_exception_int_div_zero 0
	.end_amdhsa_kernel
	.section	.text._ZN7rocprim17ROCPRIM_400000_NS6detail17trampoline_kernelINS0_14default_configENS1_29binary_search_config_selectorIfiEEZNS1_14transform_implILb0ES3_S5_N6thrust23THRUST_200600_302600_NS6detail15normal_iteratorINS8_7pointerIfNS8_11hip_rocprim9par_det_tENS8_11use_defaultESE_EEEENSA_INSB_IiSD_SE_SE_EEEEZNS1_13binary_searchIS3_S5_NSA_INS8_10device_ptrIfEEEESG_SI_NS1_16binary_search_opENS9_16wrapped_functionINS8_6system6detail7generic6detail18binary_search_lessEbEEEE10hipError_tPvRmT1_T2_T3_mmT4_T5_P12ihipStream_tbEUlRKfE_EESV_SZ_S10_mS11_S14_bEUlT_E_NS1_11comp_targetILNS1_3genE4ELNS1_11target_archE910ELNS1_3gpuE8ELNS1_3repE0EEENS1_30default_config_static_selectorELNS0_4arch9wavefront6targetE1EEEvSY_,"axG",@progbits,_ZN7rocprim17ROCPRIM_400000_NS6detail17trampoline_kernelINS0_14default_configENS1_29binary_search_config_selectorIfiEEZNS1_14transform_implILb0ES3_S5_N6thrust23THRUST_200600_302600_NS6detail15normal_iteratorINS8_7pointerIfNS8_11hip_rocprim9par_det_tENS8_11use_defaultESE_EEEENSA_INSB_IiSD_SE_SE_EEEEZNS1_13binary_searchIS3_S5_NSA_INS8_10device_ptrIfEEEESG_SI_NS1_16binary_search_opENS9_16wrapped_functionINS8_6system6detail7generic6detail18binary_search_lessEbEEEE10hipError_tPvRmT1_T2_T3_mmT4_T5_P12ihipStream_tbEUlRKfE_EESV_SZ_S10_mS11_S14_bEUlT_E_NS1_11comp_targetILNS1_3genE4ELNS1_11target_archE910ELNS1_3gpuE8ELNS1_3repE0EEENS1_30default_config_static_selectorELNS0_4arch9wavefront6targetE1EEEvSY_,comdat
.Lfunc_end646:
	.size	_ZN7rocprim17ROCPRIM_400000_NS6detail17trampoline_kernelINS0_14default_configENS1_29binary_search_config_selectorIfiEEZNS1_14transform_implILb0ES3_S5_N6thrust23THRUST_200600_302600_NS6detail15normal_iteratorINS8_7pointerIfNS8_11hip_rocprim9par_det_tENS8_11use_defaultESE_EEEENSA_INSB_IiSD_SE_SE_EEEEZNS1_13binary_searchIS3_S5_NSA_INS8_10device_ptrIfEEEESG_SI_NS1_16binary_search_opENS9_16wrapped_functionINS8_6system6detail7generic6detail18binary_search_lessEbEEEE10hipError_tPvRmT1_T2_T3_mmT4_T5_P12ihipStream_tbEUlRKfE_EESV_SZ_S10_mS11_S14_bEUlT_E_NS1_11comp_targetILNS1_3genE4ELNS1_11target_archE910ELNS1_3gpuE8ELNS1_3repE0EEENS1_30default_config_static_selectorELNS0_4arch9wavefront6targetE1EEEvSY_, .Lfunc_end646-_ZN7rocprim17ROCPRIM_400000_NS6detail17trampoline_kernelINS0_14default_configENS1_29binary_search_config_selectorIfiEEZNS1_14transform_implILb0ES3_S5_N6thrust23THRUST_200600_302600_NS6detail15normal_iteratorINS8_7pointerIfNS8_11hip_rocprim9par_det_tENS8_11use_defaultESE_EEEENSA_INSB_IiSD_SE_SE_EEEEZNS1_13binary_searchIS3_S5_NSA_INS8_10device_ptrIfEEEESG_SI_NS1_16binary_search_opENS9_16wrapped_functionINS8_6system6detail7generic6detail18binary_search_lessEbEEEE10hipError_tPvRmT1_T2_T3_mmT4_T5_P12ihipStream_tbEUlRKfE_EESV_SZ_S10_mS11_S14_bEUlT_E_NS1_11comp_targetILNS1_3genE4ELNS1_11target_archE910ELNS1_3gpuE8ELNS1_3repE0EEENS1_30default_config_static_selectorELNS0_4arch9wavefront6targetE1EEEvSY_
                                        ; -- End function
	.set _ZN7rocprim17ROCPRIM_400000_NS6detail17trampoline_kernelINS0_14default_configENS1_29binary_search_config_selectorIfiEEZNS1_14transform_implILb0ES3_S5_N6thrust23THRUST_200600_302600_NS6detail15normal_iteratorINS8_7pointerIfNS8_11hip_rocprim9par_det_tENS8_11use_defaultESE_EEEENSA_INSB_IiSD_SE_SE_EEEEZNS1_13binary_searchIS3_S5_NSA_INS8_10device_ptrIfEEEESG_SI_NS1_16binary_search_opENS9_16wrapped_functionINS8_6system6detail7generic6detail18binary_search_lessEbEEEE10hipError_tPvRmT1_T2_T3_mmT4_T5_P12ihipStream_tbEUlRKfE_EESV_SZ_S10_mS11_S14_bEUlT_E_NS1_11comp_targetILNS1_3genE4ELNS1_11target_archE910ELNS1_3gpuE8ELNS1_3repE0EEENS1_30default_config_static_selectorELNS0_4arch9wavefront6targetE1EEEvSY_.num_vgpr, 0
	.set _ZN7rocprim17ROCPRIM_400000_NS6detail17trampoline_kernelINS0_14default_configENS1_29binary_search_config_selectorIfiEEZNS1_14transform_implILb0ES3_S5_N6thrust23THRUST_200600_302600_NS6detail15normal_iteratorINS8_7pointerIfNS8_11hip_rocprim9par_det_tENS8_11use_defaultESE_EEEENSA_INSB_IiSD_SE_SE_EEEEZNS1_13binary_searchIS3_S5_NSA_INS8_10device_ptrIfEEEESG_SI_NS1_16binary_search_opENS9_16wrapped_functionINS8_6system6detail7generic6detail18binary_search_lessEbEEEE10hipError_tPvRmT1_T2_T3_mmT4_T5_P12ihipStream_tbEUlRKfE_EESV_SZ_S10_mS11_S14_bEUlT_E_NS1_11comp_targetILNS1_3genE4ELNS1_11target_archE910ELNS1_3gpuE8ELNS1_3repE0EEENS1_30default_config_static_selectorELNS0_4arch9wavefront6targetE1EEEvSY_.num_agpr, 0
	.set _ZN7rocprim17ROCPRIM_400000_NS6detail17trampoline_kernelINS0_14default_configENS1_29binary_search_config_selectorIfiEEZNS1_14transform_implILb0ES3_S5_N6thrust23THRUST_200600_302600_NS6detail15normal_iteratorINS8_7pointerIfNS8_11hip_rocprim9par_det_tENS8_11use_defaultESE_EEEENSA_INSB_IiSD_SE_SE_EEEEZNS1_13binary_searchIS3_S5_NSA_INS8_10device_ptrIfEEEESG_SI_NS1_16binary_search_opENS9_16wrapped_functionINS8_6system6detail7generic6detail18binary_search_lessEbEEEE10hipError_tPvRmT1_T2_T3_mmT4_T5_P12ihipStream_tbEUlRKfE_EESV_SZ_S10_mS11_S14_bEUlT_E_NS1_11comp_targetILNS1_3genE4ELNS1_11target_archE910ELNS1_3gpuE8ELNS1_3repE0EEENS1_30default_config_static_selectorELNS0_4arch9wavefront6targetE1EEEvSY_.numbered_sgpr, 0
	.set _ZN7rocprim17ROCPRIM_400000_NS6detail17trampoline_kernelINS0_14default_configENS1_29binary_search_config_selectorIfiEEZNS1_14transform_implILb0ES3_S5_N6thrust23THRUST_200600_302600_NS6detail15normal_iteratorINS8_7pointerIfNS8_11hip_rocprim9par_det_tENS8_11use_defaultESE_EEEENSA_INSB_IiSD_SE_SE_EEEEZNS1_13binary_searchIS3_S5_NSA_INS8_10device_ptrIfEEEESG_SI_NS1_16binary_search_opENS9_16wrapped_functionINS8_6system6detail7generic6detail18binary_search_lessEbEEEE10hipError_tPvRmT1_T2_T3_mmT4_T5_P12ihipStream_tbEUlRKfE_EESV_SZ_S10_mS11_S14_bEUlT_E_NS1_11comp_targetILNS1_3genE4ELNS1_11target_archE910ELNS1_3gpuE8ELNS1_3repE0EEENS1_30default_config_static_selectorELNS0_4arch9wavefront6targetE1EEEvSY_.num_named_barrier, 0
	.set _ZN7rocprim17ROCPRIM_400000_NS6detail17trampoline_kernelINS0_14default_configENS1_29binary_search_config_selectorIfiEEZNS1_14transform_implILb0ES3_S5_N6thrust23THRUST_200600_302600_NS6detail15normal_iteratorINS8_7pointerIfNS8_11hip_rocprim9par_det_tENS8_11use_defaultESE_EEEENSA_INSB_IiSD_SE_SE_EEEEZNS1_13binary_searchIS3_S5_NSA_INS8_10device_ptrIfEEEESG_SI_NS1_16binary_search_opENS9_16wrapped_functionINS8_6system6detail7generic6detail18binary_search_lessEbEEEE10hipError_tPvRmT1_T2_T3_mmT4_T5_P12ihipStream_tbEUlRKfE_EESV_SZ_S10_mS11_S14_bEUlT_E_NS1_11comp_targetILNS1_3genE4ELNS1_11target_archE910ELNS1_3gpuE8ELNS1_3repE0EEENS1_30default_config_static_selectorELNS0_4arch9wavefront6targetE1EEEvSY_.private_seg_size, 0
	.set _ZN7rocprim17ROCPRIM_400000_NS6detail17trampoline_kernelINS0_14default_configENS1_29binary_search_config_selectorIfiEEZNS1_14transform_implILb0ES3_S5_N6thrust23THRUST_200600_302600_NS6detail15normal_iteratorINS8_7pointerIfNS8_11hip_rocprim9par_det_tENS8_11use_defaultESE_EEEENSA_INSB_IiSD_SE_SE_EEEEZNS1_13binary_searchIS3_S5_NSA_INS8_10device_ptrIfEEEESG_SI_NS1_16binary_search_opENS9_16wrapped_functionINS8_6system6detail7generic6detail18binary_search_lessEbEEEE10hipError_tPvRmT1_T2_T3_mmT4_T5_P12ihipStream_tbEUlRKfE_EESV_SZ_S10_mS11_S14_bEUlT_E_NS1_11comp_targetILNS1_3genE4ELNS1_11target_archE910ELNS1_3gpuE8ELNS1_3repE0EEENS1_30default_config_static_selectorELNS0_4arch9wavefront6targetE1EEEvSY_.uses_vcc, 0
	.set _ZN7rocprim17ROCPRIM_400000_NS6detail17trampoline_kernelINS0_14default_configENS1_29binary_search_config_selectorIfiEEZNS1_14transform_implILb0ES3_S5_N6thrust23THRUST_200600_302600_NS6detail15normal_iteratorINS8_7pointerIfNS8_11hip_rocprim9par_det_tENS8_11use_defaultESE_EEEENSA_INSB_IiSD_SE_SE_EEEEZNS1_13binary_searchIS3_S5_NSA_INS8_10device_ptrIfEEEESG_SI_NS1_16binary_search_opENS9_16wrapped_functionINS8_6system6detail7generic6detail18binary_search_lessEbEEEE10hipError_tPvRmT1_T2_T3_mmT4_T5_P12ihipStream_tbEUlRKfE_EESV_SZ_S10_mS11_S14_bEUlT_E_NS1_11comp_targetILNS1_3genE4ELNS1_11target_archE910ELNS1_3gpuE8ELNS1_3repE0EEENS1_30default_config_static_selectorELNS0_4arch9wavefront6targetE1EEEvSY_.uses_flat_scratch, 0
	.set _ZN7rocprim17ROCPRIM_400000_NS6detail17trampoline_kernelINS0_14default_configENS1_29binary_search_config_selectorIfiEEZNS1_14transform_implILb0ES3_S5_N6thrust23THRUST_200600_302600_NS6detail15normal_iteratorINS8_7pointerIfNS8_11hip_rocprim9par_det_tENS8_11use_defaultESE_EEEENSA_INSB_IiSD_SE_SE_EEEEZNS1_13binary_searchIS3_S5_NSA_INS8_10device_ptrIfEEEESG_SI_NS1_16binary_search_opENS9_16wrapped_functionINS8_6system6detail7generic6detail18binary_search_lessEbEEEE10hipError_tPvRmT1_T2_T3_mmT4_T5_P12ihipStream_tbEUlRKfE_EESV_SZ_S10_mS11_S14_bEUlT_E_NS1_11comp_targetILNS1_3genE4ELNS1_11target_archE910ELNS1_3gpuE8ELNS1_3repE0EEENS1_30default_config_static_selectorELNS0_4arch9wavefront6targetE1EEEvSY_.has_dyn_sized_stack, 0
	.set _ZN7rocprim17ROCPRIM_400000_NS6detail17trampoline_kernelINS0_14default_configENS1_29binary_search_config_selectorIfiEEZNS1_14transform_implILb0ES3_S5_N6thrust23THRUST_200600_302600_NS6detail15normal_iteratorINS8_7pointerIfNS8_11hip_rocprim9par_det_tENS8_11use_defaultESE_EEEENSA_INSB_IiSD_SE_SE_EEEEZNS1_13binary_searchIS3_S5_NSA_INS8_10device_ptrIfEEEESG_SI_NS1_16binary_search_opENS9_16wrapped_functionINS8_6system6detail7generic6detail18binary_search_lessEbEEEE10hipError_tPvRmT1_T2_T3_mmT4_T5_P12ihipStream_tbEUlRKfE_EESV_SZ_S10_mS11_S14_bEUlT_E_NS1_11comp_targetILNS1_3genE4ELNS1_11target_archE910ELNS1_3gpuE8ELNS1_3repE0EEENS1_30default_config_static_selectorELNS0_4arch9wavefront6targetE1EEEvSY_.has_recursion, 0
	.set _ZN7rocprim17ROCPRIM_400000_NS6detail17trampoline_kernelINS0_14default_configENS1_29binary_search_config_selectorIfiEEZNS1_14transform_implILb0ES3_S5_N6thrust23THRUST_200600_302600_NS6detail15normal_iteratorINS8_7pointerIfNS8_11hip_rocprim9par_det_tENS8_11use_defaultESE_EEEENSA_INSB_IiSD_SE_SE_EEEEZNS1_13binary_searchIS3_S5_NSA_INS8_10device_ptrIfEEEESG_SI_NS1_16binary_search_opENS9_16wrapped_functionINS8_6system6detail7generic6detail18binary_search_lessEbEEEE10hipError_tPvRmT1_T2_T3_mmT4_T5_P12ihipStream_tbEUlRKfE_EESV_SZ_S10_mS11_S14_bEUlT_E_NS1_11comp_targetILNS1_3genE4ELNS1_11target_archE910ELNS1_3gpuE8ELNS1_3repE0EEENS1_30default_config_static_selectorELNS0_4arch9wavefront6targetE1EEEvSY_.has_indirect_call, 0
	.section	.AMDGPU.csdata,"",@progbits
; Kernel info:
; codeLenInByte = 0
; TotalNumSgprs: 4
; NumVgprs: 0
; ScratchSize: 0
; MemoryBound: 0
; FloatMode: 240
; IeeeMode: 1
; LDSByteSize: 0 bytes/workgroup (compile time only)
; SGPRBlocks: 0
; VGPRBlocks: 0
; NumSGPRsForWavesPerEU: 4
; NumVGPRsForWavesPerEU: 1
; Occupancy: 10
; WaveLimiterHint : 0
; COMPUTE_PGM_RSRC2:SCRATCH_EN: 0
; COMPUTE_PGM_RSRC2:USER_SGPR: 6
; COMPUTE_PGM_RSRC2:TRAP_HANDLER: 0
; COMPUTE_PGM_RSRC2:TGID_X_EN: 1
; COMPUTE_PGM_RSRC2:TGID_Y_EN: 0
; COMPUTE_PGM_RSRC2:TGID_Z_EN: 0
; COMPUTE_PGM_RSRC2:TIDIG_COMP_CNT: 0
	.section	.text._ZN7rocprim17ROCPRIM_400000_NS6detail17trampoline_kernelINS0_14default_configENS1_29binary_search_config_selectorIfiEEZNS1_14transform_implILb0ES3_S5_N6thrust23THRUST_200600_302600_NS6detail15normal_iteratorINS8_7pointerIfNS8_11hip_rocprim9par_det_tENS8_11use_defaultESE_EEEENSA_INSB_IiSD_SE_SE_EEEEZNS1_13binary_searchIS3_S5_NSA_INS8_10device_ptrIfEEEESG_SI_NS1_16binary_search_opENS9_16wrapped_functionINS8_6system6detail7generic6detail18binary_search_lessEbEEEE10hipError_tPvRmT1_T2_T3_mmT4_T5_P12ihipStream_tbEUlRKfE_EESV_SZ_S10_mS11_S14_bEUlT_E_NS1_11comp_targetILNS1_3genE3ELNS1_11target_archE908ELNS1_3gpuE7ELNS1_3repE0EEENS1_30default_config_static_selectorELNS0_4arch9wavefront6targetE1EEEvSY_,"axG",@progbits,_ZN7rocprim17ROCPRIM_400000_NS6detail17trampoline_kernelINS0_14default_configENS1_29binary_search_config_selectorIfiEEZNS1_14transform_implILb0ES3_S5_N6thrust23THRUST_200600_302600_NS6detail15normal_iteratorINS8_7pointerIfNS8_11hip_rocprim9par_det_tENS8_11use_defaultESE_EEEENSA_INSB_IiSD_SE_SE_EEEEZNS1_13binary_searchIS3_S5_NSA_INS8_10device_ptrIfEEEESG_SI_NS1_16binary_search_opENS9_16wrapped_functionINS8_6system6detail7generic6detail18binary_search_lessEbEEEE10hipError_tPvRmT1_T2_T3_mmT4_T5_P12ihipStream_tbEUlRKfE_EESV_SZ_S10_mS11_S14_bEUlT_E_NS1_11comp_targetILNS1_3genE3ELNS1_11target_archE908ELNS1_3gpuE7ELNS1_3repE0EEENS1_30default_config_static_selectorELNS0_4arch9wavefront6targetE1EEEvSY_,comdat
	.protected	_ZN7rocprim17ROCPRIM_400000_NS6detail17trampoline_kernelINS0_14default_configENS1_29binary_search_config_selectorIfiEEZNS1_14transform_implILb0ES3_S5_N6thrust23THRUST_200600_302600_NS6detail15normal_iteratorINS8_7pointerIfNS8_11hip_rocprim9par_det_tENS8_11use_defaultESE_EEEENSA_INSB_IiSD_SE_SE_EEEEZNS1_13binary_searchIS3_S5_NSA_INS8_10device_ptrIfEEEESG_SI_NS1_16binary_search_opENS9_16wrapped_functionINS8_6system6detail7generic6detail18binary_search_lessEbEEEE10hipError_tPvRmT1_T2_T3_mmT4_T5_P12ihipStream_tbEUlRKfE_EESV_SZ_S10_mS11_S14_bEUlT_E_NS1_11comp_targetILNS1_3genE3ELNS1_11target_archE908ELNS1_3gpuE7ELNS1_3repE0EEENS1_30default_config_static_selectorELNS0_4arch9wavefront6targetE1EEEvSY_ ; -- Begin function _ZN7rocprim17ROCPRIM_400000_NS6detail17trampoline_kernelINS0_14default_configENS1_29binary_search_config_selectorIfiEEZNS1_14transform_implILb0ES3_S5_N6thrust23THRUST_200600_302600_NS6detail15normal_iteratorINS8_7pointerIfNS8_11hip_rocprim9par_det_tENS8_11use_defaultESE_EEEENSA_INSB_IiSD_SE_SE_EEEEZNS1_13binary_searchIS3_S5_NSA_INS8_10device_ptrIfEEEESG_SI_NS1_16binary_search_opENS9_16wrapped_functionINS8_6system6detail7generic6detail18binary_search_lessEbEEEE10hipError_tPvRmT1_T2_T3_mmT4_T5_P12ihipStream_tbEUlRKfE_EESV_SZ_S10_mS11_S14_bEUlT_E_NS1_11comp_targetILNS1_3genE3ELNS1_11target_archE908ELNS1_3gpuE7ELNS1_3repE0EEENS1_30default_config_static_selectorELNS0_4arch9wavefront6targetE1EEEvSY_
	.globl	_ZN7rocprim17ROCPRIM_400000_NS6detail17trampoline_kernelINS0_14default_configENS1_29binary_search_config_selectorIfiEEZNS1_14transform_implILb0ES3_S5_N6thrust23THRUST_200600_302600_NS6detail15normal_iteratorINS8_7pointerIfNS8_11hip_rocprim9par_det_tENS8_11use_defaultESE_EEEENSA_INSB_IiSD_SE_SE_EEEEZNS1_13binary_searchIS3_S5_NSA_INS8_10device_ptrIfEEEESG_SI_NS1_16binary_search_opENS9_16wrapped_functionINS8_6system6detail7generic6detail18binary_search_lessEbEEEE10hipError_tPvRmT1_T2_T3_mmT4_T5_P12ihipStream_tbEUlRKfE_EESV_SZ_S10_mS11_S14_bEUlT_E_NS1_11comp_targetILNS1_3genE3ELNS1_11target_archE908ELNS1_3gpuE7ELNS1_3repE0EEENS1_30default_config_static_selectorELNS0_4arch9wavefront6targetE1EEEvSY_
	.p2align	8
	.type	_ZN7rocprim17ROCPRIM_400000_NS6detail17trampoline_kernelINS0_14default_configENS1_29binary_search_config_selectorIfiEEZNS1_14transform_implILb0ES3_S5_N6thrust23THRUST_200600_302600_NS6detail15normal_iteratorINS8_7pointerIfNS8_11hip_rocprim9par_det_tENS8_11use_defaultESE_EEEENSA_INSB_IiSD_SE_SE_EEEEZNS1_13binary_searchIS3_S5_NSA_INS8_10device_ptrIfEEEESG_SI_NS1_16binary_search_opENS9_16wrapped_functionINS8_6system6detail7generic6detail18binary_search_lessEbEEEE10hipError_tPvRmT1_T2_T3_mmT4_T5_P12ihipStream_tbEUlRKfE_EESV_SZ_S10_mS11_S14_bEUlT_E_NS1_11comp_targetILNS1_3genE3ELNS1_11target_archE908ELNS1_3gpuE7ELNS1_3repE0EEENS1_30default_config_static_selectorELNS0_4arch9wavefront6targetE1EEEvSY_,@function
_ZN7rocprim17ROCPRIM_400000_NS6detail17trampoline_kernelINS0_14default_configENS1_29binary_search_config_selectorIfiEEZNS1_14transform_implILb0ES3_S5_N6thrust23THRUST_200600_302600_NS6detail15normal_iteratorINS8_7pointerIfNS8_11hip_rocprim9par_det_tENS8_11use_defaultESE_EEEENSA_INSB_IiSD_SE_SE_EEEEZNS1_13binary_searchIS3_S5_NSA_INS8_10device_ptrIfEEEESG_SI_NS1_16binary_search_opENS9_16wrapped_functionINS8_6system6detail7generic6detail18binary_search_lessEbEEEE10hipError_tPvRmT1_T2_T3_mmT4_T5_P12ihipStream_tbEUlRKfE_EESV_SZ_S10_mS11_S14_bEUlT_E_NS1_11comp_targetILNS1_3genE3ELNS1_11target_archE908ELNS1_3gpuE7ELNS1_3repE0EEENS1_30default_config_static_selectorELNS0_4arch9wavefront6targetE1EEEvSY_: ; @_ZN7rocprim17ROCPRIM_400000_NS6detail17trampoline_kernelINS0_14default_configENS1_29binary_search_config_selectorIfiEEZNS1_14transform_implILb0ES3_S5_N6thrust23THRUST_200600_302600_NS6detail15normal_iteratorINS8_7pointerIfNS8_11hip_rocprim9par_det_tENS8_11use_defaultESE_EEEENSA_INSB_IiSD_SE_SE_EEEEZNS1_13binary_searchIS3_S5_NSA_INS8_10device_ptrIfEEEESG_SI_NS1_16binary_search_opENS9_16wrapped_functionINS8_6system6detail7generic6detail18binary_search_lessEbEEEE10hipError_tPvRmT1_T2_T3_mmT4_T5_P12ihipStream_tbEUlRKfE_EESV_SZ_S10_mS11_S14_bEUlT_E_NS1_11comp_targetILNS1_3genE3ELNS1_11target_archE908ELNS1_3gpuE7ELNS1_3repE0EEENS1_30default_config_static_selectorELNS0_4arch9wavefront6targetE1EEEvSY_
; %bb.0:
	.section	.rodata,"a",@progbits
	.p2align	6, 0x0
	.amdhsa_kernel _ZN7rocprim17ROCPRIM_400000_NS6detail17trampoline_kernelINS0_14default_configENS1_29binary_search_config_selectorIfiEEZNS1_14transform_implILb0ES3_S5_N6thrust23THRUST_200600_302600_NS6detail15normal_iteratorINS8_7pointerIfNS8_11hip_rocprim9par_det_tENS8_11use_defaultESE_EEEENSA_INSB_IiSD_SE_SE_EEEEZNS1_13binary_searchIS3_S5_NSA_INS8_10device_ptrIfEEEESG_SI_NS1_16binary_search_opENS9_16wrapped_functionINS8_6system6detail7generic6detail18binary_search_lessEbEEEE10hipError_tPvRmT1_T2_T3_mmT4_T5_P12ihipStream_tbEUlRKfE_EESV_SZ_S10_mS11_S14_bEUlT_E_NS1_11comp_targetILNS1_3genE3ELNS1_11target_archE908ELNS1_3gpuE7ELNS1_3repE0EEENS1_30default_config_static_selectorELNS0_4arch9wavefront6targetE1EEEvSY_
		.amdhsa_group_segment_fixed_size 0
		.amdhsa_private_segment_fixed_size 0
		.amdhsa_kernarg_size 56
		.amdhsa_user_sgpr_count 6
		.amdhsa_user_sgpr_private_segment_buffer 1
		.amdhsa_user_sgpr_dispatch_ptr 0
		.amdhsa_user_sgpr_queue_ptr 0
		.amdhsa_user_sgpr_kernarg_segment_ptr 1
		.amdhsa_user_sgpr_dispatch_id 0
		.amdhsa_user_sgpr_flat_scratch_init 0
		.amdhsa_user_sgpr_private_segment_size 0
		.amdhsa_uses_dynamic_stack 0
		.amdhsa_system_sgpr_private_segment_wavefront_offset 0
		.amdhsa_system_sgpr_workgroup_id_x 1
		.amdhsa_system_sgpr_workgroup_id_y 0
		.amdhsa_system_sgpr_workgroup_id_z 0
		.amdhsa_system_sgpr_workgroup_info 0
		.amdhsa_system_vgpr_workitem_id 0
		.amdhsa_next_free_vgpr 1
		.amdhsa_next_free_sgpr 0
		.amdhsa_reserve_vcc 0
		.amdhsa_reserve_flat_scratch 0
		.amdhsa_float_round_mode_32 0
		.amdhsa_float_round_mode_16_64 0
		.amdhsa_float_denorm_mode_32 3
		.amdhsa_float_denorm_mode_16_64 3
		.amdhsa_dx10_clamp 1
		.amdhsa_ieee_mode 1
		.amdhsa_fp16_overflow 0
		.amdhsa_exception_fp_ieee_invalid_op 0
		.amdhsa_exception_fp_denorm_src 0
		.amdhsa_exception_fp_ieee_div_zero 0
		.amdhsa_exception_fp_ieee_overflow 0
		.amdhsa_exception_fp_ieee_underflow 0
		.amdhsa_exception_fp_ieee_inexact 0
		.amdhsa_exception_int_div_zero 0
	.end_amdhsa_kernel
	.section	.text._ZN7rocprim17ROCPRIM_400000_NS6detail17trampoline_kernelINS0_14default_configENS1_29binary_search_config_selectorIfiEEZNS1_14transform_implILb0ES3_S5_N6thrust23THRUST_200600_302600_NS6detail15normal_iteratorINS8_7pointerIfNS8_11hip_rocprim9par_det_tENS8_11use_defaultESE_EEEENSA_INSB_IiSD_SE_SE_EEEEZNS1_13binary_searchIS3_S5_NSA_INS8_10device_ptrIfEEEESG_SI_NS1_16binary_search_opENS9_16wrapped_functionINS8_6system6detail7generic6detail18binary_search_lessEbEEEE10hipError_tPvRmT1_T2_T3_mmT4_T5_P12ihipStream_tbEUlRKfE_EESV_SZ_S10_mS11_S14_bEUlT_E_NS1_11comp_targetILNS1_3genE3ELNS1_11target_archE908ELNS1_3gpuE7ELNS1_3repE0EEENS1_30default_config_static_selectorELNS0_4arch9wavefront6targetE1EEEvSY_,"axG",@progbits,_ZN7rocprim17ROCPRIM_400000_NS6detail17trampoline_kernelINS0_14default_configENS1_29binary_search_config_selectorIfiEEZNS1_14transform_implILb0ES3_S5_N6thrust23THRUST_200600_302600_NS6detail15normal_iteratorINS8_7pointerIfNS8_11hip_rocprim9par_det_tENS8_11use_defaultESE_EEEENSA_INSB_IiSD_SE_SE_EEEEZNS1_13binary_searchIS3_S5_NSA_INS8_10device_ptrIfEEEESG_SI_NS1_16binary_search_opENS9_16wrapped_functionINS8_6system6detail7generic6detail18binary_search_lessEbEEEE10hipError_tPvRmT1_T2_T3_mmT4_T5_P12ihipStream_tbEUlRKfE_EESV_SZ_S10_mS11_S14_bEUlT_E_NS1_11comp_targetILNS1_3genE3ELNS1_11target_archE908ELNS1_3gpuE7ELNS1_3repE0EEENS1_30default_config_static_selectorELNS0_4arch9wavefront6targetE1EEEvSY_,comdat
.Lfunc_end647:
	.size	_ZN7rocprim17ROCPRIM_400000_NS6detail17trampoline_kernelINS0_14default_configENS1_29binary_search_config_selectorIfiEEZNS1_14transform_implILb0ES3_S5_N6thrust23THRUST_200600_302600_NS6detail15normal_iteratorINS8_7pointerIfNS8_11hip_rocprim9par_det_tENS8_11use_defaultESE_EEEENSA_INSB_IiSD_SE_SE_EEEEZNS1_13binary_searchIS3_S5_NSA_INS8_10device_ptrIfEEEESG_SI_NS1_16binary_search_opENS9_16wrapped_functionINS8_6system6detail7generic6detail18binary_search_lessEbEEEE10hipError_tPvRmT1_T2_T3_mmT4_T5_P12ihipStream_tbEUlRKfE_EESV_SZ_S10_mS11_S14_bEUlT_E_NS1_11comp_targetILNS1_3genE3ELNS1_11target_archE908ELNS1_3gpuE7ELNS1_3repE0EEENS1_30default_config_static_selectorELNS0_4arch9wavefront6targetE1EEEvSY_, .Lfunc_end647-_ZN7rocprim17ROCPRIM_400000_NS6detail17trampoline_kernelINS0_14default_configENS1_29binary_search_config_selectorIfiEEZNS1_14transform_implILb0ES3_S5_N6thrust23THRUST_200600_302600_NS6detail15normal_iteratorINS8_7pointerIfNS8_11hip_rocprim9par_det_tENS8_11use_defaultESE_EEEENSA_INSB_IiSD_SE_SE_EEEEZNS1_13binary_searchIS3_S5_NSA_INS8_10device_ptrIfEEEESG_SI_NS1_16binary_search_opENS9_16wrapped_functionINS8_6system6detail7generic6detail18binary_search_lessEbEEEE10hipError_tPvRmT1_T2_T3_mmT4_T5_P12ihipStream_tbEUlRKfE_EESV_SZ_S10_mS11_S14_bEUlT_E_NS1_11comp_targetILNS1_3genE3ELNS1_11target_archE908ELNS1_3gpuE7ELNS1_3repE0EEENS1_30default_config_static_selectorELNS0_4arch9wavefront6targetE1EEEvSY_
                                        ; -- End function
	.set _ZN7rocprim17ROCPRIM_400000_NS6detail17trampoline_kernelINS0_14default_configENS1_29binary_search_config_selectorIfiEEZNS1_14transform_implILb0ES3_S5_N6thrust23THRUST_200600_302600_NS6detail15normal_iteratorINS8_7pointerIfNS8_11hip_rocprim9par_det_tENS8_11use_defaultESE_EEEENSA_INSB_IiSD_SE_SE_EEEEZNS1_13binary_searchIS3_S5_NSA_INS8_10device_ptrIfEEEESG_SI_NS1_16binary_search_opENS9_16wrapped_functionINS8_6system6detail7generic6detail18binary_search_lessEbEEEE10hipError_tPvRmT1_T2_T3_mmT4_T5_P12ihipStream_tbEUlRKfE_EESV_SZ_S10_mS11_S14_bEUlT_E_NS1_11comp_targetILNS1_3genE3ELNS1_11target_archE908ELNS1_3gpuE7ELNS1_3repE0EEENS1_30default_config_static_selectorELNS0_4arch9wavefront6targetE1EEEvSY_.num_vgpr, 0
	.set _ZN7rocprim17ROCPRIM_400000_NS6detail17trampoline_kernelINS0_14default_configENS1_29binary_search_config_selectorIfiEEZNS1_14transform_implILb0ES3_S5_N6thrust23THRUST_200600_302600_NS6detail15normal_iteratorINS8_7pointerIfNS8_11hip_rocprim9par_det_tENS8_11use_defaultESE_EEEENSA_INSB_IiSD_SE_SE_EEEEZNS1_13binary_searchIS3_S5_NSA_INS8_10device_ptrIfEEEESG_SI_NS1_16binary_search_opENS9_16wrapped_functionINS8_6system6detail7generic6detail18binary_search_lessEbEEEE10hipError_tPvRmT1_T2_T3_mmT4_T5_P12ihipStream_tbEUlRKfE_EESV_SZ_S10_mS11_S14_bEUlT_E_NS1_11comp_targetILNS1_3genE3ELNS1_11target_archE908ELNS1_3gpuE7ELNS1_3repE0EEENS1_30default_config_static_selectorELNS0_4arch9wavefront6targetE1EEEvSY_.num_agpr, 0
	.set _ZN7rocprim17ROCPRIM_400000_NS6detail17trampoline_kernelINS0_14default_configENS1_29binary_search_config_selectorIfiEEZNS1_14transform_implILb0ES3_S5_N6thrust23THRUST_200600_302600_NS6detail15normal_iteratorINS8_7pointerIfNS8_11hip_rocprim9par_det_tENS8_11use_defaultESE_EEEENSA_INSB_IiSD_SE_SE_EEEEZNS1_13binary_searchIS3_S5_NSA_INS8_10device_ptrIfEEEESG_SI_NS1_16binary_search_opENS9_16wrapped_functionINS8_6system6detail7generic6detail18binary_search_lessEbEEEE10hipError_tPvRmT1_T2_T3_mmT4_T5_P12ihipStream_tbEUlRKfE_EESV_SZ_S10_mS11_S14_bEUlT_E_NS1_11comp_targetILNS1_3genE3ELNS1_11target_archE908ELNS1_3gpuE7ELNS1_3repE0EEENS1_30default_config_static_selectorELNS0_4arch9wavefront6targetE1EEEvSY_.numbered_sgpr, 0
	.set _ZN7rocprim17ROCPRIM_400000_NS6detail17trampoline_kernelINS0_14default_configENS1_29binary_search_config_selectorIfiEEZNS1_14transform_implILb0ES3_S5_N6thrust23THRUST_200600_302600_NS6detail15normal_iteratorINS8_7pointerIfNS8_11hip_rocprim9par_det_tENS8_11use_defaultESE_EEEENSA_INSB_IiSD_SE_SE_EEEEZNS1_13binary_searchIS3_S5_NSA_INS8_10device_ptrIfEEEESG_SI_NS1_16binary_search_opENS9_16wrapped_functionINS8_6system6detail7generic6detail18binary_search_lessEbEEEE10hipError_tPvRmT1_T2_T3_mmT4_T5_P12ihipStream_tbEUlRKfE_EESV_SZ_S10_mS11_S14_bEUlT_E_NS1_11comp_targetILNS1_3genE3ELNS1_11target_archE908ELNS1_3gpuE7ELNS1_3repE0EEENS1_30default_config_static_selectorELNS0_4arch9wavefront6targetE1EEEvSY_.num_named_barrier, 0
	.set _ZN7rocprim17ROCPRIM_400000_NS6detail17trampoline_kernelINS0_14default_configENS1_29binary_search_config_selectorIfiEEZNS1_14transform_implILb0ES3_S5_N6thrust23THRUST_200600_302600_NS6detail15normal_iteratorINS8_7pointerIfNS8_11hip_rocprim9par_det_tENS8_11use_defaultESE_EEEENSA_INSB_IiSD_SE_SE_EEEEZNS1_13binary_searchIS3_S5_NSA_INS8_10device_ptrIfEEEESG_SI_NS1_16binary_search_opENS9_16wrapped_functionINS8_6system6detail7generic6detail18binary_search_lessEbEEEE10hipError_tPvRmT1_T2_T3_mmT4_T5_P12ihipStream_tbEUlRKfE_EESV_SZ_S10_mS11_S14_bEUlT_E_NS1_11comp_targetILNS1_3genE3ELNS1_11target_archE908ELNS1_3gpuE7ELNS1_3repE0EEENS1_30default_config_static_selectorELNS0_4arch9wavefront6targetE1EEEvSY_.private_seg_size, 0
	.set _ZN7rocprim17ROCPRIM_400000_NS6detail17trampoline_kernelINS0_14default_configENS1_29binary_search_config_selectorIfiEEZNS1_14transform_implILb0ES3_S5_N6thrust23THRUST_200600_302600_NS6detail15normal_iteratorINS8_7pointerIfNS8_11hip_rocprim9par_det_tENS8_11use_defaultESE_EEEENSA_INSB_IiSD_SE_SE_EEEEZNS1_13binary_searchIS3_S5_NSA_INS8_10device_ptrIfEEEESG_SI_NS1_16binary_search_opENS9_16wrapped_functionINS8_6system6detail7generic6detail18binary_search_lessEbEEEE10hipError_tPvRmT1_T2_T3_mmT4_T5_P12ihipStream_tbEUlRKfE_EESV_SZ_S10_mS11_S14_bEUlT_E_NS1_11comp_targetILNS1_3genE3ELNS1_11target_archE908ELNS1_3gpuE7ELNS1_3repE0EEENS1_30default_config_static_selectorELNS0_4arch9wavefront6targetE1EEEvSY_.uses_vcc, 0
	.set _ZN7rocprim17ROCPRIM_400000_NS6detail17trampoline_kernelINS0_14default_configENS1_29binary_search_config_selectorIfiEEZNS1_14transform_implILb0ES3_S5_N6thrust23THRUST_200600_302600_NS6detail15normal_iteratorINS8_7pointerIfNS8_11hip_rocprim9par_det_tENS8_11use_defaultESE_EEEENSA_INSB_IiSD_SE_SE_EEEEZNS1_13binary_searchIS3_S5_NSA_INS8_10device_ptrIfEEEESG_SI_NS1_16binary_search_opENS9_16wrapped_functionINS8_6system6detail7generic6detail18binary_search_lessEbEEEE10hipError_tPvRmT1_T2_T3_mmT4_T5_P12ihipStream_tbEUlRKfE_EESV_SZ_S10_mS11_S14_bEUlT_E_NS1_11comp_targetILNS1_3genE3ELNS1_11target_archE908ELNS1_3gpuE7ELNS1_3repE0EEENS1_30default_config_static_selectorELNS0_4arch9wavefront6targetE1EEEvSY_.uses_flat_scratch, 0
	.set _ZN7rocprim17ROCPRIM_400000_NS6detail17trampoline_kernelINS0_14default_configENS1_29binary_search_config_selectorIfiEEZNS1_14transform_implILb0ES3_S5_N6thrust23THRUST_200600_302600_NS6detail15normal_iteratorINS8_7pointerIfNS8_11hip_rocprim9par_det_tENS8_11use_defaultESE_EEEENSA_INSB_IiSD_SE_SE_EEEEZNS1_13binary_searchIS3_S5_NSA_INS8_10device_ptrIfEEEESG_SI_NS1_16binary_search_opENS9_16wrapped_functionINS8_6system6detail7generic6detail18binary_search_lessEbEEEE10hipError_tPvRmT1_T2_T3_mmT4_T5_P12ihipStream_tbEUlRKfE_EESV_SZ_S10_mS11_S14_bEUlT_E_NS1_11comp_targetILNS1_3genE3ELNS1_11target_archE908ELNS1_3gpuE7ELNS1_3repE0EEENS1_30default_config_static_selectorELNS0_4arch9wavefront6targetE1EEEvSY_.has_dyn_sized_stack, 0
	.set _ZN7rocprim17ROCPRIM_400000_NS6detail17trampoline_kernelINS0_14default_configENS1_29binary_search_config_selectorIfiEEZNS1_14transform_implILb0ES3_S5_N6thrust23THRUST_200600_302600_NS6detail15normal_iteratorINS8_7pointerIfNS8_11hip_rocprim9par_det_tENS8_11use_defaultESE_EEEENSA_INSB_IiSD_SE_SE_EEEEZNS1_13binary_searchIS3_S5_NSA_INS8_10device_ptrIfEEEESG_SI_NS1_16binary_search_opENS9_16wrapped_functionINS8_6system6detail7generic6detail18binary_search_lessEbEEEE10hipError_tPvRmT1_T2_T3_mmT4_T5_P12ihipStream_tbEUlRKfE_EESV_SZ_S10_mS11_S14_bEUlT_E_NS1_11comp_targetILNS1_3genE3ELNS1_11target_archE908ELNS1_3gpuE7ELNS1_3repE0EEENS1_30default_config_static_selectorELNS0_4arch9wavefront6targetE1EEEvSY_.has_recursion, 0
	.set _ZN7rocprim17ROCPRIM_400000_NS6detail17trampoline_kernelINS0_14default_configENS1_29binary_search_config_selectorIfiEEZNS1_14transform_implILb0ES3_S5_N6thrust23THRUST_200600_302600_NS6detail15normal_iteratorINS8_7pointerIfNS8_11hip_rocprim9par_det_tENS8_11use_defaultESE_EEEENSA_INSB_IiSD_SE_SE_EEEEZNS1_13binary_searchIS3_S5_NSA_INS8_10device_ptrIfEEEESG_SI_NS1_16binary_search_opENS9_16wrapped_functionINS8_6system6detail7generic6detail18binary_search_lessEbEEEE10hipError_tPvRmT1_T2_T3_mmT4_T5_P12ihipStream_tbEUlRKfE_EESV_SZ_S10_mS11_S14_bEUlT_E_NS1_11comp_targetILNS1_3genE3ELNS1_11target_archE908ELNS1_3gpuE7ELNS1_3repE0EEENS1_30default_config_static_selectorELNS0_4arch9wavefront6targetE1EEEvSY_.has_indirect_call, 0
	.section	.AMDGPU.csdata,"",@progbits
; Kernel info:
; codeLenInByte = 0
; TotalNumSgprs: 4
; NumVgprs: 0
; ScratchSize: 0
; MemoryBound: 0
; FloatMode: 240
; IeeeMode: 1
; LDSByteSize: 0 bytes/workgroup (compile time only)
; SGPRBlocks: 0
; VGPRBlocks: 0
; NumSGPRsForWavesPerEU: 4
; NumVGPRsForWavesPerEU: 1
; Occupancy: 10
; WaveLimiterHint : 0
; COMPUTE_PGM_RSRC2:SCRATCH_EN: 0
; COMPUTE_PGM_RSRC2:USER_SGPR: 6
; COMPUTE_PGM_RSRC2:TRAP_HANDLER: 0
; COMPUTE_PGM_RSRC2:TGID_X_EN: 1
; COMPUTE_PGM_RSRC2:TGID_Y_EN: 0
; COMPUTE_PGM_RSRC2:TGID_Z_EN: 0
; COMPUTE_PGM_RSRC2:TIDIG_COMP_CNT: 0
	.section	.text._ZN7rocprim17ROCPRIM_400000_NS6detail17trampoline_kernelINS0_14default_configENS1_29binary_search_config_selectorIfiEEZNS1_14transform_implILb0ES3_S5_N6thrust23THRUST_200600_302600_NS6detail15normal_iteratorINS8_7pointerIfNS8_11hip_rocprim9par_det_tENS8_11use_defaultESE_EEEENSA_INSB_IiSD_SE_SE_EEEEZNS1_13binary_searchIS3_S5_NSA_INS8_10device_ptrIfEEEESG_SI_NS1_16binary_search_opENS9_16wrapped_functionINS8_6system6detail7generic6detail18binary_search_lessEbEEEE10hipError_tPvRmT1_T2_T3_mmT4_T5_P12ihipStream_tbEUlRKfE_EESV_SZ_S10_mS11_S14_bEUlT_E_NS1_11comp_targetILNS1_3genE2ELNS1_11target_archE906ELNS1_3gpuE6ELNS1_3repE0EEENS1_30default_config_static_selectorELNS0_4arch9wavefront6targetE1EEEvSY_,"axG",@progbits,_ZN7rocprim17ROCPRIM_400000_NS6detail17trampoline_kernelINS0_14default_configENS1_29binary_search_config_selectorIfiEEZNS1_14transform_implILb0ES3_S5_N6thrust23THRUST_200600_302600_NS6detail15normal_iteratorINS8_7pointerIfNS8_11hip_rocprim9par_det_tENS8_11use_defaultESE_EEEENSA_INSB_IiSD_SE_SE_EEEEZNS1_13binary_searchIS3_S5_NSA_INS8_10device_ptrIfEEEESG_SI_NS1_16binary_search_opENS9_16wrapped_functionINS8_6system6detail7generic6detail18binary_search_lessEbEEEE10hipError_tPvRmT1_T2_T3_mmT4_T5_P12ihipStream_tbEUlRKfE_EESV_SZ_S10_mS11_S14_bEUlT_E_NS1_11comp_targetILNS1_3genE2ELNS1_11target_archE906ELNS1_3gpuE6ELNS1_3repE0EEENS1_30default_config_static_selectorELNS0_4arch9wavefront6targetE1EEEvSY_,comdat
	.protected	_ZN7rocprim17ROCPRIM_400000_NS6detail17trampoline_kernelINS0_14default_configENS1_29binary_search_config_selectorIfiEEZNS1_14transform_implILb0ES3_S5_N6thrust23THRUST_200600_302600_NS6detail15normal_iteratorINS8_7pointerIfNS8_11hip_rocprim9par_det_tENS8_11use_defaultESE_EEEENSA_INSB_IiSD_SE_SE_EEEEZNS1_13binary_searchIS3_S5_NSA_INS8_10device_ptrIfEEEESG_SI_NS1_16binary_search_opENS9_16wrapped_functionINS8_6system6detail7generic6detail18binary_search_lessEbEEEE10hipError_tPvRmT1_T2_T3_mmT4_T5_P12ihipStream_tbEUlRKfE_EESV_SZ_S10_mS11_S14_bEUlT_E_NS1_11comp_targetILNS1_3genE2ELNS1_11target_archE906ELNS1_3gpuE6ELNS1_3repE0EEENS1_30default_config_static_selectorELNS0_4arch9wavefront6targetE1EEEvSY_ ; -- Begin function _ZN7rocprim17ROCPRIM_400000_NS6detail17trampoline_kernelINS0_14default_configENS1_29binary_search_config_selectorIfiEEZNS1_14transform_implILb0ES3_S5_N6thrust23THRUST_200600_302600_NS6detail15normal_iteratorINS8_7pointerIfNS8_11hip_rocprim9par_det_tENS8_11use_defaultESE_EEEENSA_INSB_IiSD_SE_SE_EEEEZNS1_13binary_searchIS3_S5_NSA_INS8_10device_ptrIfEEEESG_SI_NS1_16binary_search_opENS9_16wrapped_functionINS8_6system6detail7generic6detail18binary_search_lessEbEEEE10hipError_tPvRmT1_T2_T3_mmT4_T5_P12ihipStream_tbEUlRKfE_EESV_SZ_S10_mS11_S14_bEUlT_E_NS1_11comp_targetILNS1_3genE2ELNS1_11target_archE906ELNS1_3gpuE6ELNS1_3repE0EEENS1_30default_config_static_selectorELNS0_4arch9wavefront6targetE1EEEvSY_
	.globl	_ZN7rocprim17ROCPRIM_400000_NS6detail17trampoline_kernelINS0_14default_configENS1_29binary_search_config_selectorIfiEEZNS1_14transform_implILb0ES3_S5_N6thrust23THRUST_200600_302600_NS6detail15normal_iteratorINS8_7pointerIfNS8_11hip_rocprim9par_det_tENS8_11use_defaultESE_EEEENSA_INSB_IiSD_SE_SE_EEEEZNS1_13binary_searchIS3_S5_NSA_INS8_10device_ptrIfEEEESG_SI_NS1_16binary_search_opENS9_16wrapped_functionINS8_6system6detail7generic6detail18binary_search_lessEbEEEE10hipError_tPvRmT1_T2_T3_mmT4_T5_P12ihipStream_tbEUlRKfE_EESV_SZ_S10_mS11_S14_bEUlT_E_NS1_11comp_targetILNS1_3genE2ELNS1_11target_archE906ELNS1_3gpuE6ELNS1_3repE0EEENS1_30default_config_static_selectorELNS0_4arch9wavefront6targetE1EEEvSY_
	.p2align	8
	.type	_ZN7rocprim17ROCPRIM_400000_NS6detail17trampoline_kernelINS0_14default_configENS1_29binary_search_config_selectorIfiEEZNS1_14transform_implILb0ES3_S5_N6thrust23THRUST_200600_302600_NS6detail15normal_iteratorINS8_7pointerIfNS8_11hip_rocprim9par_det_tENS8_11use_defaultESE_EEEENSA_INSB_IiSD_SE_SE_EEEEZNS1_13binary_searchIS3_S5_NSA_INS8_10device_ptrIfEEEESG_SI_NS1_16binary_search_opENS9_16wrapped_functionINS8_6system6detail7generic6detail18binary_search_lessEbEEEE10hipError_tPvRmT1_T2_T3_mmT4_T5_P12ihipStream_tbEUlRKfE_EESV_SZ_S10_mS11_S14_bEUlT_E_NS1_11comp_targetILNS1_3genE2ELNS1_11target_archE906ELNS1_3gpuE6ELNS1_3repE0EEENS1_30default_config_static_selectorELNS0_4arch9wavefront6targetE1EEEvSY_,@function
_ZN7rocprim17ROCPRIM_400000_NS6detail17trampoline_kernelINS0_14default_configENS1_29binary_search_config_selectorIfiEEZNS1_14transform_implILb0ES3_S5_N6thrust23THRUST_200600_302600_NS6detail15normal_iteratorINS8_7pointerIfNS8_11hip_rocprim9par_det_tENS8_11use_defaultESE_EEEENSA_INSB_IiSD_SE_SE_EEEEZNS1_13binary_searchIS3_S5_NSA_INS8_10device_ptrIfEEEESG_SI_NS1_16binary_search_opENS9_16wrapped_functionINS8_6system6detail7generic6detail18binary_search_lessEbEEEE10hipError_tPvRmT1_T2_T3_mmT4_T5_P12ihipStream_tbEUlRKfE_EESV_SZ_S10_mS11_S14_bEUlT_E_NS1_11comp_targetILNS1_3genE2ELNS1_11target_archE906ELNS1_3gpuE6ELNS1_3repE0EEENS1_30default_config_static_selectorELNS0_4arch9wavefront6targetE1EEEvSY_: ; @_ZN7rocprim17ROCPRIM_400000_NS6detail17trampoline_kernelINS0_14default_configENS1_29binary_search_config_selectorIfiEEZNS1_14transform_implILb0ES3_S5_N6thrust23THRUST_200600_302600_NS6detail15normal_iteratorINS8_7pointerIfNS8_11hip_rocprim9par_det_tENS8_11use_defaultESE_EEEENSA_INSB_IiSD_SE_SE_EEEEZNS1_13binary_searchIS3_S5_NSA_INS8_10device_ptrIfEEEESG_SI_NS1_16binary_search_opENS9_16wrapped_functionINS8_6system6detail7generic6detail18binary_search_lessEbEEEE10hipError_tPvRmT1_T2_T3_mmT4_T5_P12ihipStream_tbEUlRKfE_EESV_SZ_S10_mS11_S14_bEUlT_E_NS1_11comp_targetILNS1_3genE2ELNS1_11target_archE906ELNS1_3gpuE6ELNS1_3repE0EEENS1_30default_config_static_selectorELNS0_4arch9wavefront6targetE1EEEvSY_
; %bb.0:
	s_load_dwordx4 s[12:15], s[4:5], 0x0
	s_load_dwordx4 s[8:11], s[4:5], 0x18
	s_load_dwordx2 s[0:1], s[4:5], 0x28
	s_load_dword s7, s[4:5], 0x38
	s_waitcnt lgkmcnt(0)
	s_lshl_b64 s[2:3], s[14:15], 2
	s_add_u32 s18, s12, s2
	s_addc_u32 s19, s13, s3
	s_lshl_b32 s12, s6, 8
	s_add_i32 s7, s7, -1
	s_cmp_lg_u32 s6, s7
	s_mov_b32 s13, 0
	s_cbranch_scc0 .LBB648_6
; %bb.1:
	s_lshl_b64 s[6:7], s[12:13], 2
	s_add_u32 s6, s18, s6
	s_addc_u32 s7, s19, s7
	v_lshlrev_b32_e32 v1, 2, v0
	v_mov_b32_e32 v2, s7
	v_add_co_u32_e32 v1, vcc, s6, v1
	v_addc_co_u32_e32 v2, vcc, 0, v2, vcc
	flat_load_dword v6, v[1:2]
	v_mov_b32_e32 v2, 0
	v_mov_b32_e32 v1, 0
	s_cmp_eq_u64 s[0:1], 0
	s_mov_b64 s[6:7], 0
	v_mov_b32_e32 v3, 0
	s_cbranch_scc1 .LBB648_5
; %bb.2:
	v_mov_b32_e32 v5, s1
	v_mov_b32_e32 v4, s0
	;; [unrolled: 1-line block ×3, first 2 shown]
.LBB648_3:                              ; =>This Inner Loop Header: Depth=1
	v_sub_co_u32_e32 v8, vcc, v4, v2
	v_subb_co_u32_e32 v9, vcc, v5, v3, vcc
	v_lshrrev_b64 v[10:11], 1, v[8:9]
	v_lshrrev_b64 v[8:9], 6, v[8:9]
	v_add_co_u32_e32 v10, vcc, v10, v2
	v_addc_co_u32_e32 v11, vcc, v11, v3, vcc
	v_add_co_u32_e32 v8, vcc, v10, v8
	v_addc_co_u32_e32 v9, vcc, v11, v9, vcc
	v_lshlrev_b64 v[10:11], 2, v[8:9]
	v_add_co_u32_e32 v10, vcc, s10, v10
	v_addc_co_u32_e32 v11, vcc, v7, v11, vcc
	global_load_dword v10, v[10:11], off
	v_add_co_u32_e32 v11, vcc, 1, v8
	v_addc_co_u32_e32 v12, vcc, 0, v9, vcc
	s_waitcnt vmcnt(0) lgkmcnt(0)
	v_cmp_lt_f32_e32 vcc, v10, v6
	v_cndmask_b32_e32 v5, v9, v5, vcc
	v_cndmask_b32_e32 v4, v8, v4, vcc
	;; [unrolled: 1-line block ×4, first 2 shown]
	v_cmp_ge_u64_e32 vcc, v[2:3], v[4:5]
	s_or_b64 s[6:7], vcc, s[6:7]
	s_andn2_b64 exec, exec, s[6:7]
	s_cbranch_execnz .LBB648_3
; %bb.4:
	s_or_b64 exec, exec, s[6:7]
.LBB648_5:
	v_cmp_eq_u64_e64 s[6:7], s[0:1], v[2:3]
	v_cmp_ne_u64_e64 s[14:15], s[0:1], v[2:3]
	s_branch .LBB648_14
.LBB648_6:
	s_mov_b64 s[14:15], 0
	s_mov_b64 s[6:7], 0
                                        ; implicit-def: $vgpr6
                                        ; implicit-def: $vgpr2_vgpr3
	s_cbranch_execz .LBB648_14
; %bb.7:
	s_load_dword s4, s[4:5], 0x10
                                        ; implicit-def: $vgpr6
                                        ; implicit-def: $vgpr2_vgpr3
	s_waitcnt lgkmcnt(0)
	s_sub_i32 s4, s4, s12
	v_cmp_gt_u32_e32 vcc, s4, v0
	s_and_saveexec_b64 s[4:5], vcc
	s_cbranch_execz .LBB648_13
; %bb.8:
	s_lshl_b64 s[16:17], s[12:13], 2
	s_add_u32 s16, s18, s16
	s_addc_u32 s17, s19, s17
	v_lshlrev_b32_e32 v1, 2, v0
	v_mov_b32_e32 v2, s17
	v_add_co_u32_e32 v1, vcc, s16, v1
	v_addc_co_u32_e32 v2, vcc, 0, v2, vcc
	s_waitcnt vmcnt(0)
	flat_load_dword v6, v[1:2]
	v_mov_b32_e32 v2, 0
	v_mov_b32_e32 v1, 0
	s_cmp_eq_u64 s[0:1], 0
	s_mov_b64 s[16:17], 0
	v_mov_b32_e32 v3, 0
	s_cbranch_scc1 .LBB648_12
; %bb.9:
	v_mov_b32_e32 v5, s1
	v_mov_b32_e32 v4, s0
	;; [unrolled: 1-line block ×3, first 2 shown]
.LBB648_10:                             ; =>This Inner Loop Header: Depth=1
	v_sub_co_u32_e32 v8, vcc, v4, v2
	v_subb_co_u32_e32 v9, vcc, v5, v3, vcc
	v_lshrrev_b64 v[10:11], 1, v[8:9]
	v_lshrrev_b64 v[8:9], 6, v[8:9]
	v_add_co_u32_e32 v10, vcc, v10, v2
	v_addc_co_u32_e32 v11, vcc, v11, v3, vcc
	v_add_co_u32_e32 v8, vcc, v10, v8
	v_addc_co_u32_e32 v9, vcc, v11, v9, vcc
	v_lshlrev_b64 v[10:11], 2, v[8:9]
	v_add_co_u32_e32 v10, vcc, s10, v10
	v_addc_co_u32_e32 v11, vcc, v7, v11, vcc
	global_load_dword v10, v[10:11], off
	v_add_co_u32_e32 v11, vcc, 1, v8
	v_addc_co_u32_e32 v12, vcc, 0, v9, vcc
	s_waitcnt vmcnt(0) lgkmcnt(0)
	v_cmp_lt_f32_e32 vcc, v10, v6
	v_cndmask_b32_e32 v5, v9, v5, vcc
	v_cndmask_b32_e32 v4, v8, v4, vcc
	;; [unrolled: 1-line block ×4, first 2 shown]
	v_cmp_ge_u64_e32 vcc, v[2:3], v[4:5]
	s_or_b64 s[16:17], vcc, s[16:17]
	s_andn2_b64 exec, exec, s[16:17]
	s_cbranch_execnz .LBB648_10
; %bb.11:
	s_or_b64 exec, exec, s[16:17]
.LBB648_12:
	v_cmp_eq_u64_e32 vcc, s[0:1], v[2:3]
	v_cmp_ne_u64_e64 s[0:1], s[0:1], v[2:3]
	s_andn2_b64 s[6:7], s[6:7], exec
	s_and_b64 s[16:17], vcc, exec
	s_andn2_b64 s[14:15], s[14:15], exec
	s_and_b64 s[0:1], s[0:1], exec
	s_or_b64 s[6:7], s[6:7], s[16:17]
	s_or_b64 s[14:15], s[14:15], s[0:1]
.LBB648_13:
	s_or_b64 exec, exec, s[4:5]
.LBB648_14:
	v_mov_b32_e32 v4, 0
	s_and_saveexec_b64 s[0:1], s[14:15]
	s_cbranch_execnz .LBB648_17
; %bb.15:
	s_or_b64 exec, exec, s[0:1]
	s_and_saveexec_b64 s[0:1], s[6:7]
	s_cbranch_execnz .LBB648_18
.LBB648_16:
	s_endpgm
.LBB648_17:
	v_lshlrev_b64 v[2:3], 2, v[2:3]
	v_mov_b32_e32 v4, s11
	v_add_co_u32_e32 v2, vcc, s10, v2
	v_addc_co_u32_e32 v3, vcc, v4, v3, vcc
	global_load_dword v2, v[2:3], off
	s_or_b64 s[6:7], s[6:7], exec
	s_waitcnt vmcnt(0) lgkmcnt(0)
	v_cmp_nlt_f32_e32 vcc, v6, v2
	v_cndmask_b32_e64 v4, 0, 1, vcc
	s_or_b64 exec, exec, s[0:1]
	s_and_saveexec_b64 s[0:1], s[6:7]
	s_cbranch_execz .LBB648_16
.LBB648_18:
	s_add_u32 s2, s8, s2
	s_addc_u32 s3, s9, s3
	s_lshl_b64 s[0:1], s[12:13], 2
	s_add_u32 s0, s2, s0
	v_lshlrev_b64 v[0:1], 2, v[0:1]
	s_addc_u32 s1, s3, s1
	v_mov_b32_e32 v2, s1
	v_add_co_u32_e32 v0, vcc, s0, v0
	v_addc_co_u32_e32 v1, vcc, v2, v1, vcc
	flat_store_dword v[0:1], v4
	s_endpgm
	.section	.rodata,"a",@progbits
	.p2align	6, 0x0
	.amdhsa_kernel _ZN7rocprim17ROCPRIM_400000_NS6detail17trampoline_kernelINS0_14default_configENS1_29binary_search_config_selectorIfiEEZNS1_14transform_implILb0ES3_S5_N6thrust23THRUST_200600_302600_NS6detail15normal_iteratorINS8_7pointerIfNS8_11hip_rocprim9par_det_tENS8_11use_defaultESE_EEEENSA_INSB_IiSD_SE_SE_EEEEZNS1_13binary_searchIS3_S5_NSA_INS8_10device_ptrIfEEEESG_SI_NS1_16binary_search_opENS9_16wrapped_functionINS8_6system6detail7generic6detail18binary_search_lessEbEEEE10hipError_tPvRmT1_T2_T3_mmT4_T5_P12ihipStream_tbEUlRKfE_EESV_SZ_S10_mS11_S14_bEUlT_E_NS1_11comp_targetILNS1_3genE2ELNS1_11target_archE906ELNS1_3gpuE6ELNS1_3repE0EEENS1_30default_config_static_selectorELNS0_4arch9wavefront6targetE1EEEvSY_
		.amdhsa_group_segment_fixed_size 0
		.amdhsa_private_segment_fixed_size 0
		.amdhsa_kernarg_size 312
		.amdhsa_user_sgpr_count 6
		.amdhsa_user_sgpr_private_segment_buffer 1
		.amdhsa_user_sgpr_dispatch_ptr 0
		.amdhsa_user_sgpr_queue_ptr 0
		.amdhsa_user_sgpr_kernarg_segment_ptr 1
		.amdhsa_user_sgpr_dispatch_id 0
		.amdhsa_user_sgpr_flat_scratch_init 0
		.amdhsa_user_sgpr_private_segment_size 0
		.amdhsa_uses_dynamic_stack 0
		.amdhsa_system_sgpr_private_segment_wavefront_offset 0
		.amdhsa_system_sgpr_workgroup_id_x 1
		.amdhsa_system_sgpr_workgroup_id_y 0
		.amdhsa_system_sgpr_workgroup_id_z 0
		.amdhsa_system_sgpr_workgroup_info 0
		.amdhsa_system_vgpr_workitem_id 0
		.amdhsa_next_free_vgpr 13
		.amdhsa_next_free_sgpr 20
		.amdhsa_reserve_vcc 1
		.amdhsa_reserve_flat_scratch 0
		.amdhsa_float_round_mode_32 0
		.amdhsa_float_round_mode_16_64 0
		.amdhsa_float_denorm_mode_32 3
		.amdhsa_float_denorm_mode_16_64 3
		.amdhsa_dx10_clamp 1
		.amdhsa_ieee_mode 1
		.amdhsa_fp16_overflow 0
		.amdhsa_exception_fp_ieee_invalid_op 0
		.amdhsa_exception_fp_denorm_src 0
		.amdhsa_exception_fp_ieee_div_zero 0
		.amdhsa_exception_fp_ieee_overflow 0
		.amdhsa_exception_fp_ieee_underflow 0
		.amdhsa_exception_fp_ieee_inexact 0
		.amdhsa_exception_int_div_zero 0
	.end_amdhsa_kernel
	.section	.text._ZN7rocprim17ROCPRIM_400000_NS6detail17trampoline_kernelINS0_14default_configENS1_29binary_search_config_selectorIfiEEZNS1_14transform_implILb0ES3_S5_N6thrust23THRUST_200600_302600_NS6detail15normal_iteratorINS8_7pointerIfNS8_11hip_rocprim9par_det_tENS8_11use_defaultESE_EEEENSA_INSB_IiSD_SE_SE_EEEEZNS1_13binary_searchIS3_S5_NSA_INS8_10device_ptrIfEEEESG_SI_NS1_16binary_search_opENS9_16wrapped_functionINS8_6system6detail7generic6detail18binary_search_lessEbEEEE10hipError_tPvRmT1_T2_T3_mmT4_T5_P12ihipStream_tbEUlRKfE_EESV_SZ_S10_mS11_S14_bEUlT_E_NS1_11comp_targetILNS1_3genE2ELNS1_11target_archE906ELNS1_3gpuE6ELNS1_3repE0EEENS1_30default_config_static_selectorELNS0_4arch9wavefront6targetE1EEEvSY_,"axG",@progbits,_ZN7rocprim17ROCPRIM_400000_NS6detail17trampoline_kernelINS0_14default_configENS1_29binary_search_config_selectorIfiEEZNS1_14transform_implILb0ES3_S5_N6thrust23THRUST_200600_302600_NS6detail15normal_iteratorINS8_7pointerIfNS8_11hip_rocprim9par_det_tENS8_11use_defaultESE_EEEENSA_INSB_IiSD_SE_SE_EEEEZNS1_13binary_searchIS3_S5_NSA_INS8_10device_ptrIfEEEESG_SI_NS1_16binary_search_opENS9_16wrapped_functionINS8_6system6detail7generic6detail18binary_search_lessEbEEEE10hipError_tPvRmT1_T2_T3_mmT4_T5_P12ihipStream_tbEUlRKfE_EESV_SZ_S10_mS11_S14_bEUlT_E_NS1_11comp_targetILNS1_3genE2ELNS1_11target_archE906ELNS1_3gpuE6ELNS1_3repE0EEENS1_30default_config_static_selectorELNS0_4arch9wavefront6targetE1EEEvSY_,comdat
.Lfunc_end648:
	.size	_ZN7rocprim17ROCPRIM_400000_NS6detail17trampoline_kernelINS0_14default_configENS1_29binary_search_config_selectorIfiEEZNS1_14transform_implILb0ES3_S5_N6thrust23THRUST_200600_302600_NS6detail15normal_iteratorINS8_7pointerIfNS8_11hip_rocprim9par_det_tENS8_11use_defaultESE_EEEENSA_INSB_IiSD_SE_SE_EEEEZNS1_13binary_searchIS3_S5_NSA_INS8_10device_ptrIfEEEESG_SI_NS1_16binary_search_opENS9_16wrapped_functionINS8_6system6detail7generic6detail18binary_search_lessEbEEEE10hipError_tPvRmT1_T2_T3_mmT4_T5_P12ihipStream_tbEUlRKfE_EESV_SZ_S10_mS11_S14_bEUlT_E_NS1_11comp_targetILNS1_3genE2ELNS1_11target_archE906ELNS1_3gpuE6ELNS1_3repE0EEENS1_30default_config_static_selectorELNS0_4arch9wavefront6targetE1EEEvSY_, .Lfunc_end648-_ZN7rocprim17ROCPRIM_400000_NS6detail17trampoline_kernelINS0_14default_configENS1_29binary_search_config_selectorIfiEEZNS1_14transform_implILb0ES3_S5_N6thrust23THRUST_200600_302600_NS6detail15normal_iteratorINS8_7pointerIfNS8_11hip_rocprim9par_det_tENS8_11use_defaultESE_EEEENSA_INSB_IiSD_SE_SE_EEEEZNS1_13binary_searchIS3_S5_NSA_INS8_10device_ptrIfEEEESG_SI_NS1_16binary_search_opENS9_16wrapped_functionINS8_6system6detail7generic6detail18binary_search_lessEbEEEE10hipError_tPvRmT1_T2_T3_mmT4_T5_P12ihipStream_tbEUlRKfE_EESV_SZ_S10_mS11_S14_bEUlT_E_NS1_11comp_targetILNS1_3genE2ELNS1_11target_archE906ELNS1_3gpuE6ELNS1_3repE0EEENS1_30default_config_static_selectorELNS0_4arch9wavefront6targetE1EEEvSY_
                                        ; -- End function
	.set _ZN7rocprim17ROCPRIM_400000_NS6detail17trampoline_kernelINS0_14default_configENS1_29binary_search_config_selectorIfiEEZNS1_14transform_implILb0ES3_S5_N6thrust23THRUST_200600_302600_NS6detail15normal_iteratorINS8_7pointerIfNS8_11hip_rocprim9par_det_tENS8_11use_defaultESE_EEEENSA_INSB_IiSD_SE_SE_EEEEZNS1_13binary_searchIS3_S5_NSA_INS8_10device_ptrIfEEEESG_SI_NS1_16binary_search_opENS9_16wrapped_functionINS8_6system6detail7generic6detail18binary_search_lessEbEEEE10hipError_tPvRmT1_T2_T3_mmT4_T5_P12ihipStream_tbEUlRKfE_EESV_SZ_S10_mS11_S14_bEUlT_E_NS1_11comp_targetILNS1_3genE2ELNS1_11target_archE906ELNS1_3gpuE6ELNS1_3repE0EEENS1_30default_config_static_selectorELNS0_4arch9wavefront6targetE1EEEvSY_.num_vgpr, 13
	.set _ZN7rocprim17ROCPRIM_400000_NS6detail17trampoline_kernelINS0_14default_configENS1_29binary_search_config_selectorIfiEEZNS1_14transform_implILb0ES3_S5_N6thrust23THRUST_200600_302600_NS6detail15normal_iteratorINS8_7pointerIfNS8_11hip_rocprim9par_det_tENS8_11use_defaultESE_EEEENSA_INSB_IiSD_SE_SE_EEEEZNS1_13binary_searchIS3_S5_NSA_INS8_10device_ptrIfEEEESG_SI_NS1_16binary_search_opENS9_16wrapped_functionINS8_6system6detail7generic6detail18binary_search_lessEbEEEE10hipError_tPvRmT1_T2_T3_mmT4_T5_P12ihipStream_tbEUlRKfE_EESV_SZ_S10_mS11_S14_bEUlT_E_NS1_11comp_targetILNS1_3genE2ELNS1_11target_archE906ELNS1_3gpuE6ELNS1_3repE0EEENS1_30default_config_static_selectorELNS0_4arch9wavefront6targetE1EEEvSY_.num_agpr, 0
	.set _ZN7rocprim17ROCPRIM_400000_NS6detail17trampoline_kernelINS0_14default_configENS1_29binary_search_config_selectorIfiEEZNS1_14transform_implILb0ES3_S5_N6thrust23THRUST_200600_302600_NS6detail15normal_iteratorINS8_7pointerIfNS8_11hip_rocprim9par_det_tENS8_11use_defaultESE_EEEENSA_INSB_IiSD_SE_SE_EEEEZNS1_13binary_searchIS3_S5_NSA_INS8_10device_ptrIfEEEESG_SI_NS1_16binary_search_opENS9_16wrapped_functionINS8_6system6detail7generic6detail18binary_search_lessEbEEEE10hipError_tPvRmT1_T2_T3_mmT4_T5_P12ihipStream_tbEUlRKfE_EESV_SZ_S10_mS11_S14_bEUlT_E_NS1_11comp_targetILNS1_3genE2ELNS1_11target_archE906ELNS1_3gpuE6ELNS1_3repE0EEENS1_30default_config_static_selectorELNS0_4arch9wavefront6targetE1EEEvSY_.numbered_sgpr, 20
	.set _ZN7rocprim17ROCPRIM_400000_NS6detail17trampoline_kernelINS0_14default_configENS1_29binary_search_config_selectorIfiEEZNS1_14transform_implILb0ES3_S5_N6thrust23THRUST_200600_302600_NS6detail15normal_iteratorINS8_7pointerIfNS8_11hip_rocprim9par_det_tENS8_11use_defaultESE_EEEENSA_INSB_IiSD_SE_SE_EEEEZNS1_13binary_searchIS3_S5_NSA_INS8_10device_ptrIfEEEESG_SI_NS1_16binary_search_opENS9_16wrapped_functionINS8_6system6detail7generic6detail18binary_search_lessEbEEEE10hipError_tPvRmT1_T2_T3_mmT4_T5_P12ihipStream_tbEUlRKfE_EESV_SZ_S10_mS11_S14_bEUlT_E_NS1_11comp_targetILNS1_3genE2ELNS1_11target_archE906ELNS1_3gpuE6ELNS1_3repE0EEENS1_30default_config_static_selectorELNS0_4arch9wavefront6targetE1EEEvSY_.num_named_barrier, 0
	.set _ZN7rocprim17ROCPRIM_400000_NS6detail17trampoline_kernelINS0_14default_configENS1_29binary_search_config_selectorIfiEEZNS1_14transform_implILb0ES3_S5_N6thrust23THRUST_200600_302600_NS6detail15normal_iteratorINS8_7pointerIfNS8_11hip_rocprim9par_det_tENS8_11use_defaultESE_EEEENSA_INSB_IiSD_SE_SE_EEEEZNS1_13binary_searchIS3_S5_NSA_INS8_10device_ptrIfEEEESG_SI_NS1_16binary_search_opENS9_16wrapped_functionINS8_6system6detail7generic6detail18binary_search_lessEbEEEE10hipError_tPvRmT1_T2_T3_mmT4_T5_P12ihipStream_tbEUlRKfE_EESV_SZ_S10_mS11_S14_bEUlT_E_NS1_11comp_targetILNS1_3genE2ELNS1_11target_archE906ELNS1_3gpuE6ELNS1_3repE0EEENS1_30default_config_static_selectorELNS0_4arch9wavefront6targetE1EEEvSY_.private_seg_size, 0
	.set _ZN7rocprim17ROCPRIM_400000_NS6detail17trampoline_kernelINS0_14default_configENS1_29binary_search_config_selectorIfiEEZNS1_14transform_implILb0ES3_S5_N6thrust23THRUST_200600_302600_NS6detail15normal_iteratorINS8_7pointerIfNS8_11hip_rocprim9par_det_tENS8_11use_defaultESE_EEEENSA_INSB_IiSD_SE_SE_EEEEZNS1_13binary_searchIS3_S5_NSA_INS8_10device_ptrIfEEEESG_SI_NS1_16binary_search_opENS9_16wrapped_functionINS8_6system6detail7generic6detail18binary_search_lessEbEEEE10hipError_tPvRmT1_T2_T3_mmT4_T5_P12ihipStream_tbEUlRKfE_EESV_SZ_S10_mS11_S14_bEUlT_E_NS1_11comp_targetILNS1_3genE2ELNS1_11target_archE906ELNS1_3gpuE6ELNS1_3repE0EEENS1_30default_config_static_selectorELNS0_4arch9wavefront6targetE1EEEvSY_.uses_vcc, 1
	.set _ZN7rocprim17ROCPRIM_400000_NS6detail17trampoline_kernelINS0_14default_configENS1_29binary_search_config_selectorIfiEEZNS1_14transform_implILb0ES3_S5_N6thrust23THRUST_200600_302600_NS6detail15normal_iteratorINS8_7pointerIfNS8_11hip_rocprim9par_det_tENS8_11use_defaultESE_EEEENSA_INSB_IiSD_SE_SE_EEEEZNS1_13binary_searchIS3_S5_NSA_INS8_10device_ptrIfEEEESG_SI_NS1_16binary_search_opENS9_16wrapped_functionINS8_6system6detail7generic6detail18binary_search_lessEbEEEE10hipError_tPvRmT1_T2_T3_mmT4_T5_P12ihipStream_tbEUlRKfE_EESV_SZ_S10_mS11_S14_bEUlT_E_NS1_11comp_targetILNS1_3genE2ELNS1_11target_archE906ELNS1_3gpuE6ELNS1_3repE0EEENS1_30default_config_static_selectorELNS0_4arch9wavefront6targetE1EEEvSY_.uses_flat_scratch, 0
	.set _ZN7rocprim17ROCPRIM_400000_NS6detail17trampoline_kernelINS0_14default_configENS1_29binary_search_config_selectorIfiEEZNS1_14transform_implILb0ES3_S5_N6thrust23THRUST_200600_302600_NS6detail15normal_iteratorINS8_7pointerIfNS8_11hip_rocprim9par_det_tENS8_11use_defaultESE_EEEENSA_INSB_IiSD_SE_SE_EEEEZNS1_13binary_searchIS3_S5_NSA_INS8_10device_ptrIfEEEESG_SI_NS1_16binary_search_opENS9_16wrapped_functionINS8_6system6detail7generic6detail18binary_search_lessEbEEEE10hipError_tPvRmT1_T2_T3_mmT4_T5_P12ihipStream_tbEUlRKfE_EESV_SZ_S10_mS11_S14_bEUlT_E_NS1_11comp_targetILNS1_3genE2ELNS1_11target_archE906ELNS1_3gpuE6ELNS1_3repE0EEENS1_30default_config_static_selectorELNS0_4arch9wavefront6targetE1EEEvSY_.has_dyn_sized_stack, 0
	.set _ZN7rocprim17ROCPRIM_400000_NS6detail17trampoline_kernelINS0_14default_configENS1_29binary_search_config_selectorIfiEEZNS1_14transform_implILb0ES3_S5_N6thrust23THRUST_200600_302600_NS6detail15normal_iteratorINS8_7pointerIfNS8_11hip_rocprim9par_det_tENS8_11use_defaultESE_EEEENSA_INSB_IiSD_SE_SE_EEEEZNS1_13binary_searchIS3_S5_NSA_INS8_10device_ptrIfEEEESG_SI_NS1_16binary_search_opENS9_16wrapped_functionINS8_6system6detail7generic6detail18binary_search_lessEbEEEE10hipError_tPvRmT1_T2_T3_mmT4_T5_P12ihipStream_tbEUlRKfE_EESV_SZ_S10_mS11_S14_bEUlT_E_NS1_11comp_targetILNS1_3genE2ELNS1_11target_archE906ELNS1_3gpuE6ELNS1_3repE0EEENS1_30default_config_static_selectorELNS0_4arch9wavefront6targetE1EEEvSY_.has_recursion, 0
	.set _ZN7rocprim17ROCPRIM_400000_NS6detail17trampoline_kernelINS0_14default_configENS1_29binary_search_config_selectorIfiEEZNS1_14transform_implILb0ES3_S5_N6thrust23THRUST_200600_302600_NS6detail15normal_iteratorINS8_7pointerIfNS8_11hip_rocprim9par_det_tENS8_11use_defaultESE_EEEENSA_INSB_IiSD_SE_SE_EEEEZNS1_13binary_searchIS3_S5_NSA_INS8_10device_ptrIfEEEESG_SI_NS1_16binary_search_opENS9_16wrapped_functionINS8_6system6detail7generic6detail18binary_search_lessEbEEEE10hipError_tPvRmT1_T2_T3_mmT4_T5_P12ihipStream_tbEUlRKfE_EESV_SZ_S10_mS11_S14_bEUlT_E_NS1_11comp_targetILNS1_3genE2ELNS1_11target_archE906ELNS1_3gpuE6ELNS1_3repE0EEENS1_30default_config_static_selectorELNS0_4arch9wavefront6targetE1EEEvSY_.has_indirect_call, 0
	.section	.AMDGPU.csdata,"",@progbits
; Kernel info:
; codeLenInByte = 688
; TotalNumSgprs: 24
; NumVgprs: 13
; ScratchSize: 0
; MemoryBound: 0
; FloatMode: 240
; IeeeMode: 1
; LDSByteSize: 0 bytes/workgroup (compile time only)
; SGPRBlocks: 2
; VGPRBlocks: 3
; NumSGPRsForWavesPerEU: 24
; NumVGPRsForWavesPerEU: 13
; Occupancy: 10
; WaveLimiterHint : 0
; COMPUTE_PGM_RSRC2:SCRATCH_EN: 0
; COMPUTE_PGM_RSRC2:USER_SGPR: 6
; COMPUTE_PGM_RSRC2:TRAP_HANDLER: 0
; COMPUTE_PGM_RSRC2:TGID_X_EN: 1
; COMPUTE_PGM_RSRC2:TGID_Y_EN: 0
; COMPUTE_PGM_RSRC2:TGID_Z_EN: 0
; COMPUTE_PGM_RSRC2:TIDIG_COMP_CNT: 0
	.section	.text._ZN7rocprim17ROCPRIM_400000_NS6detail17trampoline_kernelINS0_14default_configENS1_29binary_search_config_selectorIfiEEZNS1_14transform_implILb0ES3_S5_N6thrust23THRUST_200600_302600_NS6detail15normal_iteratorINS8_7pointerIfNS8_11hip_rocprim9par_det_tENS8_11use_defaultESE_EEEENSA_INSB_IiSD_SE_SE_EEEEZNS1_13binary_searchIS3_S5_NSA_INS8_10device_ptrIfEEEESG_SI_NS1_16binary_search_opENS9_16wrapped_functionINS8_6system6detail7generic6detail18binary_search_lessEbEEEE10hipError_tPvRmT1_T2_T3_mmT4_T5_P12ihipStream_tbEUlRKfE_EESV_SZ_S10_mS11_S14_bEUlT_E_NS1_11comp_targetILNS1_3genE10ELNS1_11target_archE1201ELNS1_3gpuE5ELNS1_3repE0EEENS1_30default_config_static_selectorELNS0_4arch9wavefront6targetE1EEEvSY_,"axG",@progbits,_ZN7rocprim17ROCPRIM_400000_NS6detail17trampoline_kernelINS0_14default_configENS1_29binary_search_config_selectorIfiEEZNS1_14transform_implILb0ES3_S5_N6thrust23THRUST_200600_302600_NS6detail15normal_iteratorINS8_7pointerIfNS8_11hip_rocprim9par_det_tENS8_11use_defaultESE_EEEENSA_INSB_IiSD_SE_SE_EEEEZNS1_13binary_searchIS3_S5_NSA_INS8_10device_ptrIfEEEESG_SI_NS1_16binary_search_opENS9_16wrapped_functionINS8_6system6detail7generic6detail18binary_search_lessEbEEEE10hipError_tPvRmT1_T2_T3_mmT4_T5_P12ihipStream_tbEUlRKfE_EESV_SZ_S10_mS11_S14_bEUlT_E_NS1_11comp_targetILNS1_3genE10ELNS1_11target_archE1201ELNS1_3gpuE5ELNS1_3repE0EEENS1_30default_config_static_selectorELNS0_4arch9wavefront6targetE1EEEvSY_,comdat
	.protected	_ZN7rocprim17ROCPRIM_400000_NS6detail17trampoline_kernelINS0_14default_configENS1_29binary_search_config_selectorIfiEEZNS1_14transform_implILb0ES3_S5_N6thrust23THRUST_200600_302600_NS6detail15normal_iteratorINS8_7pointerIfNS8_11hip_rocprim9par_det_tENS8_11use_defaultESE_EEEENSA_INSB_IiSD_SE_SE_EEEEZNS1_13binary_searchIS3_S5_NSA_INS8_10device_ptrIfEEEESG_SI_NS1_16binary_search_opENS9_16wrapped_functionINS8_6system6detail7generic6detail18binary_search_lessEbEEEE10hipError_tPvRmT1_T2_T3_mmT4_T5_P12ihipStream_tbEUlRKfE_EESV_SZ_S10_mS11_S14_bEUlT_E_NS1_11comp_targetILNS1_3genE10ELNS1_11target_archE1201ELNS1_3gpuE5ELNS1_3repE0EEENS1_30default_config_static_selectorELNS0_4arch9wavefront6targetE1EEEvSY_ ; -- Begin function _ZN7rocprim17ROCPRIM_400000_NS6detail17trampoline_kernelINS0_14default_configENS1_29binary_search_config_selectorIfiEEZNS1_14transform_implILb0ES3_S5_N6thrust23THRUST_200600_302600_NS6detail15normal_iteratorINS8_7pointerIfNS8_11hip_rocprim9par_det_tENS8_11use_defaultESE_EEEENSA_INSB_IiSD_SE_SE_EEEEZNS1_13binary_searchIS3_S5_NSA_INS8_10device_ptrIfEEEESG_SI_NS1_16binary_search_opENS9_16wrapped_functionINS8_6system6detail7generic6detail18binary_search_lessEbEEEE10hipError_tPvRmT1_T2_T3_mmT4_T5_P12ihipStream_tbEUlRKfE_EESV_SZ_S10_mS11_S14_bEUlT_E_NS1_11comp_targetILNS1_3genE10ELNS1_11target_archE1201ELNS1_3gpuE5ELNS1_3repE0EEENS1_30default_config_static_selectorELNS0_4arch9wavefront6targetE1EEEvSY_
	.globl	_ZN7rocprim17ROCPRIM_400000_NS6detail17trampoline_kernelINS0_14default_configENS1_29binary_search_config_selectorIfiEEZNS1_14transform_implILb0ES3_S5_N6thrust23THRUST_200600_302600_NS6detail15normal_iteratorINS8_7pointerIfNS8_11hip_rocprim9par_det_tENS8_11use_defaultESE_EEEENSA_INSB_IiSD_SE_SE_EEEEZNS1_13binary_searchIS3_S5_NSA_INS8_10device_ptrIfEEEESG_SI_NS1_16binary_search_opENS9_16wrapped_functionINS8_6system6detail7generic6detail18binary_search_lessEbEEEE10hipError_tPvRmT1_T2_T3_mmT4_T5_P12ihipStream_tbEUlRKfE_EESV_SZ_S10_mS11_S14_bEUlT_E_NS1_11comp_targetILNS1_3genE10ELNS1_11target_archE1201ELNS1_3gpuE5ELNS1_3repE0EEENS1_30default_config_static_selectorELNS0_4arch9wavefront6targetE1EEEvSY_
	.p2align	8
	.type	_ZN7rocprim17ROCPRIM_400000_NS6detail17trampoline_kernelINS0_14default_configENS1_29binary_search_config_selectorIfiEEZNS1_14transform_implILb0ES3_S5_N6thrust23THRUST_200600_302600_NS6detail15normal_iteratorINS8_7pointerIfNS8_11hip_rocprim9par_det_tENS8_11use_defaultESE_EEEENSA_INSB_IiSD_SE_SE_EEEEZNS1_13binary_searchIS3_S5_NSA_INS8_10device_ptrIfEEEESG_SI_NS1_16binary_search_opENS9_16wrapped_functionINS8_6system6detail7generic6detail18binary_search_lessEbEEEE10hipError_tPvRmT1_T2_T3_mmT4_T5_P12ihipStream_tbEUlRKfE_EESV_SZ_S10_mS11_S14_bEUlT_E_NS1_11comp_targetILNS1_3genE10ELNS1_11target_archE1201ELNS1_3gpuE5ELNS1_3repE0EEENS1_30default_config_static_selectorELNS0_4arch9wavefront6targetE1EEEvSY_,@function
_ZN7rocprim17ROCPRIM_400000_NS6detail17trampoline_kernelINS0_14default_configENS1_29binary_search_config_selectorIfiEEZNS1_14transform_implILb0ES3_S5_N6thrust23THRUST_200600_302600_NS6detail15normal_iteratorINS8_7pointerIfNS8_11hip_rocprim9par_det_tENS8_11use_defaultESE_EEEENSA_INSB_IiSD_SE_SE_EEEEZNS1_13binary_searchIS3_S5_NSA_INS8_10device_ptrIfEEEESG_SI_NS1_16binary_search_opENS9_16wrapped_functionINS8_6system6detail7generic6detail18binary_search_lessEbEEEE10hipError_tPvRmT1_T2_T3_mmT4_T5_P12ihipStream_tbEUlRKfE_EESV_SZ_S10_mS11_S14_bEUlT_E_NS1_11comp_targetILNS1_3genE10ELNS1_11target_archE1201ELNS1_3gpuE5ELNS1_3repE0EEENS1_30default_config_static_selectorELNS0_4arch9wavefront6targetE1EEEvSY_: ; @_ZN7rocprim17ROCPRIM_400000_NS6detail17trampoline_kernelINS0_14default_configENS1_29binary_search_config_selectorIfiEEZNS1_14transform_implILb0ES3_S5_N6thrust23THRUST_200600_302600_NS6detail15normal_iteratorINS8_7pointerIfNS8_11hip_rocprim9par_det_tENS8_11use_defaultESE_EEEENSA_INSB_IiSD_SE_SE_EEEEZNS1_13binary_searchIS3_S5_NSA_INS8_10device_ptrIfEEEESG_SI_NS1_16binary_search_opENS9_16wrapped_functionINS8_6system6detail7generic6detail18binary_search_lessEbEEEE10hipError_tPvRmT1_T2_T3_mmT4_T5_P12ihipStream_tbEUlRKfE_EESV_SZ_S10_mS11_S14_bEUlT_E_NS1_11comp_targetILNS1_3genE10ELNS1_11target_archE1201ELNS1_3gpuE5ELNS1_3repE0EEENS1_30default_config_static_selectorELNS0_4arch9wavefront6targetE1EEEvSY_
; %bb.0:
	.section	.rodata,"a",@progbits
	.p2align	6, 0x0
	.amdhsa_kernel _ZN7rocprim17ROCPRIM_400000_NS6detail17trampoline_kernelINS0_14default_configENS1_29binary_search_config_selectorIfiEEZNS1_14transform_implILb0ES3_S5_N6thrust23THRUST_200600_302600_NS6detail15normal_iteratorINS8_7pointerIfNS8_11hip_rocprim9par_det_tENS8_11use_defaultESE_EEEENSA_INSB_IiSD_SE_SE_EEEEZNS1_13binary_searchIS3_S5_NSA_INS8_10device_ptrIfEEEESG_SI_NS1_16binary_search_opENS9_16wrapped_functionINS8_6system6detail7generic6detail18binary_search_lessEbEEEE10hipError_tPvRmT1_T2_T3_mmT4_T5_P12ihipStream_tbEUlRKfE_EESV_SZ_S10_mS11_S14_bEUlT_E_NS1_11comp_targetILNS1_3genE10ELNS1_11target_archE1201ELNS1_3gpuE5ELNS1_3repE0EEENS1_30default_config_static_selectorELNS0_4arch9wavefront6targetE1EEEvSY_
		.amdhsa_group_segment_fixed_size 0
		.amdhsa_private_segment_fixed_size 0
		.amdhsa_kernarg_size 56
		.amdhsa_user_sgpr_count 6
		.amdhsa_user_sgpr_private_segment_buffer 1
		.amdhsa_user_sgpr_dispatch_ptr 0
		.amdhsa_user_sgpr_queue_ptr 0
		.amdhsa_user_sgpr_kernarg_segment_ptr 1
		.amdhsa_user_sgpr_dispatch_id 0
		.amdhsa_user_sgpr_flat_scratch_init 0
		.amdhsa_user_sgpr_private_segment_size 0
		.amdhsa_uses_dynamic_stack 0
		.amdhsa_system_sgpr_private_segment_wavefront_offset 0
		.amdhsa_system_sgpr_workgroup_id_x 1
		.amdhsa_system_sgpr_workgroup_id_y 0
		.amdhsa_system_sgpr_workgroup_id_z 0
		.amdhsa_system_sgpr_workgroup_info 0
		.amdhsa_system_vgpr_workitem_id 0
		.amdhsa_next_free_vgpr 1
		.amdhsa_next_free_sgpr 0
		.amdhsa_reserve_vcc 0
		.amdhsa_reserve_flat_scratch 0
		.amdhsa_float_round_mode_32 0
		.amdhsa_float_round_mode_16_64 0
		.amdhsa_float_denorm_mode_32 3
		.amdhsa_float_denorm_mode_16_64 3
		.amdhsa_dx10_clamp 1
		.amdhsa_ieee_mode 1
		.amdhsa_fp16_overflow 0
		.amdhsa_exception_fp_ieee_invalid_op 0
		.amdhsa_exception_fp_denorm_src 0
		.amdhsa_exception_fp_ieee_div_zero 0
		.amdhsa_exception_fp_ieee_overflow 0
		.amdhsa_exception_fp_ieee_underflow 0
		.amdhsa_exception_fp_ieee_inexact 0
		.amdhsa_exception_int_div_zero 0
	.end_amdhsa_kernel
	.section	.text._ZN7rocprim17ROCPRIM_400000_NS6detail17trampoline_kernelINS0_14default_configENS1_29binary_search_config_selectorIfiEEZNS1_14transform_implILb0ES3_S5_N6thrust23THRUST_200600_302600_NS6detail15normal_iteratorINS8_7pointerIfNS8_11hip_rocprim9par_det_tENS8_11use_defaultESE_EEEENSA_INSB_IiSD_SE_SE_EEEEZNS1_13binary_searchIS3_S5_NSA_INS8_10device_ptrIfEEEESG_SI_NS1_16binary_search_opENS9_16wrapped_functionINS8_6system6detail7generic6detail18binary_search_lessEbEEEE10hipError_tPvRmT1_T2_T3_mmT4_T5_P12ihipStream_tbEUlRKfE_EESV_SZ_S10_mS11_S14_bEUlT_E_NS1_11comp_targetILNS1_3genE10ELNS1_11target_archE1201ELNS1_3gpuE5ELNS1_3repE0EEENS1_30default_config_static_selectorELNS0_4arch9wavefront6targetE1EEEvSY_,"axG",@progbits,_ZN7rocprim17ROCPRIM_400000_NS6detail17trampoline_kernelINS0_14default_configENS1_29binary_search_config_selectorIfiEEZNS1_14transform_implILb0ES3_S5_N6thrust23THRUST_200600_302600_NS6detail15normal_iteratorINS8_7pointerIfNS8_11hip_rocprim9par_det_tENS8_11use_defaultESE_EEEENSA_INSB_IiSD_SE_SE_EEEEZNS1_13binary_searchIS3_S5_NSA_INS8_10device_ptrIfEEEESG_SI_NS1_16binary_search_opENS9_16wrapped_functionINS8_6system6detail7generic6detail18binary_search_lessEbEEEE10hipError_tPvRmT1_T2_T3_mmT4_T5_P12ihipStream_tbEUlRKfE_EESV_SZ_S10_mS11_S14_bEUlT_E_NS1_11comp_targetILNS1_3genE10ELNS1_11target_archE1201ELNS1_3gpuE5ELNS1_3repE0EEENS1_30default_config_static_selectorELNS0_4arch9wavefront6targetE1EEEvSY_,comdat
.Lfunc_end649:
	.size	_ZN7rocprim17ROCPRIM_400000_NS6detail17trampoline_kernelINS0_14default_configENS1_29binary_search_config_selectorIfiEEZNS1_14transform_implILb0ES3_S5_N6thrust23THRUST_200600_302600_NS6detail15normal_iteratorINS8_7pointerIfNS8_11hip_rocprim9par_det_tENS8_11use_defaultESE_EEEENSA_INSB_IiSD_SE_SE_EEEEZNS1_13binary_searchIS3_S5_NSA_INS8_10device_ptrIfEEEESG_SI_NS1_16binary_search_opENS9_16wrapped_functionINS8_6system6detail7generic6detail18binary_search_lessEbEEEE10hipError_tPvRmT1_T2_T3_mmT4_T5_P12ihipStream_tbEUlRKfE_EESV_SZ_S10_mS11_S14_bEUlT_E_NS1_11comp_targetILNS1_3genE10ELNS1_11target_archE1201ELNS1_3gpuE5ELNS1_3repE0EEENS1_30default_config_static_selectorELNS0_4arch9wavefront6targetE1EEEvSY_, .Lfunc_end649-_ZN7rocprim17ROCPRIM_400000_NS6detail17trampoline_kernelINS0_14default_configENS1_29binary_search_config_selectorIfiEEZNS1_14transform_implILb0ES3_S5_N6thrust23THRUST_200600_302600_NS6detail15normal_iteratorINS8_7pointerIfNS8_11hip_rocprim9par_det_tENS8_11use_defaultESE_EEEENSA_INSB_IiSD_SE_SE_EEEEZNS1_13binary_searchIS3_S5_NSA_INS8_10device_ptrIfEEEESG_SI_NS1_16binary_search_opENS9_16wrapped_functionINS8_6system6detail7generic6detail18binary_search_lessEbEEEE10hipError_tPvRmT1_T2_T3_mmT4_T5_P12ihipStream_tbEUlRKfE_EESV_SZ_S10_mS11_S14_bEUlT_E_NS1_11comp_targetILNS1_3genE10ELNS1_11target_archE1201ELNS1_3gpuE5ELNS1_3repE0EEENS1_30default_config_static_selectorELNS0_4arch9wavefront6targetE1EEEvSY_
                                        ; -- End function
	.set _ZN7rocprim17ROCPRIM_400000_NS6detail17trampoline_kernelINS0_14default_configENS1_29binary_search_config_selectorIfiEEZNS1_14transform_implILb0ES3_S5_N6thrust23THRUST_200600_302600_NS6detail15normal_iteratorINS8_7pointerIfNS8_11hip_rocprim9par_det_tENS8_11use_defaultESE_EEEENSA_INSB_IiSD_SE_SE_EEEEZNS1_13binary_searchIS3_S5_NSA_INS8_10device_ptrIfEEEESG_SI_NS1_16binary_search_opENS9_16wrapped_functionINS8_6system6detail7generic6detail18binary_search_lessEbEEEE10hipError_tPvRmT1_T2_T3_mmT4_T5_P12ihipStream_tbEUlRKfE_EESV_SZ_S10_mS11_S14_bEUlT_E_NS1_11comp_targetILNS1_3genE10ELNS1_11target_archE1201ELNS1_3gpuE5ELNS1_3repE0EEENS1_30default_config_static_selectorELNS0_4arch9wavefront6targetE1EEEvSY_.num_vgpr, 0
	.set _ZN7rocprim17ROCPRIM_400000_NS6detail17trampoline_kernelINS0_14default_configENS1_29binary_search_config_selectorIfiEEZNS1_14transform_implILb0ES3_S5_N6thrust23THRUST_200600_302600_NS6detail15normal_iteratorINS8_7pointerIfNS8_11hip_rocprim9par_det_tENS8_11use_defaultESE_EEEENSA_INSB_IiSD_SE_SE_EEEEZNS1_13binary_searchIS3_S5_NSA_INS8_10device_ptrIfEEEESG_SI_NS1_16binary_search_opENS9_16wrapped_functionINS8_6system6detail7generic6detail18binary_search_lessEbEEEE10hipError_tPvRmT1_T2_T3_mmT4_T5_P12ihipStream_tbEUlRKfE_EESV_SZ_S10_mS11_S14_bEUlT_E_NS1_11comp_targetILNS1_3genE10ELNS1_11target_archE1201ELNS1_3gpuE5ELNS1_3repE0EEENS1_30default_config_static_selectorELNS0_4arch9wavefront6targetE1EEEvSY_.num_agpr, 0
	.set _ZN7rocprim17ROCPRIM_400000_NS6detail17trampoline_kernelINS0_14default_configENS1_29binary_search_config_selectorIfiEEZNS1_14transform_implILb0ES3_S5_N6thrust23THRUST_200600_302600_NS6detail15normal_iteratorINS8_7pointerIfNS8_11hip_rocprim9par_det_tENS8_11use_defaultESE_EEEENSA_INSB_IiSD_SE_SE_EEEEZNS1_13binary_searchIS3_S5_NSA_INS8_10device_ptrIfEEEESG_SI_NS1_16binary_search_opENS9_16wrapped_functionINS8_6system6detail7generic6detail18binary_search_lessEbEEEE10hipError_tPvRmT1_T2_T3_mmT4_T5_P12ihipStream_tbEUlRKfE_EESV_SZ_S10_mS11_S14_bEUlT_E_NS1_11comp_targetILNS1_3genE10ELNS1_11target_archE1201ELNS1_3gpuE5ELNS1_3repE0EEENS1_30default_config_static_selectorELNS0_4arch9wavefront6targetE1EEEvSY_.numbered_sgpr, 0
	.set _ZN7rocprim17ROCPRIM_400000_NS6detail17trampoline_kernelINS0_14default_configENS1_29binary_search_config_selectorIfiEEZNS1_14transform_implILb0ES3_S5_N6thrust23THRUST_200600_302600_NS6detail15normal_iteratorINS8_7pointerIfNS8_11hip_rocprim9par_det_tENS8_11use_defaultESE_EEEENSA_INSB_IiSD_SE_SE_EEEEZNS1_13binary_searchIS3_S5_NSA_INS8_10device_ptrIfEEEESG_SI_NS1_16binary_search_opENS9_16wrapped_functionINS8_6system6detail7generic6detail18binary_search_lessEbEEEE10hipError_tPvRmT1_T2_T3_mmT4_T5_P12ihipStream_tbEUlRKfE_EESV_SZ_S10_mS11_S14_bEUlT_E_NS1_11comp_targetILNS1_3genE10ELNS1_11target_archE1201ELNS1_3gpuE5ELNS1_3repE0EEENS1_30default_config_static_selectorELNS0_4arch9wavefront6targetE1EEEvSY_.num_named_barrier, 0
	.set _ZN7rocprim17ROCPRIM_400000_NS6detail17trampoline_kernelINS0_14default_configENS1_29binary_search_config_selectorIfiEEZNS1_14transform_implILb0ES3_S5_N6thrust23THRUST_200600_302600_NS6detail15normal_iteratorINS8_7pointerIfNS8_11hip_rocprim9par_det_tENS8_11use_defaultESE_EEEENSA_INSB_IiSD_SE_SE_EEEEZNS1_13binary_searchIS3_S5_NSA_INS8_10device_ptrIfEEEESG_SI_NS1_16binary_search_opENS9_16wrapped_functionINS8_6system6detail7generic6detail18binary_search_lessEbEEEE10hipError_tPvRmT1_T2_T3_mmT4_T5_P12ihipStream_tbEUlRKfE_EESV_SZ_S10_mS11_S14_bEUlT_E_NS1_11comp_targetILNS1_3genE10ELNS1_11target_archE1201ELNS1_3gpuE5ELNS1_3repE0EEENS1_30default_config_static_selectorELNS0_4arch9wavefront6targetE1EEEvSY_.private_seg_size, 0
	.set _ZN7rocprim17ROCPRIM_400000_NS6detail17trampoline_kernelINS0_14default_configENS1_29binary_search_config_selectorIfiEEZNS1_14transform_implILb0ES3_S5_N6thrust23THRUST_200600_302600_NS6detail15normal_iteratorINS8_7pointerIfNS8_11hip_rocprim9par_det_tENS8_11use_defaultESE_EEEENSA_INSB_IiSD_SE_SE_EEEEZNS1_13binary_searchIS3_S5_NSA_INS8_10device_ptrIfEEEESG_SI_NS1_16binary_search_opENS9_16wrapped_functionINS8_6system6detail7generic6detail18binary_search_lessEbEEEE10hipError_tPvRmT1_T2_T3_mmT4_T5_P12ihipStream_tbEUlRKfE_EESV_SZ_S10_mS11_S14_bEUlT_E_NS1_11comp_targetILNS1_3genE10ELNS1_11target_archE1201ELNS1_3gpuE5ELNS1_3repE0EEENS1_30default_config_static_selectorELNS0_4arch9wavefront6targetE1EEEvSY_.uses_vcc, 0
	.set _ZN7rocprim17ROCPRIM_400000_NS6detail17trampoline_kernelINS0_14default_configENS1_29binary_search_config_selectorIfiEEZNS1_14transform_implILb0ES3_S5_N6thrust23THRUST_200600_302600_NS6detail15normal_iteratorINS8_7pointerIfNS8_11hip_rocprim9par_det_tENS8_11use_defaultESE_EEEENSA_INSB_IiSD_SE_SE_EEEEZNS1_13binary_searchIS3_S5_NSA_INS8_10device_ptrIfEEEESG_SI_NS1_16binary_search_opENS9_16wrapped_functionINS8_6system6detail7generic6detail18binary_search_lessEbEEEE10hipError_tPvRmT1_T2_T3_mmT4_T5_P12ihipStream_tbEUlRKfE_EESV_SZ_S10_mS11_S14_bEUlT_E_NS1_11comp_targetILNS1_3genE10ELNS1_11target_archE1201ELNS1_3gpuE5ELNS1_3repE0EEENS1_30default_config_static_selectorELNS0_4arch9wavefront6targetE1EEEvSY_.uses_flat_scratch, 0
	.set _ZN7rocprim17ROCPRIM_400000_NS6detail17trampoline_kernelINS0_14default_configENS1_29binary_search_config_selectorIfiEEZNS1_14transform_implILb0ES3_S5_N6thrust23THRUST_200600_302600_NS6detail15normal_iteratorINS8_7pointerIfNS8_11hip_rocprim9par_det_tENS8_11use_defaultESE_EEEENSA_INSB_IiSD_SE_SE_EEEEZNS1_13binary_searchIS3_S5_NSA_INS8_10device_ptrIfEEEESG_SI_NS1_16binary_search_opENS9_16wrapped_functionINS8_6system6detail7generic6detail18binary_search_lessEbEEEE10hipError_tPvRmT1_T2_T3_mmT4_T5_P12ihipStream_tbEUlRKfE_EESV_SZ_S10_mS11_S14_bEUlT_E_NS1_11comp_targetILNS1_3genE10ELNS1_11target_archE1201ELNS1_3gpuE5ELNS1_3repE0EEENS1_30default_config_static_selectorELNS0_4arch9wavefront6targetE1EEEvSY_.has_dyn_sized_stack, 0
	.set _ZN7rocprim17ROCPRIM_400000_NS6detail17trampoline_kernelINS0_14default_configENS1_29binary_search_config_selectorIfiEEZNS1_14transform_implILb0ES3_S5_N6thrust23THRUST_200600_302600_NS6detail15normal_iteratorINS8_7pointerIfNS8_11hip_rocprim9par_det_tENS8_11use_defaultESE_EEEENSA_INSB_IiSD_SE_SE_EEEEZNS1_13binary_searchIS3_S5_NSA_INS8_10device_ptrIfEEEESG_SI_NS1_16binary_search_opENS9_16wrapped_functionINS8_6system6detail7generic6detail18binary_search_lessEbEEEE10hipError_tPvRmT1_T2_T3_mmT4_T5_P12ihipStream_tbEUlRKfE_EESV_SZ_S10_mS11_S14_bEUlT_E_NS1_11comp_targetILNS1_3genE10ELNS1_11target_archE1201ELNS1_3gpuE5ELNS1_3repE0EEENS1_30default_config_static_selectorELNS0_4arch9wavefront6targetE1EEEvSY_.has_recursion, 0
	.set _ZN7rocprim17ROCPRIM_400000_NS6detail17trampoline_kernelINS0_14default_configENS1_29binary_search_config_selectorIfiEEZNS1_14transform_implILb0ES3_S5_N6thrust23THRUST_200600_302600_NS6detail15normal_iteratorINS8_7pointerIfNS8_11hip_rocprim9par_det_tENS8_11use_defaultESE_EEEENSA_INSB_IiSD_SE_SE_EEEEZNS1_13binary_searchIS3_S5_NSA_INS8_10device_ptrIfEEEESG_SI_NS1_16binary_search_opENS9_16wrapped_functionINS8_6system6detail7generic6detail18binary_search_lessEbEEEE10hipError_tPvRmT1_T2_T3_mmT4_T5_P12ihipStream_tbEUlRKfE_EESV_SZ_S10_mS11_S14_bEUlT_E_NS1_11comp_targetILNS1_3genE10ELNS1_11target_archE1201ELNS1_3gpuE5ELNS1_3repE0EEENS1_30default_config_static_selectorELNS0_4arch9wavefront6targetE1EEEvSY_.has_indirect_call, 0
	.section	.AMDGPU.csdata,"",@progbits
; Kernel info:
; codeLenInByte = 0
; TotalNumSgprs: 4
; NumVgprs: 0
; ScratchSize: 0
; MemoryBound: 0
; FloatMode: 240
; IeeeMode: 1
; LDSByteSize: 0 bytes/workgroup (compile time only)
; SGPRBlocks: 0
; VGPRBlocks: 0
; NumSGPRsForWavesPerEU: 4
; NumVGPRsForWavesPerEU: 1
; Occupancy: 10
; WaveLimiterHint : 0
; COMPUTE_PGM_RSRC2:SCRATCH_EN: 0
; COMPUTE_PGM_RSRC2:USER_SGPR: 6
; COMPUTE_PGM_RSRC2:TRAP_HANDLER: 0
; COMPUTE_PGM_RSRC2:TGID_X_EN: 1
; COMPUTE_PGM_RSRC2:TGID_Y_EN: 0
; COMPUTE_PGM_RSRC2:TGID_Z_EN: 0
; COMPUTE_PGM_RSRC2:TIDIG_COMP_CNT: 0
	.section	.text._ZN7rocprim17ROCPRIM_400000_NS6detail17trampoline_kernelINS0_14default_configENS1_29binary_search_config_selectorIfiEEZNS1_14transform_implILb0ES3_S5_N6thrust23THRUST_200600_302600_NS6detail15normal_iteratorINS8_7pointerIfNS8_11hip_rocprim9par_det_tENS8_11use_defaultESE_EEEENSA_INSB_IiSD_SE_SE_EEEEZNS1_13binary_searchIS3_S5_NSA_INS8_10device_ptrIfEEEESG_SI_NS1_16binary_search_opENS9_16wrapped_functionINS8_6system6detail7generic6detail18binary_search_lessEbEEEE10hipError_tPvRmT1_T2_T3_mmT4_T5_P12ihipStream_tbEUlRKfE_EESV_SZ_S10_mS11_S14_bEUlT_E_NS1_11comp_targetILNS1_3genE10ELNS1_11target_archE1200ELNS1_3gpuE4ELNS1_3repE0EEENS1_30default_config_static_selectorELNS0_4arch9wavefront6targetE1EEEvSY_,"axG",@progbits,_ZN7rocprim17ROCPRIM_400000_NS6detail17trampoline_kernelINS0_14default_configENS1_29binary_search_config_selectorIfiEEZNS1_14transform_implILb0ES3_S5_N6thrust23THRUST_200600_302600_NS6detail15normal_iteratorINS8_7pointerIfNS8_11hip_rocprim9par_det_tENS8_11use_defaultESE_EEEENSA_INSB_IiSD_SE_SE_EEEEZNS1_13binary_searchIS3_S5_NSA_INS8_10device_ptrIfEEEESG_SI_NS1_16binary_search_opENS9_16wrapped_functionINS8_6system6detail7generic6detail18binary_search_lessEbEEEE10hipError_tPvRmT1_T2_T3_mmT4_T5_P12ihipStream_tbEUlRKfE_EESV_SZ_S10_mS11_S14_bEUlT_E_NS1_11comp_targetILNS1_3genE10ELNS1_11target_archE1200ELNS1_3gpuE4ELNS1_3repE0EEENS1_30default_config_static_selectorELNS0_4arch9wavefront6targetE1EEEvSY_,comdat
	.protected	_ZN7rocprim17ROCPRIM_400000_NS6detail17trampoline_kernelINS0_14default_configENS1_29binary_search_config_selectorIfiEEZNS1_14transform_implILb0ES3_S5_N6thrust23THRUST_200600_302600_NS6detail15normal_iteratorINS8_7pointerIfNS8_11hip_rocprim9par_det_tENS8_11use_defaultESE_EEEENSA_INSB_IiSD_SE_SE_EEEEZNS1_13binary_searchIS3_S5_NSA_INS8_10device_ptrIfEEEESG_SI_NS1_16binary_search_opENS9_16wrapped_functionINS8_6system6detail7generic6detail18binary_search_lessEbEEEE10hipError_tPvRmT1_T2_T3_mmT4_T5_P12ihipStream_tbEUlRKfE_EESV_SZ_S10_mS11_S14_bEUlT_E_NS1_11comp_targetILNS1_3genE10ELNS1_11target_archE1200ELNS1_3gpuE4ELNS1_3repE0EEENS1_30default_config_static_selectorELNS0_4arch9wavefront6targetE1EEEvSY_ ; -- Begin function _ZN7rocprim17ROCPRIM_400000_NS6detail17trampoline_kernelINS0_14default_configENS1_29binary_search_config_selectorIfiEEZNS1_14transform_implILb0ES3_S5_N6thrust23THRUST_200600_302600_NS6detail15normal_iteratorINS8_7pointerIfNS8_11hip_rocprim9par_det_tENS8_11use_defaultESE_EEEENSA_INSB_IiSD_SE_SE_EEEEZNS1_13binary_searchIS3_S5_NSA_INS8_10device_ptrIfEEEESG_SI_NS1_16binary_search_opENS9_16wrapped_functionINS8_6system6detail7generic6detail18binary_search_lessEbEEEE10hipError_tPvRmT1_T2_T3_mmT4_T5_P12ihipStream_tbEUlRKfE_EESV_SZ_S10_mS11_S14_bEUlT_E_NS1_11comp_targetILNS1_3genE10ELNS1_11target_archE1200ELNS1_3gpuE4ELNS1_3repE0EEENS1_30default_config_static_selectorELNS0_4arch9wavefront6targetE1EEEvSY_
	.globl	_ZN7rocprim17ROCPRIM_400000_NS6detail17trampoline_kernelINS0_14default_configENS1_29binary_search_config_selectorIfiEEZNS1_14transform_implILb0ES3_S5_N6thrust23THRUST_200600_302600_NS6detail15normal_iteratorINS8_7pointerIfNS8_11hip_rocprim9par_det_tENS8_11use_defaultESE_EEEENSA_INSB_IiSD_SE_SE_EEEEZNS1_13binary_searchIS3_S5_NSA_INS8_10device_ptrIfEEEESG_SI_NS1_16binary_search_opENS9_16wrapped_functionINS8_6system6detail7generic6detail18binary_search_lessEbEEEE10hipError_tPvRmT1_T2_T3_mmT4_T5_P12ihipStream_tbEUlRKfE_EESV_SZ_S10_mS11_S14_bEUlT_E_NS1_11comp_targetILNS1_3genE10ELNS1_11target_archE1200ELNS1_3gpuE4ELNS1_3repE0EEENS1_30default_config_static_selectorELNS0_4arch9wavefront6targetE1EEEvSY_
	.p2align	8
	.type	_ZN7rocprim17ROCPRIM_400000_NS6detail17trampoline_kernelINS0_14default_configENS1_29binary_search_config_selectorIfiEEZNS1_14transform_implILb0ES3_S5_N6thrust23THRUST_200600_302600_NS6detail15normal_iteratorINS8_7pointerIfNS8_11hip_rocprim9par_det_tENS8_11use_defaultESE_EEEENSA_INSB_IiSD_SE_SE_EEEEZNS1_13binary_searchIS3_S5_NSA_INS8_10device_ptrIfEEEESG_SI_NS1_16binary_search_opENS9_16wrapped_functionINS8_6system6detail7generic6detail18binary_search_lessEbEEEE10hipError_tPvRmT1_T2_T3_mmT4_T5_P12ihipStream_tbEUlRKfE_EESV_SZ_S10_mS11_S14_bEUlT_E_NS1_11comp_targetILNS1_3genE10ELNS1_11target_archE1200ELNS1_3gpuE4ELNS1_3repE0EEENS1_30default_config_static_selectorELNS0_4arch9wavefront6targetE1EEEvSY_,@function
_ZN7rocprim17ROCPRIM_400000_NS6detail17trampoline_kernelINS0_14default_configENS1_29binary_search_config_selectorIfiEEZNS1_14transform_implILb0ES3_S5_N6thrust23THRUST_200600_302600_NS6detail15normal_iteratorINS8_7pointerIfNS8_11hip_rocprim9par_det_tENS8_11use_defaultESE_EEEENSA_INSB_IiSD_SE_SE_EEEEZNS1_13binary_searchIS3_S5_NSA_INS8_10device_ptrIfEEEESG_SI_NS1_16binary_search_opENS9_16wrapped_functionINS8_6system6detail7generic6detail18binary_search_lessEbEEEE10hipError_tPvRmT1_T2_T3_mmT4_T5_P12ihipStream_tbEUlRKfE_EESV_SZ_S10_mS11_S14_bEUlT_E_NS1_11comp_targetILNS1_3genE10ELNS1_11target_archE1200ELNS1_3gpuE4ELNS1_3repE0EEENS1_30default_config_static_selectorELNS0_4arch9wavefront6targetE1EEEvSY_: ; @_ZN7rocprim17ROCPRIM_400000_NS6detail17trampoline_kernelINS0_14default_configENS1_29binary_search_config_selectorIfiEEZNS1_14transform_implILb0ES3_S5_N6thrust23THRUST_200600_302600_NS6detail15normal_iteratorINS8_7pointerIfNS8_11hip_rocprim9par_det_tENS8_11use_defaultESE_EEEENSA_INSB_IiSD_SE_SE_EEEEZNS1_13binary_searchIS3_S5_NSA_INS8_10device_ptrIfEEEESG_SI_NS1_16binary_search_opENS9_16wrapped_functionINS8_6system6detail7generic6detail18binary_search_lessEbEEEE10hipError_tPvRmT1_T2_T3_mmT4_T5_P12ihipStream_tbEUlRKfE_EESV_SZ_S10_mS11_S14_bEUlT_E_NS1_11comp_targetILNS1_3genE10ELNS1_11target_archE1200ELNS1_3gpuE4ELNS1_3repE0EEENS1_30default_config_static_selectorELNS0_4arch9wavefront6targetE1EEEvSY_
; %bb.0:
	.section	.rodata,"a",@progbits
	.p2align	6, 0x0
	.amdhsa_kernel _ZN7rocprim17ROCPRIM_400000_NS6detail17trampoline_kernelINS0_14default_configENS1_29binary_search_config_selectorIfiEEZNS1_14transform_implILb0ES3_S5_N6thrust23THRUST_200600_302600_NS6detail15normal_iteratorINS8_7pointerIfNS8_11hip_rocprim9par_det_tENS8_11use_defaultESE_EEEENSA_INSB_IiSD_SE_SE_EEEEZNS1_13binary_searchIS3_S5_NSA_INS8_10device_ptrIfEEEESG_SI_NS1_16binary_search_opENS9_16wrapped_functionINS8_6system6detail7generic6detail18binary_search_lessEbEEEE10hipError_tPvRmT1_T2_T3_mmT4_T5_P12ihipStream_tbEUlRKfE_EESV_SZ_S10_mS11_S14_bEUlT_E_NS1_11comp_targetILNS1_3genE10ELNS1_11target_archE1200ELNS1_3gpuE4ELNS1_3repE0EEENS1_30default_config_static_selectorELNS0_4arch9wavefront6targetE1EEEvSY_
		.amdhsa_group_segment_fixed_size 0
		.amdhsa_private_segment_fixed_size 0
		.amdhsa_kernarg_size 56
		.amdhsa_user_sgpr_count 6
		.amdhsa_user_sgpr_private_segment_buffer 1
		.amdhsa_user_sgpr_dispatch_ptr 0
		.amdhsa_user_sgpr_queue_ptr 0
		.amdhsa_user_sgpr_kernarg_segment_ptr 1
		.amdhsa_user_sgpr_dispatch_id 0
		.amdhsa_user_sgpr_flat_scratch_init 0
		.amdhsa_user_sgpr_private_segment_size 0
		.amdhsa_uses_dynamic_stack 0
		.amdhsa_system_sgpr_private_segment_wavefront_offset 0
		.amdhsa_system_sgpr_workgroup_id_x 1
		.amdhsa_system_sgpr_workgroup_id_y 0
		.amdhsa_system_sgpr_workgroup_id_z 0
		.amdhsa_system_sgpr_workgroup_info 0
		.amdhsa_system_vgpr_workitem_id 0
		.amdhsa_next_free_vgpr 1
		.amdhsa_next_free_sgpr 0
		.amdhsa_reserve_vcc 0
		.amdhsa_reserve_flat_scratch 0
		.amdhsa_float_round_mode_32 0
		.amdhsa_float_round_mode_16_64 0
		.amdhsa_float_denorm_mode_32 3
		.amdhsa_float_denorm_mode_16_64 3
		.amdhsa_dx10_clamp 1
		.amdhsa_ieee_mode 1
		.amdhsa_fp16_overflow 0
		.amdhsa_exception_fp_ieee_invalid_op 0
		.amdhsa_exception_fp_denorm_src 0
		.amdhsa_exception_fp_ieee_div_zero 0
		.amdhsa_exception_fp_ieee_overflow 0
		.amdhsa_exception_fp_ieee_underflow 0
		.amdhsa_exception_fp_ieee_inexact 0
		.amdhsa_exception_int_div_zero 0
	.end_amdhsa_kernel
	.section	.text._ZN7rocprim17ROCPRIM_400000_NS6detail17trampoline_kernelINS0_14default_configENS1_29binary_search_config_selectorIfiEEZNS1_14transform_implILb0ES3_S5_N6thrust23THRUST_200600_302600_NS6detail15normal_iteratorINS8_7pointerIfNS8_11hip_rocprim9par_det_tENS8_11use_defaultESE_EEEENSA_INSB_IiSD_SE_SE_EEEEZNS1_13binary_searchIS3_S5_NSA_INS8_10device_ptrIfEEEESG_SI_NS1_16binary_search_opENS9_16wrapped_functionINS8_6system6detail7generic6detail18binary_search_lessEbEEEE10hipError_tPvRmT1_T2_T3_mmT4_T5_P12ihipStream_tbEUlRKfE_EESV_SZ_S10_mS11_S14_bEUlT_E_NS1_11comp_targetILNS1_3genE10ELNS1_11target_archE1200ELNS1_3gpuE4ELNS1_3repE0EEENS1_30default_config_static_selectorELNS0_4arch9wavefront6targetE1EEEvSY_,"axG",@progbits,_ZN7rocprim17ROCPRIM_400000_NS6detail17trampoline_kernelINS0_14default_configENS1_29binary_search_config_selectorIfiEEZNS1_14transform_implILb0ES3_S5_N6thrust23THRUST_200600_302600_NS6detail15normal_iteratorINS8_7pointerIfNS8_11hip_rocprim9par_det_tENS8_11use_defaultESE_EEEENSA_INSB_IiSD_SE_SE_EEEEZNS1_13binary_searchIS3_S5_NSA_INS8_10device_ptrIfEEEESG_SI_NS1_16binary_search_opENS9_16wrapped_functionINS8_6system6detail7generic6detail18binary_search_lessEbEEEE10hipError_tPvRmT1_T2_T3_mmT4_T5_P12ihipStream_tbEUlRKfE_EESV_SZ_S10_mS11_S14_bEUlT_E_NS1_11comp_targetILNS1_3genE10ELNS1_11target_archE1200ELNS1_3gpuE4ELNS1_3repE0EEENS1_30default_config_static_selectorELNS0_4arch9wavefront6targetE1EEEvSY_,comdat
.Lfunc_end650:
	.size	_ZN7rocprim17ROCPRIM_400000_NS6detail17trampoline_kernelINS0_14default_configENS1_29binary_search_config_selectorIfiEEZNS1_14transform_implILb0ES3_S5_N6thrust23THRUST_200600_302600_NS6detail15normal_iteratorINS8_7pointerIfNS8_11hip_rocprim9par_det_tENS8_11use_defaultESE_EEEENSA_INSB_IiSD_SE_SE_EEEEZNS1_13binary_searchIS3_S5_NSA_INS8_10device_ptrIfEEEESG_SI_NS1_16binary_search_opENS9_16wrapped_functionINS8_6system6detail7generic6detail18binary_search_lessEbEEEE10hipError_tPvRmT1_T2_T3_mmT4_T5_P12ihipStream_tbEUlRKfE_EESV_SZ_S10_mS11_S14_bEUlT_E_NS1_11comp_targetILNS1_3genE10ELNS1_11target_archE1200ELNS1_3gpuE4ELNS1_3repE0EEENS1_30default_config_static_selectorELNS0_4arch9wavefront6targetE1EEEvSY_, .Lfunc_end650-_ZN7rocprim17ROCPRIM_400000_NS6detail17trampoline_kernelINS0_14default_configENS1_29binary_search_config_selectorIfiEEZNS1_14transform_implILb0ES3_S5_N6thrust23THRUST_200600_302600_NS6detail15normal_iteratorINS8_7pointerIfNS8_11hip_rocprim9par_det_tENS8_11use_defaultESE_EEEENSA_INSB_IiSD_SE_SE_EEEEZNS1_13binary_searchIS3_S5_NSA_INS8_10device_ptrIfEEEESG_SI_NS1_16binary_search_opENS9_16wrapped_functionINS8_6system6detail7generic6detail18binary_search_lessEbEEEE10hipError_tPvRmT1_T2_T3_mmT4_T5_P12ihipStream_tbEUlRKfE_EESV_SZ_S10_mS11_S14_bEUlT_E_NS1_11comp_targetILNS1_3genE10ELNS1_11target_archE1200ELNS1_3gpuE4ELNS1_3repE0EEENS1_30default_config_static_selectorELNS0_4arch9wavefront6targetE1EEEvSY_
                                        ; -- End function
	.set _ZN7rocprim17ROCPRIM_400000_NS6detail17trampoline_kernelINS0_14default_configENS1_29binary_search_config_selectorIfiEEZNS1_14transform_implILb0ES3_S5_N6thrust23THRUST_200600_302600_NS6detail15normal_iteratorINS8_7pointerIfNS8_11hip_rocprim9par_det_tENS8_11use_defaultESE_EEEENSA_INSB_IiSD_SE_SE_EEEEZNS1_13binary_searchIS3_S5_NSA_INS8_10device_ptrIfEEEESG_SI_NS1_16binary_search_opENS9_16wrapped_functionINS8_6system6detail7generic6detail18binary_search_lessEbEEEE10hipError_tPvRmT1_T2_T3_mmT4_T5_P12ihipStream_tbEUlRKfE_EESV_SZ_S10_mS11_S14_bEUlT_E_NS1_11comp_targetILNS1_3genE10ELNS1_11target_archE1200ELNS1_3gpuE4ELNS1_3repE0EEENS1_30default_config_static_selectorELNS0_4arch9wavefront6targetE1EEEvSY_.num_vgpr, 0
	.set _ZN7rocprim17ROCPRIM_400000_NS6detail17trampoline_kernelINS0_14default_configENS1_29binary_search_config_selectorIfiEEZNS1_14transform_implILb0ES3_S5_N6thrust23THRUST_200600_302600_NS6detail15normal_iteratorINS8_7pointerIfNS8_11hip_rocprim9par_det_tENS8_11use_defaultESE_EEEENSA_INSB_IiSD_SE_SE_EEEEZNS1_13binary_searchIS3_S5_NSA_INS8_10device_ptrIfEEEESG_SI_NS1_16binary_search_opENS9_16wrapped_functionINS8_6system6detail7generic6detail18binary_search_lessEbEEEE10hipError_tPvRmT1_T2_T3_mmT4_T5_P12ihipStream_tbEUlRKfE_EESV_SZ_S10_mS11_S14_bEUlT_E_NS1_11comp_targetILNS1_3genE10ELNS1_11target_archE1200ELNS1_3gpuE4ELNS1_3repE0EEENS1_30default_config_static_selectorELNS0_4arch9wavefront6targetE1EEEvSY_.num_agpr, 0
	.set _ZN7rocprim17ROCPRIM_400000_NS6detail17trampoline_kernelINS0_14default_configENS1_29binary_search_config_selectorIfiEEZNS1_14transform_implILb0ES3_S5_N6thrust23THRUST_200600_302600_NS6detail15normal_iteratorINS8_7pointerIfNS8_11hip_rocprim9par_det_tENS8_11use_defaultESE_EEEENSA_INSB_IiSD_SE_SE_EEEEZNS1_13binary_searchIS3_S5_NSA_INS8_10device_ptrIfEEEESG_SI_NS1_16binary_search_opENS9_16wrapped_functionINS8_6system6detail7generic6detail18binary_search_lessEbEEEE10hipError_tPvRmT1_T2_T3_mmT4_T5_P12ihipStream_tbEUlRKfE_EESV_SZ_S10_mS11_S14_bEUlT_E_NS1_11comp_targetILNS1_3genE10ELNS1_11target_archE1200ELNS1_3gpuE4ELNS1_3repE0EEENS1_30default_config_static_selectorELNS0_4arch9wavefront6targetE1EEEvSY_.numbered_sgpr, 0
	.set _ZN7rocprim17ROCPRIM_400000_NS6detail17trampoline_kernelINS0_14default_configENS1_29binary_search_config_selectorIfiEEZNS1_14transform_implILb0ES3_S5_N6thrust23THRUST_200600_302600_NS6detail15normal_iteratorINS8_7pointerIfNS8_11hip_rocprim9par_det_tENS8_11use_defaultESE_EEEENSA_INSB_IiSD_SE_SE_EEEEZNS1_13binary_searchIS3_S5_NSA_INS8_10device_ptrIfEEEESG_SI_NS1_16binary_search_opENS9_16wrapped_functionINS8_6system6detail7generic6detail18binary_search_lessEbEEEE10hipError_tPvRmT1_T2_T3_mmT4_T5_P12ihipStream_tbEUlRKfE_EESV_SZ_S10_mS11_S14_bEUlT_E_NS1_11comp_targetILNS1_3genE10ELNS1_11target_archE1200ELNS1_3gpuE4ELNS1_3repE0EEENS1_30default_config_static_selectorELNS0_4arch9wavefront6targetE1EEEvSY_.num_named_barrier, 0
	.set _ZN7rocprim17ROCPRIM_400000_NS6detail17trampoline_kernelINS0_14default_configENS1_29binary_search_config_selectorIfiEEZNS1_14transform_implILb0ES3_S5_N6thrust23THRUST_200600_302600_NS6detail15normal_iteratorINS8_7pointerIfNS8_11hip_rocprim9par_det_tENS8_11use_defaultESE_EEEENSA_INSB_IiSD_SE_SE_EEEEZNS1_13binary_searchIS3_S5_NSA_INS8_10device_ptrIfEEEESG_SI_NS1_16binary_search_opENS9_16wrapped_functionINS8_6system6detail7generic6detail18binary_search_lessEbEEEE10hipError_tPvRmT1_T2_T3_mmT4_T5_P12ihipStream_tbEUlRKfE_EESV_SZ_S10_mS11_S14_bEUlT_E_NS1_11comp_targetILNS1_3genE10ELNS1_11target_archE1200ELNS1_3gpuE4ELNS1_3repE0EEENS1_30default_config_static_selectorELNS0_4arch9wavefront6targetE1EEEvSY_.private_seg_size, 0
	.set _ZN7rocprim17ROCPRIM_400000_NS6detail17trampoline_kernelINS0_14default_configENS1_29binary_search_config_selectorIfiEEZNS1_14transform_implILb0ES3_S5_N6thrust23THRUST_200600_302600_NS6detail15normal_iteratorINS8_7pointerIfNS8_11hip_rocprim9par_det_tENS8_11use_defaultESE_EEEENSA_INSB_IiSD_SE_SE_EEEEZNS1_13binary_searchIS3_S5_NSA_INS8_10device_ptrIfEEEESG_SI_NS1_16binary_search_opENS9_16wrapped_functionINS8_6system6detail7generic6detail18binary_search_lessEbEEEE10hipError_tPvRmT1_T2_T3_mmT4_T5_P12ihipStream_tbEUlRKfE_EESV_SZ_S10_mS11_S14_bEUlT_E_NS1_11comp_targetILNS1_3genE10ELNS1_11target_archE1200ELNS1_3gpuE4ELNS1_3repE0EEENS1_30default_config_static_selectorELNS0_4arch9wavefront6targetE1EEEvSY_.uses_vcc, 0
	.set _ZN7rocprim17ROCPRIM_400000_NS6detail17trampoline_kernelINS0_14default_configENS1_29binary_search_config_selectorIfiEEZNS1_14transform_implILb0ES3_S5_N6thrust23THRUST_200600_302600_NS6detail15normal_iteratorINS8_7pointerIfNS8_11hip_rocprim9par_det_tENS8_11use_defaultESE_EEEENSA_INSB_IiSD_SE_SE_EEEEZNS1_13binary_searchIS3_S5_NSA_INS8_10device_ptrIfEEEESG_SI_NS1_16binary_search_opENS9_16wrapped_functionINS8_6system6detail7generic6detail18binary_search_lessEbEEEE10hipError_tPvRmT1_T2_T3_mmT4_T5_P12ihipStream_tbEUlRKfE_EESV_SZ_S10_mS11_S14_bEUlT_E_NS1_11comp_targetILNS1_3genE10ELNS1_11target_archE1200ELNS1_3gpuE4ELNS1_3repE0EEENS1_30default_config_static_selectorELNS0_4arch9wavefront6targetE1EEEvSY_.uses_flat_scratch, 0
	.set _ZN7rocprim17ROCPRIM_400000_NS6detail17trampoline_kernelINS0_14default_configENS1_29binary_search_config_selectorIfiEEZNS1_14transform_implILb0ES3_S5_N6thrust23THRUST_200600_302600_NS6detail15normal_iteratorINS8_7pointerIfNS8_11hip_rocprim9par_det_tENS8_11use_defaultESE_EEEENSA_INSB_IiSD_SE_SE_EEEEZNS1_13binary_searchIS3_S5_NSA_INS8_10device_ptrIfEEEESG_SI_NS1_16binary_search_opENS9_16wrapped_functionINS8_6system6detail7generic6detail18binary_search_lessEbEEEE10hipError_tPvRmT1_T2_T3_mmT4_T5_P12ihipStream_tbEUlRKfE_EESV_SZ_S10_mS11_S14_bEUlT_E_NS1_11comp_targetILNS1_3genE10ELNS1_11target_archE1200ELNS1_3gpuE4ELNS1_3repE0EEENS1_30default_config_static_selectorELNS0_4arch9wavefront6targetE1EEEvSY_.has_dyn_sized_stack, 0
	.set _ZN7rocprim17ROCPRIM_400000_NS6detail17trampoline_kernelINS0_14default_configENS1_29binary_search_config_selectorIfiEEZNS1_14transform_implILb0ES3_S5_N6thrust23THRUST_200600_302600_NS6detail15normal_iteratorINS8_7pointerIfNS8_11hip_rocprim9par_det_tENS8_11use_defaultESE_EEEENSA_INSB_IiSD_SE_SE_EEEEZNS1_13binary_searchIS3_S5_NSA_INS8_10device_ptrIfEEEESG_SI_NS1_16binary_search_opENS9_16wrapped_functionINS8_6system6detail7generic6detail18binary_search_lessEbEEEE10hipError_tPvRmT1_T2_T3_mmT4_T5_P12ihipStream_tbEUlRKfE_EESV_SZ_S10_mS11_S14_bEUlT_E_NS1_11comp_targetILNS1_3genE10ELNS1_11target_archE1200ELNS1_3gpuE4ELNS1_3repE0EEENS1_30default_config_static_selectorELNS0_4arch9wavefront6targetE1EEEvSY_.has_recursion, 0
	.set _ZN7rocprim17ROCPRIM_400000_NS6detail17trampoline_kernelINS0_14default_configENS1_29binary_search_config_selectorIfiEEZNS1_14transform_implILb0ES3_S5_N6thrust23THRUST_200600_302600_NS6detail15normal_iteratorINS8_7pointerIfNS8_11hip_rocprim9par_det_tENS8_11use_defaultESE_EEEENSA_INSB_IiSD_SE_SE_EEEEZNS1_13binary_searchIS3_S5_NSA_INS8_10device_ptrIfEEEESG_SI_NS1_16binary_search_opENS9_16wrapped_functionINS8_6system6detail7generic6detail18binary_search_lessEbEEEE10hipError_tPvRmT1_T2_T3_mmT4_T5_P12ihipStream_tbEUlRKfE_EESV_SZ_S10_mS11_S14_bEUlT_E_NS1_11comp_targetILNS1_3genE10ELNS1_11target_archE1200ELNS1_3gpuE4ELNS1_3repE0EEENS1_30default_config_static_selectorELNS0_4arch9wavefront6targetE1EEEvSY_.has_indirect_call, 0
	.section	.AMDGPU.csdata,"",@progbits
; Kernel info:
; codeLenInByte = 0
; TotalNumSgprs: 4
; NumVgprs: 0
; ScratchSize: 0
; MemoryBound: 0
; FloatMode: 240
; IeeeMode: 1
; LDSByteSize: 0 bytes/workgroup (compile time only)
; SGPRBlocks: 0
; VGPRBlocks: 0
; NumSGPRsForWavesPerEU: 4
; NumVGPRsForWavesPerEU: 1
; Occupancy: 10
; WaveLimiterHint : 0
; COMPUTE_PGM_RSRC2:SCRATCH_EN: 0
; COMPUTE_PGM_RSRC2:USER_SGPR: 6
; COMPUTE_PGM_RSRC2:TRAP_HANDLER: 0
; COMPUTE_PGM_RSRC2:TGID_X_EN: 1
; COMPUTE_PGM_RSRC2:TGID_Y_EN: 0
; COMPUTE_PGM_RSRC2:TGID_Z_EN: 0
; COMPUTE_PGM_RSRC2:TIDIG_COMP_CNT: 0
	.section	.text._ZN7rocprim17ROCPRIM_400000_NS6detail17trampoline_kernelINS0_14default_configENS1_29binary_search_config_selectorIfiEEZNS1_14transform_implILb0ES3_S5_N6thrust23THRUST_200600_302600_NS6detail15normal_iteratorINS8_7pointerIfNS8_11hip_rocprim9par_det_tENS8_11use_defaultESE_EEEENSA_INSB_IiSD_SE_SE_EEEEZNS1_13binary_searchIS3_S5_NSA_INS8_10device_ptrIfEEEESG_SI_NS1_16binary_search_opENS9_16wrapped_functionINS8_6system6detail7generic6detail18binary_search_lessEbEEEE10hipError_tPvRmT1_T2_T3_mmT4_T5_P12ihipStream_tbEUlRKfE_EESV_SZ_S10_mS11_S14_bEUlT_E_NS1_11comp_targetILNS1_3genE9ELNS1_11target_archE1100ELNS1_3gpuE3ELNS1_3repE0EEENS1_30default_config_static_selectorELNS0_4arch9wavefront6targetE1EEEvSY_,"axG",@progbits,_ZN7rocprim17ROCPRIM_400000_NS6detail17trampoline_kernelINS0_14default_configENS1_29binary_search_config_selectorIfiEEZNS1_14transform_implILb0ES3_S5_N6thrust23THRUST_200600_302600_NS6detail15normal_iteratorINS8_7pointerIfNS8_11hip_rocprim9par_det_tENS8_11use_defaultESE_EEEENSA_INSB_IiSD_SE_SE_EEEEZNS1_13binary_searchIS3_S5_NSA_INS8_10device_ptrIfEEEESG_SI_NS1_16binary_search_opENS9_16wrapped_functionINS8_6system6detail7generic6detail18binary_search_lessEbEEEE10hipError_tPvRmT1_T2_T3_mmT4_T5_P12ihipStream_tbEUlRKfE_EESV_SZ_S10_mS11_S14_bEUlT_E_NS1_11comp_targetILNS1_3genE9ELNS1_11target_archE1100ELNS1_3gpuE3ELNS1_3repE0EEENS1_30default_config_static_selectorELNS0_4arch9wavefront6targetE1EEEvSY_,comdat
	.protected	_ZN7rocprim17ROCPRIM_400000_NS6detail17trampoline_kernelINS0_14default_configENS1_29binary_search_config_selectorIfiEEZNS1_14transform_implILb0ES3_S5_N6thrust23THRUST_200600_302600_NS6detail15normal_iteratorINS8_7pointerIfNS8_11hip_rocprim9par_det_tENS8_11use_defaultESE_EEEENSA_INSB_IiSD_SE_SE_EEEEZNS1_13binary_searchIS3_S5_NSA_INS8_10device_ptrIfEEEESG_SI_NS1_16binary_search_opENS9_16wrapped_functionINS8_6system6detail7generic6detail18binary_search_lessEbEEEE10hipError_tPvRmT1_T2_T3_mmT4_T5_P12ihipStream_tbEUlRKfE_EESV_SZ_S10_mS11_S14_bEUlT_E_NS1_11comp_targetILNS1_3genE9ELNS1_11target_archE1100ELNS1_3gpuE3ELNS1_3repE0EEENS1_30default_config_static_selectorELNS0_4arch9wavefront6targetE1EEEvSY_ ; -- Begin function _ZN7rocprim17ROCPRIM_400000_NS6detail17trampoline_kernelINS0_14default_configENS1_29binary_search_config_selectorIfiEEZNS1_14transform_implILb0ES3_S5_N6thrust23THRUST_200600_302600_NS6detail15normal_iteratorINS8_7pointerIfNS8_11hip_rocprim9par_det_tENS8_11use_defaultESE_EEEENSA_INSB_IiSD_SE_SE_EEEEZNS1_13binary_searchIS3_S5_NSA_INS8_10device_ptrIfEEEESG_SI_NS1_16binary_search_opENS9_16wrapped_functionINS8_6system6detail7generic6detail18binary_search_lessEbEEEE10hipError_tPvRmT1_T2_T3_mmT4_T5_P12ihipStream_tbEUlRKfE_EESV_SZ_S10_mS11_S14_bEUlT_E_NS1_11comp_targetILNS1_3genE9ELNS1_11target_archE1100ELNS1_3gpuE3ELNS1_3repE0EEENS1_30default_config_static_selectorELNS0_4arch9wavefront6targetE1EEEvSY_
	.globl	_ZN7rocprim17ROCPRIM_400000_NS6detail17trampoline_kernelINS0_14default_configENS1_29binary_search_config_selectorIfiEEZNS1_14transform_implILb0ES3_S5_N6thrust23THRUST_200600_302600_NS6detail15normal_iteratorINS8_7pointerIfNS8_11hip_rocprim9par_det_tENS8_11use_defaultESE_EEEENSA_INSB_IiSD_SE_SE_EEEEZNS1_13binary_searchIS3_S5_NSA_INS8_10device_ptrIfEEEESG_SI_NS1_16binary_search_opENS9_16wrapped_functionINS8_6system6detail7generic6detail18binary_search_lessEbEEEE10hipError_tPvRmT1_T2_T3_mmT4_T5_P12ihipStream_tbEUlRKfE_EESV_SZ_S10_mS11_S14_bEUlT_E_NS1_11comp_targetILNS1_3genE9ELNS1_11target_archE1100ELNS1_3gpuE3ELNS1_3repE0EEENS1_30default_config_static_selectorELNS0_4arch9wavefront6targetE1EEEvSY_
	.p2align	8
	.type	_ZN7rocprim17ROCPRIM_400000_NS6detail17trampoline_kernelINS0_14default_configENS1_29binary_search_config_selectorIfiEEZNS1_14transform_implILb0ES3_S5_N6thrust23THRUST_200600_302600_NS6detail15normal_iteratorINS8_7pointerIfNS8_11hip_rocprim9par_det_tENS8_11use_defaultESE_EEEENSA_INSB_IiSD_SE_SE_EEEEZNS1_13binary_searchIS3_S5_NSA_INS8_10device_ptrIfEEEESG_SI_NS1_16binary_search_opENS9_16wrapped_functionINS8_6system6detail7generic6detail18binary_search_lessEbEEEE10hipError_tPvRmT1_T2_T3_mmT4_T5_P12ihipStream_tbEUlRKfE_EESV_SZ_S10_mS11_S14_bEUlT_E_NS1_11comp_targetILNS1_3genE9ELNS1_11target_archE1100ELNS1_3gpuE3ELNS1_3repE0EEENS1_30default_config_static_selectorELNS0_4arch9wavefront6targetE1EEEvSY_,@function
_ZN7rocprim17ROCPRIM_400000_NS6detail17trampoline_kernelINS0_14default_configENS1_29binary_search_config_selectorIfiEEZNS1_14transform_implILb0ES3_S5_N6thrust23THRUST_200600_302600_NS6detail15normal_iteratorINS8_7pointerIfNS8_11hip_rocprim9par_det_tENS8_11use_defaultESE_EEEENSA_INSB_IiSD_SE_SE_EEEEZNS1_13binary_searchIS3_S5_NSA_INS8_10device_ptrIfEEEESG_SI_NS1_16binary_search_opENS9_16wrapped_functionINS8_6system6detail7generic6detail18binary_search_lessEbEEEE10hipError_tPvRmT1_T2_T3_mmT4_T5_P12ihipStream_tbEUlRKfE_EESV_SZ_S10_mS11_S14_bEUlT_E_NS1_11comp_targetILNS1_3genE9ELNS1_11target_archE1100ELNS1_3gpuE3ELNS1_3repE0EEENS1_30default_config_static_selectorELNS0_4arch9wavefront6targetE1EEEvSY_: ; @_ZN7rocprim17ROCPRIM_400000_NS6detail17trampoline_kernelINS0_14default_configENS1_29binary_search_config_selectorIfiEEZNS1_14transform_implILb0ES3_S5_N6thrust23THRUST_200600_302600_NS6detail15normal_iteratorINS8_7pointerIfNS8_11hip_rocprim9par_det_tENS8_11use_defaultESE_EEEENSA_INSB_IiSD_SE_SE_EEEEZNS1_13binary_searchIS3_S5_NSA_INS8_10device_ptrIfEEEESG_SI_NS1_16binary_search_opENS9_16wrapped_functionINS8_6system6detail7generic6detail18binary_search_lessEbEEEE10hipError_tPvRmT1_T2_T3_mmT4_T5_P12ihipStream_tbEUlRKfE_EESV_SZ_S10_mS11_S14_bEUlT_E_NS1_11comp_targetILNS1_3genE9ELNS1_11target_archE1100ELNS1_3gpuE3ELNS1_3repE0EEENS1_30default_config_static_selectorELNS0_4arch9wavefront6targetE1EEEvSY_
; %bb.0:
	.section	.rodata,"a",@progbits
	.p2align	6, 0x0
	.amdhsa_kernel _ZN7rocprim17ROCPRIM_400000_NS6detail17trampoline_kernelINS0_14default_configENS1_29binary_search_config_selectorIfiEEZNS1_14transform_implILb0ES3_S5_N6thrust23THRUST_200600_302600_NS6detail15normal_iteratorINS8_7pointerIfNS8_11hip_rocprim9par_det_tENS8_11use_defaultESE_EEEENSA_INSB_IiSD_SE_SE_EEEEZNS1_13binary_searchIS3_S5_NSA_INS8_10device_ptrIfEEEESG_SI_NS1_16binary_search_opENS9_16wrapped_functionINS8_6system6detail7generic6detail18binary_search_lessEbEEEE10hipError_tPvRmT1_T2_T3_mmT4_T5_P12ihipStream_tbEUlRKfE_EESV_SZ_S10_mS11_S14_bEUlT_E_NS1_11comp_targetILNS1_3genE9ELNS1_11target_archE1100ELNS1_3gpuE3ELNS1_3repE0EEENS1_30default_config_static_selectorELNS0_4arch9wavefront6targetE1EEEvSY_
		.amdhsa_group_segment_fixed_size 0
		.amdhsa_private_segment_fixed_size 0
		.amdhsa_kernarg_size 56
		.amdhsa_user_sgpr_count 6
		.amdhsa_user_sgpr_private_segment_buffer 1
		.amdhsa_user_sgpr_dispatch_ptr 0
		.amdhsa_user_sgpr_queue_ptr 0
		.amdhsa_user_sgpr_kernarg_segment_ptr 1
		.amdhsa_user_sgpr_dispatch_id 0
		.amdhsa_user_sgpr_flat_scratch_init 0
		.amdhsa_user_sgpr_private_segment_size 0
		.amdhsa_uses_dynamic_stack 0
		.amdhsa_system_sgpr_private_segment_wavefront_offset 0
		.amdhsa_system_sgpr_workgroup_id_x 1
		.amdhsa_system_sgpr_workgroup_id_y 0
		.amdhsa_system_sgpr_workgroup_id_z 0
		.amdhsa_system_sgpr_workgroup_info 0
		.amdhsa_system_vgpr_workitem_id 0
		.amdhsa_next_free_vgpr 1
		.amdhsa_next_free_sgpr 0
		.amdhsa_reserve_vcc 0
		.amdhsa_reserve_flat_scratch 0
		.amdhsa_float_round_mode_32 0
		.amdhsa_float_round_mode_16_64 0
		.amdhsa_float_denorm_mode_32 3
		.amdhsa_float_denorm_mode_16_64 3
		.amdhsa_dx10_clamp 1
		.amdhsa_ieee_mode 1
		.amdhsa_fp16_overflow 0
		.amdhsa_exception_fp_ieee_invalid_op 0
		.amdhsa_exception_fp_denorm_src 0
		.amdhsa_exception_fp_ieee_div_zero 0
		.amdhsa_exception_fp_ieee_overflow 0
		.amdhsa_exception_fp_ieee_underflow 0
		.amdhsa_exception_fp_ieee_inexact 0
		.amdhsa_exception_int_div_zero 0
	.end_amdhsa_kernel
	.section	.text._ZN7rocprim17ROCPRIM_400000_NS6detail17trampoline_kernelINS0_14default_configENS1_29binary_search_config_selectorIfiEEZNS1_14transform_implILb0ES3_S5_N6thrust23THRUST_200600_302600_NS6detail15normal_iteratorINS8_7pointerIfNS8_11hip_rocprim9par_det_tENS8_11use_defaultESE_EEEENSA_INSB_IiSD_SE_SE_EEEEZNS1_13binary_searchIS3_S5_NSA_INS8_10device_ptrIfEEEESG_SI_NS1_16binary_search_opENS9_16wrapped_functionINS8_6system6detail7generic6detail18binary_search_lessEbEEEE10hipError_tPvRmT1_T2_T3_mmT4_T5_P12ihipStream_tbEUlRKfE_EESV_SZ_S10_mS11_S14_bEUlT_E_NS1_11comp_targetILNS1_3genE9ELNS1_11target_archE1100ELNS1_3gpuE3ELNS1_3repE0EEENS1_30default_config_static_selectorELNS0_4arch9wavefront6targetE1EEEvSY_,"axG",@progbits,_ZN7rocprim17ROCPRIM_400000_NS6detail17trampoline_kernelINS0_14default_configENS1_29binary_search_config_selectorIfiEEZNS1_14transform_implILb0ES3_S5_N6thrust23THRUST_200600_302600_NS6detail15normal_iteratorINS8_7pointerIfNS8_11hip_rocprim9par_det_tENS8_11use_defaultESE_EEEENSA_INSB_IiSD_SE_SE_EEEEZNS1_13binary_searchIS3_S5_NSA_INS8_10device_ptrIfEEEESG_SI_NS1_16binary_search_opENS9_16wrapped_functionINS8_6system6detail7generic6detail18binary_search_lessEbEEEE10hipError_tPvRmT1_T2_T3_mmT4_T5_P12ihipStream_tbEUlRKfE_EESV_SZ_S10_mS11_S14_bEUlT_E_NS1_11comp_targetILNS1_3genE9ELNS1_11target_archE1100ELNS1_3gpuE3ELNS1_3repE0EEENS1_30default_config_static_selectorELNS0_4arch9wavefront6targetE1EEEvSY_,comdat
.Lfunc_end651:
	.size	_ZN7rocprim17ROCPRIM_400000_NS6detail17trampoline_kernelINS0_14default_configENS1_29binary_search_config_selectorIfiEEZNS1_14transform_implILb0ES3_S5_N6thrust23THRUST_200600_302600_NS6detail15normal_iteratorINS8_7pointerIfNS8_11hip_rocprim9par_det_tENS8_11use_defaultESE_EEEENSA_INSB_IiSD_SE_SE_EEEEZNS1_13binary_searchIS3_S5_NSA_INS8_10device_ptrIfEEEESG_SI_NS1_16binary_search_opENS9_16wrapped_functionINS8_6system6detail7generic6detail18binary_search_lessEbEEEE10hipError_tPvRmT1_T2_T3_mmT4_T5_P12ihipStream_tbEUlRKfE_EESV_SZ_S10_mS11_S14_bEUlT_E_NS1_11comp_targetILNS1_3genE9ELNS1_11target_archE1100ELNS1_3gpuE3ELNS1_3repE0EEENS1_30default_config_static_selectorELNS0_4arch9wavefront6targetE1EEEvSY_, .Lfunc_end651-_ZN7rocprim17ROCPRIM_400000_NS6detail17trampoline_kernelINS0_14default_configENS1_29binary_search_config_selectorIfiEEZNS1_14transform_implILb0ES3_S5_N6thrust23THRUST_200600_302600_NS6detail15normal_iteratorINS8_7pointerIfNS8_11hip_rocprim9par_det_tENS8_11use_defaultESE_EEEENSA_INSB_IiSD_SE_SE_EEEEZNS1_13binary_searchIS3_S5_NSA_INS8_10device_ptrIfEEEESG_SI_NS1_16binary_search_opENS9_16wrapped_functionINS8_6system6detail7generic6detail18binary_search_lessEbEEEE10hipError_tPvRmT1_T2_T3_mmT4_T5_P12ihipStream_tbEUlRKfE_EESV_SZ_S10_mS11_S14_bEUlT_E_NS1_11comp_targetILNS1_3genE9ELNS1_11target_archE1100ELNS1_3gpuE3ELNS1_3repE0EEENS1_30default_config_static_selectorELNS0_4arch9wavefront6targetE1EEEvSY_
                                        ; -- End function
	.set _ZN7rocprim17ROCPRIM_400000_NS6detail17trampoline_kernelINS0_14default_configENS1_29binary_search_config_selectorIfiEEZNS1_14transform_implILb0ES3_S5_N6thrust23THRUST_200600_302600_NS6detail15normal_iteratorINS8_7pointerIfNS8_11hip_rocprim9par_det_tENS8_11use_defaultESE_EEEENSA_INSB_IiSD_SE_SE_EEEEZNS1_13binary_searchIS3_S5_NSA_INS8_10device_ptrIfEEEESG_SI_NS1_16binary_search_opENS9_16wrapped_functionINS8_6system6detail7generic6detail18binary_search_lessEbEEEE10hipError_tPvRmT1_T2_T3_mmT4_T5_P12ihipStream_tbEUlRKfE_EESV_SZ_S10_mS11_S14_bEUlT_E_NS1_11comp_targetILNS1_3genE9ELNS1_11target_archE1100ELNS1_3gpuE3ELNS1_3repE0EEENS1_30default_config_static_selectorELNS0_4arch9wavefront6targetE1EEEvSY_.num_vgpr, 0
	.set _ZN7rocprim17ROCPRIM_400000_NS6detail17trampoline_kernelINS0_14default_configENS1_29binary_search_config_selectorIfiEEZNS1_14transform_implILb0ES3_S5_N6thrust23THRUST_200600_302600_NS6detail15normal_iteratorINS8_7pointerIfNS8_11hip_rocprim9par_det_tENS8_11use_defaultESE_EEEENSA_INSB_IiSD_SE_SE_EEEEZNS1_13binary_searchIS3_S5_NSA_INS8_10device_ptrIfEEEESG_SI_NS1_16binary_search_opENS9_16wrapped_functionINS8_6system6detail7generic6detail18binary_search_lessEbEEEE10hipError_tPvRmT1_T2_T3_mmT4_T5_P12ihipStream_tbEUlRKfE_EESV_SZ_S10_mS11_S14_bEUlT_E_NS1_11comp_targetILNS1_3genE9ELNS1_11target_archE1100ELNS1_3gpuE3ELNS1_3repE0EEENS1_30default_config_static_selectorELNS0_4arch9wavefront6targetE1EEEvSY_.num_agpr, 0
	.set _ZN7rocprim17ROCPRIM_400000_NS6detail17trampoline_kernelINS0_14default_configENS1_29binary_search_config_selectorIfiEEZNS1_14transform_implILb0ES3_S5_N6thrust23THRUST_200600_302600_NS6detail15normal_iteratorINS8_7pointerIfNS8_11hip_rocprim9par_det_tENS8_11use_defaultESE_EEEENSA_INSB_IiSD_SE_SE_EEEEZNS1_13binary_searchIS3_S5_NSA_INS8_10device_ptrIfEEEESG_SI_NS1_16binary_search_opENS9_16wrapped_functionINS8_6system6detail7generic6detail18binary_search_lessEbEEEE10hipError_tPvRmT1_T2_T3_mmT4_T5_P12ihipStream_tbEUlRKfE_EESV_SZ_S10_mS11_S14_bEUlT_E_NS1_11comp_targetILNS1_3genE9ELNS1_11target_archE1100ELNS1_3gpuE3ELNS1_3repE0EEENS1_30default_config_static_selectorELNS0_4arch9wavefront6targetE1EEEvSY_.numbered_sgpr, 0
	.set _ZN7rocprim17ROCPRIM_400000_NS6detail17trampoline_kernelINS0_14default_configENS1_29binary_search_config_selectorIfiEEZNS1_14transform_implILb0ES3_S5_N6thrust23THRUST_200600_302600_NS6detail15normal_iteratorINS8_7pointerIfNS8_11hip_rocprim9par_det_tENS8_11use_defaultESE_EEEENSA_INSB_IiSD_SE_SE_EEEEZNS1_13binary_searchIS3_S5_NSA_INS8_10device_ptrIfEEEESG_SI_NS1_16binary_search_opENS9_16wrapped_functionINS8_6system6detail7generic6detail18binary_search_lessEbEEEE10hipError_tPvRmT1_T2_T3_mmT4_T5_P12ihipStream_tbEUlRKfE_EESV_SZ_S10_mS11_S14_bEUlT_E_NS1_11comp_targetILNS1_3genE9ELNS1_11target_archE1100ELNS1_3gpuE3ELNS1_3repE0EEENS1_30default_config_static_selectorELNS0_4arch9wavefront6targetE1EEEvSY_.num_named_barrier, 0
	.set _ZN7rocprim17ROCPRIM_400000_NS6detail17trampoline_kernelINS0_14default_configENS1_29binary_search_config_selectorIfiEEZNS1_14transform_implILb0ES3_S5_N6thrust23THRUST_200600_302600_NS6detail15normal_iteratorINS8_7pointerIfNS8_11hip_rocprim9par_det_tENS8_11use_defaultESE_EEEENSA_INSB_IiSD_SE_SE_EEEEZNS1_13binary_searchIS3_S5_NSA_INS8_10device_ptrIfEEEESG_SI_NS1_16binary_search_opENS9_16wrapped_functionINS8_6system6detail7generic6detail18binary_search_lessEbEEEE10hipError_tPvRmT1_T2_T3_mmT4_T5_P12ihipStream_tbEUlRKfE_EESV_SZ_S10_mS11_S14_bEUlT_E_NS1_11comp_targetILNS1_3genE9ELNS1_11target_archE1100ELNS1_3gpuE3ELNS1_3repE0EEENS1_30default_config_static_selectorELNS0_4arch9wavefront6targetE1EEEvSY_.private_seg_size, 0
	.set _ZN7rocprim17ROCPRIM_400000_NS6detail17trampoline_kernelINS0_14default_configENS1_29binary_search_config_selectorIfiEEZNS1_14transform_implILb0ES3_S5_N6thrust23THRUST_200600_302600_NS6detail15normal_iteratorINS8_7pointerIfNS8_11hip_rocprim9par_det_tENS8_11use_defaultESE_EEEENSA_INSB_IiSD_SE_SE_EEEEZNS1_13binary_searchIS3_S5_NSA_INS8_10device_ptrIfEEEESG_SI_NS1_16binary_search_opENS9_16wrapped_functionINS8_6system6detail7generic6detail18binary_search_lessEbEEEE10hipError_tPvRmT1_T2_T3_mmT4_T5_P12ihipStream_tbEUlRKfE_EESV_SZ_S10_mS11_S14_bEUlT_E_NS1_11comp_targetILNS1_3genE9ELNS1_11target_archE1100ELNS1_3gpuE3ELNS1_3repE0EEENS1_30default_config_static_selectorELNS0_4arch9wavefront6targetE1EEEvSY_.uses_vcc, 0
	.set _ZN7rocprim17ROCPRIM_400000_NS6detail17trampoline_kernelINS0_14default_configENS1_29binary_search_config_selectorIfiEEZNS1_14transform_implILb0ES3_S5_N6thrust23THRUST_200600_302600_NS6detail15normal_iteratorINS8_7pointerIfNS8_11hip_rocprim9par_det_tENS8_11use_defaultESE_EEEENSA_INSB_IiSD_SE_SE_EEEEZNS1_13binary_searchIS3_S5_NSA_INS8_10device_ptrIfEEEESG_SI_NS1_16binary_search_opENS9_16wrapped_functionINS8_6system6detail7generic6detail18binary_search_lessEbEEEE10hipError_tPvRmT1_T2_T3_mmT4_T5_P12ihipStream_tbEUlRKfE_EESV_SZ_S10_mS11_S14_bEUlT_E_NS1_11comp_targetILNS1_3genE9ELNS1_11target_archE1100ELNS1_3gpuE3ELNS1_3repE0EEENS1_30default_config_static_selectorELNS0_4arch9wavefront6targetE1EEEvSY_.uses_flat_scratch, 0
	.set _ZN7rocprim17ROCPRIM_400000_NS6detail17trampoline_kernelINS0_14default_configENS1_29binary_search_config_selectorIfiEEZNS1_14transform_implILb0ES3_S5_N6thrust23THRUST_200600_302600_NS6detail15normal_iteratorINS8_7pointerIfNS8_11hip_rocprim9par_det_tENS8_11use_defaultESE_EEEENSA_INSB_IiSD_SE_SE_EEEEZNS1_13binary_searchIS3_S5_NSA_INS8_10device_ptrIfEEEESG_SI_NS1_16binary_search_opENS9_16wrapped_functionINS8_6system6detail7generic6detail18binary_search_lessEbEEEE10hipError_tPvRmT1_T2_T3_mmT4_T5_P12ihipStream_tbEUlRKfE_EESV_SZ_S10_mS11_S14_bEUlT_E_NS1_11comp_targetILNS1_3genE9ELNS1_11target_archE1100ELNS1_3gpuE3ELNS1_3repE0EEENS1_30default_config_static_selectorELNS0_4arch9wavefront6targetE1EEEvSY_.has_dyn_sized_stack, 0
	.set _ZN7rocprim17ROCPRIM_400000_NS6detail17trampoline_kernelINS0_14default_configENS1_29binary_search_config_selectorIfiEEZNS1_14transform_implILb0ES3_S5_N6thrust23THRUST_200600_302600_NS6detail15normal_iteratorINS8_7pointerIfNS8_11hip_rocprim9par_det_tENS8_11use_defaultESE_EEEENSA_INSB_IiSD_SE_SE_EEEEZNS1_13binary_searchIS3_S5_NSA_INS8_10device_ptrIfEEEESG_SI_NS1_16binary_search_opENS9_16wrapped_functionINS8_6system6detail7generic6detail18binary_search_lessEbEEEE10hipError_tPvRmT1_T2_T3_mmT4_T5_P12ihipStream_tbEUlRKfE_EESV_SZ_S10_mS11_S14_bEUlT_E_NS1_11comp_targetILNS1_3genE9ELNS1_11target_archE1100ELNS1_3gpuE3ELNS1_3repE0EEENS1_30default_config_static_selectorELNS0_4arch9wavefront6targetE1EEEvSY_.has_recursion, 0
	.set _ZN7rocprim17ROCPRIM_400000_NS6detail17trampoline_kernelINS0_14default_configENS1_29binary_search_config_selectorIfiEEZNS1_14transform_implILb0ES3_S5_N6thrust23THRUST_200600_302600_NS6detail15normal_iteratorINS8_7pointerIfNS8_11hip_rocprim9par_det_tENS8_11use_defaultESE_EEEENSA_INSB_IiSD_SE_SE_EEEEZNS1_13binary_searchIS3_S5_NSA_INS8_10device_ptrIfEEEESG_SI_NS1_16binary_search_opENS9_16wrapped_functionINS8_6system6detail7generic6detail18binary_search_lessEbEEEE10hipError_tPvRmT1_T2_T3_mmT4_T5_P12ihipStream_tbEUlRKfE_EESV_SZ_S10_mS11_S14_bEUlT_E_NS1_11comp_targetILNS1_3genE9ELNS1_11target_archE1100ELNS1_3gpuE3ELNS1_3repE0EEENS1_30default_config_static_selectorELNS0_4arch9wavefront6targetE1EEEvSY_.has_indirect_call, 0
	.section	.AMDGPU.csdata,"",@progbits
; Kernel info:
; codeLenInByte = 0
; TotalNumSgprs: 4
; NumVgprs: 0
; ScratchSize: 0
; MemoryBound: 0
; FloatMode: 240
; IeeeMode: 1
; LDSByteSize: 0 bytes/workgroup (compile time only)
; SGPRBlocks: 0
; VGPRBlocks: 0
; NumSGPRsForWavesPerEU: 4
; NumVGPRsForWavesPerEU: 1
; Occupancy: 10
; WaveLimiterHint : 0
; COMPUTE_PGM_RSRC2:SCRATCH_EN: 0
; COMPUTE_PGM_RSRC2:USER_SGPR: 6
; COMPUTE_PGM_RSRC2:TRAP_HANDLER: 0
; COMPUTE_PGM_RSRC2:TGID_X_EN: 1
; COMPUTE_PGM_RSRC2:TGID_Y_EN: 0
; COMPUTE_PGM_RSRC2:TGID_Z_EN: 0
; COMPUTE_PGM_RSRC2:TIDIG_COMP_CNT: 0
	.section	.text._ZN7rocprim17ROCPRIM_400000_NS6detail17trampoline_kernelINS0_14default_configENS1_29binary_search_config_selectorIfiEEZNS1_14transform_implILb0ES3_S5_N6thrust23THRUST_200600_302600_NS6detail15normal_iteratorINS8_7pointerIfNS8_11hip_rocprim9par_det_tENS8_11use_defaultESE_EEEENSA_INSB_IiSD_SE_SE_EEEEZNS1_13binary_searchIS3_S5_NSA_INS8_10device_ptrIfEEEESG_SI_NS1_16binary_search_opENS9_16wrapped_functionINS8_6system6detail7generic6detail18binary_search_lessEbEEEE10hipError_tPvRmT1_T2_T3_mmT4_T5_P12ihipStream_tbEUlRKfE_EESV_SZ_S10_mS11_S14_bEUlT_E_NS1_11comp_targetILNS1_3genE8ELNS1_11target_archE1030ELNS1_3gpuE2ELNS1_3repE0EEENS1_30default_config_static_selectorELNS0_4arch9wavefront6targetE1EEEvSY_,"axG",@progbits,_ZN7rocprim17ROCPRIM_400000_NS6detail17trampoline_kernelINS0_14default_configENS1_29binary_search_config_selectorIfiEEZNS1_14transform_implILb0ES3_S5_N6thrust23THRUST_200600_302600_NS6detail15normal_iteratorINS8_7pointerIfNS8_11hip_rocprim9par_det_tENS8_11use_defaultESE_EEEENSA_INSB_IiSD_SE_SE_EEEEZNS1_13binary_searchIS3_S5_NSA_INS8_10device_ptrIfEEEESG_SI_NS1_16binary_search_opENS9_16wrapped_functionINS8_6system6detail7generic6detail18binary_search_lessEbEEEE10hipError_tPvRmT1_T2_T3_mmT4_T5_P12ihipStream_tbEUlRKfE_EESV_SZ_S10_mS11_S14_bEUlT_E_NS1_11comp_targetILNS1_3genE8ELNS1_11target_archE1030ELNS1_3gpuE2ELNS1_3repE0EEENS1_30default_config_static_selectorELNS0_4arch9wavefront6targetE1EEEvSY_,comdat
	.protected	_ZN7rocprim17ROCPRIM_400000_NS6detail17trampoline_kernelINS0_14default_configENS1_29binary_search_config_selectorIfiEEZNS1_14transform_implILb0ES3_S5_N6thrust23THRUST_200600_302600_NS6detail15normal_iteratorINS8_7pointerIfNS8_11hip_rocprim9par_det_tENS8_11use_defaultESE_EEEENSA_INSB_IiSD_SE_SE_EEEEZNS1_13binary_searchIS3_S5_NSA_INS8_10device_ptrIfEEEESG_SI_NS1_16binary_search_opENS9_16wrapped_functionINS8_6system6detail7generic6detail18binary_search_lessEbEEEE10hipError_tPvRmT1_T2_T3_mmT4_T5_P12ihipStream_tbEUlRKfE_EESV_SZ_S10_mS11_S14_bEUlT_E_NS1_11comp_targetILNS1_3genE8ELNS1_11target_archE1030ELNS1_3gpuE2ELNS1_3repE0EEENS1_30default_config_static_selectorELNS0_4arch9wavefront6targetE1EEEvSY_ ; -- Begin function _ZN7rocprim17ROCPRIM_400000_NS6detail17trampoline_kernelINS0_14default_configENS1_29binary_search_config_selectorIfiEEZNS1_14transform_implILb0ES3_S5_N6thrust23THRUST_200600_302600_NS6detail15normal_iteratorINS8_7pointerIfNS8_11hip_rocprim9par_det_tENS8_11use_defaultESE_EEEENSA_INSB_IiSD_SE_SE_EEEEZNS1_13binary_searchIS3_S5_NSA_INS8_10device_ptrIfEEEESG_SI_NS1_16binary_search_opENS9_16wrapped_functionINS8_6system6detail7generic6detail18binary_search_lessEbEEEE10hipError_tPvRmT1_T2_T3_mmT4_T5_P12ihipStream_tbEUlRKfE_EESV_SZ_S10_mS11_S14_bEUlT_E_NS1_11comp_targetILNS1_3genE8ELNS1_11target_archE1030ELNS1_3gpuE2ELNS1_3repE0EEENS1_30default_config_static_selectorELNS0_4arch9wavefront6targetE1EEEvSY_
	.globl	_ZN7rocprim17ROCPRIM_400000_NS6detail17trampoline_kernelINS0_14default_configENS1_29binary_search_config_selectorIfiEEZNS1_14transform_implILb0ES3_S5_N6thrust23THRUST_200600_302600_NS6detail15normal_iteratorINS8_7pointerIfNS8_11hip_rocprim9par_det_tENS8_11use_defaultESE_EEEENSA_INSB_IiSD_SE_SE_EEEEZNS1_13binary_searchIS3_S5_NSA_INS8_10device_ptrIfEEEESG_SI_NS1_16binary_search_opENS9_16wrapped_functionINS8_6system6detail7generic6detail18binary_search_lessEbEEEE10hipError_tPvRmT1_T2_T3_mmT4_T5_P12ihipStream_tbEUlRKfE_EESV_SZ_S10_mS11_S14_bEUlT_E_NS1_11comp_targetILNS1_3genE8ELNS1_11target_archE1030ELNS1_3gpuE2ELNS1_3repE0EEENS1_30default_config_static_selectorELNS0_4arch9wavefront6targetE1EEEvSY_
	.p2align	8
	.type	_ZN7rocprim17ROCPRIM_400000_NS6detail17trampoline_kernelINS0_14default_configENS1_29binary_search_config_selectorIfiEEZNS1_14transform_implILb0ES3_S5_N6thrust23THRUST_200600_302600_NS6detail15normal_iteratorINS8_7pointerIfNS8_11hip_rocprim9par_det_tENS8_11use_defaultESE_EEEENSA_INSB_IiSD_SE_SE_EEEEZNS1_13binary_searchIS3_S5_NSA_INS8_10device_ptrIfEEEESG_SI_NS1_16binary_search_opENS9_16wrapped_functionINS8_6system6detail7generic6detail18binary_search_lessEbEEEE10hipError_tPvRmT1_T2_T3_mmT4_T5_P12ihipStream_tbEUlRKfE_EESV_SZ_S10_mS11_S14_bEUlT_E_NS1_11comp_targetILNS1_3genE8ELNS1_11target_archE1030ELNS1_3gpuE2ELNS1_3repE0EEENS1_30default_config_static_selectorELNS0_4arch9wavefront6targetE1EEEvSY_,@function
_ZN7rocprim17ROCPRIM_400000_NS6detail17trampoline_kernelINS0_14default_configENS1_29binary_search_config_selectorIfiEEZNS1_14transform_implILb0ES3_S5_N6thrust23THRUST_200600_302600_NS6detail15normal_iteratorINS8_7pointerIfNS8_11hip_rocprim9par_det_tENS8_11use_defaultESE_EEEENSA_INSB_IiSD_SE_SE_EEEEZNS1_13binary_searchIS3_S5_NSA_INS8_10device_ptrIfEEEESG_SI_NS1_16binary_search_opENS9_16wrapped_functionINS8_6system6detail7generic6detail18binary_search_lessEbEEEE10hipError_tPvRmT1_T2_T3_mmT4_T5_P12ihipStream_tbEUlRKfE_EESV_SZ_S10_mS11_S14_bEUlT_E_NS1_11comp_targetILNS1_3genE8ELNS1_11target_archE1030ELNS1_3gpuE2ELNS1_3repE0EEENS1_30default_config_static_selectorELNS0_4arch9wavefront6targetE1EEEvSY_: ; @_ZN7rocprim17ROCPRIM_400000_NS6detail17trampoline_kernelINS0_14default_configENS1_29binary_search_config_selectorIfiEEZNS1_14transform_implILb0ES3_S5_N6thrust23THRUST_200600_302600_NS6detail15normal_iteratorINS8_7pointerIfNS8_11hip_rocprim9par_det_tENS8_11use_defaultESE_EEEENSA_INSB_IiSD_SE_SE_EEEEZNS1_13binary_searchIS3_S5_NSA_INS8_10device_ptrIfEEEESG_SI_NS1_16binary_search_opENS9_16wrapped_functionINS8_6system6detail7generic6detail18binary_search_lessEbEEEE10hipError_tPvRmT1_T2_T3_mmT4_T5_P12ihipStream_tbEUlRKfE_EESV_SZ_S10_mS11_S14_bEUlT_E_NS1_11comp_targetILNS1_3genE8ELNS1_11target_archE1030ELNS1_3gpuE2ELNS1_3repE0EEENS1_30default_config_static_selectorELNS0_4arch9wavefront6targetE1EEEvSY_
; %bb.0:
	.section	.rodata,"a",@progbits
	.p2align	6, 0x0
	.amdhsa_kernel _ZN7rocprim17ROCPRIM_400000_NS6detail17trampoline_kernelINS0_14default_configENS1_29binary_search_config_selectorIfiEEZNS1_14transform_implILb0ES3_S5_N6thrust23THRUST_200600_302600_NS6detail15normal_iteratorINS8_7pointerIfNS8_11hip_rocprim9par_det_tENS8_11use_defaultESE_EEEENSA_INSB_IiSD_SE_SE_EEEEZNS1_13binary_searchIS3_S5_NSA_INS8_10device_ptrIfEEEESG_SI_NS1_16binary_search_opENS9_16wrapped_functionINS8_6system6detail7generic6detail18binary_search_lessEbEEEE10hipError_tPvRmT1_T2_T3_mmT4_T5_P12ihipStream_tbEUlRKfE_EESV_SZ_S10_mS11_S14_bEUlT_E_NS1_11comp_targetILNS1_3genE8ELNS1_11target_archE1030ELNS1_3gpuE2ELNS1_3repE0EEENS1_30default_config_static_selectorELNS0_4arch9wavefront6targetE1EEEvSY_
		.amdhsa_group_segment_fixed_size 0
		.amdhsa_private_segment_fixed_size 0
		.amdhsa_kernarg_size 56
		.amdhsa_user_sgpr_count 6
		.amdhsa_user_sgpr_private_segment_buffer 1
		.amdhsa_user_sgpr_dispatch_ptr 0
		.amdhsa_user_sgpr_queue_ptr 0
		.amdhsa_user_sgpr_kernarg_segment_ptr 1
		.amdhsa_user_sgpr_dispatch_id 0
		.amdhsa_user_sgpr_flat_scratch_init 0
		.amdhsa_user_sgpr_private_segment_size 0
		.amdhsa_uses_dynamic_stack 0
		.amdhsa_system_sgpr_private_segment_wavefront_offset 0
		.amdhsa_system_sgpr_workgroup_id_x 1
		.amdhsa_system_sgpr_workgroup_id_y 0
		.amdhsa_system_sgpr_workgroup_id_z 0
		.amdhsa_system_sgpr_workgroup_info 0
		.amdhsa_system_vgpr_workitem_id 0
		.amdhsa_next_free_vgpr 1
		.amdhsa_next_free_sgpr 0
		.amdhsa_reserve_vcc 0
		.amdhsa_reserve_flat_scratch 0
		.amdhsa_float_round_mode_32 0
		.amdhsa_float_round_mode_16_64 0
		.amdhsa_float_denorm_mode_32 3
		.amdhsa_float_denorm_mode_16_64 3
		.amdhsa_dx10_clamp 1
		.amdhsa_ieee_mode 1
		.amdhsa_fp16_overflow 0
		.amdhsa_exception_fp_ieee_invalid_op 0
		.amdhsa_exception_fp_denorm_src 0
		.amdhsa_exception_fp_ieee_div_zero 0
		.amdhsa_exception_fp_ieee_overflow 0
		.amdhsa_exception_fp_ieee_underflow 0
		.amdhsa_exception_fp_ieee_inexact 0
		.amdhsa_exception_int_div_zero 0
	.end_amdhsa_kernel
	.section	.text._ZN7rocprim17ROCPRIM_400000_NS6detail17trampoline_kernelINS0_14default_configENS1_29binary_search_config_selectorIfiEEZNS1_14transform_implILb0ES3_S5_N6thrust23THRUST_200600_302600_NS6detail15normal_iteratorINS8_7pointerIfNS8_11hip_rocprim9par_det_tENS8_11use_defaultESE_EEEENSA_INSB_IiSD_SE_SE_EEEEZNS1_13binary_searchIS3_S5_NSA_INS8_10device_ptrIfEEEESG_SI_NS1_16binary_search_opENS9_16wrapped_functionINS8_6system6detail7generic6detail18binary_search_lessEbEEEE10hipError_tPvRmT1_T2_T3_mmT4_T5_P12ihipStream_tbEUlRKfE_EESV_SZ_S10_mS11_S14_bEUlT_E_NS1_11comp_targetILNS1_3genE8ELNS1_11target_archE1030ELNS1_3gpuE2ELNS1_3repE0EEENS1_30default_config_static_selectorELNS0_4arch9wavefront6targetE1EEEvSY_,"axG",@progbits,_ZN7rocprim17ROCPRIM_400000_NS6detail17trampoline_kernelINS0_14default_configENS1_29binary_search_config_selectorIfiEEZNS1_14transform_implILb0ES3_S5_N6thrust23THRUST_200600_302600_NS6detail15normal_iteratorINS8_7pointerIfNS8_11hip_rocprim9par_det_tENS8_11use_defaultESE_EEEENSA_INSB_IiSD_SE_SE_EEEEZNS1_13binary_searchIS3_S5_NSA_INS8_10device_ptrIfEEEESG_SI_NS1_16binary_search_opENS9_16wrapped_functionINS8_6system6detail7generic6detail18binary_search_lessEbEEEE10hipError_tPvRmT1_T2_T3_mmT4_T5_P12ihipStream_tbEUlRKfE_EESV_SZ_S10_mS11_S14_bEUlT_E_NS1_11comp_targetILNS1_3genE8ELNS1_11target_archE1030ELNS1_3gpuE2ELNS1_3repE0EEENS1_30default_config_static_selectorELNS0_4arch9wavefront6targetE1EEEvSY_,comdat
.Lfunc_end652:
	.size	_ZN7rocprim17ROCPRIM_400000_NS6detail17trampoline_kernelINS0_14default_configENS1_29binary_search_config_selectorIfiEEZNS1_14transform_implILb0ES3_S5_N6thrust23THRUST_200600_302600_NS6detail15normal_iteratorINS8_7pointerIfNS8_11hip_rocprim9par_det_tENS8_11use_defaultESE_EEEENSA_INSB_IiSD_SE_SE_EEEEZNS1_13binary_searchIS3_S5_NSA_INS8_10device_ptrIfEEEESG_SI_NS1_16binary_search_opENS9_16wrapped_functionINS8_6system6detail7generic6detail18binary_search_lessEbEEEE10hipError_tPvRmT1_T2_T3_mmT4_T5_P12ihipStream_tbEUlRKfE_EESV_SZ_S10_mS11_S14_bEUlT_E_NS1_11comp_targetILNS1_3genE8ELNS1_11target_archE1030ELNS1_3gpuE2ELNS1_3repE0EEENS1_30default_config_static_selectorELNS0_4arch9wavefront6targetE1EEEvSY_, .Lfunc_end652-_ZN7rocprim17ROCPRIM_400000_NS6detail17trampoline_kernelINS0_14default_configENS1_29binary_search_config_selectorIfiEEZNS1_14transform_implILb0ES3_S5_N6thrust23THRUST_200600_302600_NS6detail15normal_iteratorINS8_7pointerIfNS8_11hip_rocprim9par_det_tENS8_11use_defaultESE_EEEENSA_INSB_IiSD_SE_SE_EEEEZNS1_13binary_searchIS3_S5_NSA_INS8_10device_ptrIfEEEESG_SI_NS1_16binary_search_opENS9_16wrapped_functionINS8_6system6detail7generic6detail18binary_search_lessEbEEEE10hipError_tPvRmT1_T2_T3_mmT4_T5_P12ihipStream_tbEUlRKfE_EESV_SZ_S10_mS11_S14_bEUlT_E_NS1_11comp_targetILNS1_3genE8ELNS1_11target_archE1030ELNS1_3gpuE2ELNS1_3repE0EEENS1_30default_config_static_selectorELNS0_4arch9wavefront6targetE1EEEvSY_
                                        ; -- End function
	.set _ZN7rocprim17ROCPRIM_400000_NS6detail17trampoline_kernelINS0_14default_configENS1_29binary_search_config_selectorIfiEEZNS1_14transform_implILb0ES3_S5_N6thrust23THRUST_200600_302600_NS6detail15normal_iteratorINS8_7pointerIfNS8_11hip_rocprim9par_det_tENS8_11use_defaultESE_EEEENSA_INSB_IiSD_SE_SE_EEEEZNS1_13binary_searchIS3_S5_NSA_INS8_10device_ptrIfEEEESG_SI_NS1_16binary_search_opENS9_16wrapped_functionINS8_6system6detail7generic6detail18binary_search_lessEbEEEE10hipError_tPvRmT1_T2_T3_mmT4_T5_P12ihipStream_tbEUlRKfE_EESV_SZ_S10_mS11_S14_bEUlT_E_NS1_11comp_targetILNS1_3genE8ELNS1_11target_archE1030ELNS1_3gpuE2ELNS1_3repE0EEENS1_30default_config_static_selectorELNS0_4arch9wavefront6targetE1EEEvSY_.num_vgpr, 0
	.set _ZN7rocprim17ROCPRIM_400000_NS6detail17trampoline_kernelINS0_14default_configENS1_29binary_search_config_selectorIfiEEZNS1_14transform_implILb0ES3_S5_N6thrust23THRUST_200600_302600_NS6detail15normal_iteratorINS8_7pointerIfNS8_11hip_rocprim9par_det_tENS8_11use_defaultESE_EEEENSA_INSB_IiSD_SE_SE_EEEEZNS1_13binary_searchIS3_S5_NSA_INS8_10device_ptrIfEEEESG_SI_NS1_16binary_search_opENS9_16wrapped_functionINS8_6system6detail7generic6detail18binary_search_lessEbEEEE10hipError_tPvRmT1_T2_T3_mmT4_T5_P12ihipStream_tbEUlRKfE_EESV_SZ_S10_mS11_S14_bEUlT_E_NS1_11comp_targetILNS1_3genE8ELNS1_11target_archE1030ELNS1_3gpuE2ELNS1_3repE0EEENS1_30default_config_static_selectorELNS0_4arch9wavefront6targetE1EEEvSY_.num_agpr, 0
	.set _ZN7rocprim17ROCPRIM_400000_NS6detail17trampoline_kernelINS0_14default_configENS1_29binary_search_config_selectorIfiEEZNS1_14transform_implILb0ES3_S5_N6thrust23THRUST_200600_302600_NS6detail15normal_iteratorINS8_7pointerIfNS8_11hip_rocprim9par_det_tENS8_11use_defaultESE_EEEENSA_INSB_IiSD_SE_SE_EEEEZNS1_13binary_searchIS3_S5_NSA_INS8_10device_ptrIfEEEESG_SI_NS1_16binary_search_opENS9_16wrapped_functionINS8_6system6detail7generic6detail18binary_search_lessEbEEEE10hipError_tPvRmT1_T2_T3_mmT4_T5_P12ihipStream_tbEUlRKfE_EESV_SZ_S10_mS11_S14_bEUlT_E_NS1_11comp_targetILNS1_3genE8ELNS1_11target_archE1030ELNS1_3gpuE2ELNS1_3repE0EEENS1_30default_config_static_selectorELNS0_4arch9wavefront6targetE1EEEvSY_.numbered_sgpr, 0
	.set _ZN7rocprim17ROCPRIM_400000_NS6detail17trampoline_kernelINS0_14default_configENS1_29binary_search_config_selectorIfiEEZNS1_14transform_implILb0ES3_S5_N6thrust23THRUST_200600_302600_NS6detail15normal_iteratorINS8_7pointerIfNS8_11hip_rocprim9par_det_tENS8_11use_defaultESE_EEEENSA_INSB_IiSD_SE_SE_EEEEZNS1_13binary_searchIS3_S5_NSA_INS8_10device_ptrIfEEEESG_SI_NS1_16binary_search_opENS9_16wrapped_functionINS8_6system6detail7generic6detail18binary_search_lessEbEEEE10hipError_tPvRmT1_T2_T3_mmT4_T5_P12ihipStream_tbEUlRKfE_EESV_SZ_S10_mS11_S14_bEUlT_E_NS1_11comp_targetILNS1_3genE8ELNS1_11target_archE1030ELNS1_3gpuE2ELNS1_3repE0EEENS1_30default_config_static_selectorELNS0_4arch9wavefront6targetE1EEEvSY_.num_named_barrier, 0
	.set _ZN7rocprim17ROCPRIM_400000_NS6detail17trampoline_kernelINS0_14default_configENS1_29binary_search_config_selectorIfiEEZNS1_14transform_implILb0ES3_S5_N6thrust23THRUST_200600_302600_NS6detail15normal_iteratorINS8_7pointerIfNS8_11hip_rocprim9par_det_tENS8_11use_defaultESE_EEEENSA_INSB_IiSD_SE_SE_EEEEZNS1_13binary_searchIS3_S5_NSA_INS8_10device_ptrIfEEEESG_SI_NS1_16binary_search_opENS9_16wrapped_functionINS8_6system6detail7generic6detail18binary_search_lessEbEEEE10hipError_tPvRmT1_T2_T3_mmT4_T5_P12ihipStream_tbEUlRKfE_EESV_SZ_S10_mS11_S14_bEUlT_E_NS1_11comp_targetILNS1_3genE8ELNS1_11target_archE1030ELNS1_3gpuE2ELNS1_3repE0EEENS1_30default_config_static_selectorELNS0_4arch9wavefront6targetE1EEEvSY_.private_seg_size, 0
	.set _ZN7rocprim17ROCPRIM_400000_NS6detail17trampoline_kernelINS0_14default_configENS1_29binary_search_config_selectorIfiEEZNS1_14transform_implILb0ES3_S5_N6thrust23THRUST_200600_302600_NS6detail15normal_iteratorINS8_7pointerIfNS8_11hip_rocprim9par_det_tENS8_11use_defaultESE_EEEENSA_INSB_IiSD_SE_SE_EEEEZNS1_13binary_searchIS3_S5_NSA_INS8_10device_ptrIfEEEESG_SI_NS1_16binary_search_opENS9_16wrapped_functionINS8_6system6detail7generic6detail18binary_search_lessEbEEEE10hipError_tPvRmT1_T2_T3_mmT4_T5_P12ihipStream_tbEUlRKfE_EESV_SZ_S10_mS11_S14_bEUlT_E_NS1_11comp_targetILNS1_3genE8ELNS1_11target_archE1030ELNS1_3gpuE2ELNS1_3repE0EEENS1_30default_config_static_selectorELNS0_4arch9wavefront6targetE1EEEvSY_.uses_vcc, 0
	.set _ZN7rocprim17ROCPRIM_400000_NS6detail17trampoline_kernelINS0_14default_configENS1_29binary_search_config_selectorIfiEEZNS1_14transform_implILb0ES3_S5_N6thrust23THRUST_200600_302600_NS6detail15normal_iteratorINS8_7pointerIfNS8_11hip_rocprim9par_det_tENS8_11use_defaultESE_EEEENSA_INSB_IiSD_SE_SE_EEEEZNS1_13binary_searchIS3_S5_NSA_INS8_10device_ptrIfEEEESG_SI_NS1_16binary_search_opENS9_16wrapped_functionINS8_6system6detail7generic6detail18binary_search_lessEbEEEE10hipError_tPvRmT1_T2_T3_mmT4_T5_P12ihipStream_tbEUlRKfE_EESV_SZ_S10_mS11_S14_bEUlT_E_NS1_11comp_targetILNS1_3genE8ELNS1_11target_archE1030ELNS1_3gpuE2ELNS1_3repE0EEENS1_30default_config_static_selectorELNS0_4arch9wavefront6targetE1EEEvSY_.uses_flat_scratch, 0
	.set _ZN7rocprim17ROCPRIM_400000_NS6detail17trampoline_kernelINS0_14default_configENS1_29binary_search_config_selectorIfiEEZNS1_14transform_implILb0ES3_S5_N6thrust23THRUST_200600_302600_NS6detail15normal_iteratorINS8_7pointerIfNS8_11hip_rocprim9par_det_tENS8_11use_defaultESE_EEEENSA_INSB_IiSD_SE_SE_EEEEZNS1_13binary_searchIS3_S5_NSA_INS8_10device_ptrIfEEEESG_SI_NS1_16binary_search_opENS9_16wrapped_functionINS8_6system6detail7generic6detail18binary_search_lessEbEEEE10hipError_tPvRmT1_T2_T3_mmT4_T5_P12ihipStream_tbEUlRKfE_EESV_SZ_S10_mS11_S14_bEUlT_E_NS1_11comp_targetILNS1_3genE8ELNS1_11target_archE1030ELNS1_3gpuE2ELNS1_3repE0EEENS1_30default_config_static_selectorELNS0_4arch9wavefront6targetE1EEEvSY_.has_dyn_sized_stack, 0
	.set _ZN7rocprim17ROCPRIM_400000_NS6detail17trampoline_kernelINS0_14default_configENS1_29binary_search_config_selectorIfiEEZNS1_14transform_implILb0ES3_S5_N6thrust23THRUST_200600_302600_NS6detail15normal_iteratorINS8_7pointerIfNS8_11hip_rocprim9par_det_tENS8_11use_defaultESE_EEEENSA_INSB_IiSD_SE_SE_EEEEZNS1_13binary_searchIS3_S5_NSA_INS8_10device_ptrIfEEEESG_SI_NS1_16binary_search_opENS9_16wrapped_functionINS8_6system6detail7generic6detail18binary_search_lessEbEEEE10hipError_tPvRmT1_T2_T3_mmT4_T5_P12ihipStream_tbEUlRKfE_EESV_SZ_S10_mS11_S14_bEUlT_E_NS1_11comp_targetILNS1_3genE8ELNS1_11target_archE1030ELNS1_3gpuE2ELNS1_3repE0EEENS1_30default_config_static_selectorELNS0_4arch9wavefront6targetE1EEEvSY_.has_recursion, 0
	.set _ZN7rocprim17ROCPRIM_400000_NS6detail17trampoline_kernelINS0_14default_configENS1_29binary_search_config_selectorIfiEEZNS1_14transform_implILb0ES3_S5_N6thrust23THRUST_200600_302600_NS6detail15normal_iteratorINS8_7pointerIfNS8_11hip_rocprim9par_det_tENS8_11use_defaultESE_EEEENSA_INSB_IiSD_SE_SE_EEEEZNS1_13binary_searchIS3_S5_NSA_INS8_10device_ptrIfEEEESG_SI_NS1_16binary_search_opENS9_16wrapped_functionINS8_6system6detail7generic6detail18binary_search_lessEbEEEE10hipError_tPvRmT1_T2_T3_mmT4_T5_P12ihipStream_tbEUlRKfE_EESV_SZ_S10_mS11_S14_bEUlT_E_NS1_11comp_targetILNS1_3genE8ELNS1_11target_archE1030ELNS1_3gpuE2ELNS1_3repE0EEENS1_30default_config_static_selectorELNS0_4arch9wavefront6targetE1EEEvSY_.has_indirect_call, 0
	.section	.AMDGPU.csdata,"",@progbits
; Kernel info:
; codeLenInByte = 0
; TotalNumSgprs: 4
; NumVgprs: 0
; ScratchSize: 0
; MemoryBound: 0
; FloatMode: 240
; IeeeMode: 1
; LDSByteSize: 0 bytes/workgroup (compile time only)
; SGPRBlocks: 0
; VGPRBlocks: 0
; NumSGPRsForWavesPerEU: 4
; NumVGPRsForWavesPerEU: 1
; Occupancy: 10
; WaveLimiterHint : 0
; COMPUTE_PGM_RSRC2:SCRATCH_EN: 0
; COMPUTE_PGM_RSRC2:USER_SGPR: 6
; COMPUTE_PGM_RSRC2:TRAP_HANDLER: 0
; COMPUTE_PGM_RSRC2:TGID_X_EN: 1
; COMPUTE_PGM_RSRC2:TGID_Y_EN: 0
; COMPUTE_PGM_RSRC2:TGID_Z_EN: 0
; COMPUTE_PGM_RSRC2:TIDIG_COMP_CNT: 0
	.section	.text._ZN7rocprim17ROCPRIM_400000_NS6detail17trampoline_kernelINS0_14default_configENS1_29binary_search_config_selectorIfiEEZNS1_14transform_implILb0ES3_S5_N6thrust23THRUST_200600_302600_NS6detail15normal_iteratorINS8_7pointerIfNS8_11hip_rocprim5par_tENS8_11use_defaultESE_EEEENSA_INSB_IiSD_SE_SE_EEEEZNS1_13binary_searchIS3_S5_NSA_INS8_10device_ptrIfEEEESG_SI_NS1_16binary_search_opENS9_16wrapped_functionINS8_6system6detail7generic6detail18binary_search_lessEbEEEE10hipError_tPvRmT1_T2_T3_mmT4_T5_P12ihipStream_tbEUlRKfE_EESV_SZ_S10_mS11_S14_bEUlT_E_NS1_11comp_targetILNS1_3genE0ELNS1_11target_archE4294967295ELNS1_3gpuE0ELNS1_3repE0EEENS1_30default_config_static_selectorELNS0_4arch9wavefront6targetE1EEEvSY_,"axG",@progbits,_ZN7rocprim17ROCPRIM_400000_NS6detail17trampoline_kernelINS0_14default_configENS1_29binary_search_config_selectorIfiEEZNS1_14transform_implILb0ES3_S5_N6thrust23THRUST_200600_302600_NS6detail15normal_iteratorINS8_7pointerIfNS8_11hip_rocprim5par_tENS8_11use_defaultESE_EEEENSA_INSB_IiSD_SE_SE_EEEEZNS1_13binary_searchIS3_S5_NSA_INS8_10device_ptrIfEEEESG_SI_NS1_16binary_search_opENS9_16wrapped_functionINS8_6system6detail7generic6detail18binary_search_lessEbEEEE10hipError_tPvRmT1_T2_T3_mmT4_T5_P12ihipStream_tbEUlRKfE_EESV_SZ_S10_mS11_S14_bEUlT_E_NS1_11comp_targetILNS1_3genE0ELNS1_11target_archE4294967295ELNS1_3gpuE0ELNS1_3repE0EEENS1_30default_config_static_selectorELNS0_4arch9wavefront6targetE1EEEvSY_,comdat
	.protected	_ZN7rocprim17ROCPRIM_400000_NS6detail17trampoline_kernelINS0_14default_configENS1_29binary_search_config_selectorIfiEEZNS1_14transform_implILb0ES3_S5_N6thrust23THRUST_200600_302600_NS6detail15normal_iteratorINS8_7pointerIfNS8_11hip_rocprim5par_tENS8_11use_defaultESE_EEEENSA_INSB_IiSD_SE_SE_EEEEZNS1_13binary_searchIS3_S5_NSA_INS8_10device_ptrIfEEEESG_SI_NS1_16binary_search_opENS9_16wrapped_functionINS8_6system6detail7generic6detail18binary_search_lessEbEEEE10hipError_tPvRmT1_T2_T3_mmT4_T5_P12ihipStream_tbEUlRKfE_EESV_SZ_S10_mS11_S14_bEUlT_E_NS1_11comp_targetILNS1_3genE0ELNS1_11target_archE4294967295ELNS1_3gpuE0ELNS1_3repE0EEENS1_30default_config_static_selectorELNS0_4arch9wavefront6targetE1EEEvSY_ ; -- Begin function _ZN7rocprim17ROCPRIM_400000_NS6detail17trampoline_kernelINS0_14default_configENS1_29binary_search_config_selectorIfiEEZNS1_14transform_implILb0ES3_S5_N6thrust23THRUST_200600_302600_NS6detail15normal_iteratorINS8_7pointerIfNS8_11hip_rocprim5par_tENS8_11use_defaultESE_EEEENSA_INSB_IiSD_SE_SE_EEEEZNS1_13binary_searchIS3_S5_NSA_INS8_10device_ptrIfEEEESG_SI_NS1_16binary_search_opENS9_16wrapped_functionINS8_6system6detail7generic6detail18binary_search_lessEbEEEE10hipError_tPvRmT1_T2_T3_mmT4_T5_P12ihipStream_tbEUlRKfE_EESV_SZ_S10_mS11_S14_bEUlT_E_NS1_11comp_targetILNS1_3genE0ELNS1_11target_archE4294967295ELNS1_3gpuE0ELNS1_3repE0EEENS1_30default_config_static_selectorELNS0_4arch9wavefront6targetE1EEEvSY_
	.globl	_ZN7rocprim17ROCPRIM_400000_NS6detail17trampoline_kernelINS0_14default_configENS1_29binary_search_config_selectorIfiEEZNS1_14transform_implILb0ES3_S5_N6thrust23THRUST_200600_302600_NS6detail15normal_iteratorINS8_7pointerIfNS8_11hip_rocprim5par_tENS8_11use_defaultESE_EEEENSA_INSB_IiSD_SE_SE_EEEEZNS1_13binary_searchIS3_S5_NSA_INS8_10device_ptrIfEEEESG_SI_NS1_16binary_search_opENS9_16wrapped_functionINS8_6system6detail7generic6detail18binary_search_lessEbEEEE10hipError_tPvRmT1_T2_T3_mmT4_T5_P12ihipStream_tbEUlRKfE_EESV_SZ_S10_mS11_S14_bEUlT_E_NS1_11comp_targetILNS1_3genE0ELNS1_11target_archE4294967295ELNS1_3gpuE0ELNS1_3repE0EEENS1_30default_config_static_selectorELNS0_4arch9wavefront6targetE1EEEvSY_
	.p2align	8
	.type	_ZN7rocprim17ROCPRIM_400000_NS6detail17trampoline_kernelINS0_14default_configENS1_29binary_search_config_selectorIfiEEZNS1_14transform_implILb0ES3_S5_N6thrust23THRUST_200600_302600_NS6detail15normal_iteratorINS8_7pointerIfNS8_11hip_rocprim5par_tENS8_11use_defaultESE_EEEENSA_INSB_IiSD_SE_SE_EEEEZNS1_13binary_searchIS3_S5_NSA_INS8_10device_ptrIfEEEESG_SI_NS1_16binary_search_opENS9_16wrapped_functionINS8_6system6detail7generic6detail18binary_search_lessEbEEEE10hipError_tPvRmT1_T2_T3_mmT4_T5_P12ihipStream_tbEUlRKfE_EESV_SZ_S10_mS11_S14_bEUlT_E_NS1_11comp_targetILNS1_3genE0ELNS1_11target_archE4294967295ELNS1_3gpuE0ELNS1_3repE0EEENS1_30default_config_static_selectorELNS0_4arch9wavefront6targetE1EEEvSY_,@function
_ZN7rocprim17ROCPRIM_400000_NS6detail17trampoline_kernelINS0_14default_configENS1_29binary_search_config_selectorIfiEEZNS1_14transform_implILb0ES3_S5_N6thrust23THRUST_200600_302600_NS6detail15normal_iteratorINS8_7pointerIfNS8_11hip_rocprim5par_tENS8_11use_defaultESE_EEEENSA_INSB_IiSD_SE_SE_EEEEZNS1_13binary_searchIS3_S5_NSA_INS8_10device_ptrIfEEEESG_SI_NS1_16binary_search_opENS9_16wrapped_functionINS8_6system6detail7generic6detail18binary_search_lessEbEEEE10hipError_tPvRmT1_T2_T3_mmT4_T5_P12ihipStream_tbEUlRKfE_EESV_SZ_S10_mS11_S14_bEUlT_E_NS1_11comp_targetILNS1_3genE0ELNS1_11target_archE4294967295ELNS1_3gpuE0ELNS1_3repE0EEENS1_30default_config_static_selectorELNS0_4arch9wavefront6targetE1EEEvSY_: ; @_ZN7rocprim17ROCPRIM_400000_NS6detail17trampoline_kernelINS0_14default_configENS1_29binary_search_config_selectorIfiEEZNS1_14transform_implILb0ES3_S5_N6thrust23THRUST_200600_302600_NS6detail15normal_iteratorINS8_7pointerIfNS8_11hip_rocprim5par_tENS8_11use_defaultESE_EEEENSA_INSB_IiSD_SE_SE_EEEEZNS1_13binary_searchIS3_S5_NSA_INS8_10device_ptrIfEEEESG_SI_NS1_16binary_search_opENS9_16wrapped_functionINS8_6system6detail7generic6detail18binary_search_lessEbEEEE10hipError_tPvRmT1_T2_T3_mmT4_T5_P12ihipStream_tbEUlRKfE_EESV_SZ_S10_mS11_S14_bEUlT_E_NS1_11comp_targetILNS1_3genE0ELNS1_11target_archE4294967295ELNS1_3gpuE0ELNS1_3repE0EEENS1_30default_config_static_selectorELNS0_4arch9wavefront6targetE1EEEvSY_
; %bb.0:
	.section	.rodata,"a",@progbits
	.p2align	6, 0x0
	.amdhsa_kernel _ZN7rocprim17ROCPRIM_400000_NS6detail17trampoline_kernelINS0_14default_configENS1_29binary_search_config_selectorIfiEEZNS1_14transform_implILb0ES3_S5_N6thrust23THRUST_200600_302600_NS6detail15normal_iteratorINS8_7pointerIfNS8_11hip_rocprim5par_tENS8_11use_defaultESE_EEEENSA_INSB_IiSD_SE_SE_EEEEZNS1_13binary_searchIS3_S5_NSA_INS8_10device_ptrIfEEEESG_SI_NS1_16binary_search_opENS9_16wrapped_functionINS8_6system6detail7generic6detail18binary_search_lessEbEEEE10hipError_tPvRmT1_T2_T3_mmT4_T5_P12ihipStream_tbEUlRKfE_EESV_SZ_S10_mS11_S14_bEUlT_E_NS1_11comp_targetILNS1_3genE0ELNS1_11target_archE4294967295ELNS1_3gpuE0ELNS1_3repE0EEENS1_30default_config_static_selectorELNS0_4arch9wavefront6targetE1EEEvSY_
		.amdhsa_group_segment_fixed_size 0
		.amdhsa_private_segment_fixed_size 0
		.amdhsa_kernarg_size 56
		.amdhsa_user_sgpr_count 6
		.amdhsa_user_sgpr_private_segment_buffer 1
		.amdhsa_user_sgpr_dispatch_ptr 0
		.amdhsa_user_sgpr_queue_ptr 0
		.amdhsa_user_sgpr_kernarg_segment_ptr 1
		.amdhsa_user_sgpr_dispatch_id 0
		.amdhsa_user_sgpr_flat_scratch_init 0
		.amdhsa_user_sgpr_private_segment_size 0
		.amdhsa_uses_dynamic_stack 0
		.amdhsa_system_sgpr_private_segment_wavefront_offset 0
		.amdhsa_system_sgpr_workgroup_id_x 1
		.amdhsa_system_sgpr_workgroup_id_y 0
		.amdhsa_system_sgpr_workgroup_id_z 0
		.amdhsa_system_sgpr_workgroup_info 0
		.amdhsa_system_vgpr_workitem_id 0
		.amdhsa_next_free_vgpr 1
		.amdhsa_next_free_sgpr 0
		.amdhsa_reserve_vcc 0
		.amdhsa_reserve_flat_scratch 0
		.amdhsa_float_round_mode_32 0
		.amdhsa_float_round_mode_16_64 0
		.amdhsa_float_denorm_mode_32 3
		.amdhsa_float_denorm_mode_16_64 3
		.amdhsa_dx10_clamp 1
		.amdhsa_ieee_mode 1
		.amdhsa_fp16_overflow 0
		.amdhsa_exception_fp_ieee_invalid_op 0
		.amdhsa_exception_fp_denorm_src 0
		.amdhsa_exception_fp_ieee_div_zero 0
		.amdhsa_exception_fp_ieee_overflow 0
		.amdhsa_exception_fp_ieee_underflow 0
		.amdhsa_exception_fp_ieee_inexact 0
		.amdhsa_exception_int_div_zero 0
	.end_amdhsa_kernel
	.section	.text._ZN7rocprim17ROCPRIM_400000_NS6detail17trampoline_kernelINS0_14default_configENS1_29binary_search_config_selectorIfiEEZNS1_14transform_implILb0ES3_S5_N6thrust23THRUST_200600_302600_NS6detail15normal_iteratorINS8_7pointerIfNS8_11hip_rocprim5par_tENS8_11use_defaultESE_EEEENSA_INSB_IiSD_SE_SE_EEEEZNS1_13binary_searchIS3_S5_NSA_INS8_10device_ptrIfEEEESG_SI_NS1_16binary_search_opENS9_16wrapped_functionINS8_6system6detail7generic6detail18binary_search_lessEbEEEE10hipError_tPvRmT1_T2_T3_mmT4_T5_P12ihipStream_tbEUlRKfE_EESV_SZ_S10_mS11_S14_bEUlT_E_NS1_11comp_targetILNS1_3genE0ELNS1_11target_archE4294967295ELNS1_3gpuE0ELNS1_3repE0EEENS1_30default_config_static_selectorELNS0_4arch9wavefront6targetE1EEEvSY_,"axG",@progbits,_ZN7rocprim17ROCPRIM_400000_NS6detail17trampoline_kernelINS0_14default_configENS1_29binary_search_config_selectorIfiEEZNS1_14transform_implILb0ES3_S5_N6thrust23THRUST_200600_302600_NS6detail15normal_iteratorINS8_7pointerIfNS8_11hip_rocprim5par_tENS8_11use_defaultESE_EEEENSA_INSB_IiSD_SE_SE_EEEEZNS1_13binary_searchIS3_S5_NSA_INS8_10device_ptrIfEEEESG_SI_NS1_16binary_search_opENS9_16wrapped_functionINS8_6system6detail7generic6detail18binary_search_lessEbEEEE10hipError_tPvRmT1_T2_T3_mmT4_T5_P12ihipStream_tbEUlRKfE_EESV_SZ_S10_mS11_S14_bEUlT_E_NS1_11comp_targetILNS1_3genE0ELNS1_11target_archE4294967295ELNS1_3gpuE0ELNS1_3repE0EEENS1_30default_config_static_selectorELNS0_4arch9wavefront6targetE1EEEvSY_,comdat
.Lfunc_end653:
	.size	_ZN7rocprim17ROCPRIM_400000_NS6detail17trampoline_kernelINS0_14default_configENS1_29binary_search_config_selectorIfiEEZNS1_14transform_implILb0ES3_S5_N6thrust23THRUST_200600_302600_NS6detail15normal_iteratorINS8_7pointerIfNS8_11hip_rocprim5par_tENS8_11use_defaultESE_EEEENSA_INSB_IiSD_SE_SE_EEEEZNS1_13binary_searchIS3_S5_NSA_INS8_10device_ptrIfEEEESG_SI_NS1_16binary_search_opENS9_16wrapped_functionINS8_6system6detail7generic6detail18binary_search_lessEbEEEE10hipError_tPvRmT1_T2_T3_mmT4_T5_P12ihipStream_tbEUlRKfE_EESV_SZ_S10_mS11_S14_bEUlT_E_NS1_11comp_targetILNS1_3genE0ELNS1_11target_archE4294967295ELNS1_3gpuE0ELNS1_3repE0EEENS1_30default_config_static_selectorELNS0_4arch9wavefront6targetE1EEEvSY_, .Lfunc_end653-_ZN7rocprim17ROCPRIM_400000_NS6detail17trampoline_kernelINS0_14default_configENS1_29binary_search_config_selectorIfiEEZNS1_14transform_implILb0ES3_S5_N6thrust23THRUST_200600_302600_NS6detail15normal_iteratorINS8_7pointerIfNS8_11hip_rocprim5par_tENS8_11use_defaultESE_EEEENSA_INSB_IiSD_SE_SE_EEEEZNS1_13binary_searchIS3_S5_NSA_INS8_10device_ptrIfEEEESG_SI_NS1_16binary_search_opENS9_16wrapped_functionINS8_6system6detail7generic6detail18binary_search_lessEbEEEE10hipError_tPvRmT1_T2_T3_mmT4_T5_P12ihipStream_tbEUlRKfE_EESV_SZ_S10_mS11_S14_bEUlT_E_NS1_11comp_targetILNS1_3genE0ELNS1_11target_archE4294967295ELNS1_3gpuE0ELNS1_3repE0EEENS1_30default_config_static_selectorELNS0_4arch9wavefront6targetE1EEEvSY_
                                        ; -- End function
	.set _ZN7rocprim17ROCPRIM_400000_NS6detail17trampoline_kernelINS0_14default_configENS1_29binary_search_config_selectorIfiEEZNS1_14transform_implILb0ES3_S5_N6thrust23THRUST_200600_302600_NS6detail15normal_iteratorINS8_7pointerIfNS8_11hip_rocprim5par_tENS8_11use_defaultESE_EEEENSA_INSB_IiSD_SE_SE_EEEEZNS1_13binary_searchIS3_S5_NSA_INS8_10device_ptrIfEEEESG_SI_NS1_16binary_search_opENS9_16wrapped_functionINS8_6system6detail7generic6detail18binary_search_lessEbEEEE10hipError_tPvRmT1_T2_T3_mmT4_T5_P12ihipStream_tbEUlRKfE_EESV_SZ_S10_mS11_S14_bEUlT_E_NS1_11comp_targetILNS1_3genE0ELNS1_11target_archE4294967295ELNS1_3gpuE0ELNS1_3repE0EEENS1_30default_config_static_selectorELNS0_4arch9wavefront6targetE1EEEvSY_.num_vgpr, 0
	.set _ZN7rocprim17ROCPRIM_400000_NS6detail17trampoline_kernelINS0_14default_configENS1_29binary_search_config_selectorIfiEEZNS1_14transform_implILb0ES3_S5_N6thrust23THRUST_200600_302600_NS6detail15normal_iteratorINS8_7pointerIfNS8_11hip_rocprim5par_tENS8_11use_defaultESE_EEEENSA_INSB_IiSD_SE_SE_EEEEZNS1_13binary_searchIS3_S5_NSA_INS8_10device_ptrIfEEEESG_SI_NS1_16binary_search_opENS9_16wrapped_functionINS8_6system6detail7generic6detail18binary_search_lessEbEEEE10hipError_tPvRmT1_T2_T3_mmT4_T5_P12ihipStream_tbEUlRKfE_EESV_SZ_S10_mS11_S14_bEUlT_E_NS1_11comp_targetILNS1_3genE0ELNS1_11target_archE4294967295ELNS1_3gpuE0ELNS1_3repE0EEENS1_30default_config_static_selectorELNS0_4arch9wavefront6targetE1EEEvSY_.num_agpr, 0
	.set _ZN7rocprim17ROCPRIM_400000_NS6detail17trampoline_kernelINS0_14default_configENS1_29binary_search_config_selectorIfiEEZNS1_14transform_implILb0ES3_S5_N6thrust23THRUST_200600_302600_NS6detail15normal_iteratorINS8_7pointerIfNS8_11hip_rocprim5par_tENS8_11use_defaultESE_EEEENSA_INSB_IiSD_SE_SE_EEEEZNS1_13binary_searchIS3_S5_NSA_INS8_10device_ptrIfEEEESG_SI_NS1_16binary_search_opENS9_16wrapped_functionINS8_6system6detail7generic6detail18binary_search_lessEbEEEE10hipError_tPvRmT1_T2_T3_mmT4_T5_P12ihipStream_tbEUlRKfE_EESV_SZ_S10_mS11_S14_bEUlT_E_NS1_11comp_targetILNS1_3genE0ELNS1_11target_archE4294967295ELNS1_3gpuE0ELNS1_3repE0EEENS1_30default_config_static_selectorELNS0_4arch9wavefront6targetE1EEEvSY_.numbered_sgpr, 0
	.set _ZN7rocprim17ROCPRIM_400000_NS6detail17trampoline_kernelINS0_14default_configENS1_29binary_search_config_selectorIfiEEZNS1_14transform_implILb0ES3_S5_N6thrust23THRUST_200600_302600_NS6detail15normal_iteratorINS8_7pointerIfNS8_11hip_rocprim5par_tENS8_11use_defaultESE_EEEENSA_INSB_IiSD_SE_SE_EEEEZNS1_13binary_searchIS3_S5_NSA_INS8_10device_ptrIfEEEESG_SI_NS1_16binary_search_opENS9_16wrapped_functionINS8_6system6detail7generic6detail18binary_search_lessEbEEEE10hipError_tPvRmT1_T2_T3_mmT4_T5_P12ihipStream_tbEUlRKfE_EESV_SZ_S10_mS11_S14_bEUlT_E_NS1_11comp_targetILNS1_3genE0ELNS1_11target_archE4294967295ELNS1_3gpuE0ELNS1_3repE0EEENS1_30default_config_static_selectorELNS0_4arch9wavefront6targetE1EEEvSY_.num_named_barrier, 0
	.set _ZN7rocprim17ROCPRIM_400000_NS6detail17trampoline_kernelINS0_14default_configENS1_29binary_search_config_selectorIfiEEZNS1_14transform_implILb0ES3_S5_N6thrust23THRUST_200600_302600_NS6detail15normal_iteratorINS8_7pointerIfNS8_11hip_rocprim5par_tENS8_11use_defaultESE_EEEENSA_INSB_IiSD_SE_SE_EEEEZNS1_13binary_searchIS3_S5_NSA_INS8_10device_ptrIfEEEESG_SI_NS1_16binary_search_opENS9_16wrapped_functionINS8_6system6detail7generic6detail18binary_search_lessEbEEEE10hipError_tPvRmT1_T2_T3_mmT4_T5_P12ihipStream_tbEUlRKfE_EESV_SZ_S10_mS11_S14_bEUlT_E_NS1_11comp_targetILNS1_3genE0ELNS1_11target_archE4294967295ELNS1_3gpuE0ELNS1_3repE0EEENS1_30default_config_static_selectorELNS0_4arch9wavefront6targetE1EEEvSY_.private_seg_size, 0
	.set _ZN7rocprim17ROCPRIM_400000_NS6detail17trampoline_kernelINS0_14default_configENS1_29binary_search_config_selectorIfiEEZNS1_14transform_implILb0ES3_S5_N6thrust23THRUST_200600_302600_NS6detail15normal_iteratorINS8_7pointerIfNS8_11hip_rocprim5par_tENS8_11use_defaultESE_EEEENSA_INSB_IiSD_SE_SE_EEEEZNS1_13binary_searchIS3_S5_NSA_INS8_10device_ptrIfEEEESG_SI_NS1_16binary_search_opENS9_16wrapped_functionINS8_6system6detail7generic6detail18binary_search_lessEbEEEE10hipError_tPvRmT1_T2_T3_mmT4_T5_P12ihipStream_tbEUlRKfE_EESV_SZ_S10_mS11_S14_bEUlT_E_NS1_11comp_targetILNS1_3genE0ELNS1_11target_archE4294967295ELNS1_3gpuE0ELNS1_3repE0EEENS1_30default_config_static_selectorELNS0_4arch9wavefront6targetE1EEEvSY_.uses_vcc, 0
	.set _ZN7rocprim17ROCPRIM_400000_NS6detail17trampoline_kernelINS0_14default_configENS1_29binary_search_config_selectorIfiEEZNS1_14transform_implILb0ES3_S5_N6thrust23THRUST_200600_302600_NS6detail15normal_iteratorINS8_7pointerIfNS8_11hip_rocprim5par_tENS8_11use_defaultESE_EEEENSA_INSB_IiSD_SE_SE_EEEEZNS1_13binary_searchIS3_S5_NSA_INS8_10device_ptrIfEEEESG_SI_NS1_16binary_search_opENS9_16wrapped_functionINS8_6system6detail7generic6detail18binary_search_lessEbEEEE10hipError_tPvRmT1_T2_T3_mmT4_T5_P12ihipStream_tbEUlRKfE_EESV_SZ_S10_mS11_S14_bEUlT_E_NS1_11comp_targetILNS1_3genE0ELNS1_11target_archE4294967295ELNS1_3gpuE0ELNS1_3repE0EEENS1_30default_config_static_selectorELNS0_4arch9wavefront6targetE1EEEvSY_.uses_flat_scratch, 0
	.set _ZN7rocprim17ROCPRIM_400000_NS6detail17trampoline_kernelINS0_14default_configENS1_29binary_search_config_selectorIfiEEZNS1_14transform_implILb0ES3_S5_N6thrust23THRUST_200600_302600_NS6detail15normal_iteratorINS8_7pointerIfNS8_11hip_rocprim5par_tENS8_11use_defaultESE_EEEENSA_INSB_IiSD_SE_SE_EEEEZNS1_13binary_searchIS3_S5_NSA_INS8_10device_ptrIfEEEESG_SI_NS1_16binary_search_opENS9_16wrapped_functionINS8_6system6detail7generic6detail18binary_search_lessEbEEEE10hipError_tPvRmT1_T2_T3_mmT4_T5_P12ihipStream_tbEUlRKfE_EESV_SZ_S10_mS11_S14_bEUlT_E_NS1_11comp_targetILNS1_3genE0ELNS1_11target_archE4294967295ELNS1_3gpuE0ELNS1_3repE0EEENS1_30default_config_static_selectorELNS0_4arch9wavefront6targetE1EEEvSY_.has_dyn_sized_stack, 0
	.set _ZN7rocprim17ROCPRIM_400000_NS6detail17trampoline_kernelINS0_14default_configENS1_29binary_search_config_selectorIfiEEZNS1_14transform_implILb0ES3_S5_N6thrust23THRUST_200600_302600_NS6detail15normal_iteratorINS8_7pointerIfNS8_11hip_rocprim5par_tENS8_11use_defaultESE_EEEENSA_INSB_IiSD_SE_SE_EEEEZNS1_13binary_searchIS3_S5_NSA_INS8_10device_ptrIfEEEESG_SI_NS1_16binary_search_opENS9_16wrapped_functionINS8_6system6detail7generic6detail18binary_search_lessEbEEEE10hipError_tPvRmT1_T2_T3_mmT4_T5_P12ihipStream_tbEUlRKfE_EESV_SZ_S10_mS11_S14_bEUlT_E_NS1_11comp_targetILNS1_3genE0ELNS1_11target_archE4294967295ELNS1_3gpuE0ELNS1_3repE0EEENS1_30default_config_static_selectorELNS0_4arch9wavefront6targetE1EEEvSY_.has_recursion, 0
	.set _ZN7rocprim17ROCPRIM_400000_NS6detail17trampoline_kernelINS0_14default_configENS1_29binary_search_config_selectorIfiEEZNS1_14transform_implILb0ES3_S5_N6thrust23THRUST_200600_302600_NS6detail15normal_iteratorINS8_7pointerIfNS8_11hip_rocprim5par_tENS8_11use_defaultESE_EEEENSA_INSB_IiSD_SE_SE_EEEEZNS1_13binary_searchIS3_S5_NSA_INS8_10device_ptrIfEEEESG_SI_NS1_16binary_search_opENS9_16wrapped_functionINS8_6system6detail7generic6detail18binary_search_lessEbEEEE10hipError_tPvRmT1_T2_T3_mmT4_T5_P12ihipStream_tbEUlRKfE_EESV_SZ_S10_mS11_S14_bEUlT_E_NS1_11comp_targetILNS1_3genE0ELNS1_11target_archE4294967295ELNS1_3gpuE0ELNS1_3repE0EEENS1_30default_config_static_selectorELNS0_4arch9wavefront6targetE1EEEvSY_.has_indirect_call, 0
	.section	.AMDGPU.csdata,"",@progbits
; Kernel info:
; codeLenInByte = 0
; TotalNumSgprs: 4
; NumVgprs: 0
; ScratchSize: 0
; MemoryBound: 0
; FloatMode: 240
; IeeeMode: 1
; LDSByteSize: 0 bytes/workgroup (compile time only)
; SGPRBlocks: 0
; VGPRBlocks: 0
; NumSGPRsForWavesPerEU: 4
; NumVGPRsForWavesPerEU: 1
; Occupancy: 10
; WaveLimiterHint : 0
; COMPUTE_PGM_RSRC2:SCRATCH_EN: 0
; COMPUTE_PGM_RSRC2:USER_SGPR: 6
; COMPUTE_PGM_RSRC2:TRAP_HANDLER: 0
; COMPUTE_PGM_RSRC2:TGID_X_EN: 1
; COMPUTE_PGM_RSRC2:TGID_Y_EN: 0
; COMPUTE_PGM_RSRC2:TGID_Z_EN: 0
; COMPUTE_PGM_RSRC2:TIDIG_COMP_CNT: 0
	.section	.text._ZN7rocprim17ROCPRIM_400000_NS6detail17trampoline_kernelINS0_14default_configENS1_29binary_search_config_selectorIfiEEZNS1_14transform_implILb0ES3_S5_N6thrust23THRUST_200600_302600_NS6detail15normal_iteratorINS8_7pointerIfNS8_11hip_rocprim5par_tENS8_11use_defaultESE_EEEENSA_INSB_IiSD_SE_SE_EEEEZNS1_13binary_searchIS3_S5_NSA_INS8_10device_ptrIfEEEESG_SI_NS1_16binary_search_opENS9_16wrapped_functionINS8_6system6detail7generic6detail18binary_search_lessEbEEEE10hipError_tPvRmT1_T2_T3_mmT4_T5_P12ihipStream_tbEUlRKfE_EESV_SZ_S10_mS11_S14_bEUlT_E_NS1_11comp_targetILNS1_3genE5ELNS1_11target_archE942ELNS1_3gpuE9ELNS1_3repE0EEENS1_30default_config_static_selectorELNS0_4arch9wavefront6targetE1EEEvSY_,"axG",@progbits,_ZN7rocprim17ROCPRIM_400000_NS6detail17trampoline_kernelINS0_14default_configENS1_29binary_search_config_selectorIfiEEZNS1_14transform_implILb0ES3_S5_N6thrust23THRUST_200600_302600_NS6detail15normal_iteratorINS8_7pointerIfNS8_11hip_rocprim5par_tENS8_11use_defaultESE_EEEENSA_INSB_IiSD_SE_SE_EEEEZNS1_13binary_searchIS3_S5_NSA_INS8_10device_ptrIfEEEESG_SI_NS1_16binary_search_opENS9_16wrapped_functionINS8_6system6detail7generic6detail18binary_search_lessEbEEEE10hipError_tPvRmT1_T2_T3_mmT4_T5_P12ihipStream_tbEUlRKfE_EESV_SZ_S10_mS11_S14_bEUlT_E_NS1_11comp_targetILNS1_3genE5ELNS1_11target_archE942ELNS1_3gpuE9ELNS1_3repE0EEENS1_30default_config_static_selectorELNS0_4arch9wavefront6targetE1EEEvSY_,comdat
	.protected	_ZN7rocprim17ROCPRIM_400000_NS6detail17trampoline_kernelINS0_14default_configENS1_29binary_search_config_selectorIfiEEZNS1_14transform_implILb0ES3_S5_N6thrust23THRUST_200600_302600_NS6detail15normal_iteratorINS8_7pointerIfNS8_11hip_rocprim5par_tENS8_11use_defaultESE_EEEENSA_INSB_IiSD_SE_SE_EEEEZNS1_13binary_searchIS3_S5_NSA_INS8_10device_ptrIfEEEESG_SI_NS1_16binary_search_opENS9_16wrapped_functionINS8_6system6detail7generic6detail18binary_search_lessEbEEEE10hipError_tPvRmT1_T2_T3_mmT4_T5_P12ihipStream_tbEUlRKfE_EESV_SZ_S10_mS11_S14_bEUlT_E_NS1_11comp_targetILNS1_3genE5ELNS1_11target_archE942ELNS1_3gpuE9ELNS1_3repE0EEENS1_30default_config_static_selectorELNS0_4arch9wavefront6targetE1EEEvSY_ ; -- Begin function _ZN7rocprim17ROCPRIM_400000_NS6detail17trampoline_kernelINS0_14default_configENS1_29binary_search_config_selectorIfiEEZNS1_14transform_implILb0ES3_S5_N6thrust23THRUST_200600_302600_NS6detail15normal_iteratorINS8_7pointerIfNS8_11hip_rocprim5par_tENS8_11use_defaultESE_EEEENSA_INSB_IiSD_SE_SE_EEEEZNS1_13binary_searchIS3_S5_NSA_INS8_10device_ptrIfEEEESG_SI_NS1_16binary_search_opENS9_16wrapped_functionINS8_6system6detail7generic6detail18binary_search_lessEbEEEE10hipError_tPvRmT1_T2_T3_mmT4_T5_P12ihipStream_tbEUlRKfE_EESV_SZ_S10_mS11_S14_bEUlT_E_NS1_11comp_targetILNS1_3genE5ELNS1_11target_archE942ELNS1_3gpuE9ELNS1_3repE0EEENS1_30default_config_static_selectorELNS0_4arch9wavefront6targetE1EEEvSY_
	.globl	_ZN7rocprim17ROCPRIM_400000_NS6detail17trampoline_kernelINS0_14default_configENS1_29binary_search_config_selectorIfiEEZNS1_14transform_implILb0ES3_S5_N6thrust23THRUST_200600_302600_NS6detail15normal_iteratorINS8_7pointerIfNS8_11hip_rocprim5par_tENS8_11use_defaultESE_EEEENSA_INSB_IiSD_SE_SE_EEEEZNS1_13binary_searchIS3_S5_NSA_INS8_10device_ptrIfEEEESG_SI_NS1_16binary_search_opENS9_16wrapped_functionINS8_6system6detail7generic6detail18binary_search_lessEbEEEE10hipError_tPvRmT1_T2_T3_mmT4_T5_P12ihipStream_tbEUlRKfE_EESV_SZ_S10_mS11_S14_bEUlT_E_NS1_11comp_targetILNS1_3genE5ELNS1_11target_archE942ELNS1_3gpuE9ELNS1_3repE0EEENS1_30default_config_static_selectorELNS0_4arch9wavefront6targetE1EEEvSY_
	.p2align	8
	.type	_ZN7rocprim17ROCPRIM_400000_NS6detail17trampoline_kernelINS0_14default_configENS1_29binary_search_config_selectorIfiEEZNS1_14transform_implILb0ES3_S5_N6thrust23THRUST_200600_302600_NS6detail15normal_iteratorINS8_7pointerIfNS8_11hip_rocprim5par_tENS8_11use_defaultESE_EEEENSA_INSB_IiSD_SE_SE_EEEEZNS1_13binary_searchIS3_S5_NSA_INS8_10device_ptrIfEEEESG_SI_NS1_16binary_search_opENS9_16wrapped_functionINS8_6system6detail7generic6detail18binary_search_lessEbEEEE10hipError_tPvRmT1_T2_T3_mmT4_T5_P12ihipStream_tbEUlRKfE_EESV_SZ_S10_mS11_S14_bEUlT_E_NS1_11comp_targetILNS1_3genE5ELNS1_11target_archE942ELNS1_3gpuE9ELNS1_3repE0EEENS1_30default_config_static_selectorELNS0_4arch9wavefront6targetE1EEEvSY_,@function
_ZN7rocprim17ROCPRIM_400000_NS6detail17trampoline_kernelINS0_14default_configENS1_29binary_search_config_selectorIfiEEZNS1_14transform_implILb0ES3_S5_N6thrust23THRUST_200600_302600_NS6detail15normal_iteratorINS8_7pointerIfNS8_11hip_rocprim5par_tENS8_11use_defaultESE_EEEENSA_INSB_IiSD_SE_SE_EEEEZNS1_13binary_searchIS3_S5_NSA_INS8_10device_ptrIfEEEESG_SI_NS1_16binary_search_opENS9_16wrapped_functionINS8_6system6detail7generic6detail18binary_search_lessEbEEEE10hipError_tPvRmT1_T2_T3_mmT4_T5_P12ihipStream_tbEUlRKfE_EESV_SZ_S10_mS11_S14_bEUlT_E_NS1_11comp_targetILNS1_3genE5ELNS1_11target_archE942ELNS1_3gpuE9ELNS1_3repE0EEENS1_30default_config_static_selectorELNS0_4arch9wavefront6targetE1EEEvSY_: ; @_ZN7rocprim17ROCPRIM_400000_NS6detail17trampoline_kernelINS0_14default_configENS1_29binary_search_config_selectorIfiEEZNS1_14transform_implILb0ES3_S5_N6thrust23THRUST_200600_302600_NS6detail15normal_iteratorINS8_7pointerIfNS8_11hip_rocprim5par_tENS8_11use_defaultESE_EEEENSA_INSB_IiSD_SE_SE_EEEEZNS1_13binary_searchIS3_S5_NSA_INS8_10device_ptrIfEEEESG_SI_NS1_16binary_search_opENS9_16wrapped_functionINS8_6system6detail7generic6detail18binary_search_lessEbEEEE10hipError_tPvRmT1_T2_T3_mmT4_T5_P12ihipStream_tbEUlRKfE_EESV_SZ_S10_mS11_S14_bEUlT_E_NS1_11comp_targetILNS1_3genE5ELNS1_11target_archE942ELNS1_3gpuE9ELNS1_3repE0EEENS1_30default_config_static_selectorELNS0_4arch9wavefront6targetE1EEEvSY_
; %bb.0:
	.section	.rodata,"a",@progbits
	.p2align	6, 0x0
	.amdhsa_kernel _ZN7rocprim17ROCPRIM_400000_NS6detail17trampoline_kernelINS0_14default_configENS1_29binary_search_config_selectorIfiEEZNS1_14transform_implILb0ES3_S5_N6thrust23THRUST_200600_302600_NS6detail15normal_iteratorINS8_7pointerIfNS8_11hip_rocprim5par_tENS8_11use_defaultESE_EEEENSA_INSB_IiSD_SE_SE_EEEEZNS1_13binary_searchIS3_S5_NSA_INS8_10device_ptrIfEEEESG_SI_NS1_16binary_search_opENS9_16wrapped_functionINS8_6system6detail7generic6detail18binary_search_lessEbEEEE10hipError_tPvRmT1_T2_T3_mmT4_T5_P12ihipStream_tbEUlRKfE_EESV_SZ_S10_mS11_S14_bEUlT_E_NS1_11comp_targetILNS1_3genE5ELNS1_11target_archE942ELNS1_3gpuE9ELNS1_3repE0EEENS1_30default_config_static_selectorELNS0_4arch9wavefront6targetE1EEEvSY_
		.amdhsa_group_segment_fixed_size 0
		.amdhsa_private_segment_fixed_size 0
		.amdhsa_kernarg_size 56
		.amdhsa_user_sgpr_count 6
		.amdhsa_user_sgpr_private_segment_buffer 1
		.amdhsa_user_sgpr_dispatch_ptr 0
		.amdhsa_user_sgpr_queue_ptr 0
		.amdhsa_user_sgpr_kernarg_segment_ptr 1
		.amdhsa_user_sgpr_dispatch_id 0
		.amdhsa_user_sgpr_flat_scratch_init 0
		.amdhsa_user_sgpr_private_segment_size 0
		.amdhsa_uses_dynamic_stack 0
		.amdhsa_system_sgpr_private_segment_wavefront_offset 0
		.amdhsa_system_sgpr_workgroup_id_x 1
		.amdhsa_system_sgpr_workgroup_id_y 0
		.amdhsa_system_sgpr_workgroup_id_z 0
		.amdhsa_system_sgpr_workgroup_info 0
		.amdhsa_system_vgpr_workitem_id 0
		.amdhsa_next_free_vgpr 1
		.amdhsa_next_free_sgpr 0
		.amdhsa_reserve_vcc 0
		.amdhsa_reserve_flat_scratch 0
		.amdhsa_float_round_mode_32 0
		.amdhsa_float_round_mode_16_64 0
		.amdhsa_float_denorm_mode_32 3
		.amdhsa_float_denorm_mode_16_64 3
		.amdhsa_dx10_clamp 1
		.amdhsa_ieee_mode 1
		.amdhsa_fp16_overflow 0
		.amdhsa_exception_fp_ieee_invalid_op 0
		.amdhsa_exception_fp_denorm_src 0
		.amdhsa_exception_fp_ieee_div_zero 0
		.amdhsa_exception_fp_ieee_overflow 0
		.amdhsa_exception_fp_ieee_underflow 0
		.amdhsa_exception_fp_ieee_inexact 0
		.amdhsa_exception_int_div_zero 0
	.end_amdhsa_kernel
	.section	.text._ZN7rocprim17ROCPRIM_400000_NS6detail17trampoline_kernelINS0_14default_configENS1_29binary_search_config_selectorIfiEEZNS1_14transform_implILb0ES3_S5_N6thrust23THRUST_200600_302600_NS6detail15normal_iteratorINS8_7pointerIfNS8_11hip_rocprim5par_tENS8_11use_defaultESE_EEEENSA_INSB_IiSD_SE_SE_EEEEZNS1_13binary_searchIS3_S5_NSA_INS8_10device_ptrIfEEEESG_SI_NS1_16binary_search_opENS9_16wrapped_functionINS8_6system6detail7generic6detail18binary_search_lessEbEEEE10hipError_tPvRmT1_T2_T3_mmT4_T5_P12ihipStream_tbEUlRKfE_EESV_SZ_S10_mS11_S14_bEUlT_E_NS1_11comp_targetILNS1_3genE5ELNS1_11target_archE942ELNS1_3gpuE9ELNS1_3repE0EEENS1_30default_config_static_selectorELNS0_4arch9wavefront6targetE1EEEvSY_,"axG",@progbits,_ZN7rocprim17ROCPRIM_400000_NS6detail17trampoline_kernelINS0_14default_configENS1_29binary_search_config_selectorIfiEEZNS1_14transform_implILb0ES3_S5_N6thrust23THRUST_200600_302600_NS6detail15normal_iteratorINS8_7pointerIfNS8_11hip_rocprim5par_tENS8_11use_defaultESE_EEEENSA_INSB_IiSD_SE_SE_EEEEZNS1_13binary_searchIS3_S5_NSA_INS8_10device_ptrIfEEEESG_SI_NS1_16binary_search_opENS9_16wrapped_functionINS8_6system6detail7generic6detail18binary_search_lessEbEEEE10hipError_tPvRmT1_T2_T3_mmT4_T5_P12ihipStream_tbEUlRKfE_EESV_SZ_S10_mS11_S14_bEUlT_E_NS1_11comp_targetILNS1_3genE5ELNS1_11target_archE942ELNS1_3gpuE9ELNS1_3repE0EEENS1_30default_config_static_selectorELNS0_4arch9wavefront6targetE1EEEvSY_,comdat
.Lfunc_end654:
	.size	_ZN7rocprim17ROCPRIM_400000_NS6detail17trampoline_kernelINS0_14default_configENS1_29binary_search_config_selectorIfiEEZNS1_14transform_implILb0ES3_S5_N6thrust23THRUST_200600_302600_NS6detail15normal_iteratorINS8_7pointerIfNS8_11hip_rocprim5par_tENS8_11use_defaultESE_EEEENSA_INSB_IiSD_SE_SE_EEEEZNS1_13binary_searchIS3_S5_NSA_INS8_10device_ptrIfEEEESG_SI_NS1_16binary_search_opENS9_16wrapped_functionINS8_6system6detail7generic6detail18binary_search_lessEbEEEE10hipError_tPvRmT1_T2_T3_mmT4_T5_P12ihipStream_tbEUlRKfE_EESV_SZ_S10_mS11_S14_bEUlT_E_NS1_11comp_targetILNS1_3genE5ELNS1_11target_archE942ELNS1_3gpuE9ELNS1_3repE0EEENS1_30default_config_static_selectorELNS0_4arch9wavefront6targetE1EEEvSY_, .Lfunc_end654-_ZN7rocprim17ROCPRIM_400000_NS6detail17trampoline_kernelINS0_14default_configENS1_29binary_search_config_selectorIfiEEZNS1_14transform_implILb0ES3_S5_N6thrust23THRUST_200600_302600_NS6detail15normal_iteratorINS8_7pointerIfNS8_11hip_rocprim5par_tENS8_11use_defaultESE_EEEENSA_INSB_IiSD_SE_SE_EEEEZNS1_13binary_searchIS3_S5_NSA_INS8_10device_ptrIfEEEESG_SI_NS1_16binary_search_opENS9_16wrapped_functionINS8_6system6detail7generic6detail18binary_search_lessEbEEEE10hipError_tPvRmT1_T2_T3_mmT4_T5_P12ihipStream_tbEUlRKfE_EESV_SZ_S10_mS11_S14_bEUlT_E_NS1_11comp_targetILNS1_3genE5ELNS1_11target_archE942ELNS1_3gpuE9ELNS1_3repE0EEENS1_30default_config_static_selectorELNS0_4arch9wavefront6targetE1EEEvSY_
                                        ; -- End function
	.set _ZN7rocprim17ROCPRIM_400000_NS6detail17trampoline_kernelINS0_14default_configENS1_29binary_search_config_selectorIfiEEZNS1_14transform_implILb0ES3_S5_N6thrust23THRUST_200600_302600_NS6detail15normal_iteratorINS8_7pointerIfNS8_11hip_rocprim5par_tENS8_11use_defaultESE_EEEENSA_INSB_IiSD_SE_SE_EEEEZNS1_13binary_searchIS3_S5_NSA_INS8_10device_ptrIfEEEESG_SI_NS1_16binary_search_opENS9_16wrapped_functionINS8_6system6detail7generic6detail18binary_search_lessEbEEEE10hipError_tPvRmT1_T2_T3_mmT4_T5_P12ihipStream_tbEUlRKfE_EESV_SZ_S10_mS11_S14_bEUlT_E_NS1_11comp_targetILNS1_3genE5ELNS1_11target_archE942ELNS1_3gpuE9ELNS1_3repE0EEENS1_30default_config_static_selectorELNS0_4arch9wavefront6targetE1EEEvSY_.num_vgpr, 0
	.set _ZN7rocprim17ROCPRIM_400000_NS6detail17trampoline_kernelINS0_14default_configENS1_29binary_search_config_selectorIfiEEZNS1_14transform_implILb0ES3_S5_N6thrust23THRUST_200600_302600_NS6detail15normal_iteratorINS8_7pointerIfNS8_11hip_rocprim5par_tENS8_11use_defaultESE_EEEENSA_INSB_IiSD_SE_SE_EEEEZNS1_13binary_searchIS3_S5_NSA_INS8_10device_ptrIfEEEESG_SI_NS1_16binary_search_opENS9_16wrapped_functionINS8_6system6detail7generic6detail18binary_search_lessEbEEEE10hipError_tPvRmT1_T2_T3_mmT4_T5_P12ihipStream_tbEUlRKfE_EESV_SZ_S10_mS11_S14_bEUlT_E_NS1_11comp_targetILNS1_3genE5ELNS1_11target_archE942ELNS1_3gpuE9ELNS1_3repE0EEENS1_30default_config_static_selectorELNS0_4arch9wavefront6targetE1EEEvSY_.num_agpr, 0
	.set _ZN7rocprim17ROCPRIM_400000_NS6detail17trampoline_kernelINS0_14default_configENS1_29binary_search_config_selectorIfiEEZNS1_14transform_implILb0ES3_S5_N6thrust23THRUST_200600_302600_NS6detail15normal_iteratorINS8_7pointerIfNS8_11hip_rocprim5par_tENS8_11use_defaultESE_EEEENSA_INSB_IiSD_SE_SE_EEEEZNS1_13binary_searchIS3_S5_NSA_INS8_10device_ptrIfEEEESG_SI_NS1_16binary_search_opENS9_16wrapped_functionINS8_6system6detail7generic6detail18binary_search_lessEbEEEE10hipError_tPvRmT1_T2_T3_mmT4_T5_P12ihipStream_tbEUlRKfE_EESV_SZ_S10_mS11_S14_bEUlT_E_NS1_11comp_targetILNS1_3genE5ELNS1_11target_archE942ELNS1_3gpuE9ELNS1_3repE0EEENS1_30default_config_static_selectorELNS0_4arch9wavefront6targetE1EEEvSY_.numbered_sgpr, 0
	.set _ZN7rocprim17ROCPRIM_400000_NS6detail17trampoline_kernelINS0_14default_configENS1_29binary_search_config_selectorIfiEEZNS1_14transform_implILb0ES3_S5_N6thrust23THRUST_200600_302600_NS6detail15normal_iteratorINS8_7pointerIfNS8_11hip_rocprim5par_tENS8_11use_defaultESE_EEEENSA_INSB_IiSD_SE_SE_EEEEZNS1_13binary_searchIS3_S5_NSA_INS8_10device_ptrIfEEEESG_SI_NS1_16binary_search_opENS9_16wrapped_functionINS8_6system6detail7generic6detail18binary_search_lessEbEEEE10hipError_tPvRmT1_T2_T3_mmT4_T5_P12ihipStream_tbEUlRKfE_EESV_SZ_S10_mS11_S14_bEUlT_E_NS1_11comp_targetILNS1_3genE5ELNS1_11target_archE942ELNS1_3gpuE9ELNS1_3repE0EEENS1_30default_config_static_selectorELNS0_4arch9wavefront6targetE1EEEvSY_.num_named_barrier, 0
	.set _ZN7rocprim17ROCPRIM_400000_NS6detail17trampoline_kernelINS0_14default_configENS1_29binary_search_config_selectorIfiEEZNS1_14transform_implILb0ES3_S5_N6thrust23THRUST_200600_302600_NS6detail15normal_iteratorINS8_7pointerIfNS8_11hip_rocprim5par_tENS8_11use_defaultESE_EEEENSA_INSB_IiSD_SE_SE_EEEEZNS1_13binary_searchIS3_S5_NSA_INS8_10device_ptrIfEEEESG_SI_NS1_16binary_search_opENS9_16wrapped_functionINS8_6system6detail7generic6detail18binary_search_lessEbEEEE10hipError_tPvRmT1_T2_T3_mmT4_T5_P12ihipStream_tbEUlRKfE_EESV_SZ_S10_mS11_S14_bEUlT_E_NS1_11comp_targetILNS1_3genE5ELNS1_11target_archE942ELNS1_3gpuE9ELNS1_3repE0EEENS1_30default_config_static_selectorELNS0_4arch9wavefront6targetE1EEEvSY_.private_seg_size, 0
	.set _ZN7rocprim17ROCPRIM_400000_NS6detail17trampoline_kernelINS0_14default_configENS1_29binary_search_config_selectorIfiEEZNS1_14transform_implILb0ES3_S5_N6thrust23THRUST_200600_302600_NS6detail15normal_iteratorINS8_7pointerIfNS8_11hip_rocprim5par_tENS8_11use_defaultESE_EEEENSA_INSB_IiSD_SE_SE_EEEEZNS1_13binary_searchIS3_S5_NSA_INS8_10device_ptrIfEEEESG_SI_NS1_16binary_search_opENS9_16wrapped_functionINS8_6system6detail7generic6detail18binary_search_lessEbEEEE10hipError_tPvRmT1_T2_T3_mmT4_T5_P12ihipStream_tbEUlRKfE_EESV_SZ_S10_mS11_S14_bEUlT_E_NS1_11comp_targetILNS1_3genE5ELNS1_11target_archE942ELNS1_3gpuE9ELNS1_3repE0EEENS1_30default_config_static_selectorELNS0_4arch9wavefront6targetE1EEEvSY_.uses_vcc, 0
	.set _ZN7rocprim17ROCPRIM_400000_NS6detail17trampoline_kernelINS0_14default_configENS1_29binary_search_config_selectorIfiEEZNS1_14transform_implILb0ES3_S5_N6thrust23THRUST_200600_302600_NS6detail15normal_iteratorINS8_7pointerIfNS8_11hip_rocprim5par_tENS8_11use_defaultESE_EEEENSA_INSB_IiSD_SE_SE_EEEEZNS1_13binary_searchIS3_S5_NSA_INS8_10device_ptrIfEEEESG_SI_NS1_16binary_search_opENS9_16wrapped_functionINS8_6system6detail7generic6detail18binary_search_lessEbEEEE10hipError_tPvRmT1_T2_T3_mmT4_T5_P12ihipStream_tbEUlRKfE_EESV_SZ_S10_mS11_S14_bEUlT_E_NS1_11comp_targetILNS1_3genE5ELNS1_11target_archE942ELNS1_3gpuE9ELNS1_3repE0EEENS1_30default_config_static_selectorELNS0_4arch9wavefront6targetE1EEEvSY_.uses_flat_scratch, 0
	.set _ZN7rocprim17ROCPRIM_400000_NS6detail17trampoline_kernelINS0_14default_configENS1_29binary_search_config_selectorIfiEEZNS1_14transform_implILb0ES3_S5_N6thrust23THRUST_200600_302600_NS6detail15normal_iteratorINS8_7pointerIfNS8_11hip_rocprim5par_tENS8_11use_defaultESE_EEEENSA_INSB_IiSD_SE_SE_EEEEZNS1_13binary_searchIS3_S5_NSA_INS8_10device_ptrIfEEEESG_SI_NS1_16binary_search_opENS9_16wrapped_functionINS8_6system6detail7generic6detail18binary_search_lessEbEEEE10hipError_tPvRmT1_T2_T3_mmT4_T5_P12ihipStream_tbEUlRKfE_EESV_SZ_S10_mS11_S14_bEUlT_E_NS1_11comp_targetILNS1_3genE5ELNS1_11target_archE942ELNS1_3gpuE9ELNS1_3repE0EEENS1_30default_config_static_selectorELNS0_4arch9wavefront6targetE1EEEvSY_.has_dyn_sized_stack, 0
	.set _ZN7rocprim17ROCPRIM_400000_NS6detail17trampoline_kernelINS0_14default_configENS1_29binary_search_config_selectorIfiEEZNS1_14transform_implILb0ES3_S5_N6thrust23THRUST_200600_302600_NS6detail15normal_iteratorINS8_7pointerIfNS8_11hip_rocprim5par_tENS8_11use_defaultESE_EEEENSA_INSB_IiSD_SE_SE_EEEEZNS1_13binary_searchIS3_S5_NSA_INS8_10device_ptrIfEEEESG_SI_NS1_16binary_search_opENS9_16wrapped_functionINS8_6system6detail7generic6detail18binary_search_lessEbEEEE10hipError_tPvRmT1_T2_T3_mmT4_T5_P12ihipStream_tbEUlRKfE_EESV_SZ_S10_mS11_S14_bEUlT_E_NS1_11comp_targetILNS1_3genE5ELNS1_11target_archE942ELNS1_3gpuE9ELNS1_3repE0EEENS1_30default_config_static_selectorELNS0_4arch9wavefront6targetE1EEEvSY_.has_recursion, 0
	.set _ZN7rocprim17ROCPRIM_400000_NS6detail17trampoline_kernelINS0_14default_configENS1_29binary_search_config_selectorIfiEEZNS1_14transform_implILb0ES3_S5_N6thrust23THRUST_200600_302600_NS6detail15normal_iteratorINS8_7pointerIfNS8_11hip_rocprim5par_tENS8_11use_defaultESE_EEEENSA_INSB_IiSD_SE_SE_EEEEZNS1_13binary_searchIS3_S5_NSA_INS8_10device_ptrIfEEEESG_SI_NS1_16binary_search_opENS9_16wrapped_functionINS8_6system6detail7generic6detail18binary_search_lessEbEEEE10hipError_tPvRmT1_T2_T3_mmT4_T5_P12ihipStream_tbEUlRKfE_EESV_SZ_S10_mS11_S14_bEUlT_E_NS1_11comp_targetILNS1_3genE5ELNS1_11target_archE942ELNS1_3gpuE9ELNS1_3repE0EEENS1_30default_config_static_selectorELNS0_4arch9wavefront6targetE1EEEvSY_.has_indirect_call, 0
	.section	.AMDGPU.csdata,"",@progbits
; Kernel info:
; codeLenInByte = 0
; TotalNumSgprs: 4
; NumVgprs: 0
; ScratchSize: 0
; MemoryBound: 0
; FloatMode: 240
; IeeeMode: 1
; LDSByteSize: 0 bytes/workgroup (compile time only)
; SGPRBlocks: 0
; VGPRBlocks: 0
; NumSGPRsForWavesPerEU: 4
; NumVGPRsForWavesPerEU: 1
; Occupancy: 10
; WaveLimiterHint : 0
; COMPUTE_PGM_RSRC2:SCRATCH_EN: 0
; COMPUTE_PGM_RSRC2:USER_SGPR: 6
; COMPUTE_PGM_RSRC2:TRAP_HANDLER: 0
; COMPUTE_PGM_RSRC2:TGID_X_EN: 1
; COMPUTE_PGM_RSRC2:TGID_Y_EN: 0
; COMPUTE_PGM_RSRC2:TGID_Z_EN: 0
; COMPUTE_PGM_RSRC2:TIDIG_COMP_CNT: 0
	.section	.text._ZN7rocprim17ROCPRIM_400000_NS6detail17trampoline_kernelINS0_14default_configENS1_29binary_search_config_selectorIfiEEZNS1_14transform_implILb0ES3_S5_N6thrust23THRUST_200600_302600_NS6detail15normal_iteratorINS8_7pointerIfNS8_11hip_rocprim5par_tENS8_11use_defaultESE_EEEENSA_INSB_IiSD_SE_SE_EEEEZNS1_13binary_searchIS3_S5_NSA_INS8_10device_ptrIfEEEESG_SI_NS1_16binary_search_opENS9_16wrapped_functionINS8_6system6detail7generic6detail18binary_search_lessEbEEEE10hipError_tPvRmT1_T2_T3_mmT4_T5_P12ihipStream_tbEUlRKfE_EESV_SZ_S10_mS11_S14_bEUlT_E_NS1_11comp_targetILNS1_3genE4ELNS1_11target_archE910ELNS1_3gpuE8ELNS1_3repE0EEENS1_30default_config_static_selectorELNS0_4arch9wavefront6targetE1EEEvSY_,"axG",@progbits,_ZN7rocprim17ROCPRIM_400000_NS6detail17trampoline_kernelINS0_14default_configENS1_29binary_search_config_selectorIfiEEZNS1_14transform_implILb0ES3_S5_N6thrust23THRUST_200600_302600_NS6detail15normal_iteratorINS8_7pointerIfNS8_11hip_rocprim5par_tENS8_11use_defaultESE_EEEENSA_INSB_IiSD_SE_SE_EEEEZNS1_13binary_searchIS3_S5_NSA_INS8_10device_ptrIfEEEESG_SI_NS1_16binary_search_opENS9_16wrapped_functionINS8_6system6detail7generic6detail18binary_search_lessEbEEEE10hipError_tPvRmT1_T2_T3_mmT4_T5_P12ihipStream_tbEUlRKfE_EESV_SZ_S10_mS11_S14_bEUlT_E_NS1_11comp_targetILNS1_3genE4ELNS1_11target_archE910ELNS1_3gpuE8ELNS1_3repE0EEENS1_30default_config_static_selectorELNS0_4arch9wavefront6targetE1EEEvSY_,comdat
	.protected	_ZN7rocprim17ROCPRIM_400000_NS6detail17trampoline_kernelINS0_14default_configENS1_29binary_search_config_selectorIfiEEZNS1_14transform_implILb0ES3_S5_N6thrust23THRUST_200600_302600_NS6detail15normal_iteratorINS8_7pointerIfNS8_11hip_rocprim5par_tENS8_11use_defaultESE_EEEENSA_INSB_IiSD_SE_SE_EEEEZNS1_13binary_searchIS3_S5_NSA_INS8_10device_ptrIfEEEESG_SI_NS1_16binary_search_opENS9_16wrapped_functionINS8_6system6detail7generic6detail18binary_search_lessEbEEEE10hipError_tPvRmT1_T2_T3_mmT4_T5_P12ihipStream_tbEUlRKfE_EESV_SZ_S10_mS11_S14_bEUlT_E_NS1_11comp_targetILNS1_3genE4ELNS1_11target_archE910ELNS1_3gpuE8ELNS1_3repE0EEENS1_30default_config_static_selectorELNS0_4arch9wavefront6targetE1EEEvSY_ ; -- Begin function _ZN7rocprim17ROCPRIM_400000_NS6detail17trampoline_kernelINS0_14default_configENS1_29binary_search_config_selectorIfiEEZNS1_14transform_implILb0ES3_S5_N6thrust23THRUST_200600_302600_NS6detail15normal_iteratorINS8_7pointerIfNS8_11hip_rocprim5par_tENS8_11use_defaultESE_EEEENSA_INSB_IiSD_SE_SE_EEEEZNS1_13binary_searchIS3_S5_NSA_INS8_10device_ptrIfEEEESG_SI_NS1_16binary_search_opENS9_16wrapped_functionINS8_6system6detail7generic6detail18binary_search_lessEbEEEE10hipError_tPvRmT1_T2_T3_mmT4_T5_P12ihipStream_tbEUlRKfE_EESV_SZ_S10_mS11_S14_bEUlT_E_NS1_11comp_targetILNS1_3genE4ELNS1_11target_archE910ELNS1_3gpuE8ELNS1_3repE0EEENS1_30default_config_static_selectorELNS0_4arch9wavefront6targetE1EEEvSY_
	.globl	_ZN7rocprim17ROCPRIM_400000_NS6detail17trampoline_kernelINS0_14default_configENS1_29binary_search_config_selectorIfiEEZNS1_14transform_implILb0ES3_S5_N6thrust23THRUST_200600_302600_NS6detail15normal_iteratorINS8_7pointerIfNS8_11hip_rocprim5par_tENS8_11use_defaultESE_EEEENSA_INSB_IiSD_SE_SE_EEEEZNS1_13binary_searchIS3_S5_NSA_INS8_10device_ptrIfEEEESG_SI_NS1_16binary_search_opENS9_16wrapped_functionINS8_6system6detail7generic6detail18binary_search_lessEbEEEE10hipError_tPvRmT1_T2_T3_mmT4_T5_P12ihipStream_tbEUlRKfE_EESV_SZ_S10_mS11_S14_bEUlT_E_NS1_11comp_targetILNS1_3genE4ELNS1_11target_archE910ELNS1_3gpuE8ELNS1_3repE0EEENS1_30default_config_static_selectorELNS0_4arch9wavefront6targetE1EEEvSY_
	.p2align	8
	.type	_ZN7rocprim17ROCPRIM_400000_NS6detail17trampoline_kernelINS0_14default_configENS1_29binary_search_config_selectorIfiEEZNS1_14transform_implILb0ES3_S5_N6thrust23THRUST_200600_302600_NS6detail15normal_iteratorINS8_7pointerIfNS8_11hip_rocprim5par_tENS8_11use_defaultESE_EEEENSA_INSB_IiSD_SE_SE_EEEEZNS1_13binary_searchIS3_S5_NSA_INS8_10device_ptrIfEEEESG_SI_NS1_16binary_search_opENS9_16wrapped_functionINS8_6system6detail7generic6detail18binary_search_lessEbEEEE10hipError_tPvRmT1_T2_T3_mmT4_T5_P12ihipStream_tbEUlRKfE_EESV_SZ_S10_mS11_S14_bEUlT_E_NS1_11comp_targetILNS1_3genE4ELNS1_11target_archE910ELNS1_3gpuE8ELNS1_3repE0EEENS1_30default_config_static_selectorELNS0_4arch9wavefront6targetE1EEEvSY_,@function
_ZN7rocprim17ROCPRIM_400000_NS6detail17trampoline_kernelINS0_14default_configENS1_29binary_search_config_selectorIfiEEZNS1_14transform_implILb0ES3_S5_N6thrust23THRUST_200600_302600_NS6detail15normal_iteratorINS8_7pointerIfNS8_11hip_rocprim5par_tENS8_11use_defaultESE_EEEENSA_INSB_IiSD_SE_SE_EEEEZNS1_13binary_searchIS3_S5_NSA_INS8_10device_ptrIfEEEESG_SI_NS1_16binary_search_opENS9_16wrapped_functionINS8_6system6detail7generic6detail18binary_search_lessEbEEEE10hipError_tPvRmT1_T2_T3_mmT4_T5_P12ihipStream_tbEUlRKfE_EESV_SZ_S10_mS11_S14_bEUlT_E_NS1_11comp_targetILNS1_3genE4ELNS1_11target_archE910ELNS1_3gpuE8ELNS1_3repE0EEENS1_30default_config_static_selectorELNS0_4arch9wavefront6targetE1EEEvSY_: ; @_ZN7rocprim17ROCPRIM_400000_NS6detail17trampoline_kernelINS0_14default_configENS1_29binary_search_config_selectorIfiEEZNS1_14transform_implILb0ES3_S5_N6thrust23THRUST_200600_302600_NS6detail15normal_iteratorINS8_7pointerIfNS8_11hip_rocprim5par_tENS8_11use_defaultESE_EEEENSA_INSB_IiSD_SE_SE_EEEEZNS1_13binary_searchIS3_S5_NSA_INS8_10device_ptrIfEEEESG_SI_NS1_16binary_search_opENS9_16wrapped_functionINS8_6system6detail7generic6detail18binary_search_lessEbEEEE10hipError_tPvRmT1_T2_T3_mmT4_T5_P12ihipStream_tbEUlRKfE_EESV_SZ_S10_mS11_S14_bEUlT_E_NS1_11comp_targetILNS1_3genE4ELNS1_11target_archE910ELNS1_3gpuE8ELNS1_3repE0EEENS1_30default_config_static_selectorELNS0_4arch9wavefront6targetE1EEEvSY_
; %bb.0:
	.section	.rodata,"a",@progbits
	.p2align	6, 0x0
	.amdhsa_kernel _ZN7rocprim17ROCPRIM_400000_NS6detail17trampoline_kernelINS0_14default_configENS1_29binary_search_config_selectorIfiEEZNS1_14transform_implILb0ES3_S5_N6thrust23THRUST_200600_302600_NS6detail15normal_iteratorINS8_7pointerIfNS8_11hip_rocprim5par_tENS8_11use_defaultESE_EEEENSA_INSB_IiSD_SE_SE_EEEEZNS1_13binary_searchIS3_S5_NSA_INS8_10device_ptrIfEEEESG_SI_NS1_16binary_search_opENS9_16wrapped_functionINS8_6system6detail7generic6detail18binary_search_lessEbEEEE10hipError_tPvRmT1_T2_T3_mmT4_T5_P12ihipStream_tbEUlRKfE_EESV_SZ_S10_mS11_S14_bEUlT_E_NS1_11comp_targetILNS1_3genE4ELNS1_11target_archE910ELNS1_3gpuE8ELNS1_3repE0EEENS1_30default_config_static_selectorELNS0_4arch9wavefront6targetE1EEEvSY_
		.amdhsa_group_segment_fixed_size 0
		.amdhsa_private_segment_fixed_size 0
		.amdhsa_kernarg_size 56
		.amdhsa_user_sgpr_count 6
		.amdhsa_user_sgpr_private_segment_buffer 1
		.amdhsa_user_sgpr_dispatch_ptr 0
		.amdhsa_user_sgpr_queue_ptr 0
		.amdhsa_user_sgpr_kernarg_segment_ptr 1
		.amdhsa_user_sgpr_dispatch_id 0
		.amdhsa_user_sgpr_flat_scratch_init 0
		.amdhsa_user_sgpr_private_segment_size 0
		.amdhsa_uses_dynamic_stack 0
		.amdhsa_system_sgpr_private_segment_wavefront_offset 0
		.amdhsa_system_sgpr_workgroup_id_x 1
		.amdhsa_system_sgpr_workgroup_id_y 0
		.amdhsa_system_sgpr_workgroup_id_z 0
		.amdhsa_system_sgpr_workgroup_info 0
		.amdhsa_system_vgpr_workitem_id 0
		.amdhsa_next_free_vgpr 1
		.amdhsa_next_free_sgpr 0
		.amdhsa_reserve_vcc 0
		.amdhsa_reserve_flat_scratch 0
		.amdhsa_float_round_mode_32 0
		.amdhsa_float_round_mode_16_64 0
		.amdhsa_float_denorm_mode_32 3
		.amdhsa_float_denorm_mode_16_64 3
		.amdhsa_dx10_clamp 1
		.amdhsa_ieee_mode 1
		.amdhsa_fp16_overflow 0
		.amdhsa_exception_fp_ieee_invalid_op 0
		.amdhsa_exception_fp_denorm_src 0
		.amdhsa_exception_fp_ieee_div_zero 0
		.amdhsa_exception_fp_ieee_overflow 0
		.amdhsa_exception_fp_ieee_underflow 0
		.amdhsa_exception_fp_ieee_inexact 0
		.amdhsa_exception_int_div_zero 0
	.end_amdhsa_kernel
	.section	.text._ZN7rocprim17ROCPRIM_400000_NS6detail17trampoline_kernelINS0_14default_configENS1_29binary_search_config_selectorIfiEEZNS1_14transform_implILb0ES3_S5_N6thrust23THRUST_200600_302600_NS6detail15normal_iteratorINS8_7pointerIfNS8_11hip_rocprim5par_tENS8_11use_defaultESE_EEEENSA_INSB_IiSD_SE_SE_EEEEZNS1_13binary_searchIS3_S5_NSA_INS8_10device_ptrIfEEEESG_SI_NS1_16binary_search_opENS9_16wrapped_functionINS8_6system6detail7generic6detail18binary_search_lessEbEEEE10hipError_tPvRmT1_T2_T3_mmT4_T5_P12ihipStream_tbEUlRKfE_EESV_SZ_S10_mS11_S14_bEUlT_E_NS1_11comp_targetILNS1_3genE4ELNS1_11target_archE910ELNS1_3gpuE8ELNS1_3repE0EEENS1_30default_config_static_selectorELNS0_4arch9wavefront6targetE1EEEvSY_,"axG",@progbits,_ZN7rocprim17ROCPRIM_400000_NS6detail17trampoline_kernelINS0_14default_configENS1_29binary_search_config_selectorIfiEEZNS1_14transform_implILb0ES3_S5_N6thrust23THRUST_200600_302600_NS6detail15normal_iteratorINS8_7pointerIfNS8_11hip_rocprim5par_tENS8_11use_defaultESE_EEEENSA_INSB_IiSD_SE_SE_EEEEZNS1_13binary_searchIS3_S5_NSA_INS8_10device_ptrIfEEEESG_SI_NS1_16binary_search_opENS9_16wrapped_functionINS8_6system6detail7generic6detail18binary_search_lessEbEEEE10hipError_tPvRmT1_T2_T3_mmT4_T5_P12ihipStream_tbEUlRKfE_EESV_SZ_S10_mS11_S14_bEUlT_E_NS1_11comp_targetILNS1_3genE4ELNS1_11target_archE910ELNS1_3gpuE8ELNS1_3repE0EEENS1_30default_config_static_selectorELNS0_4arch9wavefront6targetE1EEEvSY_,comdat
.Lfunc_end655:
	.size	_ZN7rocprim17ROCPRIM_400000_NS6detail17trampoline_kernelINS0_14default_configENS1_29binary_search_config_selectorIfiEEZNS1_14transform_implILb0ES3_S5_N6thrust23THRUST_200600_302600_NS6detail15normal_iteratorINS8_7pointerIfNS8_11hip_rocprim5par_tENS8_11use_defaultESE_EEEENSA_INSB_IiSD_SE_SE_EEEEZNS1_13binary_searchIS3_S5_NSA_INS8_10device_ptrIfEEEESG_SI_NS1_16binary_search_opENS9_16wrapped_functionINS8_6system6detail7generic6detail18binary_search_lessEbEEEE10hipError_tPvRmT1_T2_T3_mmT4_T5_P12ihipStream_tbEUlRKfE_EESV_SZ_S10_mS11_S14_bEUlT_E_NS1_11comp_targetILNS1_3genE4ELNS1_11target_archE910ELNS1_3gpuE8ELNS1_3repE0EEENS1_30default_config_static_selectorELNS0_4arch9wavefront6targetE1EEEvSY_, .Lfunc_end655-_ZN7rocprim17ROCPRIM_400000_NS6detail17trampoline_kernelINS0_14default_configENS1_29binary_search_config_selectorIfiEEZNS1_14transform_implILb0ES3_S5_N6thrust23THRUST_200600_302600_NS6detail15normal_iteratorINS8_7pointerIfNS8_11hip_rocprim5par_tENS8_11use_defaultESE_EEEENSA_INSB_IiSD_SE_SE_EEEEZNS1_13binary_searchIS3_S5_NSA_INS8_10device_ptrIfEEEESG_SI_NS1_16binary_search_opENS9_16wrapped_functionINS8_6system6detail7generic6detail18binary_search_lessEbEEEE10hipError_tPvRmT1_T2_T3_mmT4_T5_P12ihipStream_tbEUlRKfE_EESV_SZ_S10_mS11_S14_bEUlT_E_NS1_11comp_targetILNS1_3genE4ELNS1_11target_archE910ELNS1_3gpuE8ELNS1_3repE0EEENS1_30default_config_static_selectorELNS0_4arch9wavefront6targetE1EEEvSY_
                                        ; -- End function
	.set _ZN7rocprim17ROCPRIM_400000_NS6detail17trampoline_kernelINS0_14default_configENS1_29binary_search_config_selectorIfiEEZNS1_14transform_implILb0ES3_S5_N6thrust23THRUST_200600_302600_NS6detail15normal_iteratorINS8_7pointerIfNS8_11hip_rocprim5par_tENS8_11use_defaultESE_EEEENSA_INSB_IiSD_SE_SE_EEEEZNS1_13binary_searchIS3_S5_NSA_INS8_10device_ptrIfEEEESG_SI_NS1_16binary_search_opENS9_16wrapped_functionINS8_6system6detail7generic6detail18binary_search_lessEbEEEE10hipError_tPvRmT1_T2_T3_mmT4_T5_P12ihipStream_tbEUlRKfE_EESV_SZ_S10_mS11_S14_bEUlT_E_NS1_11comp_targetILNS1_3genE4ELNS1_11target_archE910ELNS1_3gpuE8ELNS1_3repE0EEENS1_30default_config_static_selectorELNS0_4arch9wavefront6targetE1EEEvSY_.num_vgpr, 0
	.set _ZN7rocprim17ROCPRIM_400000_NS6detail17trampoline_kernelINS0_14default_configENS1_29binary_search_config_selectorIfiEEZNS1_14transform_implILb0ES3_S5_N6thrust23THRUST_200600_302600_NS6detail15normal_iteratorINS8_7pointerIfNS8_11hip_rocprim5par_tENS8_11use_defaultESE_EEEENSA_INSB_IiSD_SE_SE_EEEEZNS1_13binary_searchIS3_S5_NSA_INS8_10device_ptrIfEEEESG_SI_NS1_16binary_search_opENS9_16wrapped_functionINS8_6system6detail7generic6detail18binary_search_lessEbEEEE10hipError_tPvRmT1_T2_T3_mmT4_T5_P12ihipStream_tbEUlRKfE_EESV_SZ_S10_mS11_S14_bEUlT_E_NS1_11comp_targetILNS1_3genE4ELNS1_11target_archE910ELNS1_3gpuE8ELNS1_3repE0EEENS1_30default_config_static_selectorELNS0_4arch9wavefront6targetE1EEEvSY_.num_agpr, 0
	.set _ZN7rocprim17ROCPRIM_400000_NS6detail17trampoline_kernelINS0_14default_configENS1_29binary_search_config_selectorIfiEEZNS1_14transform_implILb0ES3_S5_N6thrust23THRUST_200600_302600_NS6detail15normal_iteratorINS8_7pointerIfNS8_11hip_rocprim5par_tENS8_11use_defaultESE_EEEENSA_INSB_IiSD_SE_SE_EEEEZNS1_13binary_searchIS3_S5_NSA_INS8_10device_ptrIfEEEESG_SI_NS1_16binary_search_opENS9_16wrapped_functionINS8_6system6detail7generic6detail18binary_search_lessEbEEEE10hipError_tPvRmT1_T2_T3_mmT4_T5_P12ihipStream_tbEUlRKfE_EESV_SZ_S10_mS11_S14_bEUlT_E_NS1_11comp_targetILNS1_3genE4ELNS1_11target_archE910ELNS1_3gpuE8ELNS1_3repE0EEENS1_30default_config_static_selectorELNS0_4arch9wavefront6targetE1EEEvSY_.numbered_sgpr, 0
	.set _ZN7rocprim17ROCPRIM_400000_NS6detail17trampoline_kernelINS0_14default_configENS1_29binary_search_config_selectorIfiEEZNS1_14transform_implILb0ES3_S5_N6thrust23THRUST_200600_302600_NS6detail15normal_iteratorINS8_7pointerIfNS8_11hip_rocprim5par_tENS8_11use_defaultESE_EEEENSA_INSB_IiSD_SE_SE_EEEEZNS1_13binary_searchIS3_S5_NSA_INS8_10device_ptrIfEEEESG_SI_NS1_16binary_search_opENS9_16wrapped_functionINS8_6system6detail7generic6detail18binary_search_lessEbEEEE10hipError_tPvRmT1_T2_T3_mmT4_T5_P12ihipStream_tbEUlRKfE_EESV_SZ_S10_mS11_S14_bEUlT_E_NS1_11comp_targetILNS1_3genE4ELNS1_11target_archE910ELNS1_3gpuE8ELNS1_3repE0EEENS1_30default_config_static_selectorELNS0_4arch9wavefront6targetE1EEEvSY_.num_named_barrier, 0
	.set _ZN7rocprim17ROCPRIM_400000_NS6detail17trampoline_kernelINS0_14default_configENS1_29binary_search_config_selectorIfiEEZNS1_14transform_implILb0ES3_S5_N6thrust23THRUST_200600_302600_NS6detail15normal_iteratorINS8_7pointerIfNS8_11hip_rocprim5par_tENS8_11use_defaultESE_EEEENSA_INSB_IiSD_SE_SE_EEEEZNS1_13binary_searchIS3_S5_NSA_INS8_10device_ptrIfEEEESG_SI_NS1_16binary_search_opENS9_16wrapped_functionINS8_6system6detail7generic6detail18binary_search_lessEbEEEE10hipError_tPvRmT1_T2_T3_mmT4_T5_P12ihipStream_tbEUlRKfE_EESV_SZ_S10_mS11_S14_bEUlT_E_NS1_11comp_targetILNS1_3genE4ELNS1_11target_archE910ELNS1_3gpuE8ELNS1_3repE0EEENS1_30default_config_static_selectorELNS0_4arch9wavefront6targetE1EEEvSY_.private_seg_size, 0
	.set _ZN7rocprim17ROCPRIM_400000_NS6detail17trampoline_kernelINS0_14default_configENS1_29binary_search_config_selectorIfiEEZNS1_14transform_implILb0ES3_S5_N6thrust23THRUST_200600_302600_NS6detail15normal_iteratorINS8_7pointerIfNS8_11hip_rocprim5par_tENS8_11use_defaultESE_EEEENSA_INSB_IiSD_SE_SE_EEEEZNS1_13binary_searchIS3_S5_NSA_INS8_10device_ptrIfEEEESG_SI_NS1_16binary_search_opENS9_16wrapped_functionINS8_6system6detail7generic6detail18binary_search_lessEbEEEE10hipError_tPvRmT1_T2_T3_mmT4_T5_P12ihipStream_tbEUlRKfE_EESV_SZ_S10_mS11_S14_bEUlT_E_NS1_11comp_targetILNS1_3genE4ELNS1_11target_archE910ELNS1_3gpuE8ELNS1_3repE0EEENS1_30default_config_static_selectorELNS0_4arch9wavefront6targetE1EEEvSY_.uses_vcc, 0
	.set _ZN7rocprim17ROCPRIM_400000_NS6detail17trampoline_kernelINS0_14default_configENS1_29binary_search_config_selectorIfiEEZNS1_14transform_implILb0ES3_S5_N6thrust23THRUST_200600_302600_NS6detail15normal_iteratorINS8_7pointerIfNS8_11hip_rocprim5par_tENS8_11use_defaultESE_EEEENSA_INSB_IiSD_SE_SE_EEEEZNS1_13binary_searchIS3_S5_NSA_INS8_10device_ptrIfEEEESG_SI_NS1_16binary_search_opENS9_16wrapped_functionINS8_6system6detail7generic6detail18binary_search_lessEbEEEE10hipError_tPvRmT1_T2_T3_mmT4_T5_P12ihipStream_tbEUlRKfE_EESV_SZ_S10_mS11_S14_bEUlT_E_NS1_11comp_targetILNS1_3genE4ELNS1_11target_archE910ELNS1_3gpuE8ELNS1_3repE0EEENS1_30default_config_static_selectorELNS0_4arch9wavefront6targetE1EEEvSY_.uses_flat_scratch, 0
	.set _ZN7rocprim17ROCPRIM_400000_NS6detail17trampoline_kernelINS0_14default_configENS1_29binary_search_config_selectorIfiEEZNS1_14transform_implILb0ES3_S5_N6thrust23THRUST_200600_302600_NS6detail15normal_iteratorINS8_7pointerIfNS8_11hip_rocprim5par_tENS8_11use_defaultESE_EEEENSA_INSB_IiSD_SE_SE_EEEEZNS1_13binary_searchIS3_S5_NSA_INS8_10device_ptrIfEEEESG_SI_NS1_16binary_search_opENS9_16wrapped_functionINS8_6system6detail7generic6detail18binary_search_lessEbEEEE10hipError_tPvRmT1_T2_T3_mmT4_T5_P12ihipStream_tbEUlRKfE_EESV_SZ_S10_mS11_S14_bEUlT_E_NS1_11comp_targetILNS1_3genE4ELNS1_11target_archE910ELNS1_3gpuE8ELNS1_3repE0EEENS1_30default_config_static_selectorELNS0_4arch9wavefront6targetE1EEEvSY_.has_dyn_sized_stack, 0
	.set _ZN7rocprim17ROCPRIM_400000_NS6detail17trampoline_kernelINS0_14default_configENS1_29binary_search_config_selectorIfiEEZNS1_14transform_implILb0ES3_S5_N6thrust23THRUST_200600_302600_NS6detail15normal_iteratorINS8_7pointerIfNS8_11hip_rocprim5par_tENS8_11use_defaultESE_EEEENSA_INSB_IiSD_SE_SE_EEEEZNS1_13binary_searchIS3_S5_NSA_INS8_10device_ptrIfEEEESG_SI_NS1_16binary_search_opENS9_16wrapped_functionINS8_6system6detail7generic6detail18binary_search_lessEbEEEE10hipError_tPvRmT1_T2_T3_mmT4_T5_P12ihipStream_tbEUlRKfE_EESV_SZ_S10_mS11_S14_bEUlT_E_NS1_11comp_targetILNS1_3genE4ELNS1_11target_archE910ELNS1_3gpuE8ELNS1_3repE0EEENS1_30default_config_static_selectorELNS0_4arch9wavefront6targetE1EEEvSY_.has_recursion, 0
	.set _ZN7rocprim17ROCPRIM_400000_NS6detail17trampoline_kernelINS0_14default_configENS1_29binary_search_config_selectorIfiEEZNS1_14transform_implILb0ES3_S5_N6thrust23THRUST_200600_302600_NS6detail15normal_iteratorINS8_7pointerIfNS8_11hip_rocprim5par_tENS8_11use_defaultESE_EEEENSA_INSB_IiSD_SE_SE_EEEEZNS1_13binary_searchIS3_S5_NSA_INS8_10device_ptrIfEEEESG_SI_NS1_16binary_search_opENS9_16wrapped_functionINS8_6system6detail7generic6detail18binary_search_lessEbEEEE10hipError_tPvRmT1_T2_T3_mmT4_T5_P12ihipStream_tbEUlRKfE_EESV_SZ_S10_mS11_S14_bEUlT_E_NS1_11comp_targetILNS1_3genE4ELNS1_11target_archE910ELNS1_3gpuE8ELNS1_3repE0EEENS1_30default_config_static_selectorELNS0_4arch9wavefront6targetE1EEEvSY_.has_indirect_call, 0
	.section	.AMDGPU.csdata,"",@progbits
; Kernel info:
; codeLenInByte = 0
; TotalNumSgprs: 4
; NumVgprs: 0
; ScratchSize: 0
; MemoryBound: 0
; FloatMode: 240
; IeeeMode: 1
; LDSByteSize: 0 bytes/workgroup (compile time only)
; SGPRBlocks: 0
; VGPRBlocks: 0
; NumSGPRsForWavesPerEU: 4
; NumVGPRsForWavesPerEU: 1
; Occupancy: 10
; WaveLimiterHint : 0
; COMPUTE_PGM_RSRC2:SCRATCH_EN: 0
; COMPUTE_PGM_RSRC2:USER_SGPR: 6
; COMPUTE_PGM_RSRC2:TRAP_HANDLER: 0
; COMPUTE_PGM_RSRC2:TGID_X_EN: 1
; COMPUTE_PGM_RSRC2:TGID_Y_EN: 0
; COMPUTE_PGM_RSRC2:TGID_Z_EN: 0
; COMPUTE_PGM_RSRC2:TIDIG_COMP_CNT: 0
	.section	.text._ZN7rocprim17ROCPRIM_400000_NS6detail17trampoline_kernelINS0_14default_configENS1_29binary_search_config_selectorIfiEEZNS1_14transform_implILb0ES3_S5_N6thrust23THRUST_200600_302600_NS6detail15normal_iteratorINS8_7pointerIfNS8_11hip_rocprim5par_tENS8_11use_defaultESE_EEEENSA_INSB_IiSD_SE_SE_EEEEZNS1_13binary_searchIS3_S5_NSA_INS8_10device_ptrIfEEEESG_SI_NS1_16binary_search_opENS9_16wrapped_functionINS8_6system6detail7generic6detail18binary_search_lessEbEEEE10hipError_tPvRmT1_T2_T3_mmT4_T5_P12ihipStream_tbEUlRKfE_EESV_SZ_S10_mS11_S14_bEUlT_E_NS1_11comp_targetILNS1_3genE3ELNS1_11target_archE908ELNS1_3gpuE7ELNS1_3repE0EEENS1_30default_config_static_selectorELNS0_4arch9wavefront6targetE1EEEvSY_,"axG",@progbits,_ZN7rocprim17ROCPRIM_400000_NS6detail17trampoline_kernelINS0_14default_configENS1_29binary_search_config_selectorIfiEEZNS1_14transform_implILb0ES3_S5_N6thrust23THRUST_200600_302600_NS6detail15normal_iteratorINS8_7pointerIfNS8_11hip_rocprim5par_tENS8_11use_defaultESE_EEEENSA_INSB_IiSD_SE_SE_EEEEZNS1_13binary_searchIS3_S5_NSA_INS8_10device_ptrIfEEEESG_SI_NS1_16binary_search_opENS9_16wrapped_functionINS8_6system6detail7generic6detail18binary_search_lessEbEEEE10hipError_tPvRmT1_T2_T3_mmT4_T5_P12ihipStream_tbEUlRKfE_EESV_SZ_S10_mS11_S14_bEUlT_E_NS1_11comp_targetILNS1_3genE3ELNS1_11target_archE908ELNS1_3gpuE7ELNS1_3repE0EEENS1_30default_config_static_selectorELNS0_4arch9wavefront6targetE1EEEvSY_,comdat
	.protected	_ZN7rocprim17ROCPRIM_400000_NS6detail17trampoline_kernelINS0_14default_configENS1_29binary_search_config_selectorIfiEEZNS1_14transform_implILb0ES3_S5_N6thrust23THRUST_200600_302600_NS6detail15normal_iteratorINS8_7pointerIfNS8_11hip_rocprim5par_tENS8_11use_defaultESE_EEEENSA_INSB_IiSD_SE_SE_EEEEZNS1_13binary_searchIS3_S5_NSA_INS8_10device_ptrIfEEEESG_SI_NS1_16binary_search_opENS9_16wrapped_functionINS8_6system6detail7generic6detail18binary_search_lessEbEEEE10hipError_tPvRmT1_T2_T3_mmT4_T5_P12ihipStream_tbEUlRKfE_EESV_SZ_S10_mS11_S14_bEUlT_E_NS1_11comp_targetILNS1_3genE3ELNS1_11target_archE908ELNS1_3gpuE7ELNS1_3repE0EEENS1_30default_config_static_selectorELNS0_4arch9wavefront6targetE1EEEvSY_ ; -- Begin function _ZN7rocprim17ROCPRIM_400000_NS6detail17trampoline_kernelINS0_14default_configENS1_29binary_search_config_selectorIfiEEZNS1_14transform_implILb0ES3_S5_N6thrust23THRUST_200600_302600_NS6detail15normal_iteratorINS8_7pointerIfNS8_11hip_rocprim5par_tENS8_11use_defaultESE_EEEENSA_INSB_IiSD_SE_SE_EEEEZNS1_13binary_searchIS3_S5_NSA_INS8_10device_ptrIfEEEESG_SI_NS1_16binary_search_opENS9_16wrapped_functionINS8_6system6detail7generic6detail18binary_search_lessEbEEEE10hipError_tPvRmT1_T2_T3_mmT4_T5_P12ihipStream_tbEUlRKfE_EESV_SZ_S10_mS11_S14_bEUlT_E_NS1_11comp_targetILNS1_3genE3ELNS1_11target_archE908ELNS1_3gpuE7ELNS1_3repE0EEENS1_30default_config_static_selectorELNS0_4arch9wavefront6targetE1EEEvSY_
	.globl	_ZN7rocprim17ROCPRIM_400000_NS6detail17trampoline_kernelINS0_14default_configENS1_29binary_search_config_selectorIfiEEZNS1_14transform_implILb0ES3_S5_N6thrust23THRUST_200600_302600_NS6detail15normal_iteratorINS8_7pointerIfNS8_11hip_rocprim5par_tENS8_11use_defaultESE_EEEENSA_INSB_IiSD_SE_SE_EEEEZNS1_13binary_searchIS3_S5_NSA_INS8_10device_ptrIfEEEESG_SI_NS1_16binary_search_opENS9_16wrapped_functionINS8_6system6detail7generic6detail18binary_search_lessEbEEEE10hipError_tPvRmT1_T2_T3_mmT4_T5_P12ihipStream_tbEUlRKfE_EESV_SZ_S10_mS11_S14_bEUlT_E_NS1_11comp_targetILNS1_3genE3ELNS1_11target_archE908ELNS1_3gpuE7ELNS1_3repE0EEENS1_30default_config_static_selectorELNS0_4arch9wavefront6targetE1EEEvSY_
	.p2align	8
	.type	_ZN7rocprim17ROCPRIM_400000_NS6detail17trampoline_kernelINS0_14default_configENS1_29binary_search_config_selectorIfiEEZNS1_14transform_implILb0ES3_S5_N6thrust23THRUST_200600_302600_NS6detail15normal_iteratorINS8_7pointerIfNS8_11hip_rocprim5par_tENS8_11use_defaultESE_EEEENSA_INSB_IiSD_SE_SE_EEEEZNS1_13binary_searchIS3_S5_NSA_INS8_10device_ptrIfEEEESG_SI_NS1_16binary_search_opENS9_16wrapped_functionINS8_6system6detail7generic6detail18binary_search_lessEbEEEE10hipError_tPvRmT1_T2_T3_mmT4_T5_P12ihipStream_tbEUlRKfE_EESV_SZ_S10_mS11_S14_bEUlT_E_NS1_11comp_targetILNS1_3genE3ELNS1_11target_archE908ELNS1_3gpuE7ELNS1_3repE0EEENS1_30default_config_static_selectorELNS0_4arch9wavefront6targetE1EEEvSY_,@function
_ZN7rocprim17ROCPRIM_400000_NS6detail17trampoline_kernelINS0_14default_configENS1_29binary_search_config_selectorIfiEEZNS1_14transform_implILb0ES3_S5_N6thrust23THRUST_200600_302600_NS6detail15normal_iteratorINS8_7pointerIfNS8_11hip_rocprim5par_tENS8_11use_defaultESE_EEEENSA_INSB_IiSD_SE_SE_EEEEZNS1_13binary_searchIS3_S5_NSA_INS8_10device_ptrIfEEEESG_SI_NS1_16binary_search_opENS9_16wrapped_functionINS8_6system6detail7generic6detail18binary_search_lessEbEEEE10hipError_tPvRmT1_T2_T3_mmT4_T5_P12ihipStream_tbEUlRKfE_EESV_SZ_S10_mS11_S14_bEUlT_E_NS1_11comp_targetILNS1_3genE3ELNS1_11target_archE908ELNS1_3gpuE7ELNS1_3repE0EEENS1_30default_config_static_selectorELNS0_4arch9wavefront6targetE1EEEvSY_: ; @_ZN7rocprim17ROCPRIM_400000_NS6detail17trampoline_kernelINS0_14default_configENS1_29binary_search_config_selectorIfiEEZNS1_14transform_implILb0ES3_S5_N6thrust23THRUST_200600_302600_NS6detail15normal_iteratorINS8_7pointerIfNS8_11hip_rocprim5par_tENS8_11use_defaultESE_EEEENSA_INSB_IiSD_SE_SE_EEEEZNS1_13binary_searchIS3_S5_NSA_INS8_10device_ptrIfEEEESG_SI_NS1_16binary_search_opENS9_16wrapped_functionINS8_6system6detail7generic6detail18binary_search_lessEbEEEE10hipError_tPvRmT1_T2_T3_mmT4_T5_P12ihipStream_tbEUlRKfE_EESV_SZ_S10_mS11_S14_bEUlT_E_NS1_11comp_targetILNS1_3genE3ELNS1_11target_archE908ELNS1_3gpuE7ELNS1_3repE0EEENS1_30default_config_static_selectorELNS0_4arch9wavefront6targetE1EEEvSY_
; %bb.0:
	.section	.rodata,"a",@progbits
	.p2align	6, 0x0
	.amdhsa_kernel _ZN7rocprim17ROCPRIM_400000_NS6detail17trampoline_kernelINS0_14default_configENS1_29binary_search_config_selectorIfiEEZNS1_14transform_implILb0ES3_S5_N6thrust23THRUST_200600_302600_NS6detail15normal_iteratorINS8_7pointerIfNS8_11hip_rocprim5par_tENS8_11use_defaultESE_EEEENSA_INSB_IiSD_SE_SE_EEEEZNS1_13binary_searchIS3_S5_NSA_INS8_10device_ptrIfEEEESG_SI_NS1_16binary_search_opENS9_16wrapped_functionINS8_6system6detail7generic6detail18binary_search_lessEbEEEE10hipError_tPvRmT1_T2_T3_mmT4_T5_P12ihipStream_tbEUlRKfE_EESV_SZ_S10_mS11_S14_bEUlT_E_NS1_11comp_targetILNS1_3genE3ELNS1_11target_archE908ELNS1_3gpuE7ELNS1_3repE0EEENS1_30default_config_static_selectorELNS0_4arch9wavefront6targetE1EEEvSY_
		.amdhsa_group_segment_fixed_size 0
		.amdhsa_private_segment_fixed_size 0
		.amdhsa_kernarg_size 56
		.amdhsa_user_sgpr_count 6
		.amdhsa_user_sgpr_private_segment_buffer 1
		.amdhsa_user_sgpr_dispatch_ptr 0
		.amdhsa_user_sgpr_queue_ptr 0
		.amdhsa_user_sgpr_kernarg_segment_ptr 1
		.amdhsa_user_sgpr_dispatch_id 0
		.amdhsa_user_sgpr_flat_scratch_init 0
		.amdhsa_user_sgpr_private_segment_size 0
		.amdhsa_uses_dynamic_stack 0
		.amdhsa_system_sgpr_private_segment_wavefront_offset 0
		.amdhsa_system_sgpr_workgroup_id_x 1
		.amdhsa_system_sgpr_workgroup_id_y 0
		.amdhsa_system_sgpr_workgroup_id_z 0
		.amdhsa_system_sgpr_workgroup_info 0
		.amdhsa_system_vgpr_workitem_id 0
		.amdhsa_next_free_vgpr 1
		.amdhsa_next_free_sgpr 0
		.amdhsa_reserve_vcc 0
		.amdhsa_reserve_flat_scratch 0
		.amdhsa_float_round_mode_32 0
		.amdhsa_float_round_mode_16_64 0
		.amdhsa_float_denorm_mode_32 3
		.amdhsa_float_denorm_mode_16_64 3
		.amdhsa_dx10_clamp 1
		.amdhsa_ieee_mode 1
		.amdhsa_fp16_overflow 0
		.amdhsa_exception_fp_ieee_invalid_op 0
		.amdhsa_exception_fp_denorm_src 0
		.amdhsa_exception_fp_ieee_div_zero 0
		.amdhsa_exception_fp_ieee_overflow 0
		.amdhsa_exception_fp_ieee_underflow 0
		.amdhsa_exception_fp_ieee_inexact 0
		.amdhsa_exception_int_div_zero 0
	.end_amdhsa_kernel
	.section	.text._ZN7rocprim17ROCPRIM_400000_NS6detail17trampoline_kernelINS0_14default_configENS1_29binary_search_config_selectorIfiEEZNS1_14transform_implILb0ES3_S5_N6thrust23THRUST_200600_302600_NS6detail15normal_iteratorINS8_7pointerIfNS8_11hip_rocprim5par_tENS8_11use_defaultESE_EEEENSA_INSB_IiSD_SE_SE_EEEEZNS1_13binary_searchIS3_S5_NSA_INS8_10device_ptrIfEEEESG_SI_NS1_16binary_search_opENS9_16wrapped_functionINS8_6system6detail7generic6detail18binary_search_lessEbEEEE10hipError_tPvRmT1_T2_T3_mmT4_T5_P12ihipStream_tbEUlRKfE_EESV_SZ_S10_mS11_S14_bEUlT_E_NS1_11comp_targetILNS1_3genE3ELNS1_11target_archE908ELNS1_3gpuE7ELNS1_3repE0EEENS1_30default_config_static_selectorELNS0_4arch9wavefront6targetE1EEEvSY_,"axG",@progbits,_ZN7rocprim17ROCPRIM_400000_NS6detail17trampoline_kernelINS0_14default_configENS1_29binary_search_config_selectorIfiEEZNS1_14transform_implILb0ES3_S5_N6thrust23THRUST_200600_302600_NS6detail15normal_iteratorINS8_7pointerIfNS8_11hip_rocprim5par_tENS8_11use_defaultESE_EEEENSA_INSB_IiSD_SE_SE_EEEEZNS1_13binary_searchIS3_S5_NSA_INS8_10device_ptrIfEEEESG_SI_NS1_16binary_search_opENS9_16wrapped_functionINS8_6system6detail7generic6detail18binary_search_lessEbEEEE10hipError_tPvRmT1_T2_T3_mmT4_T5_P12ihipStream_tbEUlRKfE_EESV_SZ_S10_mS11_S14_bEUlT_E_NS1_11comp_targetILNS1_3genE3ELNS1_11target_archE908ELNS1_3gpuE7ELNS1_3repE0EEENS1_30default_config_static_selectorELNS0_4arch9wavefront6targetE1EEEvSY_,comdat
.Lfunc_end656:
	.size	_ZN7rocprim17ROCPRIM_400000_NS6detail17trampoline_kernelINS0_14default_configENS1_29binary_search_config_selectorIfiEEZNS1_14transform_implILb0ES3_S5_N6thrust23THRUST_200600_302600_NS6detail15normal_iteratorINS8_7pointerIfNS8_11hip_rocprim5par_tENS8_11use_defaultESE_EEEENSA_INSB_IiSD_SE_SE_EEEEZNS1_13binary_searchIS3_S5_NSA_INS8_10device_ptrIfEEEESG_SI_NS1_16binary_search_opENS9_16wrapped_functionINS8_6system6detail7generic6detail18binary_search_lessEbEEEE10hipError_tPvRmT1_T2_T3_mmT4_T5_P12ihipStream_tbEUlRKfE_EESV_SZ_S10_mS11_S14_bEUlT_E_NS1_11comp_targetILNS1_3genE3ELNS1_11target_archE908ELNS1_3gpuE7ELNS1_3repE0EEENS1_30default_config_static_selectorELNS0_4arch9wavefront6targetE1EEEvSY_, .Lfunc_end656-_ZN7rocprim17ROCPRIM_400000_NS6detail17trampoline_kernelINS0_14default_configENS1_29binary_search_config_selectorIfiEEZNS1_14transform_implILb0ES3_S5_N6thrust23THRUST_200600_302600_NS6detail15normal_iteratorINS8_7pointerIfNS8_11hip_rocprim5par_tENS8_11use_defaultESE_EEEENSA_INSB_IiSD_SE_SE_EEEEZNS1_13binary_searchIS3_S5_NSA_INS8_10device_ptrIfEEEESG_SI_NS1_16binary_search_opENS9_16wrapped_functionINS8_6system6detail7generic6detail18binary_search_lessEbEEEE10hipError_tPvRmT1_T2_T3_mmT4_T5_P12ihipStream_tbEUlRKfE_EESV_SZ_S10_mS11_S14_bEUlT_E_NS1_11comp_targetILNS1_3genE3ELNS1_11target_archE908ELNS1_3gpuE7ELNS1_3repE0EEENS1_30default_config_static_selectorELNS0_4arch9wavefront6targetE1EEEvSY_
                                        ; -- End function
	.set _ZN7rocprim17ROCPRIM_400000_NS6detail17trampoline_kernelINS0_14default_configENS1_29binary_search_config_selectorIfiEEZNS1_14transform_implILb0ES3_S5_N6thrust23THRUST_200600_302600_NS6detail15normal_iteratorINS8_7pointerIfNS8_11hip_rocprim5par_tENS8_11use_defaultESE_EEEENSA_INSB_IiSD_SE_SE_EEEEZNS1_13binary_searchIS3_S5_NSA_INS8_10device_ptrIfEEEESG_SI_NS1_16binary_search_opENS9_16wrapped_functionINS8_6system6detail7generic6detail18binary_search_lessEbEEEE10hipError_tPvRmT1_T2_T3_mmT4_T5_P12ihipStream_tbEUlRKfE_EESV_SZ_S10_mS11_S14_bEUlT_E_NS1_11comp_targetILNS1_3genE3ELNS1_11target_archE908ELNS1_3gpuE7ELNS1_3repE0EEENS1_30default_config_static_selectorELNS0_4arch9wavefront6targetE1EEEvSY_.num_vgpr, 0
	.set _ZN7rocprim17ROCPRIM_400000_NS6detail17trampoline_kernelINS0_14default_configENS1_29binary_search_config_selectorIfiEEZNS1_14transform_implILb0ES3_S5_N6thrust23THRUST_200600_302600_NS6detail15normal_iteratorINS8_7pointerIfNS8_11hip_rocprim5par_tENS8_11use_defaultESE_EEEENSA_INSB_IiSD_SE_SE_EEEEZNS1_13binary_searchIS3_S5_NSA_INS8_10device_ptrIfEEEESG_SI_NS1_16binary_search_opENS9_16wrapped_functionINS8_6system6detail7generic6detail18binary_search_lessEbEEEE10hipError_tPvRmT1_T2_T3_mmT4_T5_P12ihipStream_tbEUlRKfE_EESV_SZ_S10_mS11_S14_bEUlT_E_NS1_11comp_targetILNS1_3genE3ELNS1_11target_archE908ELNS1_3gpuE7ELNS1_3repE0EEENS1_30default_config_static_selectorELNS0_4arch9wavefront6targetE1EEEvSY_.num_agpr, 0
	.set _ZN7rocprim17ROCPRIM_400000_NS6detail17trampoline_kernelINS0_14default_configENS1_29binary_search_config_selectorIfiEEZNS1_14transform_implILb0ES3_S5_N6thrust23THRUST_200600_302600_NS6detail15normal_iteratorINS8_7pointerIfNS8_11hip_rocprim5par_tENS8_11use_defaultESE_EEEENSA_INSB_IiSD_SE_SE_EEEEZNS1_13binary_searchIS3_S5_NSA_INS8_10device_ptrIfEEEESG_SI_NS1_16binary_search_opENS9_16wrapped_functionINS8_6system6detail7generic6detail18binary_search_lessEbEEEE10hipError_tPvRmT1_T2_T3_mmT4_T5_P12ihipStream_tbEUlRKfE_EESV_SZ_S10_mS11_S14_bEUlT_E_NS1_11comp_targetILNS1_3genE3ELNS1_11target_archE908ELNS1_3gpuE7ELNS1_3repE0EEENS1_30default_config_static_selectorELNS0_4arch9wavefront6targetE1EEEvSY_.numbered_sgpr, 0
	.set _ZN7rocprim17ROCPRIM_400000_NS6detail17trampoline_kernelINS0_14default_configENS1_29binary_search_config_selectorIfiEEZNS1_14transform_implILb0ES3_S5_N6thrust23THRUST_200600_302600_NS6detail15normal_iteratorINS8_7pointerIfNS8_11hip_rocprim5par_tENS8_11use_defaultESE_EEEENSA_INSB_IiSD_SE_SE_EEEEZNS1_13binary_searchIS3_S5_NSA_INS8_10device_ptrIfEEEESG_SI_NS1_16binary_search_opENS9_16wrapped_functionINS8_6system6detail7generic6detail18binary_search_lessEbEEEE10hipError_tPvRmT1_T2_T3_mmT4_T5_P12ihipStream_tbEUlRKfE_EESV_SZ_S10_mS11_S14_bEUlT_E_NS1_11comp_targetILNS1_3genE3ELNS1_11target_archE908ELNS1_3gpuE7ELNS1_3repE0EEENS1_30default_config_static_selectorELNS0_4arch9wavefront6targetE1EEEvSY_.num_named_barrier, 0
	.set _ZN7rocprim17ROCPRIM_400000_NS6detail17trampoline_kernelINS0_14default_configENS1_29binary_search_config_selectorIfiEEZNS1_14transform_implILb0ES3_S5_N6thrust23THRUST_200600_302600_NS6detail15normal_iteratorINS8_7pointerIfNS8_11hip_rocprim5par_tENS8_11use_defaultESE_EEEENSA_INSB_IiSD_SE_SE_EEEEZNS1_13binary_searchIS3_S5_NSA_INS8_10device_ptrIfEEEESG_SI_NS1_16binary_search_opENS9_16wrapped_functionINS8_6system6detail7generic6detail18binary_search_lessEbEEEE10hipError_tPvRmT1_T2_T3_mmT4_T5_P12ihipStream_tbEUlRKfE_EESV_SZ_S10_mS11_S14_bEUlT_E_NS1_11comp_targetILNS1_3genE3ELNS1_11target_archE908ELNS1_3gpuE7ELNS1_3repE0EEENS1_30default_config_static_selectorELNS0_4arch9wavefront6targetE1EEEvSY_.private_seg_size, 0
	.set _ZN7rocprim17ROCPRIM_400000_NS6detail17trampoline_kernelINS0_14default_configENS1_29binary_search_config_selectorIfiEEZNS1_14transform_implILb0ES3_S5_N6thrust23THRUST_200600_302600_NS6detail15normal_iteratorINS8_7pointerIfNS8_11hip_rocprim5par_tENS8_11use_defaultESE_EEEENSA_INSB_IiSD_SE_SE_EEEEZNS1_13binary_searchIS3_S5_NSA_INS8_10device_ptrIfEEEESG_SI_NS1_16binary_search_opENS9_16wrapped_functionINS8_6system6detail7generic6detail18binary_search_lessEbEEEE10hipError_tPvRmT1_T2_T3_mmT4_T5_P12ihipStream_tbEUlRKfE_EESV_SZ_S10_mS11_S14_bEUlT_E_NS1_11comp_targetILNS1_3genE3ELNS1_11target_archE908ELNS1_3gpuE7ELNS1_3repE0EEENS1_30default_config_static_selectorELNS0_4arch9wavefront6targetE1EEEvSY_.uses_vcc, 0
	.set _ZN7rocprim17ROCPRIM_400000_NS6detail17trampoline_kernelINS0_14default_configENS1_29binary_search_config_selectorIfiEEZNS1_14transform_implILb0ES3_S5_N6thrust23THRUST_200600_302600_NS6detail15normal_iteratorINS8_7pointerIfNS8_11hip_rocprim5par_tENS8_11use_defaultESE_EEEENSA_INSB_IiSD_SE_SE_EEEEZNS1_13binary_searchIS3_S5_NSA_INS8_10device_ptrIfEEEESG_SI_NS1_16binary_search_opENS9_16wrapped_functionINS8_6system6detail7generic6detail18binary_search_lessEbEEEE10hipError_tPvRmT1_T2_T3_mmT4_T5_P12ihipStream_tbEUlRKfE_EESV_SZ_S10_mS11_S14_bEUlT_E_NS1_11comp_targetILNS1_3genE3ELNS1_11target_archE908ELNS1_3gpuE7ELNS1_3repE0EEENS1_30default_config_static_selectorELNS0_4arch9wavefront6targetE1EEEvSY_.uses_flat_scratch, 0
	.set _ZN7rocprim17ROCPRIM_400000_NS6detail17trampoline_kernelINS0_14default_configENS1_29binary_search_config_selectorIfiEEZNS1_14transform_implILb0ES3_S5_N6thrust23THRUST_200600_302600_NS6detail15normal_iteratorINS8_7pointerIfNS8_11hip_rocprim5par_tENS8_11use_defaultESE_EEEENSA_INSB_IiSD_SE_SE_EEEEZNS1_13binary_searchIS3_S5_NSA_INS8_10device_ptrIfEEEESG_SI_NS1_16binary_search_opENS9_16wrapped_functionINS8_6system6detail7generic6detail18binary_search_lessEbEEEE10hipError_tPvRmT1_T2_T3_mmT4_T5_P12ihipStream_tbEUlRKfE_EESV_SZ_S10_mS11_S14_bEUlT_E_NS1_11comp_targetILNS1_3genE3ELNS1_11target_archE908ELNS1_3gpuE7ELNS1_3repE0EEENS1_30default_config_static_selectorELNS0_4arch9wavefront6targetE1EEEvSY_.has_dyn_sized_stack, 0
	.set _ZN7rocprim17ROCPRIM_400000_NS6detail17trampoline_kernelINS0_14default_configENS1_29binary_search_config_selectorIfiEEZNS1_14transform_implILb0ES3_S5_N6thrust23THRUST_200600_302600_NS6detail15normal_iteratorINS8_7pointerIfNS8_11hip_rocprim5par_tENS8_11use_defaultESE_EEEENSA_INSB_IiSD_SE_SE_EEEEZNS1_13binary_searchIS3_S5_NSA_INS8_10device_ptrIfEEEESG_SI_NS1_16binary_search_opENS9_16wrapped_functionINS8_6system6detail7generic6detail18binary_search_lessEbEEEE10hipError_tPvRmT1_T2_T3_mmT4_T5_P12ihipStream_tbEUlRKfE_EESV_SZ_S10_mS11_S14_bEUlT_E_NS1_11comp_targetILNS1_3genE3ELNS1_11target_archE908ELNS1_3gpuE7ELNS1_3repE0EEENS1_30default_config_static_selectorELNS0_4arch9wavefront6targetE1EEEvSY_.has_recursion, 0
	.set _ZN7rocprim17ROCPRIM_400000_NS6detail17trampoline_kernelINS0_14default_configENS1_29binary_search_config_selectorIfiEEZNS1_14transform_implILb0ES3_S5_N6thrust23THRUST_200600_302600_NS6detail15normal_iteratorINS8_7pointerIfNS8_11hip_rocprim5par_tENS8_11use_defaultESE_EEEENSA_INSB_IiSD_SE_SE_EEEEZNS1_13binary_searchIS3_S5_NSA_INS8_10device_ptrIfEEEESG_SI_NS1_16binary_search_opENS9_16wrapped_functionINS8_6system6detail7generic6detail18binary_search_lessEbEEEE10hipError_tPvRmT1_T2_T3_mmT4_T5_P12ihipStream_tbEUlRKfE_EESV_SZ_S10_mS11_S14_bEUlT_E_NS1_11comp_targetILNS1_3genE3ELNS1_11target_archE908ELNS1_3gpuE7ELNS1_3repE0EEENS1_30default_config_static_selectorELNS0_4arch9wavefront6targetE1EEEvSY_.has_indirect_call, 0
	.section	.AMDGPU.csdata,"",@progbits
; Kernel info:
; codeLenInByte = 0
; TotalNumSgprs: 4
; NumVgprs: 0
; ScratchSize: 0
; MemoryBound: 0
; FloatMode: 240
; IeeeMode: 1
; LDSByteSize: 0 bytes/workgroup (compile time only)
; SGPRBlocks: 0
; VGPRBlocks: 0
; NumSGPRsForWavesPerEU: 4
; NumVGPRsForWavesPerEU: 1
; Occupancy: 10
; WaveLimiterHint : 0
; COMPUTE_PGM_RSRC2:SCRATCH_EN: 0
; COMPUTE_PGM_RSRC2:USER_SGPR: 6
; COMPUTE_PGM_RSRC2:TRAP_HANDLER: 0
; COMPUTE_PGM_RSRC2:TGID_X_EN: 1
; COMPUTE_PGM_RSRC2:TGID_Y_EN: 0
; COMPUTE_PGM_RSRC2:TGID_Z_EN: 0
; COMPUTE_PGM_RSRC2:TIDIG_COMP_CNT: 0
	.section	.text._ZN7rocprim17ROCPRIM_400000_NS6detail17trampoline_kernelINS0_14default_configENS1_29binary_search_config_selectorIfiEEZNS1_14transform_implILb0ES3_S5_N6thrust23THRUST_200600_302600_NS6detail15normal_iteratorINS8_7pointerIfNS8_11hip_rocprim5par_tENS8_11use_defaultESE_EEEENSA_INSB_IiSD_SE_SE_EEEEZNS1_13binary_searchIS3_S5_NSA_INS8_10device_ptrIfEEEESG_SI_NS1_16binary_search_opENS9_16wrapped_functionINS8_6system6detail7generic6detail18binary_search_lessEbEEEE10hipError_tPvRmT1_T2_T3_mmT4_T5_P12ihipStream_tbEUlRKfE_EESV_SZ_S10_mS11_S14_bEUlT_E_NS1_11comp_targetILNS1_3genE2ELNS1_11target_archE906ELNS1_3gpuE6ELNS1_3repE0EEENS1_30default_config_static_selectorELNS0_4arch9wavefront6targetE1EEEvSY_,"axG",@progbits,_ZN7rocprim17ROCPRIM_400000_NS6detail17trampoline_kernelINS0_14default_configENS1_29binary_search_config_selectorIfiEEZNS1_14transform_implILb0ES3_S5_N6thrust23THRUST_200600_302600_NS6detail15normal_iteratorINS8_7pointerIfNS8_11hip_rocprim5par_tENS8_11use_defaultESE_EEEENSA_INSB_IiSD_SE_SE_EEEEZNS1_13binary_searchIS3_S5_NSA_INS8_10device_ptrIfEEEESG_SI_NS1_16binary_search_opENS9_16wrapped_functionINS8_6system6detail7generic6detail18binary_search_lessEbEEEE10hipError_tPvRmT1_T2_T3_mmT4_T5_P12ihipStream_tbEUlRKfE_EESV_SZ_S10_mS11_S14_bEUlT_E_NS1_11comp_targetILNS1_3genE2ELNS1_11target_archE906ELNS1_3gpuE6ELNS1_3repE0EEENS1_30default_config_static_selectorELNS0_4arch9wavefront6targetE1EEEvSY_,comdat
	.protected	_ZN7rocprim17ROCPRIM_400000_NS6detail17trampoline_kernelINS0_14default_configENS1_29binary_search_config_selectorIfiEEZNS1_14transform_implILb0ES3_S5_N6thrust23THRUST_200600_302600_NS6detail15normal_iteratorINS8_7pointerIfNS8_11hip_rocprim5par_tENS8_11use_defaultESE_EEEENSA_INSB_IiSD_SE_SE_EEEEZNS1_13binary_searchIS3_S5_NSA_INS8_10device_ptrIfEEEESG_SI_NS1_16binary_search_opENS9_16wrapped_functionINS8_6system6detail7generic6detail18binary_search_lessEbEEEE10hipError_tPvRmT1_T2_T3_mmT4_T5_P12ihipStream_tbEUlRKfE_EESV_SZ_S10_mS11_S14_bEUlT_E_NS1_11comp_targetILNS1_3genE2ELNS1_11target_archE906ELNS1_3gpuE6ELNS1_3repE0EEENS1_30default_config_static_selectorELNS0_4arch9wavefront6targetE1EEEvSY_ ; -- Begin function _ZN7rocprim17ROCPRIM_400000_NS6detail17trampoline_kernelINS0_14default_configENS1_29binary_search_config_selectorIfiEEZNS1_14transform_implILb0ES3_S5_N6thrust23THRUST_200600_302600_NS6detail15normal_iteratorINS8_7pointerIfNS8_11hip_rocprim5par_tENS8_11use_defaultESE_EEEENSA_INSB_IiSD_SE_SE_EEEEZNS1_13binary_searchIS3_S5_NSA_INS8_10device_ptrIfEEEESG_SI_NS1_16binary_search_opENS9_16wrapped_functionINS8_6system6detail7generic6detail18binary_search_lessEbEEEE10hipError_tPvRmT1_T2_T3_mmT4_T5_P12ihipStream_tbEUlRKfE_EESV_SZ_S10_mS11_S14_bEUlT_E_NS1_11comp_targetILNS1_3genE2ELNS1_11target_archE906ELNS1_3gpuE6ELNS1_3repE0EEENS1_30default_config_static_selectorELNS0_4arch9wavefront6targetE1EEEvSY_
	.globl	_ZN7rocprim17ROCPRIM_400000_NS6detail17trampoline_kernelINS0_14default_configENS1_29binary_search_config_selectorIfiEEZNS1_14transform_implILb0ES3_S5_N6thrust23THRUST_200600_302600_NS6detail15normal_iteratorINS8_7pointerIfNS8_11hip_rocprim5par_tENS8_11use_defaultESE_EEEENSA_INSB_IiSD_SE_SE_EEEEZNS1_13binary_searchIS3_S5_NSA_INS8_10device_ptrIfEEEESG_SI_NS1_16binary_search_opENS9_16wrapped_functionINS8_6system6detail7generic6detail18binary_search_lessEbEEEE10hipError_tPvRmT1_T2_T3_mmT4_T5_P12ihipStream_tbEUlRKfE_EESV_SZ_S10_mS11_S14_bEUlT_E_NS1_11comp_targetILNS1_3genE2ELNS1_11target_archE906ELNS1_3gpuE6ELNS1_3repE0EEENS1_30default_config_static_selectorELNS0_4arch9wavefront6targetE1EEEvSY_
	.p2align	8
	.type	_ZN7rocprim17ROCPRIM_400000_NS6detail17trampoline_kernelINS0_14default_configENS1_29binary_search_config_selectorIfiEEZNS1_14transform_implILb0ES3_S5_N6thrust23THRUST_200600_302600_NS6detail15normal_iteratorINS8_7pointerIfNS8_11hip_rocprim5par_tENS8_11use_defaultESE_EEEENSA_INSB_IiSD_SE_SE_EEEEZNS1_13binary_searchIS3_S5_NSA_INS8_10device_ptrIfEEEESG_SI_NS1_16binary_search_opENS9_16wrapped_functionINS8_6system6detail7generic6detail18binary_search_lessEbEEEE10hipError_tPvRmT1_T2_T3_mmT4_T5_P12ihipStream_tbEUlRKfE_EESV_SZ_S10_mS11_S14_bEUlT_E_NS1_11comp_targetILNS1_3genE2ELNS1_11target_archE906ELNS1_3gpuE6ELNS1_3repE0EEENS1_30default_config_static_selectorELNS0_4arch9wavefront6targetE1EEEvSY_,@function
_ZN7rocprim17ROCPRIM_400000_NS6detail17trampoline_kernelINS0_14default_configENS1_29binary_search_config_selectorIfiEEZNS1_14transform_implILb0ES3_S5_N6thrust23THRUST_200600_302600_NS6detail15normal_iteratorINS8_7pointerIfNS8_11hip_rocprim5par_tENS8_11use_defaultESE_EEEENSA_INSB_IiSD_SE_SE_EEEEZNS1_13binary_searchIS3_S5_NSA_INS8_10device_ptrIfEEEESG_SI_NS1_16binary_search_opENS9_16wrapped_functionINS8_6system6detail7generic6detail18binary_search_lessEbEEEE10hipError_tPvRmT1_T2_T3_mmT4_T5_P12ihipStream_tbEUlRKfE_EESV_SZ_S10_mS11_S14_bEUlT_E_NS1_11comp_targetILNS1_3genE2ELNS1_11target_archE906ELNS1_3gpuE6ELNS1_3repE0EEENS1_30default_config_static_selectorELNS0_4arch9wavefront6targetE1EEEvSY_: ; @_ZN7rocprim17ROCPRIM_400000_NS6detail17trampoline_kernelINS0_14default_configENS1_29binary_search_config_selectorIfiEEZNS1_14transform_implILb0ES3_S5_N6thrust23THRUST_200600_302600_NS6detail15normal_iteratorINS8_7pointerIfNS8_11hip_rocprim5par_tENS8_11use_defaultESE_EEEENSA_INSB_IiSD_SE_SE_EEEEZNS1_13binary_searchIS3_S5_NSA_INS8_10device_ptrIfEEEESG_SI_NS1_16binary_search_opENS9_16wrapped_functionINS8_6system6detail7generic6detail18binary_search_lessEbEEEE10hipError_tPvRmT1_T2_T3_mmT4_T5_P12ihipStream_tbEUlRKfE_EESV_SZ_S10_mS11_S14_bEUlT_E_NS1_11comp_targetILNS1_3genE2ELNS1_11target_archE906ELNS1_3gpuE6ELNS1_3repE0EEENS1_30default_config_static_selectorELNS0_4arch9wavefront6targetE1EEEvSY_
; %bb.0:
	s_load_dwordx4 s[12:15], s[4:5], 0x0
	s_load_dwordx4 s[8:11], s[4:5], 0x18
	s_load_dwordx2 s[0:1], s[4:5], 0x28
	s_load_dword s7, s[4:5], 0x38
	s_waitcnt lgkmcnt(0)
	s_lshl_b64 s[2:3], s[14:15], 2
	s_add_u32 s18, s12, s2
	s_addc_u32 s19, s13, s3
	s_lshl_b32 s12, s6, 8
	s_add_i32 s7, s7, -1
	s_cmp_lg_u32 s6, s7
	s_mov_b32 s13, 0
	s_cbranch_scc0 .LBB657_6
; %bb.1:
	s_lshl_b64 s[6:7], s[12:13], 2
	s_add_u32 s6, s18, s6
	s_addc_u32 s7, s19, s7
	v_lshlrev_b32_e32 v1, 2, v0
	v_mov_b32_e32 v2, s7
	v_add_co_u32_e32 v1, vcc, s6, v1
	v_addc_co_u32_e32 v2, vcc, 0, v2, vcc
	flat_load_dword v6, v[1:2]
	v_mov_b32_e32 v2, 0
	v_mov_b32_e32 v1, 0
	s_cmp_eq_u64 s[0:1], 0
	s_mov_b64 s[6:7], 0
	v_mov_b32_e32 v3, 0
	s_cbranch_scc1 .LBB657_5
; %bb.2:
	v_mov_b32_e32 v5, s1
	v_mov_b32_e32 v4, s0
	;; [unrolled: 1-line block ×3, first 2 shown]
.LBB657_3:                              ; =>This Inner Loop Header: Depth=1
	v_sub_co_u32_e32 v8, vcc, v4, v2
	v_subb_co_u32_e32 v9, vcc, v5, v3, vcc
	v_lshrrev_b64 v[10:11], 1, v[8:9]
	v_lshrrev_b64 v[8:9], 6, v[8:9]
	v_add_co_u32_e32 v10, vcc, v10, v2
	v_addc_co_u32_e32 v11, vcc, v11, v3, vcc
	v_add_co_u32_e32 v8, vcc, v10, v8
	v_addc_co_u32_e32 v9, vcc, v11, v9, vcc
	v_lshlrev_b64 v[10:11], 2, v[8:9]
	v_add_co_u32_e32 v10, vcc, s10, v10
	v_addc_co_u32_e32 v11, vcc, v7, v11, vcc
	global_load_dword v10, v[10:11], off
	v_add_co_u32_e32 v11, vcc, 1, v8
	v_addc_co_u32_e32 v12, vcc, 0, v9, vcc
	s_waitcnt vmcnt(0) lgkmcnt(0)
	v_cmp_lt_f32_e32 vcc, v10, v6
	v_cndmask_b32_e32 v5, v9, v5, vcc
	v_cndmask_b32_e32 v4, v8, v4, vcc
	;; [unrolled: 1-line block ×4, first 2 shown]
	v_cmp_ge_u64_e32 vcc, v[2:3], v[4:5]
	s_or_b64 s[6:7], vcc, s[6:7]
	s_andn2_b64 exec, exec, s[6:7]
	s_cbranch_execnz .LBB657_3
; %bb.4:
	s_or_b64 exec, exec, s[6:7]
.LBB657_5:
	v_cmp_eq_u64_e64 s[6:7], s[0:1], v[2:3]
	v_cmp_ne_u64_e64 s[14:15], s[0:1], v[2:3]
	s_branch .LBB657_14
.LBB657_6:
	s_mov_b64 s[14:15], 0
	s_mov_b64 s[6:7], 0
                                        ; implicit-def: $vgpr6
                                        ; implicit-def: $vgpr2_vgpr3
	s_cbranch_execz .LBB657_14
; %bb.7:
	s_load_dword s4, s[4:5], 0x10
                                        ; implicit-def: $vgpr6
                                        ; implicit-def: $vgpr2_vgpr3
	s_waitcnt lgkmcnt(0)
	s_sub_i32 s4, s4, s12
	v_cmp_gt_u32_e32 vcc, s4, v0
	s_and_saveexec_b64 s[4:5], vcc
	s_cbranch_execz .LBB657_13
; %bb.8:
	s_lshl_b64 s[16:17], s[12:13], 2
	s_add_u32 s16, s18, s16
	s_addc_u32 s17, s19, s17
	v_lshlrev_b32_e32 v1, 2, v0
	v_mov_b32_e32 v2, s17
	v_add_co_u32_e32 v1, vcc, s16, v1
	v_addc_co_u32_e32 v2, vcc, 0, v2, vcc
	s_waitcnt vmcnt(0)
	flat_load_dword v6, v[1:2]
	v_mov_b32_e32 v2, 0
	v_mov_b32_e32 v1, 0
	s_cmp_eq_u64 s[0:1], 0
	s_mov_b64 s[16:17], 0
	v_mov_b32_e32 v3, 0
	s_cbranch_scc1 .LBB657_12
; %bb.9:
	v_mov_b32_e32 v5, s1
	v_mov_b32_e32 v4, s0
	;; [unrolled: 1-line block ×3, first 2 shown]
.LBB657_10:                             ; =>This Inner Loop Header: Depth=1
	v_sub_co_u32_e32 v8, vcc, v4, v2
	v_subb_co_u32_e32 v9, vcc, v5, v3, vcc
	v_lshrrev_b64 v[10:11], 1, v[8:9]
	v_lshrrev_b64 v[8:9], 6, v[8:9]
	v_add_co_u32_e32 v10, vcc, v10, v2
	v_addc_co_u32_e32 v11, vcc, v11, v3, vcc
	v_add_co_u32_e32 v8, vcc, v10, v8
	v_addc_co_u32_e32 v9, vcc, v11, v9, vcc
	v_lshlrev_b64 v[10:11], 2, v[8:9]
	v_add_co_u32_e32 v10, vcc, s10, v10
	v_addc_co_u32_e32 v11, vcc, v7, v11, vcc
	global_load_dword v10, v[10:11], off
	v_add_co_u32_e32 v11, vcc, 1, v8
	v_addc_co_u32_e32 v12, vcc, 0, v9, vcc
	s_waitcnt vmcnt(0) lgkmcnt(0)
	v_cmp_lt_f32_e32 vcc, v10, v6
	v_cndmask_b32_e32 v5, v9, v5, vcc
	v_cndmask_b32_e32 v4, v8, v4, vcc
	;; [unrolled: 1-line block ×4, first 2 shown]
	v_cmp_ge_u64_e32 vcc, v[2:3], v[4:5]
	s_or_b64 s[16:17], vcc, s[16:17]
	s_andn2_b64 exec, exec, s[16:17]
	s_cbranch_execnz .LBB657_10
; %bb.11:
	s_or_b64 exec, exec, s[16:17]
.LBB657_12:
	v_cmp_eq_u64_e32 vcc, s[0:1], v[2:3]
	v_cmp_ne_u64_e64 s[0:1], s[0:1], v[2:3]
	s_andn2_b64 s[6:7], s[6:7], exec
	s_and_b64 s[16:17], vcc, exec
	s_andn2_b64 s[14:15], s[14:15], exec
	s_and_b64 s[0:1], s[0:1], exec
	s_or_b64 s[6:7], s[6:7], s[16:17]
	s_or_b64 s[14:15], s[14:15], s[0:1]
.LBB657_13:
	s_or_b64 exec, exec, s[4:5]
.LBB657_14:
	v_mov_b32_e32 v4, 0
	s_and_saveexec_b64 s[0:1], s[14:15]
	s_cbranch_execnz .LBB657_17
; %bb.15:
	s_or_b64 exec, exec, s[0:1]
	s_and_saveexec_b64 s[0:1], s[6:7]
	s_cbranch_execnz .LBB657_18
.LBB657_16:
	s_endpgm
.LBB657_17:
	v_lshlrev_b64 v[2:3], 2, v[2:3]
	v_mov_b32_e32 v4, s11
	v_add_co_u32_e32 v2, vcc, s10, v2
	v_addc_co_u32_e32 v3, vcc, v4, v3, vcc
	global_load_dword v2, v[2:3], off
	s_or_b64 s[6:7], s[6:7], exec
	s_waitcnt vmcnt(0) lgkmcnt(0)
	v_cmp_nlt_f32_e32 vcc, v6, v2
	v_cndmask_b32_e64 v4, 0, 1, vcc
	s_or_b64 exec, exec, s[0:1]
	s_and_saveexec_b64 s[0:1], s[6:7]
	s_cbranch_execz .LBB657_16
.LBB657_18:
	s_add_u32 s2, s8, s2
	s_addc_u32 s3, s9, s3
	s_lshl_b64 s[0:1], s[12:13], 2
	s_add_u32 s0, s2, s0
	v_lshlrev_b64 v[0:1], 2, v[0:1]
	s_addc_u32 s1, s3, s1
	v_mov_b32_e32 v2, s1
	v_add_co_u32_e32 v0, vcc, s0, v0
	v_addc_co_u32_e32 v1, vcc, v2, v1, vcc
	flat_store_dword v[0:1], v4
	s_endpgm
	.section	.rodata,"a",@progbits
	.p2align	6, 0x0
	.amdhsa_kernel _ZN7rocprim17ROCPRIM_400000_NS6detail17trampoline_kernelINS0_14default_configENS1_29binary_search_config_selectorIfiEEZNS1_14transform_implILb0ES3_S5_N6thrust23THRUST_200600_302600_NS6detail15normal_iteratorINS8_7pointerIfNS8_11hip_rocprim5par_tENS8_11use_defaultESE_EEEENSA_INSB_IiSD_SE_SE_EEEEZNS1_13binary_searchIS3_S5_NSA_INS8_10device_ptrIfEEEESG_SI_NS1_16binary_search_opENS9_16wrapped_functionINS8_6system6detail7generic6detail18binary_search_lessEbEEEE10hipError_tPvRmT1_T2_T3_mmT4_T5_P12ihipStream_tbEUlRKfE_EESV_SZ_S10_mS11_S14_bEUlT_E_NS1_11comp_targetILNS1_3genE2ELNS1_11target_archE906ELNS1_3gpuE6ELNS1_3repE0EEENS1_30default_config_static_selectorELNS0_4arch9wavefront6targetE1EEEvSY_
		.amdhsa_group_segment_fixed_size 0
		.amdhsa_private_segment_fixed_size 0
		.amdhsa_kernarg_size 312
		.amdhsa_user_sgpr_count 6
		.amdhsa_user_sgpr_private_segment_buffer 1
		.amdhsa_user_sgpr_dispatch_ptr 0
		.amdhsa_user_sgpr_queue_ptr 0
		.amdhsa_user_sgpr_kernarg_segment_ptr 1
		.amdhsa_user_sgpr_dispatch_id 0
		.amdhsa_user_sgpr_flat_scratch_init 0
		.amdhsa_user_sgpr_private_segment_size 0
		.amdhsa_uses_dynamic_stack 0
		.amdhsa_system_sgpr_private_segment_wavefront_offset 0
		.amdhsa_system_sgpr_workgroup_id_x 1
		.amdhsa_system_sgpr_workgroup_id_y 0
		.amdhsa_system_sgpr_workgroup_id_z 0
		.amdhsa_system_sgpr_workgroup_info 0
		.amdhsa_system_vgpr_workitem_id 0
		.amdhsa_next_free_vgpr 13
		.amdhsa_next_free_sgpr 20
		.amdhsa_reserve_vcc 1
		.amdhsa_reserve_flat_scratch 0
		.amdhsa_float_round_mode_32 0
		.amdhsa_float_round_mode_16_64 0
		.amdhsa_float_denorm_mode_32 3
		.amdhsa_float_denorm_mode_16_64 3
		.amdhsa_dx10_clamp 1
		.amdhsa_ieee_mode 1
		.amdhsa_fp16_overflow 0
		.amdhsa_exception_fp_ieee_invalid_op 0
		.amdhsa_exception_fp_denorm_src 0
		.amdhsa_exception_fp_ieee_div_zero 0
		.amdhsa_exception_fp_ieee_overflow 0
		.amdhsa_exception_fp_ieee_underflow 0
		.amdhsa_exception_fp_ieee_inexact 0
		.amdhsa_exception_int_div_zero 0
	.end_amdhsa_kernel
	.section	.text._ZN7rocprim17ROCPRIM_400000_NS6detail17trampoline_kernelINS0_14default_configENS1_29binary_search_config_selectorIfiEEZNS1_14transform_implILb0ES3_S5_N6thrust23THRUST_200600_302600_NS6detail15normal_iteratorINS8_7pointerIfNS8_11hip_rocprim5par_tENS8_11use_defaultESE_EEEENSA_INSB_IiSD_SE_SE_EEEEZNS1_13binary_searchIS3_S5_NSA_INS8_10device_ptrIfEEEESG_SI_NS1_16binary_search_opENS9_16wrapped_functionINS8_6system6detail7generic6detail18binary_search_lessEbEEEE10hipError_tPvRmT1_T2_T3_mmT4_T5_P12ihipStream_tbEUlRKfE_EESV_SZ_S10_mS11_S14_bEUlT_E_NS1_11comp_targetILNS1_3genE2ELNS1_11target_archE906ELNS1_3gpuE6ELNS1_3repE0EEENS1_30default_config_static_selectorELNS0_4arch9wavefront6targetE1EEEvSY_,"axG",@progbits,_ZN7rocprim17ROCPRIM_400000_NS6detail17trampoline_kernelINS0_14default_configENS1_29binary_search_config_selectorIfiEEZNS1_14transform_implILb0ES3_S5_N6thrust23THRUST_200600_302600_NS6detail15normal_iteratorINS8_7pointerIfNS8_11hip_rocprim5par_tENS8_11use_defaultESE_EEEENSA_INSB_IiSD_SE_SE_EEEEZNS1_13binary_searchIS3_S5_NSA_INS8_10device_ptrIfEEEESG_SI_NS1_16binary_search_opENS9_16wrapped_functionINS8_6system6detail7generic6detail18binary_search_lessEbEEEE10hipError_tPvRmT1_T2_T3_mmT4_T5_P12ihipStream_tbEUlRKfE_EESV_SZ_S10_mS11_S14_bEUlT_E_NS1_11comp_targetILNS1_3genE2ELNS1_11target_archE906ELNS1_3gpuE6ELNS1_3repE0EEENS1_30default_config_static_selectorELNS0_4arch9wavefront6targetE1EEEvSY_,comdat
.Lfunc_end657:
	.size	_ZN7rocprim17ROCPRIM_400000_NS6detail17trampoline_kernelINS0_14default_configENS1_29binary_search_config_selectorIfiEEZNS1_14transform_implILb0ES3_S5_N6thrust23THRUST_200600_302600_NS6detail15normal_iteratorINS8_7pointerIfNS8_11hip_rocprim5par_tENS8_11use_defaultESE_EEEENSA_INSB_IiSD_SE_SE_EEEEZNS1_13binary_searchIS3_S5_NSA_INS8_10device_ptrIfEEEESG_SI_NS1_16binary_search_opENS9_16wrapped_functionINS8_6system6detail7generic6detail18binary_search_lessEbEEEE10hipError_tPvRmT1_T2_T3_mmT4_T5_P12ihipStream_tbEUlRKfE_EESV_SZ_S10_mS11_S14_bEUlT_E_NS1_11comp_targetILNS1_3genE2ELNS1_11target_archE906ELNS1_3gpuE6ELNS1_3repE0EEENS1_30default_config_static_selectorELNS0_4arch9wavefront6targetE1EEEvSY_, .Lfunc_end657-_ZN7rocprim17ROCPRIM_400000_NS6detail17trampoline_kernelINS0_14default_configENS1_29binary_search_config_selectorIfiEEZNS1_14transform_implILb0ES3_S5_N6thrust23THRUST_200600_302600_NS6detail15normal_iteratorINS8_7pointerIfNS8_11hip_rocprim5par_tENS8_11use_defaultESE_EEEENSA_INSB_IiSD_SE_SE_EEEEZNS1_13binary_searchIS3_S5_NSA_INS8_10device_ptrIfEEEESG_SI_NS1_16binary_search_opENS9_16wrapped_functionINS8_6system6detail7generic6detail18binary_search_lessEbEEEE10hipError_tPvRmT1_T2_T3_mmT4_T5_P12ihipStream_tbEUlRKfE_EESV_SZ_S10_mS11_S14_bEUlT_E_NS1_11comp_targetILNS1_3genE2ELNS1_11target_archE906ELNS1_3gpuE6ELNS1_3repE0EEENS1_30default_config_static_selectorELNS0_4arch9wavefront6targetE1EEEvSY_
                                        ; -- End function
	.set _ZN7rocprim17ROCPRIM_400000_NS6detail17trampoline_kernelINS0_14default_configENS1_29binary_search_config_selectorIfiEEZNS1_14transform_implILb0ES3_S5_N6thrust23THRUST_200600_302600_NS6detail15normal_iteratorINS8_7pointerIfNS8_11hip_rocprim5par_tENS8_11use_defaultESE_EEEENSA_INSB_IiSD_SE_SE_EEEEZNS1_13binary_searchIS3_S5_NSA_INS8_10device_ptrIfEEEESG_SI_NS1_16binary_search_opENS9_16wrapped_functionINS8_6system6detail7generic6detail18binary_search_lessEbEEEE10hipError_tPvRmT1_T2_T3_mmT4_T5_P12ihipStream_tbEUlRKfE_EESV_SZ_S10_mS11_S14_bEUlT_E_NS1_11comp_targetILNS1_3genE2ELNS1_11target_archE906ELNS1_3gpuE6ELNS1_3repE0EEENS1_30default_config_static_selectorELNS0_4arch9wavefront6targetE1EEEvSY_.num_vgpr, 13
	.set _ZN7rocprim17ROCPRIM_400000_NS6detail17trampoline_kernelINS0_14default_configENS1_29binary_search_config_selectorIfiEEZNS1_14transform_implILb0ES3_S5_N6thrust23THRUST_200600_302600_NS6detail15normal_iteratorINS8_7pointerIfNS8_11hip_rocprim5par_tENS8_11use_defaultESE_EEEENSA_INSB_IiSD_SE_SE_EEEEZNS1_13binary_searchIS3_S5_NSA_INS8_10device_ptrIfEEEESG_SI_NS1_16binary_search_opENS9_16wrapped_functionINS8_6system6detail7generic6detail18binary_search_lessEbEEEE10hipError_tPvRmT1_T2_T3_mmT4_T5_P12ihipStream_tbEUlRKfE_EESV_SZ_S10_mS11_S14_bEUlT_E_NS1_11comp_targetILNS1_3genE2ELNS1_11target_archE906ELNS1_3gpuE6ELNS1_3repE0EEENS1_30default_config_static_selectorELNS0_4arch9wavefront6targetE1EEEvSY_.num_agpr, 0
	.set _ZN7rocprim17ROCPRIM_400000_NS6detail17trampoline_kernelINS0_14default_configENS1_29binary_search_config_selectorIfiEEZNS1_14transform_implILb0ES3_S5_N6thrust23THRUST_200600_302600_NS6detail15normal_iteratorINS8_7pointerIfNS8_11hip_rocprim5par_tENS8_11use_defaultESE_EEEENSA_INSB_IiSD_SE_SE_EEEEZNS1_13binary_searchIS3_S5_NSA_INS8_10device_ptrIfEEEESG_SI_NS1_16binary_search_opENS9_16wrapped_functionINS8_6system6detail7generic6detail18binary_search_lessEbEEEE10hipError_tPvRmT1_T2_T3_mmT4_T5_P12ihipStream_tbEUlRKfE_EESV_SZ_S10_mS11_S14_bEUlT_E_NS1_11comp_targetILNS1_3genE2ELNS1_11target_archE906ELNS1_3gpuE6ELNS1_3repE0EEENS1_30default_config_static_selectorELNS0_4arch9wavefront6targetE1EEEvSY_.numbered_sgpr, 20
	.set _ZN7rocprim17ROCPRIM_400000_NS6detail17trampoline_kernelINS0_14default_configENS1_29binary_search_config_selectorIfiEEZNS1_14transform_implILb0ES3_S5_N6thrust23THRUST_200600_302600_NS6detail15normal_iteratorINS8_7pointerIfNS8_11hip_rocprim5par_tENS8_11use_defaultESE_EEEENSA_INSB_IiSD_SE_SE_EEEEZNS1_13binary_searchIS3_S5_NSA_INS8_10device_ptrIfEEEESG_SI_NS1_16binary_search_opENS9_16wrapped_functionINS8_6system6detail7generic6detail18binary_search_lessEbEEEE10hipError_tPvRmT1_T2_T3_mmT4_T5_P12ihipStream_tbEUlRKfE_EESV_SZ_S10_mS11_S14_bEUlT_E_NS1_11comp_targetILNS1_3genE2ELNS1_11target_archE906ELNS1_3gpuE6ELNS1_3repE0EEENS1_30default_config_static_selectorELNS0_4arch9wavefront6targetE1EEEvSY_.num_named_barrier, 0
	.set _ZN7rocprim17ROCPRIM_400000_NS6detail17trampoline_kernelINS0_14default_configENS1_29binary_search_config_selectorIfiEEZNS1_14transform_implILb0ES3_S5_N6thrust23THRUST_200600_302600_NS6detail15normal_iteratorINS8_7pointerIfNS8_11hip_rocprim5par_tENS8_11use_defaultESE_EEEENSA_INSB_IiSD_SE_SE_EEEEZNS1_13binary_searchIS3_S5_NSA_INS8_10device_ptrIfEEEESG_SI_NS1_16binary_search_opENS9_16wrapped_functionINS8_6system6detail7generic6detail18binary_search_lessEbEEEE10hipError_tPvRmT1_T2_T3_mmT4_T5_P12ihipStream_tbEUlRKfE_EESV_SZ_S10_mS11_S14_bEUlT_E_NS1_11comp_targetILNS1_3genE2ELNS1_11target_archE906ELNS1_3gpuE6ELNS1_3repE0EEENS1_30default_config_static_selectorELNS0_4arch9wavefront6targetE1EEEvSY_.private_seg_size, 0
	.set _ZN7rocprim17ROCPRIM_400000_NS6detail17trampoline_kernelINS0_14default_configENS1_29binary_search_config_selectorIfiEEZNS1_14transform_implILb0ES3_S5_N6thrust23THRUST_200600_302600_NS6detail15normal_iteratorINS8_7pointerIfNS8_11hip_rocprim5par_tENS8_11use_defaultESE_EEEENSA_INSB_IiSD_SE_SE_EEEEZNS1_13binary_searchIS3_S5_NSA_INS8_10device_ptrIfEEEESG_SI_NS1_16binary_search_opENS9_16wrapped_functionINS8_6system6detail7generic6detail18binary_search_lessEbEEEE10hipError_tPvRmT1_T2_T3_mmT4_T5_P12ihipStream_tbEUlRKfE_EESV_SZ_S10_mS11_S14_bEUlT_E_NS1_11comp_targetILNS1_3genE2ELNS1_11target_archE906ELNS1_3gpuE6ELNS1_3repE0EEENS1_30default_config_static_selectorELNS0_4arch9wavefront6targetE1EEEvSY_.uses_vcc, 1
	.set _ZN7rocprim17ROCPRIM_400000_NS6detail17trampoline_kernelINS0_14default_configENS1_29binary_search_config_selectorIfiEEZNS1_14transform_implILb0ES3_S5_N6thrust23THRUST_200600_302600_NS6detail15normal_iteratorINS8_7pointerIfNS8_11hip_rocprim5par_tENS8_11use_defaultESE_EEEENSA_INSB_IiSD_SE_SE_EEEEZNS1_13binary_searchIS3_S5_NSA_INS8_10device_ptrIfEEEESG_SI_NS1_16binary_search_opENS9_16wrapped_functionINS8_6system6detail7generic6detail18binary_search_lessEbEEEE10hipError_tPvRmT1_T2_T3_mmT4_T5_P12ihipStream_tbEUlRKfE_EESV_SZ_S10_mS11_S14_bEUlT_E_NS1_11comp_targetILNS1_3genE2ELNS1_11target_archE906ELNS1_3gpuE6ELNS1_3repE0EEENS1_30default_config_static_selectorELNS0_4arch9wavefront6targetE1EEEvSY_.uses_flat_scratch, 0
	.set _ZN7rocprim17ROCPRIM_400000_NS6detail17trampoline_kernelINS0_14default_configENS1_29binary_search_config_selectorIfiEEZNS1_14transform_implILb0ES3_S5_N6thrust23THRUST_200600_302600_NS6detail15normal_iteratorINS8_7pointerIfNS8_11hip_rocprim5par_tENS8_11use_defaultESE_EEEENSA_INSB_IiSD_SE_SE_EEEEZNS1_13binary_searchIS3_S5_NSA_INS8_10device_ptrIfEEEESG_SI_NS1_16binary_search_opENS9_16wrapped_functionINS8_6system6detail7generic6detail18binary_search_lessEbEEEE10hipError_tPvRmT1_T2_T3_mmT4_T5_P12ihipStream_tbEUlRKfE_EESV_SZ_S10_mS11_S14_bEUlT_E_NS1_11comp_targetILNS1_3genE2ELNS1_11target_archE906ELNS1_3gpuE6ELNS1_3repE0EEENS1_30default_config_static_selectorELNS0_4arch9wavefront6targetE1EEEvSY_.has_dyn_sized_stack, 0
	.set _ZN7rocprim17ROCPRIM_400000_NS6detail17trampoline_kernelINS0_14default_configENS1_29binary_search_config_selectorIfiEEZNS1_14transform_implILb0ES3_S5_N6thrust23THRUST_200600_302600_NS6detail15normal_iteratorINS8_7pointerIfNS8_11hip_rocprim5par_tENS8_11use_defaultESE_EEEENSA_INSB_IiSD_SE_SE_EEEEZNS1_13binary_searchIS3_S5_NSA_INS8_10device_ptrIfEEEESG_SI_NS1_16binary_search_opENS9_16wrapped_functionINS8_6system6detail7generic6detail18binary_search_lessEbEEEE10hipError_tPvRmT1_T2_T3_mmT4_T5_P12ihipStream_tbEUlRKfE_EESV_SZ_S10_mS11_S14_bEUlT_E_NS1_11comp_targetILNS1_3genE2ELNS1_11target_archE906ELNS1_3gpuE6ELNS1_3repE0EEENS1_30default_config_static_selectorELNS0_4arch9wavefront6targetE1EEEvSY_.has_recursion, 0
	.set _ZN7rocprim17ROCPRIM_400000_NS6detail17trampoline_kernelINS0_14default_configENS1_29binary_search_config_selectorIfiEEZNS1_14transform_implILb0ES3_S5_N6thrust23THRUST_200600_302600_NS6detail15normal_iteratorINS8_7pointerIfNS8_11hip_rocprim5par_tENS8_11use_defaultESE_EEEENSA_INSB_IiSD_SE_SE_EEEEZNS1_13binary_searchIS3_S5_NSA_INS8_10device_ptrIfEEEESG_SI_NS1_16binary_search_opENS9_16wrapped_functionINS8_6system6detail7generic6detail18binary_search_lessEbEEEE10hipError_tPvRmT1_T2_T3_mmT4_T5_P12ihipStream_tbEUlRKfE_EESV_SZ_S10_mS11_S14_bEUlT_E_NS1_11comp_targetILNS1_3genE2ELNS1_11target_archE906ELNS1_3gpuE6ELNS1_3repE0EEENS1_30default_config_static_selectorELNS0_4arch9wavefront6targetE1EEEvSY_.has_indirect_call, 0
	.section	.AMDGPU.csdata,"",@progbits
; Kernel info:
; codeLenInByte = 688
; TotalNumSgprs: 24
; NumVgprs: 13
; ScratchSize: 0
; MemoryBound: 0
; FloatMode: 240
; IeeeMode: 1
; LDSByteSize: 0 bytes/workgroup (compile time only)
; SGPRBlocks: 2
; VGPRBlocks: 3
; NumSGPRsForWavesPerEU: 24
; NumVGPRsForWavesPerEU: 13
; Occupancy: 10
; WaveLimiterHint : 0
; COMPUTE_PGM_RSRC2:SCRATCH_EN: 0
; COMPUTE_PGM_RSRC2:USER_SGPR: 6
; COMPUTE_PGM_RSRC2:TRAP_HANDLER: 0
; COMPUTE_PGM_RSRC2:TGID_X_EN: 1
; COMPUTE_PGM_RSRC2:TGID_Y_EN: 0
; COMPUTE_PGM_RSRC2:TGID_Z_EN: 0
; COMPUTE_PGM_RSRC2:TIDIG_COMP_CNT: 0
	.section	.text._ZN7rocprim17ROCPRIM_400000_NS6detail17trampoline_kernelINS0_14default_configENS1_29binary_search_config_selectorIfiEEZNS1_14transform_implILb0ES3_S5_N6thrust23THRUST_200600_302600_NS6detail15normal_iteratorINS8_7pointerIfNS8_11hip_rocprim5par_tENS8_11use_defaultESE_EEEENSA_INSB_IiSD_SE_SE_EEEEZNS1_13binary_searchIS3_S5_NSA_INS8_10device_ptrIfEEEESG_SI_NS1_16binary_search_opENS9_16wrapped_functionINS8_6system6detail7generic6detail18binary_search_lessEbEEEE10hipError_tPvRmT1_T2_T3_mmT4_T5_P12ihipStream_tbEUlRKfE_EESV_SZ_S10_mS11_S14_bEUlT_E_NS1_11comp_targetILNS1_3genE10ELNS1_11target_archE1201ELNS1_3gpuE5ELNS1_3repE0EEENS1_30default_config_static_selectorELNS0_4arch9wavefront6targetE1EEEvSY_,"axG",@progbits,_ZN7rocprim17ROCPRIM_400000_NS6detail17trampoline_kernelINS0_14default_configENS1_29binary_search_config_selectorIfiEEZNS1_14transform_implILb0ES3_S5_N6thrust23THRUST_200600_302600_NS6detail15normal_iteratorINS8_7pointerIfNS8_11hip_rocprim5par_tENS8_11use_defaultESE_EEEENSA_INSB_IiSD_SE_SE_EEEEZNS1_13binary_searchIS3_S5_NSA_INS8_10device_ptrIfEEEESG_SI_NS1_16binary_search_opENS9_16wrapped_functionINS8_6system6detail7generic6detail18binary_search_lessEbEEEE10hipError_tPvRmT1_T2_T3_mmT4_T5_P12ihipStream_tbEUlRKfE_EESV_SZ_S10_mS11_S14_bEUlT_E_NS1_11comp_targetILNS1_3genE10ELNS1_11target_archE1201ELNS1_3gpuE5ELNS1_3repE0EEENS1_30default_config_static_selectorELNS0_4arch9wavefront6targetE1EEEvSY_,comdat
	.protected	_ZN7rocprim17ROCPRIM_400000_NS6detail17trampoline_kernelINS0_14default_configENS1_29binary_search_config_selectorIfiEEZNS1_14transform_implILb0ES3_S5_N6thrust23THRUST_200600_302600_NS6detail15normal_iteratorINS8_7pointerIfNS8_11hip_rocprim5par_tENS8_11use_defaultESE_EEEENSA_INSB_IiSD_SE_SE_EEEEZNS1_13binary_searchIS3_S5_NSA_INS8_10device_ptrIfEEEESG_SI_NS1_16binary_search_opENS9_16wrapped_functionINS8_6system6detail7generic6detail18binary_search_lessEbEEEE10hipError_tPvRmT1_T2_T3_mmT4_T5_P12ihipStream_tbEUlRKfE_EESV_SZ_S10_mS11_S14_bEUlT_E_NS1_11comp_targetILNS1_3genE10ELNS1_11target_archE1201ELNS1_3gpuE5ELNS1_3repE0EEENS1_30default_config_static_selectorELNS0_4arch9wavefront6targetE1EEEvSY_ ; -- Begin function _ZN7rocprim17ROCPRIM_400000_NS6detail17trampoline_kernelINS0_14default_configENS1_29binary_search_config_selectorIfiEEZNS1_14transform_implILb0ES3_S5_N6thrust23THRUST_200600_302600_NS6detail15normal_iteratorINS8_7pointerIfNS8_11hip_rocprim5par_tENS8_11use_defaultESE_EEEENSA_INSB_IiSD_SE_SE_EEEEZNS1_13binary_searchIS3_S5_NSA_INS8_10device_ptrIfEEEESG_SI_NS1_16binary_search_opENS9_16wrapped_functionINS8_6system6detail7generic6detail18binary_search_lessEbEEEE10hipError_tPvRmT1_T2_T3_mmT4_T5_P12ihipStream_tbEUlRKfE_EESV_SZ_S10_mS11_S14_bEUlT_E_NS1_11comp_targetILNS1_3genE10ELNS1_11target_archE1201ELNS1_3gpuE5ELNS1_3repE0EEENS1_30default_config_static_selectorELNS0_4arch9wavefront6targetE1EEEvSY_
	.globl	_ZN7rocprim17ROCPRIM_400000_NS6detail17trampoline_kernelINS0_14default_configENS1_29binary_search_config_selectorIfiEEZNS1_14transform_implILb0ES3_S5_N6thrust23THRUST_200600_302600_NS6detail15normal_iteratorINS8_7pointerIfNS8_11hip_rocprim5par_tENS8_11use_defaultESE_EEEENSA_INSB_IiSD_SE_SE_EEEEZNS1_13binary_searchIS3_S5_NSA_INS8_10device_ptrIfEEEESG_SI_NS1_16binary_search_opENS9_16wrapped_functionINS8_6system6detail7generic6detail18binary_search_lessEbEEEE10hipError_tPvRmT1_T2_T3_mmT4_T5_P12ihipStream_tbEUlRKfE_EESV_SZ_S10_mS11_S14_bEUlT_E_NS1_11comp_targetILNS1_3genE10ELNS1_11target_archE1201ELNS1_3gpuE5ELNS1_3repE0EEENS1_30default_config_static_selectorELNS0_4arch9wavefront6targetE1EEEvSY_
	.p2align	8
	.type	_ZN7rocprim17ROCPRIM_400000_NS6detail17trampoline_kernelINS0_14default_configENS1_29binary_search_config_selectorIfiEEZNS1_14transform_implILb0ES3_S5_N6thrust23THRUST_200600_302600_NS6detail15normal_iteratorINS8_7pointerIfNS8_11hip_rocprim5par_tENS8_11use_defaultESE_EEEENSA_INSB_IiSD_SE_SE_EEEEZNS1_13binary_searchIS3_S5_NSA_INS8_10device_ptrIfEEEESG_SI_NS1_16binary_search_opENS9_16wrapped_functionINS8_6system6detail7generic6detail18binary_search_lessEbEEEE10hipError_tPvRmT1_T2_T3_mmT4_T5_P12ihipStream_tbEUlRKfE_EESV_SZ_S10_mS11_S14_bEUlT_E_NS1_11comp_targetILNS1_3genE10ELNS1_11target_archE1201ELNS1_3gpuE5ELNS1_3repE0EEENS1_30default_config_static_selectorELNS0_4arch9wavefront6targetE1EEEvSY_,@function
_ZN7rocprim17ROCPRIM_400000_NS6detail17trampoline_kernelINS0_14default_configENS1_29binary_search_config_selectorIfiEEZNS1_14transform_implILb0ES3_S5_N6thrust23THRUST_200600_302600_NS6detail15normal_iteratorINS8_7pointerIfNS8_11hip_rocprim5par_tENS8_11use_defaultESE_EEEENSA_INSB_IiSD_SE_SE_EEEEZNS1_13binary_searchIS3_S5_NSA_INS8_10device_ptrIfEEEESG_SI_NS1_16binary_search_opENS9_16wrapped_functionINS8_6system6detail7generic6detail18binary_search_lessEbEEEE10hipError_tPvRmT1_T2_T3_mmT4_T5_P12ihipStream_tbEUlRKfE_EESV_SZ_S10_mS11_S14_bEUlT_E_NS1_11comp_targetILNS1_3genE10ELNS1_11target_archE1201ELNS1_3gpuE5ELNS1_3repE0EEENS1_30default_config_static_selectorELNS0_4arch9wavefront6targetE1EEEvSY_: ; @_ZN7rocprim17ROCPRIM_400000_NS6detail17trampoline_kernelINS0_14default_configENS1_29binary_search_config_selectorIfiEEZNS1_14transform_implILb0ES3_S5_N6thrust23THRUST_200600_302600_NS6detail15normal_iteratorINS8_7pointerIfNS8_11hip_rocprim5par_tENS8_11use_defaultESE_EEEENSA_INSB_IiSD_SE_SE_EEEEZNS1_13binary_searchIS3_S5_NSA_INS8_10device_ptrIfEEEESG_SI_NS1_16binary_search_opENS9_16wrapped_functionINS8_6system6detail7generic6detail18binary_search_lessEbEEEE10hipError_tPvRmT1_T2_T3_mmT4_T5_P12ihipStream_tbEUlRKfE_EESV_SZ_S10_mS11_S14_bEUlT_E_NS1_11comp_targetILNS1_3genE10ELNS1_11target_archE1201ELNS1_3gpuE5ELNS1_3repE0EEENS1_30default_config_static_selectorELNS0_4arch9wavefront6targetE1EEEvSY_
; %bb.0:
	.section	.rodata,"a",@progbits
	.p2align	6, 0x0
	.amdhsa_kernel _ZN7rocprim17ROCPRIM_400000_NS6detail17trampoline_kernelINS0_14default_configENS1_29binary_search_config_selectorIfiEEZNS1_14transform_implILb0ES3_S5_N6thrust23THRUST_200600_302600_NS6detail15normal_iteratorINS8_7pointerIfNS8_11hip_rocprim5par_tENS8_11use_defaultESE_EEEENSA_INSB_IiSD_SE_SE_EEEEZNS1_13binary_searchIS3_S5_NSA_INS8_10device_ptrIfEEEESG_SI_NS1_16binary_search_opENS9_16wrapped_functionINS8_6system6detail7generic6detail18binary_search_lessEbEEEE10hipError_tPvRmT1_T2_T3_mmT4_T5_P12ihipStream_tbEUlRKfE_EESV_SZ_S10_mS11_S14_bEUlT_E_NS1_11comp_targetILNS1_3genE10ELNS1_11target_archE1201ELNS1_3gpuE5ELNS1_3repE0EEENS1_30default_config_static_selectorELNS0_4arch9wavefront6targetE1EEEvSY_
		.amdhsa_group_segment_fixed_size 0
		.amdhsa_private_segment_fixed_size 0
		.amdhsa_kernarg_size 56
		.amdhsa_user_sgpr_count 6
		.amdhsa_user_sgpr_private_segment_buffer 1
		.amdhsa_user_sgpr_dispatch_ptr 0
		.amdhsa_user_sgpr_queue_ptr 0
		.amdhsa_user_sgpr_kernarg_segment_ptr 1
		.amdhsa_user_sgpr_dispatch_id 0
		.amdhsa_user_sgpr_flat_scratch_init 0
		.amdhsa_user_sgpr_private_segment_size 0
		.amdhsa_uses_dynamic_stack 0
		.amdhsa_system_sgpr_private_segment_wavefront_offset 0
		.amdhsa_system_sgpr_workgroup_id_x 1
		.amdhsa_system_sgpr_workgroup_id_y 0
		.amdhsa_system_sgpr_workgroup_id_z 0
		.amdhsa_system_sgpr_workgroup_info 0
		.amdhsa_system_vgpr_workitem_id 0
		.amdhsa_next_free_vgpr 1
		.amdhsa_next_free_sgpr 0
		.amdhsa_reserve_vcc 0
		.amdhsa_reserve_flat_scratch 0
		.amdhsa_float_round_mode_32 0
		.amdhsa_float_round_mode_16_64 0
		.amdhsa_float_denorm_mode_32 3
		.amdhsa_float_denorm_mode_16_64 3
		.amdhsa_dx10_clamp 1
		.amdhsa_ieee_mode 1
		.amdhsa_fp16_overflow 0
		.amdhsa_exception_fp_ieee_invalid_op 0
		.amdhsa_exception_fp_denorm_src 0
		.amdhsa_exception_fp_ieee_div_zero 0
		.amdhsa_exception_fp_ieee_overflow 0
		.amdhsa_exception_fp_ieee_underflow 0
		.amdhsa_exception_fp_ieee_inexact 0
		.amdhsa_exception_int_div_zero 0
	.end_amdhsa_kernel
	.section	.text._ZN7rocprim17ROCPRIM_400000_NS6detail17trampoline_kernelINS0_14default_configENS1_29binary_search_config_selectorIfiEEZNS1_14transform_implILb0ES3_S5_N6thrust23THRUST_200600_302600_NS6detail15normal_iteratorINS8_7pointerIfNS8_11hip_rocprim5par_tENS8_11use_defaultESE_EEEENSA_INSB_IiSD_SE_SE_EEEEZNS1_13binary_searchIS3_S5_NSA_INS8_10device_ptrIfEEEESG_SI_NS1_16binary_search_opENS9_16wrapped_functionINS8_6system6detail7generic6detail18binary_search_lessEbEEEE10hipError_tPvRmT1_T2_T3_mmT4_T5_P12ihipStream_tbEUlRKfE_EESV_SZ_S10_mS11_S14_bEUlT_E_NS1_11comp_targetILNS1_3genE10ELNS1_11target_archE1201ELNS1_3gpuE5ELNS1_3repE0EEENS1_30default_config_static_selectorELNS0_4arch9wavefront6targetE1EEEvSY_,"axG",@progbits,_ZN7rocprim17ROCPRIM_400000_NS6detail17trampoline_kernelINS0_14default_configENS1_29binary_search_config_selectorIfiEEZNS1_14transform_implILb0ES3_S5_N6thrust23THRUST_200600_302600_NS6detail15normal_iteratorINS8_7pointerIfNS8_11hip_rocprim5par_tENS8_11use_defaultESE_EEEENSA_INSB_IiSD_SE_SE_EEEEZNS1_13binary_searchIS3_S5_NSA_INS8_10device_ptrIfEEEESG_SI_NS1_16binary_search_opENS9_16wrapped_functionINS8_6system6detail7generic6detail18binary_search_lessEbEEEE10hipError_tPvRmT1_T2_T3_mmT4_T5_P12ihipStream_tbEUlRKfE_EESV_SZ_S10_mS11_S14_bEUlT_E_NS1_11comp_targetILNS1_3genE10ELNS1_11target_archE1201ELNS1_3gpuE5ELNS1_3repE0EEENS1_30default_config_static_selectorELNS0_4arch9wavefront6targetE1EEEvSY_,comdat
.Lfunc_end658:
	.size	_ZN7rocprim17ROCPRIM_400000_NS6detail17trampoline_kernelINS0_14default_configENS1_29binary_search_config_selectorIfiEEZNS1_14transform_implILb0ES3_S5_N6thrust23THRUST_200600_302600_NS6detail15normal_iteratorINS8_7pointerIfNS8_11hip_rocprim5par_tENS8_11use_defaultESE_EEEENSA_INSB_IiSD_SE_SE_EEEEZNS1_13binary_searchIS3_S5_NSA_INS8_10device_ptrIfEEEESG_SI_NS1_16binary_search_opENS9_16wrapped_functionINS8_6system6detail7generic6detail18binary_search_lessEbEEEE10hipError_tPvRmT1_T2_T3_mmT4_T5_P12ihipStream_tbEUlRKfE_EESV_SZ_S10_mS11_S14_bEUlT_E_NS1_11comp_targetILNS1_3genE10ELNS1_11target_archE1201ELNS1_3gpuE5ELNS1_3repE0EEENS1_30default_config_static_selectorELNS0_4arch9wavefront6targetE1EEEvSY_, .Lfunc_end658-_ZN7rocprim17ROCPRIM_400000_NS6detail17trampoline_kernelINS0_14default_configENS1_29binary_search_config_selectorIfiEEZNS1_14transform_implILb0ES3_S5_N6thrust23THRUST_200600_302600_NS6detail15normal_iteratorINS8_7pointerIfNS8_11hip_rocprim5par_tENS8_11use_defaultESE_EEEENSA_INSB_IiSD_SE_SE_EEEEZNS1_13binary_searchIS3_S5_NSA_INS8_10device_ptrIfEEEESG_SI_NS1_16binary_search_opENS9_16wrapped_functionINS8_6system6detail7generic6detail18binary_search_lessEbEEEE10hipError_tPvRmT1_T2_T3_mmT4_T5_P12ihipStream_tbEUlRKfE_EESV_SZ_S10_mS11_S14_bEUlT_E_NS1_11comp_targetILNS1_3genE10ELNS1_11target_archE1201ELNS1_3gpuE5ELNS1_3repE0EEENS1_30default_config_static_selectorELNS0_4arch9wavefront6targetE1EEEvSY_
                                        ; -- End function
	.set _ZN7rocprim17ROCPRIM_400000_NS6detail17trampoline_kernelINS0_14default_configENS1_29binary_search_config_selectorIfiEEZNS1_14transform_implILb0ES3_S5_N6thrust23THRUST_200600_302600_NS6detail15normal_iteratorINS8_7pointerIfNS8_11hip_rocprim5par_tENS8_11use_defaultESE_EEEENSA_INSB_IiSD_SE_SE_EEEEZNS1_13binary_searchIS3_S5_NSA_INS8_10device_ptrIfEEEESG_SI_NS1_16binary_search_opENS9_16wrapped_functionINS8_6system6detail7generic6detail18binary_search_lessEbEEEE10hipError_tPvRmT1_T2_T3_mmT4_T5_P12ihipStream_tbEUlRKfE_EESV_SZ_S10_mS11_S14_bEUlT_E_NS1_11comp_targetILNS1_3genE10ELNS1_11target_archE1201ELNS1_3gpuE5ELNS1_3repE0EEENS1_30default_config_static_selectorELNS0_4arch9wavefront6targetE1EEEvSY_.num_vgpr, 0
	.set _ZN7rocprim17ROCPRIM_400000_NS6detail17trampoline_kernelINS0_14default_configENS1_29binary_search_config_selectorIfiEEZNS1_14transform_implILb0ES3_S5_N6thrust23THRUST_200600_302600_NS6detail15normal_iteratorINS8_7pointerIfNS8_11hip_rocprim5par_tENS8_11use_defaultESE_EEEENSA_INSB_IiSD_SE_SE_EEEEZNS1_13binary_searchIS3_S5_NSA_INS8_10device_ptrIfEEEESG_SI_NS1_16binary_search_opENS9_16wrapped_functionINS8_6system6detail7generic6detail18binary_search_lessEbEEEE10hipError_tPvRmT1_T2_T3_mmT4_T5_P12ihipStream_tbEUlRKfE_EESV_SZ_S10_mS11_S14_bEUlT_E_NS1_11comp_targetILNS1_3genE10ELNS1_11target_archE1201ELNS1_3gpuE5ELNS1_3repE0EEENS1_30default_config_static_selectorELNS0_4arch9wavefront6targetE1EEEvSY_.num_agpr, 0
	.set _ZN7rocprim17ROCPRIM_400000_NS6detail17trampoline_kernelINS0_14default_configENS1_29binary_search_config_selectorIfiEEZNS1_14transform_implILb0ES3_S5_N6thrust23THRUST_200600_302600_NS6detail15normal_iteratorINS8_7pointerIfNS8_11hip_rocprim5par_tENS8_11use_defaultESE_EEEENSA_INSB_IiSD_SE_SE_EEEEZNS1_13binary_searchIS3_S5_NSA_INS8_10device_ptrIfEEEESG_SI_NS1_16binary_search_opENS9_16wrapped_functionINS8_6system6detail7generic6detail18binary_search_lessEbEEEE10hipError_tPvRmT1_T2_T3_mmT4_T5_P12ihipStream_tbEUlRKfE_EESV_SZ_S10_mS11_S14_bEUlT_E_NS1_11comp_targetILNS1_3genE10ELNS1_11target_archE1201ELNS1_3gpuE5ELNS1_3repE0EEENS1_30default_config_static_selectorELNS0_4arch9wavefront6targetE1EEEvSY_.numbered_sgpr, 0
	.set _ZN7rocprim17ROCPRIM_400000_NS6detail17trampoline_kernelINS0_14default_configENS1_29binary_search_config_selectorIfiEEZNS1_14transform_implILb0ES3_S5_N6thrust23THRUST_200600_302600_NS6detail15normal_iteratorINS8_7pointerIfNS8_11hip_rocprim5par_tENS8_11use_defaultESE_EEEENSA_INSB_IiSD_SE_SE_EEEEZNS1_13binary_searchIS3_S5_NSA_INS8_10device_ptrIfEEEESG_SI_NS1_16binary_search_opENS9_16wrapped_functionINS8_6system6detail7generic6detail18binary_search_lessEbEEEE10hipError_tPvRmT1_T2_T3_mmT4_T5_P12ihipStream_tbEUlRKfE_EESV_SZ_S10_mS11_S14_bEUlT_E_NS1_11comp_targetILNS1_3genE10ELNS1_11target_archE1201ELNS1_3gpuE5ELNS1_3repE0EEENS1_30default_config_static_selectorELNS0_4arch9wavefront6targetE1EEEvSY_.num_named_barrier, 0
	.set _ZN7rocprim17ROCPRIM_400000_NS6detail17trampoline_kernelINS0_14default_configENS1_29binary_search_config_selectorIfiEEZNS1_14transform_implILb0ES3_S5_N6thrust23THRUST_200600_302600_NS6detail15normal_iteratorINS8_7pointerIfNS8_11hip_rocprim5par_tENS8_11use_defaultESE_EEEENSA_INSB_IiSD_SE_SE_EEEEZNS1_13binary_searchIS3_S5_NSA_INS8_10device_ptrIfEEEESG_SI_NS1_16binary_search_opENS9_16wrapped_functionINS8_6system6detail7generic6detail18binary_search_lessEbEEEE10hipError_tPvRmT1_T2_T3_mmT4_T5_P12ihipStream_tbEUlRKfE_EESV_SZ_S10_mS11_S14_bEUlT_E_NS1_11comp_targetILNS1_3genE10ELNS1_11target_archE1201ELNS1_3gpuE5ELNS1_3repE0EEENS1_30default_config_static_selectorELNS0_4arch9wavefront6targetE1EEEvSY_.private_seg_size, 0
	.set _ZN7rocprim17ROCPRIM_400000_NS6detail17trampoline_kernelINS0_14default_configENS1_29binary_search_config_selectorIfiEEZNS1_14transform_implILb0ES3_S5_N6thrust23THRUST_200600_302600_NS6detail15normal_iteratorINS8_7pointerIfNS8_11hip_rocprim5par_tENS8_11use_defaultESE_EEEENSA_INSB_IiSD_SE_SE_EEEEZNS1_13binary_searchIS3_S5_NSA_INS8_10device_ptrIfEEEESG_SI_NS1_16binary_search_opENS9_16wrapped_functionINS8_6system6detail7generic6detail18binary_search_lessEbEEEE10hipError_tPvRmT1_T2_T3_mmT4_T5_P12ihipStream_tbEUlRKfE_EESV_SZ_S10_mS11_S14_bEUlT_E_NS1_11comp_targetILNS1_3genE10ELNS1_11target_archE1201ELNS1_3gpuE5ELNS1_3repE0EEENS1_30default_config_static_selectorELNS0_4arch9wavefront6targetE1EEEvSY_.uses_vcc, 0
	.set _ZN7rocprim17ROCPRIM_400000_NS6detail17trampoline_kernelINS0_14default_configENS1_29binary_search_config_selectorIfiEEZNS1_14transform_implILb0ES3_S5_N6thrust23THRUST_200600_302600_NS6detail15normal_iteratorINS8_7pointerIfNS8_11hip_rocprim5par_tENS8_11use_defaultESE_EEEENSA_INSB_IiSD_SE_SE_EEEEZNS1_13binary_searchIS3_S5_NSA_INS8_10device_ptrIfEEEESG_SI_NS1_16binary_search_opENS9_16wrapped_functionINS8_6system6detail7generic6detail18binary_search_lessEbEEEE10hipError_tPvRmT1_T2_T3_mmT4_T5_P12ihipStream_tbEUlRKfE_EESV_SZ_S10_mS11_S14_bEUlT_E_NS1_11comp_targetILNS1_3genE10ELNS1_11target_archE1201ELNS1_3gpuE5ELNS1_3repE0EEENS1_30default_config_static_selectorELNS0_4arch9wavefront6targetE1EEEvSY_.uses_flat_scratch, 0
	.set _ZN7rocprim17ROCPRIM_400000_NS6detail17trampoline_kernelINS0_14default_configENS1_29binary_search_config_selectorIfiEEZNS1_14transform_implILb0ES3_S5_N6thrust23THRUST_200600_302600_NS6detail15normal_iteratorINS8_7pointerIfNS8_11hip_rocprim5par_tENS8_11use_defaultESE_EEEENSA_INSB_IiSD_SE_SE_EEEEZNS1_13binary_searchIS3_S5_NSA_INS8_10device_ptrIfEEEESG_SI_NS1_16binary_search_opENS9_16wrapped_functionINS8_6system6detail7generic6detail18binary_search_lessEbEEEE10hipError_tPvRmT1_T2_T3_mmT4_T5_P12ihipStream_tbEUlRKfE_EESV_SZ_S10_mS11_S14_bEUlT_E_NS1_11comp_targetILNS1_3genE10ELNS1_11target_archE1201ELNS1_3gpuE5ELNS1_3repE0EEENS1_30default_config_static_selectorELNS0_4arch9wavefront6targetE1EEEvSY_.has_dyn_sized_stack, 0
	.set _ZN7rocprim17ROCPRIM_400000_NS6detail17trampoline_kernelINS0_14default_configENS1_29binary_search_config_selectorIfiEEZNS1_14transform_implILb0ES3_S5_N6thrust23THRUST_200600_302600_NS6detail15normal_iteratorINS8_7pointerIfNS8_11hip_rocprim5par_tENS8_11use_defaultESE_EEEENSA_INSB_IiSD_SE_SE_EEEEZNS1_13binary_searchIS3_S5_NSA_INS8_10device_ptrIfEEEESG_SI_NS1_16binary_search_opENS9_16wrapped_functionINS8_6system6detail7generic6detail18binary_search_lessEbEEEE10hipError_tPvRmT1_T2_T3_mmT4_T5_P12ihipStream_tbEUlRKfE_EESV_SZ_S10_mS11_S14_bEUlT_E_NS1_11comp_targetILNS1_3genE10ELNS1_11target_archE1201ELNS1_3gpuE5ELNS1_3repE0EEENS1_30default_config_static_selectorELNS0_4arch9wavefront6targetE1EEEvSY_.has_recursion, 0
	.set _ZN7rocprim17ROCPRIM_400000_NS6detail17trampoline_kernelINS0_14default_configENS1_29binary_search_config_selectorIfiEEZNS1_14transform_implILb0ES3_S5_N6thrust23THRUST_200600_302600_NS6detail15normal_iteratorINS8_7pointerIfNS8_11hip_rocprim5par_tENS8_11use_defaultESE_EEEENSA_INSB_IiSD_SE_SE_EEEEZNS1_13binary_searchIS3_S5_NSA_INS8_10device_ptrIfEEEESG_SI_NS1_16binary_search_opENS9_16wrapped_functionINS8_6system6detail7generic6detail18binary_search_lessEbEEEE10hipError_tPvRmT1_T2_T3_mmT4_T5_P12ihipStream_tbEUlRKfE_EESV_SZ_S10_mS11_S14_bEUlT_E_NS1_11comp_targetILNS1_3genE10ELNS1_11target_archE1201ELNS1_3gpuE5ELNS1_3repE0EEENS1_30default_config_static_selectorELNS0_4arch9wavefront6targetE1EEEvSY_.has_indirect_call, 0
	.section	.AMDGPU.csdata,"",@progbits
; Kernel info:
; codeLenInByte = 0
; TotalNumSgprs: 4
; NumVgprs: 0
; ScratchSize: 0
; MemoryBound: 0
; FloatMode: 240
; IeeeMode: 1
; LDSByteSize: 0 bytes/workgroup (compile time only)
; SGPRBlocks: 0
; VGPRBlocks: 0
; NumSGPRsForWavesPerEU: 4
; NumVGPRsForWavesPerEU: 1
; Occupancy: 10
; WaveLimiterHint : 0
; COMPUTE_PGM_RSRC2:SCRATCH_EN: 0
; COMPUTE_PGM_RSRC2:USER_SGPR: 6
; COMPUTE_PGM_RSRC2:TRAP_HANDLER: 0
; COMPUTE_PGM_RSRC2:TGID_X_EN: 1
; COMPUTE_PGM_RSRC2:TGID_Y_EN: 0
; COMPUTE_PGM_RSRC2:TGID_Z_EN: 0
; COMPUTE_PGM_RSRC2:TIDIG_COMP_CNT: 0
	.section	.text._ZN7rocprim17ROCPRIM_400000_NS6detail17trampoline_kernelINS0_14default_configENS1_29binary_search_config_selectorIfiEEZNS1_14transform_implILb0ES3_S5_N6thrust23THRUST_200600_302600_NS6detail15normal_iteratorINS8_7pointerIfNS8_11hip_rocprim5par_tENS8_11use_defaultESE_EEEENSA_INSB_IiSD_SE_SE_EEEEZNS1_13binary_searchIS3_S5_NSA_INS8_10device_ptrIfEEEESG_SI_NS1_16binary_search_opENS9_16wrapped_functionINS8_6system6detail7generic6detail18binary_search_lessEbEEEE10hipError_tPvRmT1_T2_T3_mmT4_T5_P12ihipStream_tbEUlRKfE_EESV_SZ_S10_mS11_S14_bEUlT_E_NS1_11comp_targetILNS1_3genE10ELNS1_11target_archE1200ELNS1_3gpuE4ELNS1_3repE0EEENS1_30default_config_static_selectorELNS0_4arch9wavefront6targetE1EEEvSY_,"axG",@progbits,_ZN7rocprim17ROCPRIM_400000_NS6detail17trampoline_kernelINS0_14default_configENS1_29binary_search_config_selectorIfiEEZNS1_14transform_implILb0ES3_S5_N6thrust23THRUST_200600_302600_NS6detail15normal_iteratorINS8_7pointerIfNS8_11hip_rocprim5par_tENS8_11use_defaultESE_EEEENSA_INSB_IiSD_SE_SE_EEEEZNS1_13binary_searchIS3_S5_NSA_INS8_10device_ptrIfEEEESG_SI_NS1_16binary_search_opENS9_16wrapped_functionINS8_6system6detail7generic6detail18binary_search_lessEbEEEE10hipError_tPvRmT1_T2_T3_mmT4_T5_P12ihipStream_tbEUlRKfE_EESV_SZ_S10_mS11_S14_bEUlT_E_NS1_11comp_targetILNS1_3genE10ELNS1_11target_archE1200ELNS1_3gpuE4ELNS1_3repE0EEENS1_30default_config_static_selectorELNS0_4arch9wavefront6targetE1EEEvSY_,comdat
	.protected	_ZN7rocprim17ROCPRIM_400000_NS6detail17trampoline_kernelINS0_14default_configENS1_29binary_search_config_selectorIfiEEZNS1_14transform_implILb0ES3_S5_N6thrust23THRUST_200600_302600_NS6detail15normal_iteratorINS8_7pointerIfNS8_11hip_rocprim5par_tENS8_11use_defaultESE_EEEENSA_INSB_IiSD_SE_SE_EEEEZNS1_13binary_searchIS3_S5_NSA_INS8_10device_ptrIfEEEESG_SI_NS1_16binary_search_opENS9_16wrapped_functionINS8_6system6detail7generic6detail18binary_search_lessEbEEEE10hipError_tPvRmT1_T2_T3_mmT4_T5_P12ihipStream_tbEUlRKfE_EESV_SZ_S10_mS11_S14_bEUlT_E_NS1_11comp_targetILNS1_3genE10ELNS1_11target_archE1200ELNS1_3gpuE4ELNS1_3repE0EEENS1_30default_config_static_selectorELNS0_4arch9wavefront6targetE1EEEvSY_ ; -- Begin function _ZN7rocprim17ROCPRIM_400000_NS6detail17trampoline_kernelINS0_14default_configENS1_29binary_search_config_selectorIfiEEZNS1_14transform_implILb0ES3_S5_N6thrust23THRUST_200600_302600_NS6detail15normal_iteratorINS8_7pointerIfNS8_11hip_rocprim5par_tENS8_11use_defaultESE_EEEENSA_INSB_IiSD_SE_SE_EEEEZNS1_13binary_searchIS3_S5_NSA_INS8_10device_ptrIfEEEESG_SI_NS1_16binary_search_opENS9_16wrapped_functionINS8_6system6detail7generic6detail18binary_search_lessEbEEEE10hipError_tPvRmT1_T2_T3_mmT4_T5_P12ihipStream_tbEUlRKfE_EESV_SZ_S10_mS11_S14_bEUlT_E_NS1_11comp_targetILNS1_3genE10ELNS1_11target_archE1200ELNS1_3gpuE4ELNS1_3repE0EEENS1_30default_config_static_selectorELNS0_4arch9wavefront6targetE1EEEvSY_
	.globl	_ZN7rocprim17ROCPRIM_400000_NS6detail17trampoline_kernelINS0_14default_configENS1_29binary_search_config_selectorIfiEEZNS1_14transform_implILb0ES3_S5_N6thrust23THRUST_200600_302600_NS6detail15normal_iteratorINS8_7pointerIfNS8_11hip_rocprim5par_tENS8_11use_defaultESE_EEEENSA_INSB_IiSD_SE_SE_EEEEZNS1_13binary_searchIS3_S5_NSA_INS8_10device_ptrIfEEEESG_SI_NS1_16binary_search_opENS9_16wrapped_functionINS8_6system6detail7generic6detail18binary_search_lessEbEEEE10hipError_tPvRmT1_T2_T3_mmT4_T5_P12ihipStream_tbEUlRKfE_EESV_SZ_S10_mS11_S14_bEUlT_E_NS1_11comp_targetILNS1_3genE10ELNS1_11target_archE1200ELNS1_3gpuE4ELNS1_3repE0EEENS1_30default_config_static_selectorELNS0_4arch9wavefront6targetE1EEEvSY_
	.p2align	8
	.type	_ZN7rocprim17ROCPRIM_400000_NS6detail17trampoline_kernelINS0_14default_configENS1_29binary_search_config_selectorIfiEEZNS1_14transform_implILb0ES3_S5_N6thrust23THRUST_200600_302600_NS6detail15normal_iteratorINS8_7pointerIfNS8_11hip_rocprim5par_tENS8_11use_defaultESE_EEEENSA_INSB_IiSD_SE_SE_EEEEZNS1_13binary_searchIS3_S5_NSA_INS8_10device_ptrIfEEEESG_SI_NS1_16binary_search_opENS9_16wrapped_functionINS8_6system6detail7generic6detail18binary_search_lessEbEEEE10hipError_tPvRmT1_T2_T3_mmT4_T5_P12ihipStream_tbEUlRKfE_EESV_SZ_S10_mS11_S14_bEUlT_E_NS1_11comp_targetILNS1_3genE10ELNS1_11target_archE1200ELNS1_3gpuE4ELNS1_3repE0EEENS1_30default_config_static_selectorELNS0_4arch9wavefront6targetE1EEEvSY_,@function
_ZN7rocprim17ROCPRIM_400000_NS6detail17trampoline_kernelINS0_14default_configENS1_29binary_search_config_selectorIfiEEZNS1_14transform_implILb0ES3_S5_N6thrust23THRUST_200600_302600_NS6detail15normal_iteratorINS8_7pointerIfNS8_11hip_rocprim5par_tENS8_11use_defaultESE_EEEENSA_INSB_IiSD_SE_SE_EEEEZNS1_13binary_searchIS3_S5_NSA_INS8_10device_ptrIfEEEESG_SI_NS1_16binary_search_opENS9_16wrapped_functionINS8_6system6detail7generic6detail18binary_search_lessEbEEEE10hipError_tPvRmT1_T2_T3_mmT4_T5_P12ihipStream_tbEUlRKfE_EESV_SZ_S10_mS11_S14_bEUlT_E_NS1_11comp_targetILNS1_3genE10ELNS1_11target_archE1200ELNS1_3gpuE4ELNS1_3repE0EEENS1_30default_config_static_selectorELNS0_4arch9wavefront6targetE1EEEvSY_: ; @_ZN7rocprim17ROCPRIM_400000_NS6detail17trampoline_kernelINS0_14default_configENS1_29binary_search_config_selectorIfiEEZNS1_14transform_implILb0ES3_S5_N6thrust23THRUST_200600_302600_NS6detail15normal_iteratorINS8_7pointerIfNS8_11hip_rocprim5par_tENS8_11use_defaultESE_EEEENSA_INSB_IiSD_SE_SE_EEEEZNS1_13binary_searchIS3_S5_NSA_INS8_10device_ptrIfEEEESG_SI_NS1_16binary_search_opENS9_16wrapped_functionINS8_6system6detail7generic6detail18binary_search_lessEbEEEE10hipError_tPvRmT1_T2_T3_mmT4_T5_P12ihipStream_tbEUlRKfE_EESV_SZ_S10_mS11_S14_bEUlT_E_NS1_11comp_targetILNS1_3genE10ELNS1_11target_archE1200ELNS1_3gpuE4ELNS1_3repE0EEENS1_30default_config_static_selectorELNS0_4arch9wavefront6targetE1EEEvSY_
; %bb.0:
	.section	.rodata,"a",@progbits
	.p2align	6, 0x0
	.amdhsa_kernel _ZN7rocprim17ROCPRIM_400000_NS6detail17trampoline_kernelINS0_14default_configENS1_29binary_search_config_selectorIfiEEZNS1_14transform_implILb0ES3_S5_N6thrust23THRUST_200600_302600_NS6detail15normal_iteratorINS8_7pointerIfNS8_11hip_rocprim5par_tENS8_11use_defaultESE_EEEENSA_INSB_IiSD_SE_SE_EEEEZNS1_13binary_searchIS3_S5_NSA_INS8_10device_ptrIfEEEESG_SI_NS1_16binary_search_opENS9_16wrapped_functionINS8_6system6detail7generic6detail18binary_search_lessEbEEEE10hipError_tPvRmT1_T2_T3_mmT4_T5_P12ihipStream_tbEUlRKfE_EESV_SZ_S10_mS11_S14_bEUlT_E_NS1_11comp_targetILNS1_3genE10ELNS1_11target_archE1200ELNS1_3gpuE4ELNS1_3repE0EEENS1_30default_config_static_selectorELNS0_4arch9wavefront6targetE1EEEvSY_
		.amdhsa_group_segment_fixed_size 0
		.amdhsa_private_segment_fixed_size 0
		.amdhsa_kernarg_size 56
		.amdhsa_user_sgpr_count 6
		.amdhsa_user_sgpr_private_segment_buffer 1
		.amdhsa_user_sgpr_dispatch_ptr 0
		.amdhsa_user_sgpr_queue_ptr 0
		.amdhsa_user_sgpr_kernarg_segment_ptr 1
		.amdhsa_user_sgpr_dispatch_id 0
		.amdhsa_user_sgpr_flat_scratch_init 0
		.amdhsa_user_sgpr_private_segment_size 0
		.amdhsa_uses_dynamic_stack 0
		.amdhsa_system_sgpr_private_segment_wavefront_offset 0
		.amdhsa_system_sgpr_workgroup_id_x 1
		.amdhsa_system_sgpr_workgroup_id_y 0
		.amdhsa_system_sgpr_workgroup_id_z 0
		.amdhsa_system_sgpr_workgroup_info 0
		.amdhsa_system_vgpr_workitem_id 0
		.amdhsa_next_free_vgpr 1
		.amdhsa_next_free_sgpr 0
		.amdhsa_reserve_vcc 0
		.amdhsa_reserve_flat_scratch 0
		.amdhsa_float_round_mode_32 0
		.amdhsa_float_round_mode_16_64 0
		.amdhsa_float_denorm_mode_32 3
		.amdhsa_float_denorm_mode_16_64 3
		.amdhsa_dx10_clamp 1
		.amdhsa_ieee_mode 1
		.amdhsa_fp16_overflow 0
		.amdhsa_exception_fp_ieee_invalid_op 0
		.amdhsa_exception_fp_denorm_src 0
		.amdhsa_exception_fp_ieee_div_zero 0
		.amdhsa_exception_fp_ieee_overflow 0
		.amdhsa_exception_fp_ieee_underflow 0
		.amdhsa_exception_fp_ieee_inexact 0
		.amdhsa_exception_int_div_zero 0
	.end_amdhsa_kernel
	.section	.text._ZN7rocprim17ROCPRIM_400000_NS6detail17trampoline_kernelINS0_14default_configENS1_29binary_search_config_selectorIfiEEZNS1_14transform_implILb0ES3_S5_N6thrust23THRUST_200600_302600_NS6detail15normal_iteratorINS8_7pointerIfNS8_11hip_rocprim5par_tENS8_11use_defaultESE_EEEENSA_INSB_IiSD_SE_SE_EEEEZNS1_13binary_searchIS3_S5_NSA_INS8_10device_ptrIfEEEESG_SI_NS1_16binary_search_opENS9_16wrapped_functionINS8_6system6detail7generic6detail18binary_search_lessEbEEEE10hipError_tPvRmT1_T2_T3_mmT4_T5_P12ihipStream_tbEUlRKfE_EESV_SZ_S10_mS11_S14_bEUlT_E_NS1_11comp_targetILNS1_3genE10ELNS1_11target_archE1200ELNS1_3gpuE4ELNS1_3repE0EEENS1_30default_config_static_selectorELNS0_4arch9wavefront6targetE1EEEvSY_,"axG",@progbits,_ZN7rocprim17ROCPRIM_400000_NS6detail17trampoline_kernelINS0_14default_configENS1_29binary_search_config_selectorIfiEEZNS1_14transform_implILb0ES3_S5_N6thrust23THRUST_200600_302600_NS6detail15normal_iteratorINS8_7pointerIfNS8_11hip_rocprim5par_tENS8_11use_defaultESE_EEEENSA_INSB_IiSD_SE_SE_EEEEZNS1_13binary_searchIS3_S5_NSA_INS8_10device_ptrIfEEEESG_SI_NS1_16binary_search_opENS9_16wrapped_functionINS8_6system6detail7generic6detail18binary_search_lessEbEEEE10hipError_tPvRmT1_T2_T3_mmT4_T5_P12ihipStream_tbEUlRKfE_EESV_SZ_S10_mS11_S14_bEUlT_E_NS1_11comp_targetILNS1_3genE10ELNS1_11target_archE1200ELNS1_3gpuE4ELNS1_3repE0EEENS1_30default_config_static_selectorELNS0_4arch9wavefront6targetE1EEEvSY_,comdat
.Lfunc_end659:
	.size	_ZN7rocprim17ROCPRIM_400000_NS6detail17trampoline_kernelINS0_14default_configENS1_29binary_search_config_selectorIfiEEZNS1_14transform_implILb0ES3_S5_N6thrust23THRUST_200600_302600_NS6detail15normal_iteratorINS8_7pointerIfNS8_11hip_rocprim5par_tENS8_11use_defaultESE_EEEENSA_INSB_IiSD_SE_SE_EEEEZNS1_13binary_searchIS3_S5_NSA_INS8_10device_ptrIfEEEESG_SI_NS1_16binary_search_opENS9_16wrapped_functionINS8_6system6detail7generic6detail18binary_search_lessEbEEEE10hipError_tPvRmT1_T2_T3_mmT4_T5_P12ihipStream_tbEUlRKfE_EESV_SZ_S10_mS11_S14_bEUlT_E_NS1_11comp_targetILNS1_3genE10ELNS1_11target_archE1200ELNS1_3gpuE4ELNS1_3repE0EEENS1_30default_config_static_selectorELNS0_4arch9wavefront6targetE1EEEvSY_, .Lfunc_end659-_ZN7rocprim17ROCPRIM_400000_NS6detail17trampoline_kernelINS0_14default_configENS1_29binary_search_config_selectorIfiEEZNS1_14transform_implILb0ES3_S5_N6thrust23THRUST_200600_302600_NS6detail15normal_iteratorINS8_7pointerIfNS8_11hip_rocprim5par_tENS8_11use_defaultESE_EEEENSA_INSB_IiSD_SE_SE_EEEEZNS1_13binary_searchIS3_S5_NSA_INS8_10device_ptrIfEEEESG_SI_NS1_16binary_search_opENS9_16wrapped_functionINS8_6system6detail7generic6detail18binary_search_lessEbEEEE10hipError_tPvRmT1_T2_T3_mmT4_T5_P12ihipStream_tbEUlRKfE_EESV_SZ_S10_mS11_S14_bEUlT_E_NS1_11comp_targetILNS1_3genE10ELNS1_11target_archE1200ELNS1_3gpuE4ELNS1_3repE0EEENS1_30default_config_static_selectorELNS0_4arch9wavefront6targetE1EEEvSY_
                                        ; -- End function
	.set _ZN7rocprim17ROCPRIM_400000_NS6detail17trampoline_kernelINS0_14default_configENS1_29binary_search_config_selectorIfiEEZNS1_14transform_implILb0ES3_S5_N6thrust23THRUST_200600_302600_NS6detail15normal_iteratorINS8_7pointerIfNS8_11hip_rocprim5par_tENS8_11use_defaultESE_EEEENSA_INSB_IiSD_SE_SE_EEEEZNS1_13binary_searchIS3_S5_NSA_INS8_10device_ptrIfEEEESG_SI_NS1_16binary_search_opENS9_16wrapped_functionINS8_6system6detail7generic6detail18binary_search_lessEbEEEE10hipError_tPvRmT1_T2_T3_mmT4_T5_P12ihipStream_tbEUlRKfE_EESV_SZ_S10_mS11_S14_bEUlT_E_NS1_11comp_targetILNS1_3genE10ELNS1_11target_archE1200ELNS1_3gpuE4ELNS1_3repE0EEENS1_30default_config_static_selectorELNS0_4arch9wavefront6targetE1EEEvSY_.num_vgpr, 0
	.set _ZN7rocprim17ROCPRIM_400000_NS6detail17trampoline_kernelINS0_14default_configENS1_29binary_search_config_selectorIfiEEZNS1_14transform_implILb0ES3_S5_N6thrust23THRUST_200600_302600_NS6detail15normal_iteratorINS8_7pointerIfNS8_11hip_rocprim5par_tENS8_11use_defaultESE_EEEENSA_INSB_IiSD_SE_SE_EEEEZNS1_13binary_searchIS3_S5_NSA_INS8_10device_ptrIfEEEESG_SI_NS1_16binary_search_opENS9_16wrapped_functionINS8_6system6detail7generic6detail18binary_search_lessEbEEEE10hipError_tPvRmT1_T2_T3_mmT4_T5_P12ihipStream_tbEUlRKfE_EESV_SZ_S10_mS11_S14_bEUlT_E_NS1_11comp_targetILNS1_3genE10ELNS1_11target_archE1200ELNS1_3gpuE4ELNS1_3repE0EEENS1_30default_config_static_selectorELNS0_4arch9wavefront6targetE1EEEvSY_.num_agpr, 0
	.set _ZN7rocprim17ROCPRIM_400000_NS6detail17trampoline_kernelINS0_14default_configENS1_29binary_search_config_selectorIfiEEZNS1_14transform_implILb0ES3_S5_N6thrust23THRUST_200600_302600_NS6detail15normal_iteratorINS8_7pointerIfNS8_11hip_rocprim5par_tENS8_11use_defaultESE_EEEENSA_INSB_IiSD_SE_SE_EEEEZNS1_13binary_searchIS3_S5_NSA_INS8_10device_ptrIfEEEESG_SI_NS1_16binary_search_opENS9_16wrapped_functionINS8_6system6detail7generic6detail18binary_search_lessEbEEEE10hipError_tPvRmT1_T2_T3_mmT4_T5_P12ihipStream_tbEUlRKfE_EESV_SZ_S10_mS11_S14_bEUlT_E_NS1_11comp_targetILNS1_3genE10ELNS1_11target_archE1200ELNS1_3gpuE4ELNS1_3repE0EEENS1_30default_config_static_selectorELNS0_4arch9wavefront6targetE1EEEvSY_.numbered_sgpr, 0
	.set _ZN7rocprim17ROCPRIM_400000_NS6detail17trampoline_kernelINS0_14default_configENS1_29binary_search_config_selectorIfiEEZNS1_14transform_implILb0ES3_S5_N6thrust23THRUST_200600_302600_NS6detail15normal_iteratorINS8_7pointerIfNS8_11hip_rocprim5par_tENS8_11use_defaultESE_EEEENSA_INSB_IiSD_SE_SE_EEEEZNS1_13binary_searchIS3_S5_NSA_INS8_10device_ptrIfEEEESG_SI_NS1_16binary_search_opENS9_16wrapped_functionINS8_6system6detail7generic6detail18binary_search_lessEbEEEE10hipError_tPvRmT1_T2_T3_mmT4_T5_P12ihipStream_tbEUlRKfE_EESV_SZ_S10_mS11_S14_bEUlT_E_NS1_11comp_targetILNS1_3genE10ELNS1_11target_archE1200ELNS1_3gpuE4ELNS1_3repE0EEENS1_30default_config_static_selectorELNS0_4arch9wavefront6targetE1EEEvSY_.num_named_barrier, 0
	.set _ZN7rocprim17ROCPRIM_400000_NS6detail17trampoline_kernelINS0_14default_configENS1_29binary_search_config_selectorIfiEEZNS1_14transform_implILb0ES3_S5_N6thrust23THRUST_200600_302600_NS6detail15normal_iteratorINS8_7pointerIfNS8_11hip_rocprim5par_tENS8_11use_defaultESE_EEEENSA_INSB_IiSD_SE_SE_EEEEZNS1_13binary_searchIS3_S5_NSA_INS8_10device_ptrIfEEEESG_SI_NS1_16binary_search_opENS9_16wrapped_functionINS8_6system6detail7generic6detail18binary_search_lessEbEEEE10hipError_tPvRmT1_T2_T3_mmT4_T5_P12ihipStream_tbEUlRKfE_EESV_SZ_S10_mS11_S14_bEUlT_E_NS1_11comp_targetILNS1_3genE10ELNS1_11target_archE1200ELNS1_3gpuE4ELNS1_3repE0EEENS1_30default_config_static_selectorELNS0_4arch9wavefront6targetE1EEEvSY_.private_seg_size, 0
	.set _ZN7rocprim17ROCPRIM_400000_NS6detail17trampoline_kernelINS0_14default_configENS1_29binary_search_config_selectorIfiEEZNS1_14transform_implILb0ES3_S5_N6thrust23THRUST_200600_302600_NS6detail15normal_iteratorINS8_7pointerIfNS8_11hip_rocprim5par_tENS8_11use_defaultESE_EEEENSA_INSB_IiSD_SE_SE_EEEEZNS1_13binary_searchIS3_S5_NSA_INS8_10device_ptrIfEEEESG_SI_NS1_16binary_search_opENS9_16wrapped_functionINS8_6system6detail7generic6detail18binary_search_lessEbEEEE10hipError_tPvRmT1_T2_T3_mmT4_T5_P12ihipStream_tbEUlRKfE_EESV_SZ_S10_mS11_S14_bEUlT_E_NS1_11comp_targetILNS1_3genE10ELNS1_11target_archE1200ELNS1_3gpuE4ELNS1_3repE0EEENS1_30default_config_static_selectorELNS0_4arch9wavefront6targetE1EEEvSY_.uses_vcc, 0
	.set _ZN7rocprim17ROCPRIM_400000_NS6detail17trampoline_kernelINS0_14default_configENS1_29binary_search_config_selectorIfiEEZNS1_14transform_implILb0ES3_S5_N6thrust23THRUST_200600_302600_NS6detail15normal_iteratorINS8_7pointerIfNS8_11hip_rocprim5par_tENS8_11use_defaultESE_EEEENSA_INSB_IiSD_SE_SE_EEEEZNS1_13binary_searchIS3_S5_NSA_INS8_10device_ptrIfEEEESG_SI_NS1_16binary_search_opENS9_16wrapped_functionINS8_6system6detail7generic6detail18binary_search_lessEbEEEE10hipError_tPvRmT1_T2_T3_mmT4_T5_P12ihipStream_tbEUlRKfE_EESV_SZ_S10_mS11_S14_bEUlT_E_NS1_11comp_targetILNS1_3genE10ELNS1_11target_archE1200ELNS1_3gpuE4ELNS1_3repE0EEENS1_30default_config_static_selectorELNS0_4arch9wavefront6targetE1EEEvSY_.uses_flat_scratch, 0
	.set _ZN7rocprim17ROCPRIM_400000_NS6detail17trampoline_kernelINS0_14default_configENS1_29binary_search_config_selectorIfiEEZNS1_14transform_implILb0ES3_S5_N6thrust23THRUST_200600_302600_NS6detail15normal_iteratorINS8_7pointerIfNS8_11hip_rocprim5par_tENS8_11use_defaultESE_EEEENSA_INSB_IiSD_SE_SE_EEEEZNS1_13binary_searchIS3_S5_NSA_INS8_10device_ptrIfEEEESG_SI_NS1_16binary_search_opENS9_16wrapped_functionINS8_6system6detail7generic6detail18binary_search_lessEbEEEE10hipError_tPvRmT1_T2_T3_mmT4_T5_P12ihipStream_tbEUlRKfE_EESV_SZ_S10_mS11_S14_bEUlT_E_NS1_11comp_targetILNS1_3genE10ELNS1_11target_archE1200ELNS1_3gpuE4ELNS1_3repE0EEENS1_30default_config_static_selectorELNS0_4arch9wavefront6targetE1EEEvSY_.has_dyn_sized_stack, 0
	.set _ZN7rocprim17ROCPRIM_400000_NS6detail17trampoline_kernelINS0_14default_configENS1_29binary_search_config_selectorIfiEEZNS1_14transform_implILb0ES3_S5_N6thrust23THRUST_200600_302600_NS6detail15normal_iteratorINS8_7pointerIfNS8_11hip_rocprim5par_tENS8_11use_defaultESE_EEEENSA_INSB_IiSD_SE_SE_EEEEZNS1_13binary_searchIS3_S5_NSA_INS8_10device_ptrIfEEEESG_SI_NS1_16binary_search_opENS9_16wrapped_functionINS8_6system6detail7generic6detail18binary_search_lessEbEEEE10hipError_tPvRmT1_T2_T3_mmT4_T5_P12ihipStream_tbEUlRKfE_EESV_SZ_S10_mS11_S14_bEUlT_E_NS1_11comp_targetILNS1_3genE10ELNS1_11target_archE1200ELNS1_3gpuE4ELNS1_3repE0EEENS1_30default_config_static_selectorELNS0_4arch9wavefront6targetE1EEEvSY_.has_recursion, 0
	.set _ZN7rocprim17ROCPRIM_400000_NS6detail17trampoline_kernelINS0_14default_configENS1_29binary_search_config_selectorIfiEEZNS1_14transform_implILb0ES3_S5_N6thrust23THRUST_200600_302600_NS6detail15normal_iteratorINS8_7pointerIfNS8_11hip_rocprim5par_tENS8_11use_defaultESE_EEEENSA_INSB_IiSD_SE_SE_EEEEZNS1_13binary_searchIS3_S5_NSA_INS8_10device_ptrIfEEEESG_SI_NS1_16binary_search_opENS9_16wrapped_functionINS8_6system6detail7generic6detail18binary_search_lessEbEEEE10hipError_tPvRmT1_T2_T3_mmT4_T5_P12ihipStream_tbEUlRKfE_EESV_SZ_S10_mS11_S14_bEUlT_E_NS1_11comp_targetILNS1_3genE10ELNS1_11target_archE1200ELNS1_3gpuE4ELNS1_3repE0EEENS1_30default_config_static_selectorELNS0_4arch9wavefront6targetE1EEEvSY_.has_indirect_call, 0
	.section	.AMDGPU.csdata,"",@progbits
; Kernel info:
; codeLenInByte = 0
; TotalNumSgprs: 4
; NumVgprs: 0
; ScratchSize: 0
; MemoryBound: 0
; FloatMode: 240
; IeeeMode: 1
; LDSByteSize: 0 bytes/workgroup (compile time only)
; SGPRBlocks: 0
; VGPRBlocks: 0
; NumSGPRsForWavesPerEU: 4
; NumVGPRsForWavesPerEU: 1
; Occupancy: 10
; WaveLimiterHint : 0
; COMPUTE_PGM_RSRC2:SCRATCH_EN: 0
; COMPUTE_PGM_RSRC2:USER_SGPR: 6
; COMPUTE_PGM_RSRC2:TRAP_HANDLER: 0
; COMPUTE_PGM_RSRC2:TGID_X_EN: 1
; COMPUTE_PGM_RSRC2:TGID_Y_EN: 0
; COMPUTE_PGM_RSRC2:TGID_Z_EN: 0
; COMPUTE_PGM_RSRC2:TIDIG_COMP_CNT: 0
	.section	.text._ZN7rocprim17ROCPRIM_400000_NS6detail17trampoline_kernelINS0_14default_configENS1_29binary_search_config_selectorIfiEEZNS1_14transform_implILb0ES3_S5_N6thrust23THRUST_200600_302600_NS6detail15normal_iteratorINS8_7pointerIfNS8_11hip_rocprim5par_tENS8_11use_defaultESE_EEEENSA_INSB_IiSD_SE_SE_EEEEZNS1_13binary_searchIS3_S5_NSA_INS8_10device_ptrIfEEEESG_SI_NS1_16binary_search_opENS9_16wrapped_functionINS8_6system6detail7generic6detail18binary_search_lessEbEEEE10hipError_tPvRmT1_T2_T3_mmT4_T5_P12ihipStream_tbEUlRKfE_EESV_SZ_S10_mS11_S14_bEUlT_E_NS1_11comp_targetILNS1_3genE9ELNS1_11target_archE1100ELNS1_3gpuE3ELNS1_3repE0EEENS1_30default_config_static_selectorELNS0_4arch9wavefront6targetE1EEEvSY_,"axG",@progbits,_ZN7rocprim17ROCPRIM_400000_NS6detail17trampoline_kernelINS0_14default_configENS1_29binary_search_config_selectorIfiEEZNS1_14transform_implILb0ES3_S5_N6thrust23THRUST_200600_302600_NS6detail15normal_iteratorINS8_7pointerIfNS8_11hip_rocprim5par_tENS8_11use_defaultESE_EEEENSA_INSB_IiSD_SE_SE_EEEEZNS1_13binary_searchIS3_S5_NSA_INS8_10device_ptrIfEEEESG_SI_NS1_16binary_search_opENS9_16wrapped_functionINS8_6system6detail7generic6detail18binary_search_lessEbEEEE10hipError_tPvRmT1_T2_T3_mmT4_T5_P12ihipStream_tbEUlRKfE_EESV_SZ_S10_mS11_S14_bEUlT_E_NS1_11comp_targetILNS1_3genE9ELNS1_11target_archE1100ELNS1_3gpuE3ELNS1_3repE0EEENS1_30default_config_static_selectorELNS0_4arch9wavefront6targetE1EEEvSY_,comdat
	.protected	_ZN7rocprim17ROCPRIM_400000_NS6detail17trampoline_kernelINS0_14default_configENS1_29binary_search_config_selectorIfiEEZNS1_14transform_implILb0ES3_S5_N6thrust23THRUST_200600_302600_NS6detail15normal_iteratorINS8_7pointerIfNS8_11hip_rocprim5par_tENS8_11use_defaultESE_EEEENSA_INSB_IiSD_SE_SE_EEEEZNS1_13binary_searchIS3_S5_NSA_INS8_10device_ptrIfEEEESG_SI_NS1_16binary_search_opENS9_16wrapped_functionINS8_6system6detail7generic6detail18binary_search_lessEbEEEE10hipError_tPvRmT1_T2_T3_mmT4_T5_P12ihipStream_tbEUlRKfE_EESV_SZ_S10_mS11_S14_bEUlT_E_NS1_11comp_targetILNS1_3genE9ELNS1_11target_archE1100ELNS1_3gpuE3ELNS1_3repE0EEENS1_30default_config_static_selectorELNS0_4arch9wavefront6targetE1EEEvSY_ ; -- Begin function _ZN7rocprim17ROCPRIM_400000_NS6detail17trampoline_kernelINS0_14default_configENS1_29binary_search_config_selectorIfiEEZNS1_14transform_implILb0ES3_S5_N6thrust23THRUST_200600_302600_NS6detail15normal_iteratorINS8_7pointerIfNS8_11hip_rocprim5par_tENS8_11use_defaultESE_EEEENSA_INSB_IiSD_SE_SE_EEEEZNS1_13binary_searchIS3_S5_NSA_INS8_10device_ptrIfEEEESG_SI_NS1_16binary_search_opENS9_16wrapped_functionINS8_6system6detail7generic6detail18binary_search_lessEbEEEE10hipError_tPvRmT1_T2_T3_mmT4_T5_P12ihipStream_tbEUlRKfE_EESV_SZ_S10_mS11_S14_bEUlT_E_NS1_11comp_targetILNS1_3genE9ELNS1_11target_archE1100ELNS1_3gpuE3ELNS1_3repE0EEENS1_30default_config_static_selectorELNS0_4arch9wavefront6targetE1EEEvSY_
	.globl	_ZN7rocprim17ROCPRIM_400000_NS6detail17trampoline_kernelINS0_14default_configENS1_29binary_search_config_selectorIfiEEZNS1_14transform_implILb0ES3_S5_N6thrust23THRUST_200600_302600_NS6detail15normal_iteratorINS8_7pointerIfNS8_11hip_rocprim5par_tENS8_11use_defaultESE_EEEENSA_INSB_IiSD_SE_SE_EEEEZNS1_13binary_searchIS3_S5_NSA_INS8_10device_ptrIfEEEESG_SI_NS1_16binary_search_opENS9_16wrapped_functionINS8_6system6detail7generic6detail18binary_search_lessEbEEEE10hipError_tPvRmT1_T2_T3_mmT4_T5_P12ihipStream_tbEUlRKfE_EESV_SZ_S10_mS11_S14_bEUlT_E_NS1_11comp_targetILNS1_3genE9ELNS1_11target_archE1100ELNS1_3gpuE3ELNS1_3repE0EEENS1_30default_config_static_selectorELNS0_4arch9wavefront6targetE1EEEvSY_
	.p2align	8
	.type	_ZN7rocprim17ROCPRIM_400000_NS6detail17trampoline_kernelINS0_14default_configENS1_29binary_search_config_selectorIfiEEZNS1_14transform_implILb0ES3_S5_N6thrust23THRUST_200600_302600_NS6detail15normal_iteratorINS8_7pointerIfNS8_11hip_rocprim5par_tENS8_11use_defaultESE_EEEENSA_INSB_IiSD_SE_SE_EEEEZNS1_13binary_searchIS3_S5_NSA_INS8_10device_ptrIfEEEESG_SI_NS1_16binary_search_opENS9_16wrapped_functionINS8_6system6detail7generic6detail18binary_search_lessEbEEEE10hipError_tPvRmT1_T2_T3_mmT4_T5_P12ihipStream_tbEUlRKfE_EESV_SZ_S10_mS11_S14_bEUlT_E_NS1_11comp_targetILNS1_3genE9ELNS1_11target_archE1100ELNS1_3gpuE3ELNS1_3repE0EEENS1_30default_config_static_selectorELNS0_4arch9wavefront6targetE1EEEvSY_,@function
_ZN7rocprim17ROCPRIM_400000_NS6detail17trampoline_kernelINS0_14default_configENS1_29binary_search_config_selectorIfiEEZNS1_14transform_implILb0ES3_S5_N6thrust23THRUST_200600_302600_NS6detail15normal_iteratorINS8_7pointerIfNS8_11hip_rocprim5par_tENS8_11use_defaultESE_EEEENSA_INSB_IiSD_SE_SE_EEEEZNS1_13binary_searchIS3_S5_NSA_INS8_10device_ptrIfEEEESG_SI_NS1_16binary_search_opENS9_16wrapped_functionINS8_6system6detail7generic6detail18binary_search_lessEbEEEE10hipError_tPvRmT1_T2_T3_mmT4_T5_P12ihipStream_tbEUlRKfE_EESV_SZ_S10_mS11_S14_bEUlT_E_NS1_11comp_targetILNS1_3genE9ELNS1_11target_archE1100ELNS1_3gpuE3ELNS1_3repE0EEENS1_30default_config_static_selectorELNS0_4arch9wavefront6targetE1EEEvSY_: ; @_ZN7rocprim17ROCPRIM_400000_NS6detail17trampoline_kernelINS0_14default_configENS1_29binary_search_config_selectorIfiEEZNS1_14transform_implILb0ES3_S5_N6thrust23THRUST_200600_302600_NS6detail15normal_iteratorINS8_7pointerIfNS8_11hip_rocprim5par_tENS8_11use_defaultESE_EEEENSA_INSB_IiSD_SE_SE_EEEEZNS1_13binary_searchIS3_S5_NSA_INS8_10device_ptrIfEEEESG_SI_NS1_16binary_search_opENS9_16wrapped_functionINS8_6system6detail7generic6detail18binary_search_lessEbEEEE10hipError_tPvRmT1_T2_T3_mmT4_T5_P12ihipStream_tbEUlRKfE_EESV_SZ_S10_mS11_S14_bEUlT_E_NS1_11comp_targetILNS1_3genE9ELNS1_11target_archE1100ELNS1_3gpuE3ELNS1_3repE0EEENS1_30default_config_static_selectorELNS0_4arch9wavefront6targetE1EEEvSY_
; %bb.0:
	.section	.rodata,"a",@progbits
	.p2align	6, 0x0
	.amdhsa_kernel _ZN7rocprim17ROCPRIM_400000_NS6detail17trampoline_kernelINS0_14default_configENS1_29binary_search_config_selectorIfiEEZNS1_14transform_implILb0ES3_S5_N6thrust23THRUST_200600_302600_NS6detail15normal_iteratorINS8_7pointerIfNS8_11hip_rocprim5par_tENS8_11use_defaultESE_EEEENSA_INSB_IiSD_SE_SE_EEEEZNS1_13binary_searchIS3_S5_NSA_INS8_10device_ptrIfEEEESG_SI_NS1_16binary_search_opENS9_16wrapped_functionINS8_6system6detail7generic6detail18binary_search_lessEbEEEE10hipError_tPvRmT1_T2_T3_mmT4_T5_P12ihipStream_tbEUlRKfE_EESV_SZ_S10_mS11_S14_bEUlT_E_NS1_11comp_targetILNS1_3genE9ELNS1_11target_archE1100ELNS1_3gpuE3ELNS1_3repE0EEENS1_30default_config_static_selectorELNS0_4arch9wavefront6targetE1EEEvSY_
		.amdhsa_group_segment_fixed_size 0
		.amdhsa_private_segment_fixed_size 0
		.amdhsa_kernarg_size 56
		.amdhsa_user_sgpr_count 6
		.amdhsa_user_sgpr_private_segment_buffer 1
		.amdhsa_user_sgpr_dispatch_ptr 0
		.amdhsa_user_sgpr_queue_ptr 0
		.amdhsa_user_sgpr_kernarg_segment_ptr 1
		.amdhsa_user_sgpr_dispatch_id 0
		.amdhsa_user_sgpr_flat_scratch_init 0
		.amdhsa_user_sgpr_private_segment_size 0
		.amdhsa_uses_dynamic_stack 0
		.amdhsa_system_sgpr_private_segment_wavefront_offset 0
		.amdhsa_system_sgpr_workgroup_id_x 1
		.amdhsa_system_sgpr_workgroup_id_y 0
		.amdhsa_system_sgpr_workgroup_id_z 0
		.amdhsa_system_sgpr_workgroup_info 0
		.amdhsa_system_vgpr_workitem_id 0
		.amdhsa_next_free_vgpr 1
		.amdhsa_next_free_sgpr 0
		.amdhsa_reserve_vcc 0
		.amdhsa_reserve_flat_scratch 0
		.amdhsa_float_round_mode_32 0
		.amdhsa_float_round_mode_16_64 0
		.amdhsa_float_denorm_mode_32 3
		.amdhsa_float_denorm_mode_16_64 3
		.amdhsa_dx10_clamp 1
		.amdhsa_ieee_mode 1
		.amdhsa_fp16_overflow 0
		.amdhsa_exception_fp_ieee_invalid_op 0
		.amdhsa_exception_fp_denorm_src 0
		.amdhsa_exception_fp_ieee_div_zero 0
		.amdhsa_exception_fp_ieee_overflow 0
		.amdhsa_exception_fp_ieee_underflow 0
		.amdhsa_exception_fp_ieee_inexact 0
		.amdhsa_exception_int_div_zero 0
	.end_amdhsa_kernel
	.section	.text._ZN7rocprim17ROCPRIM_400000_NS6detail17trampoline_kernelINS0_14default_configENS1_29binary_search_config_selectorIfiEEZNS1_14transform_implILb0ES3_S5_N6thrust23THRUST_200600_302600_NS6detail15normal_iteratorINS8_7pointerIfNS8_11hip_rocprim5par_tENS8_11use_defaultESE_EEEENSA_INSB_IiSD_SE_SE_EEEEZNS1_13binary_searchIS3_S5_NSA_INS8_10device_ptrIfEEEESG_SI_NS1_16binary_search_opENS9_16wrapped_functionINS8_6system6detail7generic6detail18binary_search_lessEbEEEE10hipError_tPvRmT1_T2_T3_mmT4_T5_P12ihipStream_tbEUlRKfE_EESV_SZ_S10_mS11_S14_bEUlT_E_NS1_11comp_targetILNS1_3genE9ELNS1_11target_archE1100ELNS1_3gpuE3ELNS1_3repE0EEENS1_30default_config_static_selectorELNS0_4arch9wavefront6targetE1EEEvSY_,"axG",@progbits,_ZN7rocprim17ROCPRIM_400000_NS6detail17trampoline_kernelINS0_14default_configENS1_29binary_search_config_selectorIfiEEZNS1_14transform_implILb0ES3_S5_N6thrust23THRUST_200600_302600_NS6detail15normal_iteratorINS8_7pointerIfNS8_11hip_rocprim5par_tENS8_11use_defaultESE_EEEENSA_INSB_IiSD_SE_SE_EEEEZNS1_13binary_searchIS3_S5_NSA_INS8_10device_ptrIfEEEESG_SI_NS1_16binary_search_opENS9_16wrapped_functionINS8_6system6detail7generic6detail18binary_search_lessEbEEEE10hipError_tPvRmT1_T2_T3_mmT4_T5_P12ihipStream_tbEUlRKfE_EESV_SZ_S10_mS11_S14_bEUlT_E_NS1_11comp_targetILNS1_3genE9ELNS1_11target_archE1100ELNS1_3gpuE3ELNS1_3repE0EEENS1_30default_config_static_selectorELNS0_4arch9wavefront6targetE1EEEvSY_,comdat
.Lfunc_end660:
	.size	_ZN7rocprim17ROCPRIM_400000_NS6detail17trampoline_kernelINS0_14default_configENS1_29binary_search_config_selectorIfiEEZNS1_14transform_implILb0ES3_S5_N6thrust23THRUST_200600_302600_NS6detail15normal_iteratorINS8_7pointerIfNS8_11hip_rocprim5par_tENS8_11use_defaultESE_EEEENSA_INSB_IiSD_SE_SE_EEEEZNS1_13binary_searchIS3_S5_NSA_INS8_10device_ptrIfEEEESG_SI_NS1_16binary_search_opENS9_16wrapped_functionINS8_6system6detail7generic6detail18binary_search_lessEbEEEE10hipError_tPvRmT1_T2_T3_mmT4_T5_P12ihipStream_tbEUlRKfE_EESV_SZ_S10_mS11_S14_bEUlT_E_NS1_11comp_targetILNS1_3genE9ELNS1_11target_archE1100ELNS1_3gpuE3ELNS1_3repE0EEENS1_30default_config_static_selectorELNS0_4arch9wavefront6targetE1EEEvSY_, .Lfunc_end660-_ZN7rocprim17ROCPRIM_400000_NS6detail17trampoline_kernelINS0_14default_configENS1_29binary_search_config_selectorIfiEEZNS1_14transform_implILb0ES3_S5_N6thrust23THRUST_200600_302600_NS6detail15normal_iteratorINS8_7pointerIfNS8_11hip_rocprim5par_tENS8_11use_defaultESE_EEEENSA_INSB_IiSD_SE_SE_EEEEZNS1_13binary_searchIS3_S5_NSA_INS8_10device_ptrIfEEEESG_SI_NS1_16binary_search_opENS9_16wrapped_functionINS8_6system6detail7generic6detail18binary_search_lessEbEEEE10hipError_tPvRmT1_T2_T3_mmT4_T5_P12ihipStream_tbEUlRKfE_EESV_SZ_S10_mS11_S14_bEUlT_E_NS1_11comp_targetILNS1_3genE9ELNS1_11target_archE1100ELNS1_3gpuE3ELNS1_3repE0EEENS1_30default_config_static_selectorELNS0_4arch9wavefront6targetE1EEEvSY_
                                        ; -- End function
	.set _ZN7rocprim17ROCPRIM_400000_NS6detail17trampoline_kernelINS0_14default_configENS1_29binary_search_config_selectorIfiEEZNS1_14transform_implILb0ES3_S5_N6thrust23THRUST_200600_302600_NS6detail15normal_iteratorINS8_7pointerIfNS8_11hip_rocprim5par_tENS8_11use_defaultESE_EEEENSA_INSB_IiSD_SE_SE_EEEEZNS1_13binary_searchIS3_S5_NSA_INS8_10device_ptrIfEEEESG_SI_NS1_16binary_search_opENS9_16wrapped_functionINS8_6system6detail7generic6detail18binary_search_lessEbEEEE10hipError_tPvRmT1_T2_T3_mmT4_T5_P12ihipStream_tbEUlRKfE_EESV_SZ_S10_mS11_S14_bEUlT_E_NS1_11comp_targetILNS1_3genE9ELNS1_11target_archE1100ELNS1_3gpuE3ELNS1_3repE0EEENS1_30default_config_static_selectorELNS0_4arch9wavefront6targetE1EEEvSY_.num_vgpr, 0
	.set _ZN7rocprim17ROCPRIM_400000_NS6detail17trampoline_kernelINS0_14default_configENS1_29binary_search_config_selectorIfiEEZNS1_14transform_implILb0ES3_S5_N6thrust23THRUST_200600_302600_NS6detail15normal_iteratorINS8_7pointerIfNS8_11hip_rocprim5par_tENS8_11use_defaultESE_EEEENSA_INSB_IiSD_SE_SE_EEEEZNS1_13binary_searchIS3_S5_NSA_INS8_10device_ptrIfEEEESG_SI_NS1_16binary_search_opENS9_16wrapped_functionINS8_6system6detail7generic6detail18binary_search_lessEbEEEE10hipError_tPvRmT1_T2_T3_mmT4_T5_P12ihipStream_tbEUlRKfE_EESV_SZ_S10_mS11_S14_bEUlT_E_NS1_11comp_targetILNS1_3genE9ELNS1_11target_archE1100ELNS1_3gpuE3ELNS1_3repE0EEENS1_30default_config_static_selectorELNS0_4arch9wavefront6targetE1EEEvSY_.num_agpr, 0
	.set _ZN7rocprim17ROCPRIM_400000_NS6detail17trampoline_kernelINS0_14default_configENS1_29binary_search_config_selectorIfiEEZNS1_14transform_implILb0ES3_S5_N6thrust23THRUST_200600_302600_NS6detail15normal_iteratorINS8_7pointerIfNS8_11hip_rocprim5par_tENS8_11use_defaultESE_EEEENSA_INSB_IiSD_SE_SE_EEEEZNS1_13binary_searchIS3_S5_NSA_INS8_10device_ptrIfEEEESG_SI_NS1_16binary_search_opENS9_16wrapped_functionINS8_6system6detail7generic6detail18binary_search_lessEbEEEE10hipError_tPvRmT1_T2_T3_mmT4_T5_P12ihipStream_tbEUlRKfE_EESV_SZ_S10_mS11_S14_bEUlT_E_NS1_11comp_targetILNS1_3genE9ELNS1_11target_archE1100ELNS1_3gpuE3ELNS1_3repE0EEENS1_30default_config_static_selectorELNS0_4arch9wavefront6targetE1EEEvSY_.numbered_sgpr, 0
	.set _ZN7rocprim17ROCPRIM_400000_NS6detail17trampoline_kernelINS0_14default_configENS1_29binary_search_config_selectorIfiEEZNS1_14transform_implILb0ES3_S5_N6thrust23THRUST_200600_302600_NS6detail15normal_iteratorINS8_7pointerIfNS8_11hip_rocprim5par_tENS8_11use_defaultESE_EEEENSA_INSB_IiSD_SE_SE_EEEEZNS1_13binary_searchIS3_S5_NSA_INS8_10device_ptrIfEEEESG_SI_NS1_16binary_search_opENS9_16wrapped_functionINS8_6system6detail7generic6detail18binary_search_lessEbEEEE10hipError_tPvRmT1_T2_T3_mmT4_T5_P12ihipStream_tbEUlRKfE_EESV_SZ_S10_mS11_S14_bEUlT_E_NS1_11comp_targetILNS1_3genE9ELNS1_11target_archE1100ELNS1_3gpuE3ELNS1_3repE0EEENS1_30default_config_static_selectorELNS0_4arch9wavefront6targetE1EEEvSY_.num_named_barrier, 0
	.set _ZN7rocprim17ROCPRIM_400000_NS6detail17trampoline_kernelINS0_14default_configENS1_29binary_search_config_selectorIfiEEZNS1_14transform_implILb0ES3_S5_N6thrust23THRUST_200600_302600_NS6detail15normal_iteratorINS8_7pointerIfNS8_11hip_rocprim5par_tENS8_11use_defaultESE_EEEENSA_INSB_IiSD_SE_SE_EEEEZNS1_13binary_searchIS3_S5_NSA_INS8_10device_ptrIfEEEESG_SI_NS1_16binary_search_opENS9_16wrapped_functionINS8_6system6detail7generic6detail18binary_search_lessEbEEEE10hipError_tPvRmT1_T2_T3_mmT4_T5_P12ihipStream_tbEUlRKfE_EESV_SZ_S10_mS11_S14_bEUlT_E_NS1_11comp_targetILNS1_3genE9ELNS1_11target_archE1100ELNS1_3gpuE3ELNS1_3repE0EEENS1_30default_config_static_selectorELNS0_4arch9wavefront6targetE1EEEvSY_.private_seg_size, 0
	.set _ZN7rocprim17ROCPRIM_400000_NS6detail17trampoline_kernelINS0_14default_configENS1_29binary_search_config_selectorIfiEEZNS1_14transform_implILb0ES3_S5_N6thrust23THRUST_200600_302600_NS6detail15normal_iteratorINS8_7pointerIfNS8_11hip_rocprim5par_tENS8_11use_defaultESE_EEEENSA_INSB_IiSD_SE_SE_EEEEZNS1_13binary_searchIS3_S5_NSA_INS8_10device_ptrIfEEEESG_SI_NS1_16binary_search_opENS9_16wrapped_functionINS8_6system6detail7generic6detail18binary_search_lessEbEEEE10hipError_tPvRmT1_T2_T3_mmT4_T5_P12ihipStream_tbEUlRKfE_EESV_SZ_S10_mS11_S14_bEUlT_E_NS1_11comp_targetILNS1_3genE9ELNS1_11target_archE1100ELNS1_3gpuE3ELNS1_3repE0EEENS1_30default_config_static_selectorELNS0_4arch9wavefront6targetE1EEEvSY_.uses_vcc, 0
	.set _ZN7rocprim17ROCPRIM_400000_NS6detail17trampoline_kernelINS0_14default_configENS1_29binary_search_config_selectorIfiEEZNS1_14transform_implILb0ES3_S5_N6thrust23THRUST_200600_302600_NS6detail15normal_iteratorINS8_7pointerIfNS8_11hip_rocprim5par_tENS8_11use_defaultESE_EEEENSA_INSB_IiSD_SE_SE_EEEEZNS1_13binary_searchIS3_S5_NSA_INS8_10device_ptrIfEEEESG_SI_NS1_16binary_search_opENS9_16wrapped_functionINS8_6system6detail7generic6detail18binary_search_lessEbEEEE10hipError_tPvRmT1_T2_T3_mmT4_T5_P12ihipStream_tbEUlRKfE_EESV_SZ_S10_mS11_S14_bEUlT_E_NS1_11comp_targetILNS1_3genE9ELNS1_11target_archE1100ELNS1_3gpuE3ELNS1_3repE0EEENS1_30default_config_static_selectorELNS0_4arch9wavefront6targetE1EEEvSY_.uses_flat_scratch, 0
	.set _ZN7rocprim17ROCPRIM_400000_NS6detail17trampoline_kernelINS0_14default_configENS1_29binary_search_config_selectorIfiEEZNS1_14transform_implILb0ES3_S5_N6thrust23THRUST_200600_302600_NS6detail15normal_iteratorINS8_7pointerIfNS8_11hip_rocprim5par_tENS8_11use_defaultESE_EEEENSA_INSB_IiSD_SE_SE_EEEEZNS1_13binary_searchIS3_S5_NSA_INS8_10device_ptrIfEEEESG_SI_NS1_16binary_search_opENS9_16wrapped_functionINS8_6system6detail7generic6detail18binary_search_lessEbEEEE10hipError_tPvRmT1_T2_T3_mmT4_T5_P12ihipStream_tbEUlRKfE_EESV_SZ_S10_mS11_S14_bEUlT_E_NS1_11comp_targetILNS1_3genE9ELNS1_11target_archE1100ELNS1_3gpuE3ELNS1_3repE0EEENS1_30default_config_static_selectorELNS0_4arch9wavefront6targetE1EEEvSY_.has_dyn_sized_stack, 0
	.set _ZN7rocprim17ROCPRIM_400000_NS6detail17trampoline_kernelINS0_14default_configENS1_29binary_search_config_selectorIfiEEZNS1_14transform_implILb0ES3_S5_N6thrust23THRUST_200600_302600_NS6detail15normal_iteratorINS8_7pointerIfNS8_11hip_rocprim5par_tENS8_11use_defaultESE_EEEENSA_INSB_IiSD_SE_SE_EEEEZNS1_13binary_searchIS3_S5_NSA_INS8_10device_ptrIfEEEESG_SI_NS1_16binary_search_opENS9_16wrapped_functionINS8_6system6detail7generic6detail18binary_search_lessEbEEEE10hipError_tPvRmT1_T2_T3_mmT4_T5_P12ihipStream_tbEUlRKfE_EESV_SZ_S10_mS11_S14_bEUlT_E_NS1_11comp_targetILNS1_3genE9ELNS1_11target_archE1100ELNS1_3gpuE3ELNS1_3repE0EEENS1_30default_config_static_selectorELNS0_4arch9wavefront6targetE1EEEvSY_.has_recursion, 0
	.set _ZN7rocprim17ROCPRIM_400000_NS6detail17trampoline_kernelINS0_14default_configENS1_29binary_search_config_selectorIfiEEZNS1_14transform_implILb0ES3_S5_N6thrust23THRUST_200600_302600_NS6detail15normal_iteratorINS8_7pointerIfNS8_11hip_rocprim5par_tENS8_11use_defaultESE_EEEENSA_INSB_IiSD_SE_SE_EEEEZNS1_13binary_searchIS3_S5_NSA_INS8_10device_ptrIfEEEESG_SI_NS1_16binary_search_opENS9_16wrapped_functionINS8_6system6detail7generic6detail18binary_search_lessEbEEEE10hipError_tPvRmT1_T2_T3_mmT4_T5_P12ihipStream_tbEUlRKfE_EESV_SZ_S10_mS11_S14_bEUlT_E_NS1_11comp_targetILNS1_3genE9ELNS1_11target_archE1100ELNS1_3gpuE3ELNS1_3repE0EEENS1_30default_config_static_selectorELNS0_4arch9wavefront6targetE1EEEvSY_.has_indirect_call, 0
	.section	.AMDGPU.csdata,"",@progbits
; Kernel info:
; codeLenInByte = 0
; TotalNumSgprs: 4
; NumVgprs: 0
; ScratchSize: 0
; MemoryBound: 0
; FloatMode: 240
; IeeeMode: 1
; LDSByteSize: 0 bytes/workgroup (compile time only)
; SGPRBlocks: 0
; VGPRBlocks: 0
; NumSGPRsForWavesPerEU: 4
; NumVGPRsForWavesPerEU: 1
; Occupancy: 10
; WaveLimiterHint : 0
; COMPUTE_PGM_RSRC2:SCRATCH_EN: 0
; COMPUTE_PGM_RSRC2:USER_SGPR: 6
; COMPUTE_PGM_RSRC2:TRAP_HANDLER: 0
; COMPUTE_PGM_RSRC2:TGID_X_EN: 1
; COMPUTE_PGM_RSRC2:TGID_Y_EN: 0
; COMPUTE_PGM_RSRC2:TGID_Z_EN: 0
; COMPUTE_PGM_RSRC2:TIDIG_COMP_CNT: 0
	.section	.text._ZN7rocprim17ROCPRIM_400000_NS6detail17trampoline_kernelINS0_14default_configENS1_29binary_search_config_selectorIfiEEZNS1_14transform_implILb0ES3_S5_N6thrust23THRUST_200600_302600_NS6detail15normal_iteratorINS8_7pointerIfNS8_11hip_rocprim5par_tENS8_11use_defaultESE_EEEENSA_INSB_IiSD_SE_SE_EEEEZNS1_13binary_searchIS3_S5_NSA_INS8_10device_ptrIfEEEESG_SI_NS1_16binary_search_opENS9_16wrapped_functionINS8_6system6detail7generic6detail18binary_search_lessEbEEEE10hipError_tPvRmT1_T2_T3_mmT4_T5_P12ihipStream_tbEUlRKfE_EESV_SZ_S10_mS11_S14_bEUlT_E_NS1_11comp_targetILNS1_3genE8ELNS1_11target_archE1030ELNS1_3gpuE2ELNS1_3repE0EEENS1_30default_config_static_selectorELNS0_4arch9wavefront6targetE1EEEvSY_,"axG",@progbits,_ZN7rocprim17ROCPRIM_400000_NS6detail17trampoline_kernelINS0_14default_configENS1_29binary_search_config_selectorIfiEEZNS1_14transform_implILb0ES3_S5_N6thrust23THRUST_200600_302600_NS6detail15normal_iteratorINS8_7pointerIfNS8_11hip_rocprim5par_tENS8_11use_defaultESE_EEEENSA_INSB_IiSD_SE_SE_EEEEZNS1_13binary_searchIS3_S5_NSA_INS8_10device_ptrIfEEEESG_SI_NS1_16binary_search_opENS9_16wrapped_functionINS8_6system6detail7generic6detail18binary_search_lessEbEEEE10hipError_tPvRmT1_T2_T3_mmT4_T5_P12ihipStream_tbEUlRKfE_EESV_SZ_S10_mS11_S14_bEUlT_E_NS1_11comp_targetILNS1_3genE8ELNS1_11target_archE1030ELNS1_3gpuE2ELNS1_3repE0EEENS1_30default_config_static_selectorELNS0_4arch9wavefront6targetE1EEEvSY_,comdat
	.protected	_ZN7rocprim17ROCPRIM_400000_NS6detail17trampoline_kernelINS0_14default_configENS1_29binary_search_config_selectorIfiEEZNS1_14transform_implILb0ES3_S5_N6thrust23THRUST_200600_302600_NS6detail15normal_iteratorINS8_7pointerIfNS8_11hip_rocprim5par_tENS8_11use_defaultESE_EEEENSA_INSB_IiSD_SE_SE_EEEEZNS1_13binary_searchIS3_S5_NSA_INS8_10device_ptrIfEEEESG_SI_NS1_16binary_search_opENS9_16wrapped_functionINS8_6system6detail7generic6detail18binary_search_lessEbEEEE10hipError_tPvRmT1_T2_T3_mmT4_T5_P12ihipStream_tbEUlRKfE_EESV_SZ_S10_mS11_S14_bEUlT_E_NS1_11comp_targetILNS1_3genE8ELNS1_11target_archE1030ELNS1_3gpuE2ELNS1_3repE0EEENS1_30default_config_static_selectorELNS0_4arch9wavefront6targetE1EEEvSY_ ; -- Begin function _ZN7rocprim17ROCPRIM_400000_NS6detail17trampoline_kernelINS0_14default_configENS1_29binary_search_config_selectorIfiEEZNS1_14transform_implILb0ES3_S5_N6thrust23THRUST_200600_302600_NS6detail15normal_iteratorINS8_7pointerIfNS8_11hip_rocprim5par_tENS8_11use_defaultESE_EEEENSA_INSB_IiSD_SE_SE_EEEEZNS1_13binary_searchIS3_S5_NSA_INS8_10device_ptrIfEEEESG_SI_NS1_16binary_search_opENS9_16wrapped_functionINS8_6system6detail7generic6detail18binary_search_lessEbEEEE10hipError_tPvRmT1_T2_T3_mmT4_T5_P12ihipStream_tbEUlRKfE_EESV_SZ_S10_mS11_S14_bEUlT_E_NS1_11comp_targetILNS1_3genE8ELNS1_11target_archE1030ELNS1_3gpuE2ELNS1_3repE0EEENS1_30default_config_static_selectorELNS0_4arch9wavefront6targetE1EEEvSY_
	.globl	_ZN7rocprim17ROCPRIM_400000_NS6detail17trampoline_kernelINS0_14default_configENS1_29binary_search_config_selectorIfiEEZNS1_14transform_implILb0ES3_S5_N6thrust23THRUST_200600_302600_NS6detail15normal_iteratorINS8_7pointerIfNS8_11hip_rocprim5par_tENS8_11use_defaultESE_EEEENSA_INSB_IiSD_SE_SE_EEEEZNS1_13binary_searchIS3_S5_NSA_INS8_10device_ptrIfEEEESG_SI_NS1_16binary_search_opENS9_16wrapped_functionINS8_6system6detail7generic6detail18binary_search_lessEbEEEE10hipError_tPvRmT1_T2_T3_mmT4_T5_P12ihipStream_tbEUlRKfE_EESV_SZ_S10_mS11_S14_bEUlT_E_NS1_11comp_targetILNS1_3genE8ELNS1_11target_archE1030ELNS1_3gpuE2ELNS1_3repE0EEENS1_30default_config_static_selectorELNS0_4arch9wavefront6targetE1EEEvSY_
	.p2align	8
	.type	_ZN7rocprim17ROCPRIM_400000_NS6detail17trampoline_kernelINS0_14default_configENS1_29binary_search_config_selectorIfiEEZNS1_14transform_implILb0ES3_S5_N6thrust23THRUST_200600_302600_NS6detail15normal_iteratorINS8_7pointerIfNS8_11hip_rocprim5par_tENS8_11use_defaultESE_EEEENSA_INSB_IiSD_SE_SE_EEEEZNS1_13binary_searchIS3_S5_NSA_INS8_10device_ptrIfEEEESG_SI_NS1_16binary_search_opENS9_16wrapped_functionINS8_6system6detail7generic6detail18binary_search_lessEbEEEE10hipError_tPvRmT1_T2_T3_mmT4_T5_P12ihipStream_tbEUlRKfE_EESV_SZ_S10_mS11_S14_bEUlT_E_NS1_11comp_targetILNS1_3genE8ELNS1_11target_archE1030ELNS1_3gpuE2ELNS1_3repE0EEENS1_30default_config_static_selectorELNS0_4arch9wavefront6targetE1EEEvSY_,@function
_ZN7rocprim17ROCPRIM_400000_NS6detail17trampoline_kernelINS0_14default_configENS1_29binary_search_config_selectorIfiEEZNS1_14transform_implILb0ES3_S5_N6thrust23THRUST_200600_302600_NS6detail15normal_iteratorINS8_7pointerIfNS8_11hip_rocprim5par_tENS8_11use_defaultESE_EEEENSA_INSB_IiSD_SE_SE_EEEEZNS1_13binary_searchIS3_S5_NSA_INS8_10device_ptrIfEEEESG_SI_NS1_16binary_search_opENS9_16wrapped_functionINS8_6system6detail7generic6detail18binary_search_lessEbEEEE10hipError_tPvRmT1_T2_T3_mmT4_T5_P12ihipStream_tbEUlRKfE_EESV_SZ_S10_mS11_S14_bEUlT_E_NS1_11comp_targetILNS1_3genE8ELNS1_11target_archE1030ELNS1_3gpuE2ELNS1_3repE0EEENS1_30default_config_static_selectorELNS0_4arch9wavefront6targetE1EEEvSY_: ; @_ZN7rocprim17ROCPRIM_400000_NS6detail17trampoline_kernelINS0_14default_configENS1_29binary_search_config_selectorIfiEEZNS1_14transform_implILb0ES3_S5_N6thrust23THRUST_200600_302600_NS6detail15normal_iteratorINS8_7pointerIfNS8_11hip_rocprim5par_tENS8_11use_defaultESE_EEEENSA_INSB_IiSD_SE_SE_EEEEZNS1_13binary_searchIS3_S5_NSA_INS8_10device_ptrIfEEEESG_SI_NS1_16binary_search_opENS9_16wrapped_functionINS8_6system6detail7generic6detail18binary_search_lessEbEEEE10hipError_tPvRmT1_T2_T3_mmT4_T5_P12ihipStream_tbEUlRKfE_EESV_SZ_S10_mS11_S14_bEUlT_E_NS1_11comp_targetILNS1_3genE8ELNS1_11target_archE1030ELNS1_3gpuE2ELNS1_3repE0EEENS1_30default_config_static_selectorELNS0_4arch9wavefront6targetE1EEEvSY_
; %bb.0:
	.section	.rodata,"a",@progbits
	.p2align	6, 0x0
	.amdhsa_kernel _ZN7rocprim17ROCPRIM_400000_NS6detail17trampoline_kernelINS0_14default_configENS1_29binary_search_config_selectorIfiEEZNS1_14transform_implILb0ES3_S5_N6thrust23THRUST_200600_302600_NS6detail15normal_iteratorINS8_7pointerIfNS8_11hip_rocprim5par_tENS8_11use_defaultESE_EEEENSA_INSB_IiSD_SE_SE_EEEEZNS1_13binary_searchIS3_S5_NSA_INS8_10device_ptrIfEEEESG_SI_NS1_16binary_search_opENS9_16wrapped_functionINS8_6system6detail7generic6detail18binary_search_lessEbEEEE10hipError_tPvRmT1_T2_T3_mmT4_T5_P12ihipStream_tbEUlRKfE_EESV_SZ_S10_mS11_S14_bEUlT_E_NS1_11comp_targetILNS1_3genE8ELNS1_11target_archE1030ELNS1_3gpuE2ELNS1_3repE0EEENS1_30default_config_static_selectorELNS0_4arch9wavefront6targetE1EEEvSY_
		.amdhsa_group_segment_fixed_size 0
		.amdhsa_private_segment_fixed_size 0
		.amdhsa_kernarg_size 56
		.amdhsa_user_sgpr_count 6
		.amdhsa_user_sgpr_private_segment_buffer 1
		.amdhsa_user_sgpr_dispatch_ptr 0
		.amdhsa_user_sgpr_queue_ptr 0
		.amdhsa_user_sgpr_kernarg_segment_ptr 1
		.amdhsa_user_sgpr_dispatch_id 0
		.amdhsa_user_sgpr_flat_scratch_init 0
		.amdhsa_user_sgpr_private_segment_size 0
		.amdhsa_uses_dynamic_stack 0
		.amdhsa_system_sgpr_private_segment_wavefront_offset 0
		.amdhsa_system_sgpr_workgroup_id_x 1
		.amdhsa_system_sgpr_workgroup_id_y 0
		.amdhsa_system_sgpr_workgroup_id_z 0
		.amdhsa_system_sgpr_workgroup_info 0
		.amdhsa_system_vgpr_workitem_id 0
		.amdhsa_next_free_vgpr 1
		.amdhsa_next_free_sgpr 0
		.amdhsa_reserve_vcc 0
		.amdhsa_reserve_flat_scratch 0
		.amdhsa_float_round_mode_32 0
		.amdhsa_float_round_mode_16_64 0
		.amdhsa_float_denorm_mode_32 3
		.amdhsa_float_denorm_mode_16_64 3
		.amdhsa_dx10_clamp 1
		.amdhsa_ieee_mode 1
		.amdhsa_fp16_overflow 0
		.amdhsa_exception_fp_ieee_invalid_op 0
		.amdhsa_exception_fp_denorm_src 0
		.amdhsa_exception_fp_ieee_div_zero 0
		.amdhsa_exception_fp_ieee_overflow 0
		.amdhsa_exception_fp_ieee_underflow 0
		.amdhsa_exception_fp_ieee_inexact 0
		.amdhsa_exception_int_div_zero 0
	.end_amdhsa_kernel
	.section	.text._ZN7rocprim17ROCPRIM_400000_NS6detail17trampoline_kernelINS0_14default_configENS1_29binary_search_config_selectorIfiEEZNS1_14transform_implILb0ES3_S5_N6thrust23THRUST_200600_302600_NS6detail15normal_iteratorINS8_7pointerIfNS8_11hip_rocprim5par_tENS8_11use_defaultESE_EEEENSA_INSB_IiSD_SE_SE_EEEEZNS1_13binary_searchIS3_S5_NSA_INS8_10device_ptrIfEEEESG_SI_NS1_16binary_search_opENS9_16wrapped_functionINS8_6system6detail7generic6detail18binary_search_lessEbEEEE10hipError_tPvRmT1_T2_T3_mmT4_T5_P12ihipStream_tbEUlRKfE_EESV_SZ_S10_mS11_S14_bEUlT_E_NS1_11comp_targetILNS1_3genE8ELNS1_11target_archE1030ELNS1_3gpuE2ELNS1_3repE0EEENS1_30default_config_static_selectorELNS0_4arch9wavefront6targetE1EEEvSY_,"axG",@progbits,_ZN7rocprim17ROCPRIM_400000_NS6detail17trampoline_kernelINS0_14default_configENS1_29binary_search_config_selectorIfiEEZNS1_14transform_implILb0ES3_S5_N6thrust23THRUST_200600_302600_NS6detail15normal_iteratorINS8_7pointerIfNS8_11hip_rocprim5par_tENS8_11use_defaultESE_EEEENSA_INSB_IiSD_SE_SE_EEEEZNS1_13binary_searchIS3_S5_NSA_INS8_10device_ptrIfEEEESG_SI_NS1_16binary_search_opENS9_16wrapped_functionINS8_6system6detail7generic6detail18binary_search_lessEbEEEE10hipError_tPvRmT1_T2_T3_mmT4_T5_P12ihipStream_tbEUlRKfE_EESV_SZ_S10_mS11_S14_bEUlT_E_NS1_11comp_targetILNS1_3genE8ELNS1_11target_archE1030ELNS1_3gpuE2ELNS1_3repE0EEENS1_30default_config_static_selectorELNS0_4arch9wavefront6targetE1EEEvSY_,comdat
.Lfunc_end661:
	.size	_ZN7rocprim17ROCPRIM_400000_NS6detail17trampoline_kernelINS0_14default_configENS1_29binary_search_config_selectorIfiEEZNS1_14transform_implILb0ES3_S5_N6thrust23THRUST_200600_302600_NS6detail15normal_iteratorINS8_7pointerIfNS8_11hip_rocprim5par_tENS8_11use_defaultESE_EEEENSA_INSB_IiSD_SE_SE_EEEEZNS1_13binary_searchIS3_S5_NSA_INS8_10device_ptrIfEEEESG_SI_NS1_16binary_search_opENS9_16wrapped_functionINS8_6system6detail7generic6detail18binary_search_lessEbEEEE10hipError_tPvRmT1_T2_T3_mmT4_T5_P12ihipStream_tbEUlRKfE_EESV_SZ_S10_mS11_S14_bEUlT_E_NS1_11comp_targetILNS1_3genE8ELNS1_11target_archE1030ELNS1_3gpuE2ELNS1_3repE0EEENS1_30default_config_static_selectorELNS0_4arch9wavefront6targetE1EEEvSY_, .Lfunc_end661-_ZN7rocprim17ROCPRIM_400000_NS6detail17trampoline_kernelINS0_14default_configENS1_29binary_search_config_selectorIfiEEZNS1_14transform_implILb0ES3_S5_N6thrust23THRUST_200600_302600_NS6detail15normal_iteratorINS8_7pointerIfNS8_11hip_rocprim5par_tENS8_11use_defaultESE_EEEENSA_INSB_IiSD_SE_SE_EEEEZNS1_13binary_searchIS3_S5_NSA_INS8_10device_ptrIfEEEESG_SI_NS1_16binary_search_opENS9_16wrapped_functionINS8_6system6detail7generic6detail18binary_search_lessEbEEEE10hipError_tPvRmT1_T2_T3_mmT4_T5_P12ihipStream_tbEUlRKfE_EESV_SZ_S10_mS11_S14_bEUlT_E_NS1_11comp_targetILNS1_3genE8ELNS1_11target_archE1030ELNS1_3gpuE2ELNS1_3repE0EEENS1_30default_config_static_selectorELNS0_4arch9wavefront6targetE1EEEvSY_
                                        ; -- End function
	.set _ZN7rocprim17ROCPRIM_400000_NS6detail17trampoline_kernelINS0_14default_configENS1_29binary_search_config_selectorIfiEEZNS1_14transform_implILb0ES3_S5_N6thrust23THRUST_200600_302600_NS6detail15normal_iteratorINS8_7pointerIfNS8_11hip_rocprim5par_tENS8_11use_defaultESE_EEEENSA_INSB_IiSD_SE_SE_EEEEZNS1_13binary_searchIS3_S5_NSA_INS8_10device_ptrIfEEEESG_SI_NS1_16binary_search_opENS9_16wrapped_functionINS8_6system6detail7generic6detail18binary_search_lessEbEEEE10hipError_tPvRmT1_T2_T3_mmT4_T5_P12ihipStream_tbEUlRKfE_EESV_SZ_S10_mS11_S14_bEUlT_E_NS1_11comp_targetILNS1_3genE8ELNS1_11target_archE1030ELNS1_3gpuE2ELNS1_3repE0EEENS1_30default_config_static_selectorELNS0_4arch9wavefront6targetE1EEEvSY_.num_vgpr, 0
	.set _ZN7rocprim17ROCPRIM_400000_NS6detail17trampoline_kernelINS0_14default_configENS1_29binary_search_config_selectorIfiEEZNS1_14transform_implILb0ES3_S5_N6thrust23THRUST_200600_302600_NS6detail15normal_iteratorINS8_7pointerIfNS8_11hip_rocprim5par_tENS8_11use_defaultESE_EEEENSA_INSB_IiSD_SE_SE_EEEEZNS1_13binary_searchIS3_S5_NSA_INS8_10device_ptrIfEEEESG_SI_NS1_16binary_search_opENS9_16wrapped_functionINS8_6system6detail7generic6detail18binary_search_lessEbEEEE10hipError_tPvRmT1_T2_T3_mmT4_T5_P12ihipStream_tbEUlRKfE_EESV_SZ_S10_mS11_S14_bEUlT_E_NS1_11comp_targetILNS1_3genE8ELNS1_11target_archE1030ELNS1_3gpuE2ELNS1_3repE0EEENS1_30default_config_static_selectorELNS0_4arch9wavefront6targetE1EEEvSY_.num_agpr, 0
	.set _ZN7rocprim17ROCPRIM_400000_NS6detail17trampoline_kernelINS0_14default_configENS1_29binary_search_config_selectorIfiEEZNS1_14transform_implILb0ES3_S5_N6thrust23THRUST_200600_302600_NS6detail15normal_iteratorINS8_7pointerIfNS8_11hip_rocprim5par_tENS8_11use_defaultESE_EEEENSA_INSB_IiSD_SE_SE_EEEEZNS1_13binary_searchIS3_S5_NSA_INS8_10device_ptrIfEEEESG_SI_NS1_16binary_search_opENS9_16wrapped_functionINS8_6system6detail7generic6detail18binary_search_lessEbEEEE10hipError_tPvRmT1_T2_T3_mmT4_T5_P12ihipStream_tbEUlRKfE_EESV_SZ_S10_mS11_S14_bEUlT_E_NS1_11comp_targetILNS1_3genE8ELNS1_11target_archE1030ELNS1_3gpuE2ELNS1_3repE0EEENS1_30default_config_static_selectorELNS0_4arch9wavefront6targetE1EEEvSY_.numbered_sgpr, 0
	.set _ZN7rocprim17ROCPRIM_400000_NS6detail17trampoline_kernelINS0_14default_configENS1_29binary_search_config_selectorIfiEEZNS1_14transform_implILb0ES3_S5_N6thrust23THRUST_200600_302600_NS6detail15normal_iteratorINS8_7pointerIfNS8_11hip_rocprim5par_tENS8_11use_defaultESE_EEEENSA_INSB_IiSD_SE_SE_EEEEZNS1_13binary_searchIS3_S5_NSA_INS8_10device_ptrIfEEEESG_SI_NS1_16binary_search_opENS9_16wrapped_functionINS8_6system6detail7generic6detail18binary_search_lessEbEEEE10hipError_tPvRmT1_T2_T3_mmT4_T5_P12ihipStream_tbEUlRKfE_EESV_SZ_S10_mS11_S14_bEUlT_E_NS1_11comp_targetILNS1_3genE8ELNS1_11target_archE1030ELNS1_3gpuE2ELNS1_3repE0EEENS1_30default_config_static_selectorELNS0_4arch9wavefront6targetE1EEEvSY_.num_named_barrier, 0
	.set _ZN7rocprim17ROCPRIM_400000_NS6detail17trampoline_kernelINS0_14default_configENS1_29binary_search_config_selectorIfiEEZNS1_14transform_implILb0ES3_S5_N6thrust23THRUST_200600_302600_NS6detail15normal_iteratorINS8_7pointerIfNS8_11hip_rocprim5par_tENS8_11use_defaultESE_EEEENSA_INSB_IiSD_SE_SE_EEEEZNS1_13binary_searchIS3_S5_NSA_INS8_10device_ptrIfEEEESG_SI_NS1_16binary_search_opENS9_16wrapped_functionINS8_6system6detail7generic6detail18binary_search_lessEbEEEE10hipError_tPvRmT1_T2_T3_mmT4_T5_P12ihipStream_tbEUlRKfE_EESV_SZ_S10_mS11_S14_bEUlT_E_NS1_11comp_targetILNS1_3genE8ELNS1_11target_archE1030ELNS1_3gpuE2ELNS1_3repE0EEENS1_30default_config_static_selectorELNS0_4arch9wavefront6targetE1EEEvSY_.private_seg_size, 0
	.set _ZN7rocprim17ROCPRIM_400000_NS6detail17trampoline_kernelINS0_14default_configENS1_29binary_search_config_selectorIfiEEZNS1_14transform_implILb0ES3_S5_N6thrust23THRUST_200600_302600_NS6detail15normal_iteratorINS8_7pointerIfNS8_11hip_rocprim5par_tENS8_11use_defaultESE_EEEENSA_INSB_IiSD_SE_SE_EEEEZNS1_13binary_searchIS3_S5_NSA_INS8_10device_ptrIfEEEESG_SI_NS1_16binary_search_opENS9_16wrapped_functionINS8_6system6detail7generic6detail18binary_search_lessEbEEEE10hipError_tPvRmT1_T2_T3_mmT4_T5_P12ihipStream_tbEUlRKfE_EESV_SZ_S10_mS11_S14_bEUlT_E_NS1_11comp_targetILNS1_3genE8ELNS1_11target_archE1030ELNS1_3gpuE2ELNS1_3repE0EEENS1_30default_config_static_selectorELNS0_4arch9wavefront6targetE1EEEvSY_.uses_vcc, 0
	.set _ZN7rocprim17ROCPRIM_400000_NS6detail17trampoline_kernelINS0_14default_configENS1_29binary_search_config_selectorIfiEEZNS1_14transform_implILb0ES3_S5_N6thrust23THRUST_200600_302600_NS6detail15normal_iteratorINS8_7pointerIfNS8_11hip_rocprim5par_tENS8_11use_defaultESE_EEEENSA_INSB_IiSD_SE_SE_EEEEZNS1_13binary_searchIS3_S5_NSA_INS8_10device_ptrIfEEEESG_SI_NS1_16binary_search_opENS9_16wrapped_functionINS8_6system6detail7generic6detail18binary_search_lessEbEEEE10hipError_tPvRmT1_T2_T3_mmT4_T5_P12ihipStream_tbEUlRKfE_EESV_SZ_S10_mS11_S14_bEUlT_E_NS1_11comp_targetILNS1_3genE8ELNS1_11target_archE1030ELNS1_3gpuE2ELNS1_3repE0EEENS1_30default_config_static_selectorELNS0_4arch9wavefront6targetE1EEEvSY_.uses_flat_scratch, 0
	.set _ZN7rocprim17ROCPRIM_400000_NS6detail17trampoline_kernelINS0_14default_configENS1_29binary_search_config_selectorIfiEEZNS1_14transform_implILb0ES3_S5_N6thrust23THRUST_200600_302600_NS6detail15normal_iteratorINS8_7pointerIfNS8_11hip_rocprim5par_tENS8_11use_defaultESE_EEEENSA_INSB_IiSD_SE_SE_EEEEZNS1_13binary_searchIS3_S5_NSA_INS8_10device_ptrIfEEEESG_SI_NS1_16binary_search_opENS9_16wrapped_functionINS8_6system6detail7generic6detail18binary_search_lessEbEEEE10hipError_tPvRmT1_T2_T3_mmT4_T5_P12ihipStream_tbEUlRKfE_EESV_SZ_S10_mS11_S14_bEUlT_E_NS1_11comp_targetILNS1_3genE8ELNS1_11target_archE1030ELNS1_3gpuE2ELNS1_3repE0EEENS1_30default_config_static_selectorELNS0_4arch9wavefront6targetE1EEEvSY_.has_dyn_sized_stack, 0
	.set _ZN7rocprim17ROCPRIM_400000_NS6detail17trampoline_kernelINS0_14default_configENS1_29binary_search_config_selectorIfiEEZNS1_14transform_implILb0ES3_S5_N6thrust23THRUST_200600_302600_NS6detail15normal_iteratorINS8_7pointerIfNS8_11hip_rocprim5par_tENS8_11use_defaultESE_EEEENSA_INSB_IiSD_SE_SE_EEEEZNS1_13binary_searchIS3_S5_NSA_INS8_10device_ptrIfEEEESG_SI_NS1_16binary_search_opENS9_16wrapped_functionINS8_6system6detail7generic6detail18binary_search_lessEbEEEE10hipError_tPvRmT1_T2_T3_mmT4_T5_P12ihipStream_tbEUlRKfE_EESV_SZ_S10_mS11_S14_bEUlT_E_NS1_11comp_targetILNS1_3genE8ELNS1_11target_archE1030ELNS1_3gpuE2ELNS1_3repE0EEENS1_30default_config_static_selectorELNS0_4arch9wavefront6targetE1EEEvSY_.has_recursion, 0
	.set _ZN7rocprim17ROCPRIM_400000_NS6detail17trampoline_kernelINS0_14default_configENS1_29binary_search_config_selectorIfiEEZNS1_14transform_implILb0ES3_S5_N6thrust23THRUST_200600_302600_NS6detail15normal_iteratorINS8_7pointerIfNS8_11hip_rocprim5par_tENS8_11use_defaultESE_EEEENSA_INSB_IiSD_SE_SE_EEEEZNS1_13binary_searchIS3_S5_NSA_INS8_10device_ptrIfEEEESG_SI_NS1_16binary_search_opENS9_16wrapped_functionINS8_6system6detail7generic6detail18binary_search_lessEbEEEE10hipError_tPvRmT1_T2_T3_mmT4_T5_P12ihipStream_tbEUlRKfE_EESV_SZ_S10_mS11_S14_bEUlT_E_NS1_11comp_targetILNS1_3genE8ELNS1_11target_archE1030ELNS1_3gpuE2ELNS1_3repE0EEENS1_30default_config_static_selectorELNS0_4arch9wavefront6targetE1EEEvSY_.has_indirect_call, 0
	.section	.AMDGPU.csdata,"",@progbits
; Kernel info:
; codeLenInByte = 0
; TotalNumSgprs: 4
; NumVgprs: 0
; ScratchSize: 0
; MemoryBound: 0
; FloatMode: 240
; IeeeMode: 1
; LDSByteSize: 0 bytes/workgroup (compile time only)
; SGPRBlocks: 0
; VGPRBlocks: 0
; NumSGPRsForWavesPerEU: 4
; NumVGPRsForWavesPerEU: 1
; Occupancy: 10
; WaveLimiterHint : 0
; COMPUTE_PGM_RSRC2:SCRATCH_EN: 0
; COMPUTE_PGM_RSRC2:USER_SGPR: 6
; COMPUTE_PGM_RSRC2:TRAP_HANDLER: 0
; COMPUTE_PGM_RSRC2:TGID_X_EN: 1
; COMPUTE_PGM_RSRC2:TGID_Y_EN: 0
; COMPUTE_PGM_RSRC2:TGID_Z_EN: 0
; COMPUTE_PGM_RSRC2:TIDIG_COMP_CNT: 0
	.section	.text._ZN7rocprim17ROCPRIM_400000_NS6detail17trampoline_kernelINS0_14default_configENS1_29binary_search_config_selectorIyiEEZNS1_14transform_implILb0ES3_S5_N6thrust23THRUST_200600_302600_NS6detail15normal_iteratorINS8_7pointerIyNS8_11hip_rocprim5par_tENS8_11use_defaultESE_EEEENSA_INSB_IiSD_SE_SE_EEEEZNS1_13binary_searchIS3_S5_NSA_INS8_10device_ptrIyEEEESG_SI_NS1_16binary_search_opENS9_16wrapped_functionINS8_6system6detail7generic6detail18binary_search_lessEbEEEE10hipError_tPvRmT1_T2_T3_mmT4_T5_P12ihipStream_tbEUlRKyE_EESV_SZ_S10_mS11_S14_bEUlT_E_NS1_11comp_targetILNS1_3genE0ELNS1_11target_archE4294967295ELNS1_3gpuE0ELNS1_3repE0EEENS1_30default_config_static_selectorELNS0_4arch9wavefront6targetE1EEEvSY_,"axG",@progbits,_ZN7rocprim17ROCPRIM_400000_NS6detail17trampoline_kernelINS0_14default_configENS1_29binary_search_config_selectorIyiEEZNS1_14transform_implILb0ES3_S5_N6thrust23THRUST_200600_302600_NS6detail15normal_iteratorINS8_7pointerIyNS8_11hip_rocprim5par_tENS8_11use_defaultESE_EEEENSA_INSB_IiSD_SE_SE_EEEEZNS1_13binary_searchIS3_S5_NSA_INS8_10device_ptrIyEEEESG_SI_NS1_16binary_search_opENS9_16wrapped_functionINS8_6system6detail7generic6detail18binary_search_lessEbEEEE10hipError_tPvRmT1_T2_T3_mmT4_T5_P12ihipStream_tbEUlRKyE_EESV_SZ_S10_mS11_S14_bEUlT_E_NS1_11comp_targetILNS1_3genE0ELNS1_11target_archE4294967295ELNS1_3gpuE0ELNS1_3repE0EEENS1_30default_config_static_selectorELNS0_4arch9wavefront6targetE1EEEvSY_,comdat
	.protected	_ZN7rocprim17ROCPRIM_400000_NS6detail17trampoline_kernelINS0_14default_configENS1_29binary_search_config_selectorIyiEEZNS1_14transform_implILb0ES3_S5_N6thrust23THRUST_200600_302600_NS6detail15normal_iteratorINS8_7pointerIyNS8_11hip_rocprim5par_tENS8_11use_defaultESE_EEEENSA_INSB_IiSD_SE_SE_EEEEZNS1_13binary_searchIS3_S5_NSA_INS8_10device_ptrIyEEEESG_SI_NS1_16binary_search_opENS9_16wrapped_functionINS8_6system6detail7generic6detail18binary_search_lessEbEEEE10hipError_tPvRmT1_T2_T3_mmT4_T5_P12ihipStream_tbEUlRKyE_EESV_SZ_S10_mS11_S14_bEUlT_E_NS1_11comp_targetILNS1_3genE0ELNS1_11target_archE4294967295ELNS1_3gpuE0ELNS1_3repE0EEENS1_30default_config_static_selectorELNS0_4arch9wavefront6targetE1EEEvSY_ ; -- Begin function _ZN7rocprim17ROCPRIM_400000_NS6detail17trampoline_kernelINS0_14default_configENS1_29binary_search_config_selectorIyiEEZNS1_14transform_implILb0ES3_S5_N6thrust23THRUST_200600_302600_NS6detail15normal_iteratorINS8_7pointerIyNS8_11hip_rocprim5par_tENS8_11use_defaultESE_EEEENSA_INSB_IiSD_SE_SE_EEEEZNS1_13binary_searchIS3_S5_NSA_INS8_10device_ptrIyEEEESG_SI_NS1_16binary_search_opENS9_16wrapped_functionINS8_6system6detail7generic6detail18binary_search_lessEbEEEE10hipError_tPvRmT1_T2_T3_mmT4_T5_P12ihipStream_tbEUlRKyE_EESV_SZ_S10_mS11_S14_bEUlT_E_NS1_11comp_targetILNS1_3genE0ELNS1_11target_archE4294967295ELNS1_3gpuE0ELNS1_3repE0EEENS1_30default_config_static_selectorELNS0_4arch9wavefront6targetE1EEEvSY_
	.globl	_ZN7rocprim17ROCPRIM_400000_NS6detail17trampoline_kernelINS0_14default_configENS1_29binary_search_config_selectorIyiEEZNS1_14transform_implILb0ES3_S5_N6thrust23THRUST_200600_302600_NS6detail15normal_iteratorINS8_7pointerIyNS8_11hip_rocprim5par_tENS8_11use_defaultESE_EEEENSA_INSB_IiSD_SE_SE_EEEEZNS1_13binary_searchIS3_S5_NSA_INS8_10device_ptrIyEEEESG_SI_NS1_16binary_search_opENS9_16wrapped_functionINS8_6system6detail7generic6detail18binary_search_lessEbEEEE10hipError_tPvRmT1_T2_T3_mmT4_T5_P12ihipStream_tbEUlRKyE_EESV_SZ_S10_mS11_S14_bEUlT_E_NS1_11comp_targetILNS1_3genE0ELNS1_11target_archE4294967295ELNS1_3gpuE0ELNS1_3repE0EEENS1_30default_config_static_selectorELNS0_4arch9wavefront6targetE1EEEvSY_
	.p2align	8
	.type	_ZN7rocprim17ROCPRIM_400000_NS6detail17trampoline_kernelINS0_14default_configENS1_29binary_search_config_selectorIyiEEZNS1_14transform_implILb0ES3_S5_N6thrust23THRUST_200600_302600_NS6detail15normal_iteratorINS8_7pointerIyNS8_11hip_rocprim5par_tENS8_11use_defaultESE_EEEENSA_INSB_IiSD_SE_SE_EEEEZNS1_13binary_searchIS3_S5_NSA_INS8_10device_ptrIyEEEESG_SI_NS1_16binary_search_opENS9_16wrapped_functionINS8_6system6detail7generic6detail18binary_search_lessEbEEEE10hipError_tPvRmT1_T2_T3_mmT4_T5_P12ihipStream_tbEUlRKyE_EESV_SZ_S10_mS11_S14_bEUlT_E_NS1_11comp_targetILNS1_3genE0ELNS1_11target_archE4294967295ELNS1_3gpuE0ELNS1_3repE0EEENS1_30default_config_static_selectorELNS0_4arch9wavefront6targetE1EEEvSY_,@function
_ZN7rocprim17ROCPRIM_400000_NS6detail17trampoline_kernelINS0_14default_configENS1_29binary_search_config_selectorIyiEEZNS1_14transform_implILb0ES3_S5_N6thrust23THRUST_200600_302600_NS6detail15normal_iteratorINS8_7pointerIyNS8_11hip_rocprim5par_tENS8_11use_defaultESE_EEEENSA_INSB_IiSD_SE_SE_EEEEZNS1_13binary_searchIS3_S5_NSA_INS8_10device_ptrIyEEEESG_SI_NS1_16binary_search_opENS9_16wrapped_functionINS8_6system6detail7generic6detail18binary_search_lessEbEEEE10hipError_tPvRmT1_T2_T3_mmT4_T5_P12ihipStream_tbEUlRKyE_EESV_SZ_S10_mS11_S14_bEUlT_E_NS1_11comp_targetILNS1_3genE0ELNS1_11target_archE4294967295ELNS1_3gpuE0ELNS1_3repE0EEENS1_30default_config_static_selectorELNS0_4arch9wavefront6targetE1EEEvSY_: ; @_ZN7rocprim17ROCPRIM_400000_NS6detail17trampoline_kernelINS0_14default_configENS1_29binary_search_config_selectorIyiEEZNS1_14transform_implILb0ES3_S5_N6thrust23THRUST_200600_302600_NS6detail15normal_iteratorINS8_7pointerIyNS8_11hip_rocprim5par_tENS8_11use_defaultESE_EEEENSA_INSB_IiSD_SE_SE_EEEEZNS1_13binary_searchIS3_S5_NSA_INS8_10device_ptrIyEEEESG_SI_NS1_16binary_search_opENS9_16wrapped_functionINS8_6system6detail7generic6detail18binary_search_lessEbEEEE10hipError_tPvRmT1_T2_T3_mmT4_T5_P12ihipStream_tbEUlRKyE_EESV_SZ_S10_mS11_S14_bEUlT_E_NS1_11comp_targetILNS1_3genE0ELNS1_11target_archE4294967295ELNS1_3gpuE0ELNS1_3repE0EEENS1_30default_config_static_selectorELNS0_4arch9wavefront6targetE1EEEvSY_
; %bb.0:
	.section	.rodata,"a",@progbits
	.p2align	6, 0x0
	.amdhsa_kernel _ZN7rocprim17ROCPRIM_400000_NS6detail17trampoline_kernelINS0_14default_configENS1_29binary_search_config_selectorIyiEEZNS1_14transform_implILb0ES3_S5_N6thrust23THRUST_200600_302600_NS6detail15normal_iteratorINS8_7pointerIyNS8_11hip_rocprim5par_tENS8_11use_defaultESE_EEEENSA_INSB_IiSD_SE_SE_EEEEZNS1_13binary_searchIS3_S5_NSA_INS8_10device_ptrIyEEEESG_SI_NS1_16binary_search_opENS9_16wrapped_functionINS8_6system6detail7generic6detail18binary_search_lessEbEEEE10hipError_tPvRmT1_T2_T3_mmT4_T5_P12ihipStream_tbEUlRKyE_EESV_SZ_S10_mS11_S14_bEUlT_E_NS1_11comp_targetILNS1_3genE0ELNS1_11target_archE4294967295ELNS1_3gpuE0ELNS1_3repE0EEENS1_30default_config_static_selectorELNS0_4arch9wavefront6targetE1EEEvSY_
		.amdhsa_group_segment_fixed_size 0
		.amdhsa_private_segment_fixed_size 0
		.amdhsa_kernarg_size 56
		.amdhsa_user_sgpr_count 6
		.amdhsa_user_sgpr_private_segment_buffer 1
		.amdhsa_user_sgpr_dispatch_ptr 0
		.amdhsa_user_sgpr_queue_ptr 0
		.amdhsa_user_sgpr_kernarg_segment_ptr 1
		.amdhsa_user_sgpr_dispatch_id 0
		.amdhsa_user_sgpr_flat_scratch_init 0
		.amdhsa_user_sgpr_private_segment_size 0
		.amdhsa_uses_dynamic_stack 0
		.amdhsa_system_sgpr_private_segment_wavefront_offset 0
		.amdhsa_system_sgpr_workgroup_id_x 1
		.amdhsa_system_sgpr_workgroup_id_y 0
		.amdhsa_system_sgpr_workgroup_id_z 0
		.amdhsa_system_sgpr_workgroup_info 0
		.amdhsa_system_vgpr_workitem_id 0
		.amdhsa_next_free_vgpr 1
		.amdhsa_next_free_sgpr 0
		.amdhsa_reserve_vcc 0
		.amdhsa_reserve_flat_scratch 0
		.amdhsa_float_round_mode_32 0
		.amdhsa_float_round_mode_16_64 0
		.amdhsa_float_denorm_mode_32 3
		.amdhsa_float_denorm_mode_16_64 3
		.amdhsa_dx10_clamp 1
		.amdhsa_ieee_mode 1
		.amdhsa_fp16_overflow 0
		.amdhsa_exception_fp_ieee_invalid_op 0
		.amdhsa_exception_fp_denorm_src 0
		.amdhsa_exception_fp_ieee_div_zero 0
		.amdhsa_exception_fp_ieee_overflow 0
		.amdhsa_exception_fp_ieee_underflow 0
		.amdhsa_exception_fp_ieee_inexact 0
		.amdhsa_exception_int_div_zero 0
	.end_amdhsa_kernel
	.section	.text._ZN7rocprim17ROCPRIM_400000_NS6detail17trampoline_kernelINS0_14default_configENS1_29binary_search_config_selectorIyiEEZNS1_14transform_implILb0ES3_S5_N6thrust23THRUST_200600_302600_NS6detail15normal_iteratorINS8_7pointerIyNS8_11hip_rocprim5par_tENS8_11use_defaultESE_EEEENSA_INSB_IiSD_SE_SE_EEEEZNS1_13binary_searchIS3_S5_NSA_INS8_10device_ptrIyEEEESG_SI_NS1_16binary_search_opENS9_16wrapped_functionINS8_6system6detail7generic6detail18binary_search_lessEbEEEE10hipError_tPvRmT1_T2_T3_mmT4_T5_P12ihipStream_tbEUlRKyE_EESV_SZ_S10_mS11_S14_bEUlT_E_NS1_11comp_targetILNS1_3genE0ELNS1_11target_archE4294967295ELNS1_3gpuE0ELNS1_3repE0EEENS1_30default_config_static_selectorELNS0_4arch9wavefront6targetE1EEEvSY_,"axG",@progbits,_ZN7rocprim17ROCPRIM_400000_NS6detail17trampoline_kernelINS0_14default_configENS1_29binary_search_config_selectorIyiEEZNS1_14transform_implILb0ES3_S5_N6thrust23THRUST_200600_302600_NS6detail15normal_iteratorINS8_7pointerIyNS8_11hip_rocprim5par_tENS8_11use_defaultESE_EEEENSA_INSB_IiSD_SE_SE_EEEEZNS1_13binary_searchIS3_S5_NSA_INS8_10device_ptrIyEEEESG_SI_NS1_16binary_search_opENS9_16wrapped_functionINS8_6system6detail7generic6detail18binary_search_lessEbEEEE10hipError_tPvRmT1_T2_T3_mmT4_T5_P12ihipStream_tbEUlRKyE_EESV_SZ_S10_mS11_S14_bEUlT_E_NS1_11comp_targetILNS1_3genE0ELNS1_11target_archE4294967295ELNS1_3gpuE0ELNS1_3repE0EEENS1_30default_config_static_selectorELNS0_4arch9wavefront6targetE1EEEvSY_,comdat
.Lfunc_end662:
	.size	_ZN7rocprim17ROCPRIM_400000_NS6detail17trampoline_kernelINS0_14default_configENS1_29binary_search_config_selectorIyiEEZNS1_14transform_implILb0ES3_S5_N6thrust23THRUST_200600_302600_NS6detail15normal_iteratorINS8_7pointerIyNS8_11hip_rocprim5par_tENS8_11use_defaultESE_EEEENSA_INSB_IiSD_SE_SE_EEEEZNS1_13binary_searchIS3_S5_NSA_INS8_10device_ptrIyEEEESG_SI_NS1_16binary_search_opENS9_16wrapped_functionINS8_6system6detail7generic6detail18binary_search_lessEbEEEE10hipError_tPvRmT1_T2_T3_mmT4_T5_P12ihipStream_tbEUlRKyE_EESV_SZ_S10_mS11_S14_bEUlT_E_NS1_11comp_targetILNS1_3genE0ELNS1_11target_archE4294967295ELNS1_3gpuE0ELNS1_3repE0EEENS1_30default_config_static_selectorELNS0_4arch9wavefront6targetE1EEEvSY_, .Lfunc_end662-_ZN7rocprim17ROCPRIM_400000_NS6detail17trampoline_kernelINS0_14default_configENS1_29binary_search_config_selectorIyiEEZNS1_14transform_implILb0ES3_S5_N6thrust23THRUST_200600_302600_NS6detail15normal_iteratorINS8_7pointerIyNS8_11hip_rocprim5par_tENS8_11use_defaultESE_EEEENSA_INSB_IiSD_SE_SE_EEEEZNS1_13binary_searchIS3_S5_NSA_INS8_10device_ptrIyEEEESG_SI_NS1_16binary_search_opENS9_16wrapped_functionINS8_6system6detail7generic6detail18binary_search_lessEbEEEE10hipError_tPvRmT1_T2_T3_mmT4_T5_P12ihipStream_tbEUlRKyE_EESV_SZ_S10_mS11_S14_bEUlT_E_NS1_11comp_targetILNS1_3genE0ELNS1_11target_archE4294967295ELNS1_3gpuE0ELNS1_3repE0EEENS1_30default_config_static_selectorELNS0_4arch9wavefront6targetE1EEEvSY_
                                        ; -- End function
	.set _ZN7rocprim17ROCPRIM_400000_NS6detail17trampoline_kernelINS0_14default_configENS1_29binary_search_config_selectorIyiEEZNS1_14transform_implILb0ES3_S5_N6thrust23THRUST_200600_302600_NS6detail15normal_iteratorINS8_7pointerIyNS8_11hip_rocprim5par_tENS8_11use_defaultESE_EEEENSA_INSB_IiSD_SE_SE_EEEEZNS1_13binary_searchIS3_S5_NSA_INS8_10device_ptrIyEEEESG_SI_NS1_16binary_search_opENS9_16wrapped_functionINS8_6system6detail7generic6detail18binary_search_lessEbEEEE10hipError_tPvRmT1_T2_T3_mmT4_T5_P12ihipStream_tbEUlRKyE_EESV_SZ_S10_mS11_S14_bEUlT_E_NS1_11comp_targetILNS1_3genE0ELNS1_11target_archE4294967295ELNS1_3gpuE0ELNS1_3repE0EEENS1_30default_config_static_selectorELNS0_4arch9wavefront6targetE1EEEvSY_.num_vgpr, 0
	.set _ZN7rocprim17ROCPRIM_400000_NS6detail17trampoline_kernelINS0_14default_configENS1_29binary_search_config_selectorIyiEEZNS1_14transform_implILb0ES3_S5_N6thrust23THRUST_200600_302600_NS6detail15normal_iteratorINS8_7pointerIyNS8_11hip_rocprim5par_tENS8_11use_defaultESE_EEEENSA_INSB_IiSD_SE_SE_EEEEZNS1_13binary_searchIS3_S5_NSA_INS8_10device_ptrIyEEEESG_SI_NS1_16binary_search_opENS9_16wrapped_functionINS8_6system6detail7generic6detail18binary_search_lessEbEEEE10hipError_tPvRmT1_T2_T3_mmT4_T5_P12ihipStream_tbEUlRKyE_EESV_SZ_S10_mS11_S14_bEUlT_E_NS1_11comp_targetILNS1_3genE0ELNS1_11target_archE4294967295ELNS1_3gpuE0ELNS1_3repE0EEENS1_30default_config_static_selectorELNS0_4arch9wavefront6targetE1EEEvSY_.num_agpr, 0
	.set _ZN7rocprim17ROCPRIM_400000_NS6detail17trampoline_kernelINS0_14default_configENS1_29binary_search_config_selectorIyiEEZNS1_14transform_implILb0ES3_S5_N6thrust23THRUST_200600_302600_NS6detail15normal_iteratorINS8_7pointerIyNS8_11hip_rocprim5par_tENS8_11use_defaultESE_EEEENSA_INSB_IiSD_SE_SE_EEEEZNS1_13binary_searchIS3_S5_NSA_INS8_10device_ptrIyEEEESG_SI_NS1_16binary_search_opENS9_16wrapped_functionINS8_6system6detail7generic6detail18binary_search_lessEbEEEE10hipError_tPvRmT1_T2_T3_mmT4_T5_P12ihipStream_tbEUlRKyE_EESV_SZ_S10_mS11_S14_bEUlT_E_NS1_11comp_targetILNS1_3genE0ELNS1_11target_archE4294967295ELNS1_3gpuE0ELNS1_3repE0EEENS1_30default_config_static_selectorELNS0_4arch9wavefront6targetE1EEEvSY_.numbered_sgpr, 0
	.set _ZN7rocprim17ROCPRIM_400000_NS6detail17trampoline_kernelINS0_14default_configENS1_29binary_search_config_selectorIyiEEZNS1_14transform_implILb0ES3_S5_N6thrust23THRUST_200600_302600_NS6detail15normal_iteratorINS8_7pointerIyNS8_11hip_rocprim5par_tENS8_11use_defaultESE_EEEENSA_INSB_IiSD_SE_SE_EEEEZNS1_13binary_searchIS3_S5_NSA_INS8_10device_ptrIyEEEESG_SI_NS1_16binary_search_opENS9_16wrapped_functionINS8_6system6detail7generic6detail18binary_search_lessEbEEEE10hipError_tPvRmT1_T2_T3_mmT4_T5_P12ihipStream_tbEUlRKyE_EESV_SZ_S10_mS11_S14_bEUlT_E_NS1_11comp_targetILNS1_3genE0ELNS1_11target_archE4294967295ELNS1_3gpuE0ELNS1_3repE0EEENS1_30default_config_static_selectorELNS0_4arch9wavefront6targetE1EEEvSY_.num_named_barrier, 0
	.set _ZN7rocprim17ROCPRIM_400000_NS6detail17trampoline_kernelINS0_14default_configENS1_29binary_search_config_selectorIyiEEZNS1_14transform_implILb0ES3_S5_N6thrust23THRUST_200600_302600_NS6detail15normal_iteratorINS8_7pointerIyNS8_11hip_rocprim5par_tENS8_11use_defaultESE_EEEENSA_INSB_IiSD_SE_SE_EEEEZNS1_13binary_searchIS3_S5_NSA_INS8_10device_ptrIyEEEESG_SI_NS1_16binary_search_opENS9_16wrapped_functionINS8_6system6detail7generic6detail18binary_search_lessEbEEEE10hipError_tPvRmT1_T2_T3_mmT4_T5_P12ihipStream_tbEUlRKyE_EESV_SZ_S10_mS11_S14_bEUlT_E_NS1_11comp_targetILNS1_3genE0ELNS1_11target_archE4294967295ELNS1_3gpuE0ELNS1_3repE0EEENS1_30default_config_static_selectorELNS0_4arch9wavefront6targetE1EEEvSY_.private_seg_size, 0
	.set _ZN7rocprim17ROCPRIM_400000_NS6detail17trampoline_kernelINS0_14default_configENS1_29binary_search_config_selectorIyiEEZNS1_14transform_implILb0ES3_S5_N6thrust23THRUST_200600_302600_NS6detail15normal_iteratorINS8_7pointerIyNS8_11hip_rocprim5par_tENS8_11use_defaultESE_EEEENSA_INSB_IiSD_SE_SE_EEEEZNS1_13binary_searchIS3_S5_NSA_INS8_10device_ptrIyEEEESG_SI_NS1_16binary_search_opENS9_16wrapped_functionINS8_6system6detail7generic6detail18binary_search_lessEbEEEE10hipError_tPvRmT1_T2_T3_mmT4_T5_P12ihipStream_tbEUlRKyE_EESV_SZ_S10_mS11_S14_bEUlT_E_NS1_11comp_targetILNS1_3genE0ELNS1_11target_archE4294967295ELNS1_3gpuE0ELNS1_3repE0EEENS1_30default_config_static_selectorELNS0_4arch9wavefront6targetE1EEEvSY_.uses_vcc, 0
	.set _ZN7rocprim17ROCPRIM_400000_NS6detail17trampoline_kernelINS0_14default_configENS1_29binary_search_config_selectorIyiEEZNS1_14transform_implILb0ES3_S5_N6thrust23THRUST_200600_302600_NS6detail15normal_iteratorINS8_7pointerIyNS8_11hip_rocprim5par_tENS8_11use_defaultESE_EEEENSA_INSB_IiSD_SE_SE_EEEEZNS1_13binary_searchIS3_S5_NSA_INS8_10device_ptrIyEEEESG_SI_NS1_16binary_search_opENS9_16wrapped_functionINS8_6system6detail7generic6detail18binary_search_lessEbEEEE10hipError_tPvRmT1_T2_T3_mmT4_T5_P12ihipStream_tbEUlRKyE_EESV_SZ_S10_mS11_S14_bEUlT_E_NS1_11comp_targetILNS1_3genE0ELNS1_11target_archE4294967295ELNS1_3gpuE0ELNS1_3repE0EEENS1_30default_config_static_selectorELNS0_4arch9wavefront6targetE1EEEvSY_.uses_flat_scratch, 0
	.set _ZN7rocprim17ROCPRIM_400000_NS6detail17trampoline_kernelINS0_14default_configENS1_29binary_search_config_selectorIyiEEZNS1_14transform_implILb0ES3_S5_N6thrust23THRUST_200600_302600_NS6detail15normal_iteratorINS8_7pointerIyNS8_11hip_rocprim5par_tENS8_11use_defaultESE_EEEENSA_INSB_IiSD_SE_SE_EEEEZNS1_13binary_searchIS3_S5_NSA_INS8_10device_ptrIyEEEESG_SI_NS1_16binary_search_opENS9_16wrapped_functionINS8_6system6detail7generic6detail18binary_search_lessEbEEEE10hipError_tPvRmT1_T2_T3_mmT4_T5_P12ihipStream_tbEUlRKyE_EESV_SZ_S10_mS11_S14_bEUlT_E_NS1_11comp_targetILNS1_3genE0ELNS1_11target_archE4294967295ELNS1_3gpuE0ELNS1_3repE0EEENS1_30default_config_static_selectorELNS0_4arch9wavefront6targetE1EEEvSY_.has_dyn_sized_stack, 0
	.set _ZN7rocprim17ROCPRIM_400000_NS6detail17trampoline_kernelINS0_14default_configENS1_29binary_search_config_selectorIyiEEZNS1_14transform_implILb0ES3_S5_N6thrust23THRUST_200600_302600_NS6detail15normal_iteratorINS8_7pointerIyNS8_11hip_rocprim5par_tENS8_11use_defaultESE_EEEENSA_INSB_IiSD_SE_SE_EEEEZNS1_13binary_searchIS3_S5_NSA_INS8_10device_ptrIyEEEESG_SI_NS1_16binary_search_opENS9_16wrapped_functionINS8_6system6detail7generic6detail18binary_search_lessEbEEEE10hipError_tPvRmT1_T2_T3_mmT4_T5_P12ihipStream_tbEUlRKyE_EESV_SZ_S10_mS11_S14_bEUlT_E_NS1_11comp_targetILNS1_3genE0ELNS1_11target_archE4294967295ELNS1_3gpuE0ELNS1_3repE0EEENS1_30default_config_static_selectorELNS0_4arch9wavefront6targetE1EEEvSY_.has_recursion, 0
	.set _ZN7rocprim17ROCPRIM_400000_NS6detail17trampoline_kernelINS0_14default_configENS1_29binary_search_config_selectorIyiEEZNS1_14transform_implILb0ES3_S5_N6thrust23THRUST_200600_302600_NS6detail15normal_iteratorINS8_7pointerIyNS8_11hip_rocprim5par_tENS8_11use_defaultESE_EEEENSA_INSB_IiSD_SE_SE_EEEEZNS1_13binary_searchIS3_S5_NSA_INS8_10device_ptrIyEEEESG_SI_NS1_16binary_search_opENS9_16wrapped_functionINS8_6system6detail7generic6detail18binary_search_lessEbEEEE10hipError_tPvRmT1_T2_T3_mmT4_T5_P12ihipStream_tbEUlRKyE_EESV_SZ_S10_mS11_S14_bEUlT_E_NS1_11comp_targetILNS1_3genE0ELNS1_11target_archE4294967295ELNS1_3gpuE0ELNS1_3repE0EEENS1_30default_config_static_selectorELNS0_4arch9wavefront6targetE1EEEvSY_.has_indirect_call, 0
	.section	.AMDGPU.csdata,"",@progbits
; Kernel info:
; codeLenInByte = 0
; TotalNumSgprs: 4
; NumVgprs: 0
; ScratchSize: 0
; MemoryBound: 0
; FloatMode: 240
; IeeeMode: 1
; LDSByteSize: 0 bytes/workgroup (compile time only)
; SGPRBlocks: 0
; VGPRBlocks: 0
; NumSGPRsForWavesPerEU: 4
; NumVGPRsForWavesPerEU: 1
; Occupancy: 10
; WaveLimiterHint : 0
; COMPUTE_PGM_RSRC2:SCRATCH_EN: 0
; COMPUTE_PGM_RSRC2:USER_SGPR: 6
; COMPUTE_PGM_RSRC2:TRAP_HANDLER: 0
; COMPUTE_PGM_RSRC2:TGID_X_EN: 1
; COMPUTE_PGM_RSRC2:TGID_Y_EN: 0
; COMPUTE_PGM_RSRC2:TGID_Z_EN: 0
; COMPUTE_PGM_RSRC2:TIDIG_COMP_CNT: 0
	.section	.text._ZN7rocprim17ROCPRIM_400000_NS6detail17trampoline_kernelINS0_14default_configENS1_29binary_search_config_selectorIyiEEZNS1_14transform_implILb0ES3_S5_N6thrust23THRUST_200600_302600_NS6detail15normal_iteratorINS8_7pointerIyNS8_11hip_rocprim5par_tENS8_11use_defaultESE_EEEENSA_INSB_IiSD_SE_SE_EEEEZNS1_13binary_searchIS3_S5_NSA_INS8_10device_ptrIyEEEESG_SI_NS1_16binary_search_opENS9_16wrapped_functionINS8_6system6detail7generic6detail18binary_search_lessEbEEEE10hipError_tPvRmT1_T2_T3_mmT4_T5_P12ihipStream_tbEUlRKyE_EESV_SZ_S10_mS11_S14_bEUlT_E_NS1_11comp_targetILNS1_3genE5ELNS1_11target_archE942ELNS1_3gpuE9ELNS1_3repE0EEENS1_30default_config_static_selectorELNS0_4arch9wavefront6targetE1EEEvSY_,"axG",@progbits,_ZN7rocprim17ROCPRIM_400000_NS6detail17trampoline_kernelINS0_14default_configENS1_29binary_search_config_selectorIyiEEZNS1_14transform_implILb0ES3_S5_N6thrust23THRUST_200600_302600_NS6detail15normal_iteratorINS8_7pointerIyNS8_11hip_rocprim5par_tENS8_11use_defaultESE_EEEENSA_INSB_IiSD_SE_SE_EEEEZNS1_13binary_searchIS3_S5_NSA_INS8_10device_ptrIyEEEESG_SI_NS1_16binary_search_opENS9_16wrapped_functionINS8_6system6detail7generic6detail18binary_search_lessEbEEEE10hipError_tPvRmT1_T2_T3_mmT4_T5_P12ihipStream_tbEUlRKyE_EESV_SZ_S10_mS11_S14_bEUlT_E_NS1_11comp_targetILNS1_3genE5ELNS1_11target_archE942ELNS1_3gpuE9ELNS1_3repE0EEENS1_30default_config_static_selectorELNS0_4arch9wavefront6targetE1EEEvSY_,comdat
	.protected	_ZN7rocprim17ROCPRIM_400000_NS6detail17trampoline_kernelINS0_14default_configENS1_29binary_search_config_selectorIyiEEZNS1_14transform_implILb0ES3_S5_N6thrust23THRUST_200600_302600_NS6detail15normal_iteratorINS8_7pointerIyNS8_11hip_rocprim5par_tENS8_11use_defaultESE_EEEENSA_INSB_IiSD_SE_SE_EEEEZNS1_13binary_searchIS3_S5_NSA_INS8_10device_ptrIyEEEESG_SI_NS1_16binary_search_opENS9_16wrapped_functionINS8_6system6detail7generic6detail18binary_search_lessEbEEEE10hipError_tPvRmT1_T2_T3_mmT4_T5_P12ihipStream_tbEUlRKyE_EESV_SZ_S10_mS11_S14_bEUlT_E_NS1_11comp_targetILNS1_3genE5ELNS1_11target_archE942ELNS1_3gpuE9ELNS1_3repE0EEENS1_30default_config_static_selectorELNS0_4arch9wavefront6targetE1EEEvSY_ ; -- Begin function _ZN7rocprim17ROCPRIM_400000_NS6detail17trampoline_kernelINS0_14default_configENS1_29binary_search_config_selectorIyiEEZNS1_14transform_implILb0ES3_S5_N6thrust23THRUST_200600_302600_NS6detail15normal_iteratorINS8_7pointerIyNS8_11hip_rocprim5par_tENS8_11use_defaultESE_EEEENSA_INSB_IiSD_SE_SE_EEEEZNS1_13binary_searchIS3_S5_NSA_INS8_10device_ptrIyEEEESG_SI_NS1_16binary_search_opENS9_16wrapped_functionINS8_6system6detail7generic6detail18binary_search_lessEbEEEE10hipError_tPvRmT1_T2_T3_mmT4_T5_P12ihipStream_tbEUlRKyE_EESV_SZ_S10_mS11_S14_bEUlT_E_NS1_11comp_targetILNS1_3genE5ELNS1_11target_archE942ELNS1_3gpuE9ELNS1_3repE0EEENS1_30default_config_static_selectorELNS0_4arch9wavefront6targetE1EEEvSY_
	.globl	_ZN7rocprim17ROCPRIM_400000_NS6detail17trampoline_kernelINS0_14default_configENS1_29binary_search_config_selectorIyiEEZNS1_14transform_implILb0ES3_S5_N6thrust23THRUST_200600_302600_NS6detail15normal_iteratorINS8_7pointerIyNS8_11hip_rocprim5par_tENS8_11use_defaultESE_EEEENSA_INSB_IiSD_SE_SE_EEEEZNS1_13binary_searchIS3_S5_NSA_INS8_10device_ptrIyEEEESG_SI_NS1_16binary_search_opENS9_16wrapped_functionINS8_6system6detail7generic6detail18binary_search_lessEbEEEE10hipError_tPvRmT1_T2_T3_mmT4_T5_P12ihipStream_tbEUlRKyE_EESV_SZ_S10_mS11_S14_bEUlT_E_NS1_11comp_targetILNS1_3genE5ELNS1_11target_archE942ELNS1_3gpuE9ELNS1_3repE0EEENS1_30default_config_static_selectorELNS0_4arch9wavefront6targetE1EEEvSY_
	.p2align	8
	.type	_ZN7rocprim17ROCPRIM_400000_NS6detail17trampoline_kernelINS0_14default_configENS1_29binary_search_config_selectorIyiEEZNS1_14transform_implILb0ES3_S5_N6thrust23THRUST_200600_302600_NS6detail15normal_iteratorINS8_7pointerIyNS8_11hip_rocprim5par_tENS8_11use_defaultESE_EEEENSA_INSB_IiSD_SE_SE_EEEEZNS1_13binary_searchIS3_S5_NSA_INS8_10device_ptrIyEEEESG_SI_NS1_16binary_search_opENS9_16wrapped_functionINS8_6system6detail7generic6detail18binary_search_lessEbEEEE10hipError_tPvRmT1_T2_T3_mmT4_T5_P12ihipStream_tbEUlRKyE_EESV_SZ_S10_mS11_S14_bEUlT_E_NS1_11comp_targetILNS1_3genE5ELNS1_11target_archE942ELNS1_3gpuE9ELNS1_3repE0EEENS1_30default_config_static_selectorELNS0_4arch9wavefront6targetE1EEEvSY_,@function
_ZN7rocprim17ROCPRIM_400000_NS6detail17trampoline_kernelINS0_14default_configENS1_29binary_search_config_selectorIyiEEZNS1_14transform_implILb0ES3_S5_N6thrust23THRUST_200600_302600_NS6detail15normal_iteratorINS8_7pointerIyNS8_11hip_rocprim5par_tENS8_11use_defaultESE_EEEENSA_INSB_IiSD_SE_SE_EEEEZNS1_13binary_searchIS3_S5_NSA_INS8_10device_ptrIyEEEESG_SI_NS1_16binary_search_opENS9_16wrapped_functionINS8_6system6detail7generic6detail18binary_search_lessEbEEEE10hipError_tPvRmT1_T2_T3_mmT4_T5_P12ihipStream_tbEUlRKyE_EESV_SZ_S10_mS11_S14_bEUlT_E_NS1_11comp_targetILNS1_3genE5ELNS1_11target_archE942ELNS1_3gpuE9ELNS1_3repE0EEENS1_30default_config_static_selectorELNS0_4arch9wavefront6targetE1EEEvSY_: ; @_ZN7rocprim17ROCPRIM_400000_NS6detail17trampoline_kernelINS0_14default_configENS1_29binary_search_config_selectorIyiEEZNS1_14transform_implILb0ES3_S5_N6thrust23THRUST_200600_302600_NS6detail15normal_iteratorINS8_7pointerIyNS8_11hip_rocprim5par_tENS8_11use_defaultESE_EEEENSA_INSB_IiSD_SE_SE_EEEEZNS1_13binary_searchIS3_S5_NSA_INS8_10device_ptrIyEEEESG_SI_NS1_16binary_search_opENS9_16wrapped_functionINS8_6system6detail7generic6detail18binary_search_lessEbEEEE10hipError_tPvRmT1_T2_T3_mmT4_T5_P12ihipStream_tbEUlRKyE_EESV_SZ_S10_mS11_S14_bEUlT_E_NS1_11comp_targetILNS1_3genE5ELNS1_11target_archE942ELNS1_3gpuE9ELNS1_3repE0EEENS1_30default_config_static_selectorELNS0_4arch9wavefront6targetE1EEEvSY_
; %bb.0:
	.section	.rodata,"a",@progbits
	.p2align	6, 0x0
	.amdhsa_kernel _ZN7rocprim17ROCPRIM_400000_NS6detail17trampoline_kernelINS0_14default_configENS1_29binary_search_config_selectorIyiEEZNS1_14transform_implILb0ES3_S5_N6thrust23THRUST_200600_302600_NS6detail15normal_iteratorINS8_7pointerIyNS8_11hip_rocprim5par_tENS8_11use_defaultESE_EEEENSA_INSB_IiSD_SE_SE_EEEEZNS1_13binary_searchIS3_S5_NSA_INS8_10device_ptrIyEEEESG_SI_NS1_16binary_search_opENS9_16wrapped_functionINS8_6system6detail7generic6detail18binary_search_lessEbEEEE10hipError_tPvRmT1_T2_T3_mmT4_T5_P12ihipStream_tbEUlRKyE_EESV_SZ_S10_mS11_S14_bEUlT_E_NS1_11comp_targetILNS1_3genE5ELNS1_11target_archE942ELNS1_3gpuE9ELNS1_3repE0EEENS1_30default_config_static_selectorELNS0_4arch9wavefront6targetE1EEEvSY_
		.amdhsa_group_segment_fixed_size 0
		.amdhsa_private_segment_fixed_size 0
		.amdhsa_kernarg_size 56
		.amdhsa_user_sgpr_count 6
		.amdhsa_user_sgpr_private_segment_buffer 1
		.amdhsa_user_sgpr_dispatch_ptr 0
		.amdhsa_user_sgpr_queue_ptr 0
		.amdhsa_user_sgpr_kernarg_segment_ptr 1
		.amdhsa_user_sgpr_dispatch_id 0
		.amdhsa_user_sgpr_flat_scratch_init 0
		.amdhsa_user_sgpr_private_segment_size 0
		.amdhsa_uses_dynamic_stack 0
		.amdhsa_system_sgpr_private_segment_wavefront_offset 0
		.amdhsa_system_sgpr_workgroup_id_x 1
		.amdhsa_system_sgpr_workgroup_id_y 0
		.amdhsa_system_sgpr_workgroup_id_z 0
		.amdhsa_system_sgpr_workgroup_info 0
		.amdhsa_system_vgpr_workitem_id 0
		.amdhsa_next_free_vgpr 1
		.amdhsa_next_free_sgpr 0
		.amdhsa_reserve_vcc 0
		.amdhsa_reserve_flat_scratch 0
		.amdhsa_float_round_mode_32 0
		.amdhsa_float_round_mode_16_64 0
		.amdhsa_float_denorm_mode_32 3
		.amdhsa_float_denorm_mode_16_64 3
		.amdhsa_dx10_clamp 1
		.amdhsa_ieee_mode 1
		.amdhsa_fp16_overflow 0
		.amdhsa_exception_fp_ieee_invalid_op 0
		.amdhsa_exception_fp_denorm_src 0
		.amdhsa_exception_fp_ieee_div_zero 0
		.amdhsa_exception_fp_ieee_overflow 0
		.amdhsa_exception_fp_ieee_underflow 0
		.amdhsa_exception_fp_ieee_inexact 0
		.amdhsa_exception_int_div_zero 0
	.end_amdhsa_kernel
	.section	.text._ZN7rocprim17ROCPRIM_400000_NS6detail17trampoline_kernelINS0_14default_configENS1_29binary_search_config_selectorIyiEEZNS1_14transform_implILb0ES3_S5_N6thrust23THRUST_200600_302600_NS6detail15normal_iteratorINS8_7pointerIyNS8_11hip_rocprim5par_tENS8_11use_defaultESE_EEEENSA_INSB_IiSD_SE_SE_EEEEZNS1_13binary_searchIS3_S5_NSA_INS8_10device_ptrIyEEEESG_SI_NS1_16binary_search_opENS9_16wrapped_functionINS8_6system6detail7generic6detail18binary_search_lessEbEEEE10hipError_tPvRmT1_T2_T3_mmT4_T5_P12ihipStream_tbEUlRKyE_EESV_SZ_S10_mS11_S14_bEUlT_E_NS1_11comp_targetILNS1_3genE5ELNS1_11target_archE942ELNS1_3gpuE9ELNS1_3repE0EEENS1_30default_config_static_selectorELNS0_4arch9wavefront6targetE1EEEvSY_,"axG",@progbits,_ZN7rocprim17ROCPRIM_400000_NS6detail17trampoline_kernelINS0_14default_configENS1_29binary_search_config_selectorIyiEEZNS1_14transform_implILb0ES3_S5_N6thrust23THRUST_200600_302600_NS6detail15normal_iteratorINS8_7pointerIyNS8_11hip_rocprim5par_tENS8_11use_defaultESE_EEEENSA_INSB_IiSD_SE_SE_EEEEZNS1_13binary_searchIS3_S5_NSA_INS8_10device_ptrIyEEEESG_SI_NS1_16binary_search_opENS9_16wrapped_functionINS8_6system6detail7generic6detail18binary_search_lessEbEEEE10hipError_tPvRmT1_T2_T3_mmT4_T5_P12ihipStream_tbEUlRKyE_EESV_SZ_S10_mS11_S14_bEUlT_E_NS1_11comp_targetILNS1_3genE5ELNS1_11target_archE942ELNS1_3gpuE9ELNS1_3repE0EEENS1_30default_config_static_selectorELNS0_4arch9wavefront6targetE1EEEvSY_,comdat
.Lfunc_end663:
	.size	_ZN7rocprim17ROCPRIM_400000_NS6detail17trampoline_kernelINS0_14default_configENS1_29binary_search_config_selectorIyiEEZNS1_14transform_implILb0ES3_S5_N6thrust23THRUST_200600_302600_NS6detail15normal_iteratorINS8_7pointerIyNS8_11hip_rocprim5par_tENS8_11use_defaultESE_EEEENSA_INSB_IiSD_SE_SE_EEEEZNS1_13binary_searchIS3_S5_NSA_INS8_10device_ptrIyEEEESG_SI_NS1_16binary_search_opENS9_16wrapped_functionINS8_6system6detail7generic6detail18binary_search_lessEbEEEE10hipError_tPvRmT1_T2_T3_mmT4_T5_P12ihipStream_tbEUlRKyE_EESV_SZ_S10_mS11_S14_bEUlT_E_NS1_11comp_targetILNS1_3genE5ELNS1_11target_archE942ELNS1_3gpuE9ELNS1_3repE0EEENS1_30default_config_static_selectorELNS0_4arch9wavefront6targetE1EEEvSY_, .Lfunc_end663-_ZN7rocprim17ROCPRIM_400000_NS6detail17trampoline_kernelINS0_14default_configENS1_29binary_search_config_selectorIyiEEZNS1_14transform_implILb0ES3_S5_N6thrust23THRUST_200600_302600_NS6detail15normal_iteratorINS8_7pointerIyNS8_11hip_rocprim5par_tENS8_11use_defaultESE_EEEENSA_INSB_IiSD_SE_SE_EEEEZNS1_13binary_searchIS3_S5_NSA_INS8_10device_ptrIyEEEESG_SI_NS1_16binary_search_opENS9_16wrapped_functionINS8_6system6detail7generic6detail18binary_search_lessEbEEEE10hipError_tPvRmT1_T2_T3_mmT4_T5_P12ihipStream_tbEUlRKyE_EESV_SZ_S10_mS11_S14_bEUlT_E_NS1_11comp_targetILNS1_3genE5ELNS1_11target_archE942ELNS1_3gpuE9ELNS1_3repE0EEENS1_30default_config_static_selectorELNS0_4arch9wavefront6targetE1EEEvSY_
                                        ; -- End function
	.set _ZN7rocprim17ROCPRIM_400000_NS6detail17trampoline_kernelINS0_14default_configENS1_29binary_search_config_selectorIyiEEZNS1_14transform_implILb0ES3_S5_N6thrust23THRUST_200600_302600_NS6detail15normal_iteratorINS8_7pointerIyNS8_11hip_rocprim5par_tENS8_11use_defaultESE_EEEENSA_INSB_IiSD_SE_SE_EEEEZNS1_13binary_searchIS3_S5_NSA_INS8_10device_ptrIyEEEESG_SI_NS1_16binary_search_opENS9_16wrapped_functionINS8_6system6detail7generic6detail18binary_search_lessEbEEEE10hipError_tPvRmT1_T2_T3_mmT4_T5_P12ihipStream_tbEUlRKyE_EESV_SZ_S10_mS11_S14_bEUlT_E_NS1_11comp_targetILNS1_3genE5ELNS1_11target_archE942ELNS1_3gpuE9ELNS1_3repE0EEENS1_30default_config_static_selectorELNS0_4arch9wavefront6targetE1EEEvSY_.num_vgpr, 0
	.set _ZN7rocprim17ROCPRIM_400000_NS6detail17trampoline_kernelINS0_14default_configENS1_29binary_search_config_selectorIyiEEZNS1_14transform_implILb0ES3_S5_N6thrust23THRUST_200600_302600_NS6detail15normal_iteratorINS8_7pointerIyNS8_11hip_rocprim5par_tENS8_11use_defaultESE_EEEENSA_INSB_IiSD_SE_SE_EEEEZNS1_13binary_searchIS3_S5_NSA_INS8_10device_ptrIyEEEESG_SI_NS1_16binary_search_opENS9_16wrapped_functionINS8_6system6detail7generic6detail18binary_search_lessEbEEEE10hipError_tPvRmT1_T2_T3_mmT4_T5_P12ihipStream_tbEUlRKyE_EESV_SZ_S10_mS11_S14_bEUlT_E_NS1_11comp_targetILNS1_3genE5ELNS1_11target_archE942ELNS1_3gpuE9ELNS1_3repE0EEENS1_30default_config_static_selectorELNS0_4arch9wavefront6targetE1EEEvSY_.num_agpr, 0
	.set _ZN7rocprim17ROCPRIM_400000_NS6detail17trampoline_kernelINS0_14default_configENS1_29binary_search_config_selectorIyiEEZNS1_14transform_implILb0ES3_S5_N6thrust23THRUST_200600_302600_NS6detail15normal_iteratorINS8_7pointerIyNS8_11hip_rocprim5par_tENS8_11use_defaultESE_EEEENSA_INSB_IiSD_SE_SE_EEEEZNS1_13binary_searchIS3_S5_NSA_INS8_10device_ptrIyEEEESG_SI_NS1_16binary_search_opENS9_16wrapped_functionINS8_6system6detail7generic6detail18binary_search_lessEbEEEE10hipError_tPvRmT1_T2_T3_mmT4_T5_P12ihipStream_tbEUlRKyE_EESV_SZ_S10_mS11_S14_bEUlT_E_NS1_11comp_targetILNS1_3genE5ELNS1_11target_archE942ELNS1_3gpuE9ELNS1_3repE0EEENS1_30default_config_static_selectorELNS0_4arch9wavefront6targetE1EEEvSY_.numbered_sgpr, 0
	.set _ZN7rocprim17ROCPRIM_400000_NS6detail17trampoline_kernelINS0_14default_configENS1_29binary_search_config_selectorIyiEEZNS1_14transform_implILb0ES3_S5_N6thrust23THRUST_200600_302600_NS6detail15normal_iteratorINS8_7pointerIyNS8_11hip_rocprim5par_tENS8_11use_defaultESE_EEEENSA_INSB_IiSD_SE_SE_EEEEZNS1_13binary_searchIS3_S5_NSA_INS8_10device_ptrIyEEEESG_SI_NS1_16binary_search_opENS9_16wrapped_functionINS8_6system6detail7generic6detail18binary_search_lessEbEEEE10hipError_tPvRmT1_T2_T3_mmT4_T5_P12ihipStream_tbEUlRKyE_EESV_SZ_S10_mS11_S14_bEUlT_E_NS1_11comp_targetILNS1_3genE5ELNS1_11target_archE942ELNS1_3gpuE9ELNS1_3repE0EEENS1_30default_config_static_selectorELNS0_4arch9wavefront6targetE1EEEvSY_.num_named_barrier, 0
	.set _ZN7rocprim17ROCPRIM_400000_NS6detail17trampoline_kernelINS0_14default_configENS1_29binary_search_config_selectorIyiEEZNS1_14transform_implILb0ES3_S5_N6thrust23THRUST_200600_302600_NS6detail15normal_iteratorINS8_7pointerIyNS8_11hip_rocprim5par_tENS8_11use_defaultESE_EEEENSA_INSB_IiSD_SE_SE_EEEEZNS1_13binary_searchIS3_S5_NSA_INS8_10device_ptrIyEEEESG_SI_NS1_16binary_search_opENS9_16wrapped_functionINS8_6system6detail7generic6detail18binary_search_lessEbEEEE10hipError_tPvRmT1_T2_T3_mmT4_T5_P12ihipStream_tbEUlRKyE_EESV_SZ_S10_mS11_S14_bEUlT_E_NS1_11comp_targetILNS1_3genE5ELNS1_11target_archE942ELNS1_3gpuE9ELNS1_3repE0EEENS1_30default_config_static_selectorELNS0_4arch9wavefront6targetE1EEEvSY_.private_seg_size, 0
	.set _ZN7rocprim17ROCPRIM_400000_NS6detail17trampoline_kernelINS0_14default_configENS1_29binary_search_config_selectorIyiEEZNS1_14transform_implILb0ES3_S5_N6thrust23THRUST_200600_302600_NS6detail15normal_iteratorINS8_7pointerIyNS8_11hip_rocprim5par_tENS8_11use_defaultESE_EEEENSA_INSB_IiSD_SE_SE_EEEEZNS1_13binary_searchIS3_S5_NSA_INS8_10device_ptrIyEEEESG_SI_NS1_16binary_search_opENS9_16wrapped_functionINS8_6system6detail7generic6detail18binary_search_lessEbEEEE10hipError_tPvRmT1_T2_T3_mmT4_T5_P12ihipStream_tbEUlRKyE_EESV_SZ_S10_mS11_S14_bEUlT_E_NS1_11comp_targetILNS1_3genE5ELNS1_11target_archE942ELNS1_3gpuE9ELNS1_3repE0EEENS1_30default_config_static_selectorELNS0_4arch9wavefront6targetE1EEEvSY_.uses_vcc, 0
	.set _ZN7rocprim17ROCPRIM_400000_NS6detail17trampoline_kernelINS0_14default_configENS1_29binary_search_config_selectorIyiEEZNS1_14transform_implILb0ES3_S5_N6thrust23THRUST_200600_302600_NS6detail15normal_iteratorINS8_7pointerIyNS8_11hip_rocprim5par_tENS8_11use_defaultESE_EEEENSA_INSB_IiSD_SE_SE_EEEEZNS1_13binary_searchIS3_S5_NSA_INS8_10device_ptrIyEEEESG_SI_NS1_16binary_search_opENS9_16wrapped_functionINS8_6system6detail7generic6detail18binary_search_lessEbEEEE10hipError_tPvRmT1_T2_T3_mmT4_T5_P12ihipStream_tbEUlRKyE_EESV_SZ_S10_mS11_S14_bEUlT_E_NS1_11comp_targetILNS1_3genE5ELNS1_11target_archE942ELNS1_3gpuE9ELNS1_3repE0EEENS1_30default_config_static_selectorELNS0_4arch9wavefront6targetE1EEEvSY_.uses_flat_scratch, 0
	.set _ZN7rocprim17ROCPRIM_400000_NS6detail17trampoline_kernelINS0_14default_configENS1_29binary_search_config_selectorIyiEEZNS1_14transform_implILb0ES3_S5_N6thrust23THRUST_200600_302600_NS6detail15normal_iteratorINS8_7pointerIyNS8_11hip_rocprim5par_tENS8_11use_defaultESE_EEEENSA_INSB_IiSD_SE_SE_EEEEZNS1_13binary_searchIS3_S5_NSA_INS8_10device_ptrIyEEEESG_SI_NS1_16binary_search_opENS9_16wrapped_functionINS8_6system6detail7generic6detail18binary_search_lessEbEEEE10hipError_tPvRmT1_T2_T3_mmT4_T5_P12ihipStream_tbEUlRKyE_EESV_SZ_S10_mS11_S14_bEUlT_E_NS1_11comp_targetILNS1_3genE5ELNS1_11target_archE942ELNS1_3gpuE9ELNS1_3repE0EEENS1_30default_config_static_selectorELNS0_4arch9wavefront6targetE1EEEvSY_.has_dyn_sized_stack, 0
	.set _ZN7rocprim17ROCPRIM_400000_NS6detail17trampoline_kernelINS0_14default_configENS1_29binary_search_config_selectorIyiEEZNS1_14transform_implILb0ES3_S5_N6thrust23THRUST_200600_302600_NS6detail15normal_iteratorINS8_7pointerIyNS8_11hip_rocprim5par_tENS8_11use_defaultESE_EEEENSA_INSB_IiSD_SE_SE_EEEEZNS1_13binary_searchIS3_S5_NSA_INS8_10device_ptrIyEEEESG_SI_NS1_16binary_search_opENS9_16wrapped_functionINS8_6system6detail7generic6detail18binary_search_lessEbEEEE10hipError_tPvRmT1_T2_T3_mmT4_T5_P12ihipStream_tbEUlRKyE_EESV_SZ_S10_mS11_S14_bEUlT_E_NS1_11comp_targetILNS1_3genE5ELNS1_11target_archE942ELNS1_3gpuE9ELNS1_3repE0EEENS1_30default_config_static_selectorELNS0_4arch9wavefront6targetE1EEEvSY_.has_recursion, 0
	.set _ZN7rocprim17ROCPRIM_400000_NS6detail17trampoline_kernelINS0_14default_configENS1_29binary_search_config_selectorIyiEEZNS1_14transform_implILb0ES3_S5_N6thrust23THRUST_200600_302600_NS6detail15normal_iteratorINS8_7pointerIyNS8_11hip_rocprim5par_tENS8_11use_defaultESE_EEEENSA_INSB_IiSD_SE_SE_EEEEZNS1_13binary_searchIS3_S5_NSA_INS8_10device_ptrIyEEEESG_SI_NS1_16binary_search_opENS9_16wrapped_functionINS8_6system6detail7generic6detail18binary_search_lessEbEEEE10hipError_tPvRmT1_T2_T3_mmT4_T5_P12ihipStream_tbEUlRKyE_EESV_SZ_S10_mS11_S14_bEUlT_E_NS1_11comp_targetILNS1_3genE5ELNS1_11target_archE942ELNS1_3gpuE9ELNS1_3repE0EEENS1_30default_config_static_selectorELNS0_4arch9wavefront6targetE1EEEvSY_.has_indirect_call, 0
	.section	.AMDGPU.csdata,"",@progbits
; Kernel info:
; codeLenInByte = 0
; TotalNumSgprs: 4
; NumVgprs: 0
; ScratchSize: 0
; MemoryBound: 0
; FloatMode: 240
; IeeeMode: 1
; LDSByteSize: 0 bytes/workgroup (compile time only)
; SGPRBlocks: 0
; VGPRBlocks: 0
; NumSGPRsForWavesPerEU: 4
; NumVGPRsForWavesPerEU: 1
; Occupancy: 10
; WaveLimiterHint : 0
; COMPUTE_PGM_RSRC2:SCRATCH_EN: 0
; COMPUTE_PGM_RSRC2:USER_SGPR: 6
; COMPUTE_PGM_RSRC2:TRAP_HANDLER: 0
; COMPUTE_PGM_RSRC2:TGID_X_EN: 1
; COMPUTE_PGM_RSRC2:TGID_Y_EN: 0
; COMPUTE_PGM_RSRC2:TGID_Z_EN: 0
; COMPUTE_PGM_RSRC2:TIDIG_COMP_CNT: 0
	.section	.text._ZN7rocprim17ROCPRIM_400000_NS6detail17trampoline_kernelINS0_14default_configENS1_29binary_search_config_selectorIyiEEZNS1_14transform_implILb0ES3_S5_N6thrust23THRUST_200600_302600_NS6detail15normal_iteratorINS8_7pointerIyNS8_11hip_rocprim5par_tENS8_11use_defaultESE_EEEENSA_INSB_IiSD_SE_SE_EEEEZNS1_13binary_searchIS3_S5_NSA_INS8_10device_ptrIyEEEESG_SI_NS1_16binary_search_opENS9_16wrapped_functionINS8_6system6detail7generic6detail18binary_search_lessEbEEEE10hipError_tPvRmT1_T2_T3_mmT4_T5_P12ihipStream_tbEUlRKyE_EESV_SZ_S10_mS11_S14_bEUlT_E_NS1_11comp_targetILNS1_3genE4ELNS1_11target_archE910ELNS1_3gpuE8ELNS1_3repE0EEENS1_30default_config_static_selectorELNS0_4arch9wavefront6targetE1EEEvSY_,"axG",@progbits,_ZN7rocprim17ROCPRIM_400000_NS6detail17trampoline_kernelINS0_14default_configENS1_29binary_search_config_selectorIyiEEZNS1_14transform_implILb0ES3_S5_N6thrust23THRUST_200600_302600_NS6detail15normal_iteratorINS8_7pointerIyNS8_11hip_rocprim5par_tENS8_11use_defaultESE_EEEENSA_INSB_IiSD_SE_SE_EEEEZNS1_13binary_searchIS3_S5_NSA_INS8_10device_ptrIyEEEESG_SI_NS1_16binary_search_opENS9_16wrapped_functionINS8_6system6detail7generic6detail18binary_search_lessEbEEEE10hipError_tPvRmT1_T2_T3_mmT4_T5_P12ihipStream_tbEUlRKyE_EESV_SZ_S10_mS11_S14_bEUlT_E_NS1_11comp_targetILNS1_3genE4ELNS1_11target_archE910ELNS1_3gpuE8ELNS1_3repE0EEENS1_30default_config_static_selectorELNS0_4arch9wavefront6targetE1EEEvSY_,comdat
	.protected	_ZN7rocprim17ROCPRIM_400000_NS6detail17trampoline_kernelINS0_14default_configENS1_29binary_search_config_selectorIyiEEZNS1_14transform_implILb0ES3_S5_N6thrust23THRUST_200600_302600_NS6detail15normal_iteratorINS8_7pointerIyNS8_11hip_rocprim5par_tENS8_11use_defaultESE_EEEENSA_INSB_IiSD_SE_SE_EEEEZNS1_13binary_searchIS3_S5_NSA_INS8_10device_ptrIyEEEESG_SI_NS1_16binary_search_opENS9_16wrapped_functionINS8_6system6detail7generic6detail18binary_search_lessEbEEEE10hipError_tPvRmT1_T2_T3_mmT4_T5_P12ihipStream_tbEUlRKyE_EESV_SZ_S10_mS11_S14_bEUlT_E_NS1_11comp_targetILNS1_3genE4ELNS1_11target_archE910ELNS1_3gpuE8ELNS1_3repE0EEENS1_30default_config_static_selectorELNS0_4arch9wavefront6targetE1EEEvSY_ ; -- Begin function _ZN7rocprim17ROCPRIM_400000_NS6detail17trampoline_kernelINS0_14default_configENS1_29binary_search_config_selectorIyiEEZNS1_14transform_implILb0ES3_S5_N6thrust23THRUST_200600_302600_NS6detail15normal_iteratorINS8_7pointerIyNS8_11hip_rocprim5par_tENS8_11use_defaultESE_EEEENSA_INSB_IiSD_SE_SE_EEEEZNS1_13binary_searchIS3_S5_NSA_INS8_10device_ptrIyEEEESG_SI_NS1_16binary_search_opENS9_16wrapped_functionINS8_6system6detail7generic6detail18binary_search_lessEbEEEE10hipError_tPvRmT1_T2_T3_mmT4_T5_P12ihipStream_tbEUlRKyE_EESV_SZ_S10_mS11_S14_bEUlT_E_NS1_11comp_targetILNS1_3genE4ELNS1_11target_archE910ELNS1_3gpuE8ELNS1_3repE0EEENS1_30default_config_static_selectorELNS0_4arch9wavefront6targetE1EEEvSY_
	.globl	_ZN7rocprim17ROCPRIM_400000_NS6detail17trampoline_kernelINS0_14default_configENS1_29binary_search_config_selectorIyiEEZNS1_14transform_implILb0ES3_S5_N6thrust23THRUST_200600_302600_NS6detail15normal_iteratorINS8_7pointerIyNS8_11hip_rocprim5par_tENS8_11use_defaultESE_EEEENSA_INSB_IiSD_SE_SE_EEEEZNS1_13binary_searchIS3_S5_NSA_INS8_10device_ptrIyEEEESG_SI_NS1_16binary_search_opENS9_16wrapped_functionINS8_6system6detail7generic6detail18binary_search_lessEbEEEE10hipError_tPvRmT1_T2_T3_mmT4_T5_P12ihipStream_tbEUlRKyE_EESV_SZ_S10_mS11_S14_bEUlT_E_NS1_11comp_targetILNS1_3genE4ELNS1_11target_archE910ELNS1_3gpuE8ELNS1_3repE0EEENS1_30default_config_static_selectorELNS0_4arch9wavefront6targetE1EEEvSY_
	.p2align	8
	.type	_ZN7rocprim17ROCPRIM_400000_NS6detail17trampoline_kernelINS0_14default_configENS1_29binary_search_config_selectorIyiEEZNS1_14transform_implILb0ES3_S5_N6thrust23THRUST_200600_302600_NS6detail15normal_iteratorINS8_7pointerIyNS8_11hip_rocprim5par_tENS8_11use_defaultESE_EEEENSA_INSB_IiSD_SE_SE_EEEEZNS1_13binary_searchIS3_S5_NSA_INS8_10device_ptrIyEEEESG_SI_NS1_16binary_search_opENS9_16wrapped_functionINS8_6system6detail7generic6detail18binary_search_lessEbEEEE10hipError_tPvRmT1_T2_T3_mmT4_T5_P12ihipStream_tbEUlRKyE_EESV_SZ_S10_mS11_S14_bEUlT_E_NS1_11comp_targetILNS1_3genE4ELNS1_11target_archE910ELNS1_3gpuE8ELNS1_3repE0EEENS1_30default_config_static_selectorELNS0_4arch9wavefront6targetE1EEEvSY_,@function
_ZN7rocprim17ROCPRIM_400000_NS6detail17trampoline_kernelINS0_14default_configENS1_29binary_search_config_selectorIyiEEZNS1_14transform_implILb0ES3_S5_N6thrust23THRUST_200600_302600_NS6detail15normal_iteratorINS8_7pointerIyNS8_11hip_rocprim5par_tENS8_11use_defaultESE_EEEENSA_INSB_IiSD_SE_SE_EEEEZNS1_13binary_searchIS3_S5_NSA_INS8_10device_ptrIyEEEESG_SI_NS1_16binary_search_opENS9_16wrapped_functionINS8_6system6detail7generic6detail18binary_search_lessEbEEEE10hipError_tPvRmT1_T2_T3_mmT4_T5_P12ihipStream_tbEUlRKyE_EESV_SZ_S10_mS11_S14_bEUlT_E_NS1_11comp_targetILNS1_3genE4ELNS1_11target_archE910ELNS1_3gpuE8ELNS1_3repE0EEENS1_30default_config_static_selectorELNS0_4arch9wavefront6targetE1EEEvSY_: ; @_ZN7rocprim17ROCPRIM_400000_NS6detail17trampoline_kernelINS0_14default_configENS1_29binary_search_config_selectorIyiEEZNS1_14transform_implILb0ES3_S5_N6thrust23THRUST_200600_302600_NS6detail15normal_iteratorINS8_7pointerIyNS8_11hip_rocprim5par_tENS8_11use_defaultESE_EEEENSA_INSB_IiSD_SE_SE_EEEEZNS1_13binary_searchIS3_S5_NSA_INS8_10device_ptrIyEEEESG_SI_NS1_16binary_search_opENS9_16wrapped_functionINS8_6system6detail7generic6detail18binary_search_lessEbEEEE10hipError_tPvRmT1_T2_T3_mmT4_T5_P12ihipStream_tbEUlRKyE_EESV_SZ_S10_mS11_S14_bEUlT_E_NS1_11comp_targetILNS1_3genE4ELNS1_11target_archE910ELNS1_3gpuE8ELNS1_3repE0EEENS1_30default_config_static_selectorELNS0_4arch9wavefront6targetE1EEEvSY_
; %bb.0:
	.section	.rodata,"a",@progbits
	.p2align	6, 0x0
	.amdhsa_kernel _ZN7rocprim17ROCPRIM_400000_NS6detail17trampoline_kernelINS0_14default_configENS1_29binary_search_config_selectorIyiEEZNS1_14transform_implILb0ES3_S5_N6thrust23THRUST_200600_302600_NS6detail15normal_iteratorINS8_7pointerIyNS8_11hip_rocprim5par_tENS8_11use_defaultESE_EEEENSA_INSB_IiSD_SE_SE_EEEEZNS1_13binary_searchIS3_S5_NSA_INS8_10device_ptrIyEEEESG_SI_NS1_16binary_search_opENS9_16wrapped_functionINS8_6system6detail7generic6detail18binary_search_lessEbEEEE10hipError_tPvRmT1_T2_T3_mmT4_T5_P12ihipStream_tbEUlRKyE_EESV_SZ_S10_mS11_S14_bEUlT_E_NS1_11comp_targetILNS1_3genE4ELNS1_11target_archE910ELNS1_3gpuE8ELNS1_3repE0EEENS1_30default_config_static_selectorELNS0_4arch9wavefront6targetE1EEEvSY_
		.amdhsa_group_segment_fixed_size 0
		.amdhsa_private_segment_fixed_size 0
		.amdhsa_kernarg_size 56
		.amdhsa_user_sgpr_count 6
		.amdhsa_user_sgpr_private_segment_buffer 1
		.amdhsa_user_sgpr_dispatch_ptr 0
		.amdhsa_user_sgpr_queue_ptr 0
		.amdhsa_user_sgpr_kernarg_segment_ptr 1
		.amdhsa_user_sgpr_dispatch_id 0
		.amdhsa_user_sgpr_flat_scratch_init 0
		.amdhsa_user_sgpr_private_segment_size 0
		.amdhsa_uses_dynamic_stack 0
		.amdhsa_system_sgpr_private_segment_wavefront_offset 0
		.amdhsa_system_sgpr_workgroup_id_x 1
		.amdhsa_system_sgpr_workgroup_id_y 0
		.amdhsa_system_sgpr_workgroup_id_z 0
		.amdhsa_system_sgpr_workgroup_info 0
		.amdhsa_system_vgpr_workitem_id 0
		.amdhsa_next_free_vgpr 1
		.amdhsa_next_free_sgpr 0
		.amdhsa_reserve_vcc 0
		.amdhsa_reserve_flat_scratch 0
		.amdhsa_float_round_mode_32 0
		.amdhsa_float_round_mode_16_64 0
		.amdhsa_float_denorm_mode_32 3
		.amdhsa_float_denorm_mode_16_64 3
		.amdhsa_dx10_clamp 1
		.amdhsa_ieee_mode 1
		.amdhsa_fp16_overflow 0
		.amdhsa_exception_fp_ieee_invalid_op 0
		.amdhsa_exception_fp_denorm_src 0
		.amdhsa_exception_fp_ieee_div_zero 0
		.amdhsa_exception_fp_ieee_overflow 0
		.amdhsa_exception_fp_ieee_underflow 0
		.amdhsa_exception_fp_ieee_inexact 0
		.amdhsa_exception_int_div_zero 0
	.end_amdhsa_kernel
	.section	.text._ZN7rocprim17ROCPRIM_400000_NS6detail17trampoline_kernelINS0_14default_configENS1_29binary_search_config_selectorIyiEEZNS1_14transform_implILb0ES3_S5_N6thrust23THRUST_200600_302600_NS6detail15normal_iteratorINS8_7pointerIyNS8_11hip_rocprim5par_tENS8_11use_defaultESE_EEEENSA_INSB_IiSD_SE_SE_EEEEZNS1_13binary_searchIS3_S5_NSA_INS8_10device_ptrIyEEEESG_SI_NS1_16binary_search_opENS9_16wrapped_functionINS8_6system6detail7generic6detail18binary_search_lessEbEEEE10hipError_tPvRmT1_T2_T3_mmT4_T5_P12ihipStream_tbEUlRKyE_EESV_SZ_S10_mS11_S14_bEUlT_E_NS1_11comp_targetILNS1_3genE4ELNS1_11target_archE910ELNS1_3gpuE8ELNS1_3repE0EEENS1_30default_config_static_selectorELNS0_4arch9wavefront6targetE1EEEvSY_,"axG",@progbits,_ZN7rocprim17ROCPRIM_400000_NS6detail17trampoline_kernelINS0_14default_configENS1_29binary_search_config_selectorIyiEEZNS1_14transform_implILb0ES3_S5_N6thrust23THRUST_200600_302600_NS6detail15normal_iteratorINS8_7pointerIyNS8_11hip_rocprim5par_tENS8_11use_defaultESE_EEEENSA_INSB_IiSD_SE_SE_EEEEZNS1_13binary_searchIS3_S5_NSA_INS8_10device_ptrIyEEEESG_SI_NS1_16binary_search_opENS9_16wrapped_functionINS8_6system6detail7generic6detail18binary_search_lessEbEEEE10hipError_tPvRmT1_T2_T3_mmT4_T5_P12ihipStream_tbEUlRKyE_EESV_SZ_S10_mS11_S14_bEUlT_E_NS1_11comp_targetILNS1_3genE4ELNS1_11target_archE910ELNS1_3gpuE8ELNS1_3repE0EEENS1_30default_config_static_selectorELNS0_4arch9wavefront6targetE1EEEvSY_,comdat
.Lfunc_end664:
	.size	_ZN7rocprim17ROCPRIM_400000_NS6detail17trampoline_kernelINS0_14default_configENS1_29binary_search_config_selectorIyiEEZNS1_14transform_implILb0ES3_S5_N6thrust23THRUST_200600_302600_NS6detail15normal_iteratorINS8_7pointerIyNS8_11hip_rocprim5par_tENS8_11use_defaultESE_EEEENSA_INSB_IiSD_SE_SE_EEEEZNS1_13binary_searchIS3_S5_NSA_INS8_10device_ptrIyEEEESG_SI_NS1_16binary_search_opENS9_16wrapped_functionINS8_6system6detail7generic6detail18binary_search_lessEbEEEE10hipError_tPvRmT1_T2_T3_mmT4_T5_P12ihipStream_tbEUlRKyE_EESV_SZ_S10_mS11_S14_bEUlT_E_NS1_11comp_targetILNS1_3genE4ELNS1_11target_archE910ELNS1_3gpuE8ELNS1_3repE0EEENS1_30default_config_static_selectorELNS0_4arch9wavefront6targetE1EEEvSY_, .Lfunc_end664-_ZN7rocprim17ROCPRIM_400000_NS6detail17trampoline_kernelINS0_14default_configENS1_29binary_search_config_selectorIyiEEZNS1_14transform_implILb0ES3_S5_N6thrust23THRUST_200600_302600_NS6detail15normal_iteratorINS8_7pointerIyNS8_11hip_rocprim5par_tENS8_11use_defaultESE_EEEENSA_INSB_IiSD_SE_SE_EEEEZNS1_13binary_searchIS3_S5_NSA_INS8_10device_ptrIyEEEESG_SI_NS1_16binary_search_opENS9_16wrapped_functionINS8_6system6detail7generic6detail18binary_search_lessEbEEEE10hipError_tPvRmT1_T2_T3_mmT4_T5_P12ihipStream_tbEUlRKyE_EESV_SZ_S10_mS11_S14_bEUlT_E_NS1_11comp_targetILNS1_3genE4ELNS1_11target_archE910ELNS1_3gpuE8ELNS1_3repE0EEENS1_30default_config_static_selectorELNS0_4arch9wavefront6targetE1EEEvSY_
                                        ; -- End function
	.set _ZN7rocprim17ROCPRIM_400000_NS6detail17trampoline_kernelINS0_14default_configENS1_29binary_search_config_selectorIyiEEZNS1_14transform_implILb0ES3_S5_N6thrust23THRUST_200600_302600_NS6detail15normal_iteratorINS8_7pointerIyNS8_11hip_rocprim5par_tENS8_11use_defaultESE_EEEENSA_INSB_IiSD_SE_SE_EEEEZNS1_13binary_searchIS3_S5_NSA_INS8_10device_ptrIyEEEESG_SI_NS1_16binary_search_opENS9_16wrapped_functionINS8_6system6detail7generic6detail18binary_search_lessEbEEEE10hipError_tPvRmT1_T2_T3_mmT4_T5_P12ihipStream_tbEUlRKyE_EESV_SZ_S10_mS11_S14_bEUlT_E_NS1_11comp_targetILNS1_3genE4ELNS1_11target_archE910ELNS1_3gpuE8ELNS1_3repE0EEENS1_30default_config_static_selectorELNS0_4arch9wavefront6targetE1EEEvSY_.num_vgpr, 0
	.set _ZN7rocprim17ROCPRIM_400000_NS6detail17trampoline_kernelINS0_14default_configENS1_29binary_search_config_selectorIyiEEZNS1_14transform_implILb0ES3_S5_N6thrust23THRUST_200600_302600_NS6detail15normal_iteratorINS8_7pointerIyNS8_11hip_rocprim5par_tENS8_11use_defaultESE_EEEENSA_INSB_IiSD_SE_SE_EEEEZNS1_13binary_searchIS3_S5_NSA_INS8_10device_ptrIyEEEESG_SI_NS1_16binary_search_opENS9_16wrapped_functionINS8_6system6detail7generic6detail18binary_search_lessEbEEEE10hipError_tPvRmT1_T2_T3_mmT4_T5_P12ihipStream_tbEUlRKyE_EESV_SZ_S10_mS11_S14_bEUlT_E_NS1_11comp_targetILNS1_3genE4ELNS1_11target_archE910ELNS1_3gpuE8ELNS1_3repE0EEENS1_30default_config_static_selectorELNS0_4arch9wavefront6targetE1EEEvSY_.num_agpr, 0
	.set _ZN7rocprim17ROCPRIM_400000_NS6detail17trampoline_kernelINS0_14default_configENS1_29binary_search_config_selectorIyiEEZNS1_14transform_implILb0ES3_S5_N6thrust23THRUST_200600_302600_NS6detail15normal_iteratorINS8_7pointerIyNS8_11hip_rocprim5par_tENS8_11use_defaultESE_EEEENSA_INSB_IiSD_SE_SE_EEEEZNS1_13binary_searchIS3_S5_NSA_INS8_10device_ptrIyEEEESG_SI_NS1_16binary_search_opENS9_16wrapped_functionINS8_6system6detail7generic6detail18binary_search_lessEbEEEE10hipError_tPvRmT1_T2_T3_mmT4_T5_P12ihipStream_tbEUlRKyE_EESV_SZ_S10_mS11_S14_bEUlT_E_NS1_11comp_targetILNS1_3genE4ELNS1_11target_archE910ELNS1_3gpuE8ELNS1_3repE0EEENS1_30default_config_static_selectorELNS0_4arch9wavefront6targetE1EEEvSY_.numbered_sgpr, 0
	.set _ZN7rocprim17ROCPRIM_400000_NS6detail17trampoline_kernelINS0_14default_configENS1_29binary_search_config_selectorIyiEEZNS1_14transform_implILb0ES3_S5_N6thrust23THRUST_200600_302600_NS6detail15normal_iteratorINS8_7pointerIyNS8_11hip_rocprim5par_tENS8_11use_defaultESE_EEEENSA_INSB_IiSD_SE_SE_EEEEZNS1_13binary_searchIS3_S5_NSA_INS8_10device_ptrIyEEEESG_SI_NS1_16binary_search_opENS9_16wrapped_functionINS8_6system6detail7generic6detail18binary_search_lessEbEEEE10hipError_tPvRmT1_T2_T3_mmT4_T5_P12ihipStream_tbEUlRKyE_EESV_SZ_S10_mS11_S14_bEUlT_E_NS1_11comp_targetILNS1_3genE4ELNS1_11target_archE910ELNS1_3gpuE8ELNS1_3repE0EEENS1_30default_config_static_selectorELNS0_4arch9wavefront6targetE1EEEvSY_.num_named_barrier, 0
	.set _ZN7rocprim17ROCPRIM_400000_NS6detail17trampoline_kernelINS0_14default_configENS1_29binary_search_config_selectorIyiEEZNS1_14transform_implILb0ES3_S5_N6thrust23THRUST_200600_302600_NS6detail15normal_iteratorINS8_7pointerIyNS8_11hip_rocprim5par_tENS8_11use_defaultESE_EEEENSA_INSB_IiSD_SE_SE_EEEEZNS1_13binary_searchIS3_S5_NSA_INS8_10device_ptrIyEEEESG_SI_NS1_16binary_search_opENS9_16wrapped_functionINS8_6system6detail7generic6detail18binary_search_lessEbEEEE10hipError_tPvRmT1_T2_T3_mmT4_T5_P12ihipStream_tbEUlRKyE_EESV_SZ_S10_mS11_S14_bEUlT_E_NS1_11comp_targetILNS1_3genE4ELNS1_11target_archE910ELNS1_3gpuE8ELNS1_3repE0EEENS1_30default_config_static_selectorELNS0_4arch9wavefront6targetE1EEEvSY_.private_seg_size, 0
	.set _ZN7rocprim17ROCPRIM_400000_NS6detail17trampoline_kernelINS0_14default_configENS1_29binary_search_config_selectorIyiEEZNS1_14transform_implILb0ES3_S5_N6thrust23THRUST_200600_302600_NS6detail15normal_iteratorINS8_7pointerIyNS8_11hip_rocprim5par_tENS8_11use_defaultESE_EEEENSA_INSB_IiSD_SE_SE_EEEEZNS1_13binary_searchIS3_S5_NSA_INS8_10device_ptrIyEEEESG_SI_NS1_16binary_search_opENS9_16wrapped_functionINS8_6system6detail7generic6detail18binary_search_lessEbEEEE10hipError_tPvRmT1_T2_T3_mmT4_T5_P12ihipStream_tbEUlRKyE_EESV_SZ_S10_mS11_S14_bEUlT_E_NS1_11comp_targetILNS1_3genE4ELNS1_11target_archE910ELNS1_3gpuE8ELNS1_3repE0EEENS1_30default_config_static_selectorELNS0_4arch9wavefront6targetE1EEEvSY_.uses_vcc, 0
	.set _ZN7rocprim17ROCPRIM_400000_NS6detail17trampoline_kernelINS0_14default_configENS1_29binary_search_config_selectorIyiEEZNS1_14transform_implILb0ES3_S5_N6thrust23THRUST_200600_302600_NS6detail15normal_iteratorINS8_7pointerIyNS8_11hip_rocprim5par_tENS8_11use_defaultESE_EEEENSA_INSB_IiSD_SE_SE_EEEEZNS1_13binary_searchIS3_S5_NSA_INS8_10device_ptrIyEEEESG_SI_NS1_16binary_search_opENS9_16wrapped_functionINS8_6system6detail7generic6detail18binary_search_lessEbEEEE10hipError_tPvRmT1_T2_T3_mmT4_T5_P12ihipStream_tbEUlRKyE_EESV_SZ_S10_mS11_S14_bEUlT_E_NS1_11comp_targetILNS1_3genE4ELNS1_11target_archE910ELNS1_3gpuE8ELNS1_3repE0EEENS1_30default_config_static_selectorELNS0_4arch9wavefront6targetE1EEEvSY_.uses_flat_scratch, 0
	.set _ZN7rocprim17ROCPRIM_400000_NS6detail17trampoline_kernelINS0_14default_configENS1_29binary_search_config_selectorIyiEEZNS1_14transform_implILb0ES3_S5_N6thrust23THRUST_200600_302600_NS6detail15normal_iteratorINS8_7pointerIyNS8_11hip_rocprim5par_tENS8_11use_defaultESE_EEEENSA_INSB_IiSD_SE_SE_EEEEZNS1_13binary_searchIS3_S5_NSA_INS8_10device_ptrIyEEEESG_SI_NS1_16binary_search_opENS9_16wrapped_functionINS8_6system6detail7generic6detail18binary_search_lessEbEEEE10hipError_tPvRmT1_T2_T3_mmT4_T5_P12ihipStream_tbEUlRKyE_EESV_SZ_S10_mS11_S14_bEUlT_E_NS1_11comp_targetILNS1_3genE4ELNS1_11target_archE910ELNS1_3gpuE8ELNS1_3repE0EEENS1_30default_config_static_selectorELNS0_4arch9wavefront6targetE1EEEvSY_.has_dyn_sized_stack, 0
	.set _ZN7rocprim17ROCPRIM_400000_NS6detail17trampoline_kernelINS0_14default_configENS1_29binary_search_config_selectorIyiEEZNS1_14transform_implILb0ES3_S5_N6thrust23THRUST_200600_302600_NS6detail15normal_iteratorINS8_7pointerIyNS8_11hip_rocprim5par_tENS8_11use_defaultESE_EEEENSA_INSB_IiSD_SE_SE_EEEEZNS1_13binary_searchIS3_S5_NSA_INS8_10device_ptrIyEEEESG_SI_NS1_16binary_search_opENS9_16wrapped_functionINS8_6system6detail7generic6detail18binary_search_lessEbEEEE10hipError_tPvRmT1_T2_T3_mmT4_T5_P12ihipStream_tbEUlRKyE_EESV_SZ_S10_mS11_S14_bEUlT_E_NS1_11comp_targetILNS1_3genE4ELNS1_11target_archE910ELNS1_3gpuE8ELNS1_3repE0EEENS1_30default_config_static_selectorELNS0_4arch9wavefront6targetE1EEEvSY_.has_recursion, 0
	.set _ZN7rocprim17ROCPRIM_400000_NS6detail17trampoline_kernelINS0_14default_configENS1_29binary_search_config_selectorIyiEEZNS1_14transform_implILb0ES3_S5_N6thrust23THRUST_200600_302600_NS6detail15normal_iteratorINS8_7pointerIyNS8_11hip_rocprim5par_tENS8_11use_defaultESE_EEEENSA_INSB_IiSD_SE_SE_EEEEZNS1_13binary_searchIS3_S5_NSA_INS8_10device_ptrIyEEEESG_SI_NS1_16binary_search_opENS9_16wrapped_functionINS8_6system6detail7generic6detail18binary_search_lessEbEEEE10hipError_tPvRmT1_T2_T3_mmT4_T5_P12ihipStream_tbEUlRKyE_EESV_SZ_S10_mS11_S14_bEUlT_E_NS1_11comp_targetILNS1_3genE4ELNS1_11target_archE910ELNS1_3gpuE8ELNS1_3repE0EEENS1_30default_config_static_selectorELNS0_4arch9wavefront6targetE1EEEvSY_.has_indirect_call, 0
	.section	.AMDGPU.csdata,"",@progbits
; Kernel info:
; codeLenInByte = 0
; TotalNumSgprs: 4
; NumVgprs: 0
; ScratchSize: 0
; MemoryBound: 0
; FloatMode: 240
; IeeeMode: 1
; LDSByteSize: 0 bytes/workgroup (compile time only)
; SGPRBlocks: 0
; VGPRBlocks: 0
; NumSGPRsForWavesPerEU: 4
; NumVGPRsForWavesPerEU: 1
; Occupancy: 10
; WaveLimiterHint : 0
; COMPUTE_PGM_RSRC2:SCRATCH_EN: 0
; COMPUTE_PGM_RSRC2:USER_SGPR: 6
; COMPUTE_PGM_RSRC2:TRAP_HANDLER: 0
; COMPUTE_PGM_RSRC2:TGID_X_EN: 1
; COMPUTE_PGM_RSRC2:TGID_Y_EN: 0
; COMPUTE_PGM_RSRC2:TGID_Z_EN: 0
; COMPUTE_PGM_RSRC2:TIDIG_COMP_CNT: 0
	.section	.text._ZN7rocprim17ROCPRIM_400000_NS6detail17trampoline_kernelINS0_14default_configENS1_29binary_search_config_selectorIyiEEZNS1_14transform_implILb0ES3_S5_N6thrust23THRUST_200600_302600_NS6detail15normal_iteratorINS8_7pointerIyNS8_11hip_rocprim5par_tENS8_11use_defaultESE_EEEENSA_INSB_IiSD_SE_SE_EEEEZNS1_13binary_searchIS3_S5_NSA_INS8_10device_ptrIyEEEESG_SI_NS1_16binary_search_opENS9_16wrapped_functionINS8_6system6detail7generic6detail18binary_search_lessEbEEEE10hipError_tPvRmT1_T2_T3_mmT4_T5_P12ihipStream_tbEUlRKyE_EESV_SZ_S10_mS11_S14_bEUlT_E_NS1_11comp_targetILNS1_3genE3ELNS1_11target_archE908ELNS1_3gpuE7ELNS1_3repE0EEENS1_30default_config_static_selectorELNS0_4arch9wavefront6targetE1EEEvSY_,"axG",@progbits,_ZN7rocprim17ROCPRIM_400000_NS6detail17trampoline_kernelINS0_14default_configENS1_29binary_search_config_selectorIyiEEZNS1_14transform_implILb0ES3_S5_N6thrust23THRUST_200600_302600_NS6detail15normal_iteratorINS8_7pointerIyNS8_11hip_rocprim5par_tENS8_11use_defaultESE_EEEENSA_INSB_IiSD_SE_SE_EEEEZNS1_13binary_searchIS3_S5_NSA_INS8_10device_ptrIyEEEESG_SI_NS1_16binary_search_opENS9_16wrapped_functionINS8_6system6detail7generic6detail18binary_search_lessEbEEEE10hipError_tPvRmT1_T2_T3_mmT4_T5_P12ihipStream_tbEUlRKyE_EESV_SZ_S10_mS11_S14_bEUlT_E_NS1_11comp_targetILNS1_3genE3ELNS1_11target_archE908ELNS1_3gpuE7ELNS1_3repE0EEENS1_30default_config_static_selectorELNS0_4arch9wavefront6targetE1EEEvSY_,comdat
	.protected	_ZN7rocprim17ROCPRIM_400000_NS6detail17trampoline_kernelINS0_14default_configENS1_29binary_search_config_selectorIyiEEZNS1_14transform_implILb0ES3_S5_N6thrust23THRUST_200600_302600_NS6detail15normal_iteratorINS8_7pointerIyNS8_11hip_rocprim5par_tENS8_11use_defaultESE_EEEENSA_INSB_IiSD_SE_SE_EEEEZNS1_13binary_searchIS3_S5_NSA_INS8_10device_ptrIyEEEESG_SI_NS1_16binary_search_opENS9_16wrapped_functionINS8_6system6detail7generic6detail18binary_search_lessEbEEEE10hipError_tPvRmT1_T2_T3_mmT4_T5_P12ihipStream_tbEUlRKyE_EESV_SZ_S10_mS11_S14_bEUlT_E_NS1_11comp_targetILNS1_3genE3ELNS1_11target_archE908ELNS1_3gpuE7ELNS1_3repE0EEENS1_30default_config_static_selectorELNS0_4arch9wavefront6targetE1EEEvSY_ ; -- Begin function _ZN7rocprim17ROCPRIM_400000_NS6detail17trampoline_kernelINS0_14default_configENS1_29binary_search_config_selectorIyiEEZNS1_14transform_implILb0ES3_S5_N6thrust23THRUST_200600_302600_NS6detail15normal_iteratorINS8_7pointerIyNS8_11hip_rocprim5par_tENS8_11use_defaultESE_EEEENSA_INSB_IiSD_SE_SE_EEEEZNS1_13binary_searchIS3_S5_NSA_INS8_10device_ptrIyEEEESG_SI_NS1_16binary_search_opENS9_16wrapped_functionINS8_6system6detail7generic6detail18binary_search_lessEbEEEE10hipError_tPvRmT1_T2_T3_mmT4_T5_P12ihipStream_tbEUlRKyE_EESV_SZ_S10_mS11_S14_bEUlT_E_NS1_11comp_targetILNS1_3genE3ELNS1_11target_archE908ELNS1_3gpuE7ELNS1_3repE0EEENS1_30default_config_static_selectorELNS0_4arch9wavefront6targetE1EEEvSY_
	.globl	_ZN7rocprim17ROCPRIM_400000_NS6detail17trampoline_kernelINS0_14default_configENS1_29binary_search_config_selectorIyiEEZNS1_14transform_implILb0ES3_S5_N6thrust23THRUST_200600_302600_NS6detail15normal_iteratorINS8_7pointerIyNS8_11hip_rocprim5par_tENS8_11use_defaultESE_EEEENSA_INSB_IiSD_SE_SE_EEEEZNS1_13binary_searchIS3_S5_NSA_INS8_10device_ptrIyEEEESG_SI_NS1_16binary_search_opENS9_16wrapped_functionINS8_6system6detail7generic6detail18binary_search_lessEbEEEE10hipError_tPvRmT1_T2_T3_mmT4_T5_P12ihipStream_tbEUlRKyE_EESV_SZ_S10_mS11_S14_bEUlT_E_NS1_11comp_targetILNS1_3genE3ELNS1_11target_archE908ELNS1_3gpuE7ELNS1_3repE0EEENS1_30default_config_static_selectorELNS0_4arch9wavefront6targetE1EEEvSY_
	.p2align	8
	.type	_ZN7rocprim17ROCPRIM_400000_NS6detail17trampoline_kernelINS0_14default_configENS1_29binary_search_config_selectorIyiEEZNS1_14transform_implILb0ES3_S5_N6thrust23THRUST_200600_302600_NS6detail15normal_iteratorINS8_7pointerIyNS8_11hip_rocprim5par_tENS8_11use_defaultESE_EEEENSA_INSB_IiSD_SE_SE_EEEEZNS1_13binary_searchIS3_S5_NSA_INS8_10device_ptrIyEEEESG_SI_NS1_16binary_search_opENS9_16wrapped_functionINS8_6system6detail7generic6detail18binary_search_lessEbEEEE10hipError_tPvRmT1_T2_T3_mmT4_T5_P12ihipStream_tbEUlRKyE_EESV_SZ_S10_mS11_S14_bEUlT_E_NS1_11comp_targetILNS1_3genE3ELNS1_11target_archE908ELNS1_3gpuE7ELNS1_3repE0EEENS1_30default_config_static_selectorELNS0_4arch9wavefront6targetE1EEEvSY_,@function
_ZN7rocprim17ROCPRIM_400000_NS6detail17trampoline_kernelINS0_14default_configENS1_29binary_search_config_selectorIyiEEZNS1_14transform_implILb0ES3_S5_N6thrust23THRUST_200600_302600_NS6detail15normal_iteratorINS8_7pointerIyNS8_11hip_rocprim5par_tENS8_11use_defaultESE_EEEENSA_INSB_IiSD_SE_SE_EEEEZNS1_13binary_searchIS3_S5_NSA_INS8_10device_ptrIyEEEESG_SI_NS1_16binary_search_opENS9_16wrapped_functionINS8_6system6detail7generic6detail18binary_search_lessEbEEEE10hipError_tPvRmT1_T2_T3_mmT4_T5_P12ihipStream_tbEUlRKyE_EESV_SZ_S10_mS11_S14_bEUlT_E_NS1_11comp_targetILNS1_3genE3ELNS1_11target_archE908ELNS1_3gpuE7ELNS1_3repE0EEENS1_30default_config_static_selectorELNS0_4arch9wavefront6targetE1EEEvSY_: ; @_ZN7rocprim17ROCPRIM_400000_NS6detail17trampoline_kernelINS0_14default_configENS1_29binary_search_config_selectorIyiEEZNS1_14transform_implILb0ES3_S5_N6thrust23THRUST_200600_302600_NS6detail15normal_iteratorINS8_7pointerIyNS8_11hip_rocprim5par_tENS8_11use_defaultESE_EEEENSA_INSB_IiSD_SE_SE_EEEEZNS1_13binary_searchIS3_S5_NSA_INS8_10device_ptrIyEEEESG_SI_NS1_16binary_search_opENS9_16wrapped_functionINS8_6system6detail7generic6detail18binary_search_lessEbEEEE10hipError_tPvRmT1_T2_T3_mmT4_T5_P12ihipStream_tbEUlRKyE_EESV_SZ_S10_mS11_S14_bEUlT_E_NS1_11comp_targetILNS1_3genE3ELNS1_11target_archE908ELNS1_3gpuE7ELNS1_3repE0EEENS1_30default_config_static_selectorELNS0_4arch9wavefront6targetE1EEEvSY_
; %bb.0:
	.section	.rodata,"a",@progbits
	.p2align	6, 0x0
	.amdhsa_kernel _ZN7rocprim17ROCPRIM_400000_NS6detail17trampoline_kernelINS0_14default_configENS1_29binary_search_config_selectorIyiEEZNS1_14transform_implILb0ES3_S5_N6thrust23THRUST_200600_302600_NS6detail15normal_iteratorINS8_7pointerIyNS8_11hip_rocprim5par_tENS8_11use_defaultESE_EEEENSA_INSB_IiSD_SE_SE_EEEEZNS1_13binary_searchIS3_S5_NSA_INS8_10device_ptrIyEEEESG_SI_NS1_16binary_search_opENS9_16wrapped_functionINS8_6system6detail7generic6detail18binary_search_lessEbEEEE10hipError_tPvRmT1_T2_T3_mmT4_T5_P12ihipStream_tbEUlRKyE_EESV_SZ_S10_mS11_S14_bEUlT_E_NS1_11comp_targetILNS1_3genE3ELNS1_11target_archE908ELNS1_3gpuE7ELNS1_3repE0EEENS1_30default_config_static_selectorELNS0_4arch9wavefront6targetE1EEEvSY_
		.amdhsa_group_segment_fixed_size 0
		.amdhsa_private_segment_fixed_size 0
		.amdhsa_kernarg_size 56
		.amdhsa_user_sgpr_count 6
		.amdhsa_user_sgpr_private_segment_buffer 1
		.amdhsa_user_sgpr_dispatch_ptr 0
		.amdhsa_user_sgpr_queue_ptr 0
		.amdhsa_user_sgpr_kernarg_segment_ptr 1
		.amdhsa_user_sgpr_dispatch_id 0
		.amdhsa_user_sgpr_flat_scratch_init 0
		.amdhsa_user_sgpr_private_segment_size 0
		.amdhsa_uses_dynamic_stack 0
		.amdhsa_system_sgpr_private_segment_wavefront_offset 0
		.amdhsa_system_sgpr_workgroup_id_x 1
		.amdhsa_system_sgpr_workgroup_id_y 0
		.amdhsa_system_sgpr_workgroup_id_z 0
		.amdhsa_system_sgpr_workgroup_info 0
		.amdhsa_system_vgpr_workitem_id 0
		.amdhsa_next_free_vgpr 1
		.amdhsa_next_free_sgpr 0
		.amdhsa_reserve_vcc 0
		.amdhsa_reserve_flat_scratch 0
		.amdhsa_float_round_mode_32 0
		.amdhsa_float_round_mode_16_64 0
		.amdhsa_float_denorm_mode_32 3
		.amdhsa_float_denorm_mode_16_64 3
		.amdhsa_dx10_clamp 1
		.amdhsa_ieee_mode 1
		.amdhsa_fp16_overflow 0
		.amdhsa_exception_fp_ieee_invalid_op 0
		.amdhsa_exception_fp_denorm_src 0
		.amdhsa_exception_fp_ieee_div_zero 0
		.amdhsa_exception_fp_ieee_overflow 0
		.amdhsa_exception_fp_ieee_underflow 0
		.amdhsa_exception_fp_ieee_inexact 0
		.amdhsa_exception_int_div_zero 0
	.end_amdhsa_kernel
	.section	.text._ZN7rocprim17ROCPRIM_400000_NS6detail17trampoline_kernelINS0_14default_configENS1_29binary_search_config_selectorIyiEEZNS1_14transform_implILb0ES3_S5_N6thrust23THRUST_200600_302600_NS6detail15normal_iteratorINS8_7pointerIyNS8_11hip_rocprim5par_tENS8_11use_defaultESE_EEEENSA_INSB_IiSD_SE_SE_EEEEZNS1_13binary_searchIS3_S5_NSA_INS8_10device_ptrIyEEEESG_SI_NS1_16binary_search_opENS9_16wrapped_functionINS8_6system6detail7generic6detail18binary_search_lessEbEEEE10hipError_tPvRmT1_T2_T3_mmT4_T5_P12ihipStream_tbEUlRKyE_EESV_SZ_S10_mS11_S14_bEUlT_E_NS1_11comp_targetILNS1_3genE3ELNS1_11target_archE908ELNS1_3gpuE7ELNS1_3repE0EEENS1_30default_config_static_selectorELNS0_4arch9wavefront6targetE1EEEvSY_,"axG",@progbits,_ZN7rocprim17ROCPRIM_400000_NS6detail17trampoline_kernelINS0_14default_configENS1_29binary_search_config_selectorIyiEEZNS1_14transform_implILb0ES3_S5_N6thrust23THRUST_200600_302600_NS6detail15normal_iteratorINS8_7pointerIyNS8_11hip_rocprim5par_tENS8_11use_defaultESE_EEEENSA_INSB_IiSD_SE_SE_EEEEZNS1_13binary_searchIS3_S5_NSA_INS8_10device_ptrIyEEEESG_SI_NS1_16binary_search_opENS9_16wrapped_functionINS8_6system6detail7generic6detail18binary_search_lessEbEEEE10hipError_tPvRmT1_T2_T3_mmT4_T5_P12ihipStream_tbEUlRKyE_EESV_SZ_S10_mS11_S14_bEUlT_E_NS1_11comp_targetILNS1_3genE3ELNS1_11target_archE908ELNS1_3gpuE7ELNS1_3repE0EEENS1_30default_config_static_selectorELNS0_4arch9wavefront6targetE1EEEvSY_,comdat
.Lfunc_end665:
	.size	_ZN7rocprim17ROCPRIM_400000_NS6detail17trampoline_kernelINS0_14default_configENS1_29binary_search_config_selectorIyiEEZNS1_14transform_implILb0ES3_S5_N6thrust23THRUST_200600_302600_NS6detail15normal_iteratorINS8_7pointerIyNS8_11hip_rocprim5par_tENS8_11use_defaultESE_EEEENSA_INSB_IiSD_SE_SE_EEEEZNS1_13binary_searchIS3_S5_NSA_INS8_10device_ptrIyEEEESG_SI_NS1_16binary_search_opENS9_16wrapped_functionINS8_6system6detail7generic6detail18binary_search_lessEbEEEE10hipError_tPvRmT1_T2_T3_mmT4_T5_P12ihipStream_tbEUlRKyE_EESV_SZ_S10_mS11_S14_bEUlT_E_NS1_11comp_targetILNS1_3genE3ELNS1_11target_archE908ELNS1_3gpuE7ELNS1_3repE0EEENS1_30default_config_static_selectorELNS0_4arch9wavefront6targetE1EEEvSY_, .Lfunc_end665-_ZN7rocprim17ROCPRIM_400000_NS6detail17trampoline_kernelINS0_14default_configENS1_29binary_search_config_selectorIyiEEZNS1_14transform_implILb0ES3_S5_N6thrust23THRUST_200600_302600_NS6detail15normal_iteratorINS8_7pointerIyNS8_11hip_rocprim5par_tENS8_11use_defaultESE_EEEENSA_INSB_IiSD_SE_SE_EEEEZNS1_13binary_searchIS3_S5_NSA_INS8_10device_ptrIyEEEESG_SI_NS1_16binary_search_opENS9_16wrapped_functionINS8_6system6detail7generic6detail18binary_search_lessEbEEEE10hipError_tPvRmT1_T2_T3_mmT4_T5_P12ihipStream_tbEUlRKyE_EESV_SZ_S10_mS11_S14_bEUlT_E_NS1_11comp_targetILNS1_3genE3ELNS1_11target_archE908ELNS1_3gpuE7ELNS1_3repE0EEENS1_30default_config_static_selectorELNS0_4arch9wavefront6targetE1EEEvSY_
                                        ; -- End function
	.set _ZN7rocprim17ROCPRIM_400000_NS6detail17trampoline_kernelINS0_14default_configENS1_29binary_search_config_selectorIyiEEZNS1_14transform_implILb0ES3_S5_N6thrust23THRUST_200600_302600_NS6detail15normal_iteratorINS8_7pointerIyNS8_11hip_rocprim5par_tENS8_11use_defaultESE_EEEENSA_INSB_IiSD_SE_SE_EEEEZNS1_13binary_searchIS3_S5_NSA_INS8_10device_ptrIyEEEESG_SI_NS1_16binary_search_opENS9_16wrapped_functionINS8_6system6detail7generic6detail18binary_search_lessEbEEEE10hipError_tPvRmT1_T2_T3_mmT4_T5_P12ihipStream_tbEUlRKyE_EESV_SZ_S10_mS11_S14_bEUlT_E_NS1_11comp_targetILNS1_3genE3ELNS1_11target_archE908ELNS1_3gpuE7ELNS1_3repE0EEENS1_30default_config_static_selectorELNS0_4arch9wavefront6targetE1EEEvSY_.num_vgpr, 0
	.set _ZN7rocprim17ROCPRIM_400000_NS6detail17trampoline_kernelINS0_14default_configENS1_29binary_search_config_selectorIyiEEZNS1_14transform_implILb0ES3_S5_N6thrust23THRUST_200600_302600_NS6detail15normal_iteratorINS8_7pointerIyNS8_11hip_rocprim5par_tENS8_11use_defaultESE_EEEENSA_INSB_IiSD_SE_SE_EEEEZNS1_13binary_searchIS3_S5_NSA_INS8_10device_ptrIyEEEESG_SI_NS1_16binary_search_opENS9_16wrapped_functionINS8_6system6detail7generic6detail18binary_search_lessEbEEEE10hipError_tPvRmT1_T2_T3_mmT4_T5_P12ihipStream_tbEUlRKyE_EESV_SZ_S10_mS11_S14_bEUlT_E_NS1_11comp_targetILNS1_3genE3ELNS1_11target_archE908ELNS1_3gpuE7ELNS1_3repE0EEENS1_30default_config_static_selectorELNS0_4arch9wavefront6targetE1EEEvSY_.num_agpr, 0
	.set _ZN7rocprim17ROCPRIM_400000_NS6detail17trampoline_kernelINS0_14default_configENS1_29binary_search_config_selectorIyiEEZNS1_14transform_implILb0ES3_S5_N6thrust23THRUST_200600_302600_NS6detail15normal_iteratorINS8_7pointerIyNS8_11hip_rocprim5par_tENS8_11use_defaultESE_EEEENSA_INSB_IiSD_SE_SE_EEEEZNS1_13binary_searchIS3_S5_NSA_INS8_10device_ptrIyEEEESG_SI_NS1_16binary_search_opENS9_16wrapped_functionINS8_6system6detail7generic6detail18binary_search_lessEbEEEE10hipError_tPvRmT1_T2_T3_mmT4_T5_P12ihipStream_tbEUlRKyE_EESV_SZ_S10_mS11_S14_bEUlT_E_NS1_11comp_targetILNS1_3genE3ELNS1_11target_archE908ELNS1_3gpuE7ELNS1_3repE0EEENS1_30default_config_static_selectorELNS0_4arch9wavefront6targetE1EEEvSY_.numbered_sgpr, 0
	.set _ZN7rocprim17ROCPRIM_400000_NS6detail17trampoline_kernelINS0_14default_configENS1_29binary_search_config_selectorIyiEEZNS1_14transform_implILb0ES3_S5_N6thrust23THRUST_200600_302600_NS6detail15normal_iteratorINS8_7pointerIyNS8_11hip_rocprim5par_tENS8_11use_defaultESE_EEEENSA_INSB_IiSD_SE_SE_EEEEZNS1_13binary_searchIS3_S5_NSA_INS8_10device_ptrIyEEEESG_SI_NS1_16binary_search_opENS9_16wrapped_functionINS8_6system6detail7generic6detail18binary_search_lessEbEEEE10hipError_tPvRmT1_T2_T3_mmT4_T5_P12ihipStream_tbEUlRKyE_EESV_SZ_S10_mS11_S14_bEUlT_E_NS1_11comp_targetILNS1_3genE3ELNS1_11target_archE908ELNS1_3gpuE7ELNS1_3repE0EEENS1_30default_config_static_selectorELNS0_4arch9wavefront6targetE1EEEvSY_.num_named_barrier, 0
	.set _ZN7rocprim17ROCPRIM_400000_NS6detail17trampoline_kernelINS0_14default_configENS1_29binary_search_config_selectorIyiEEZNS1_14transform_implILb0ES3_S5_N6thrust23THRUST_200600_302600_NS6detail15normal_iteratorINS8_7pointerIyNS8_11hip_rocprim5par_tENS8_11use_defaultESE_EEEENSA_INSB_IiSD_SE_SE_EEEEZNS1_13binary_searchIS3_S5_NSA_INS8_10device_ptrIyEEEESG_SI_NS1_16binary_search_opENS9_16wrapped_functionINS8_6system6detail7generic6detail18binary_search_lessEbEEEE10hipError_tPvRmT1_T2_T3_mmT4_T5_P12ihipStream_tbEUlRKyE_EESV_SZ_S10_mS11_S14_bEUlT_E_NS1_11comp_targetILNS1_3genE3ELNS1_11target_archE908ELNS1_3gpuE7ELNS1_3repE0EEENS1_30default_config_static_selectorELNS0_4arch9wavefront6targetE1EEEvSY_.private_seg_size, 0
	.set _ZN7rocprim17ROCPRIM_400000_NS6detail17trampoline_kernelINS0_14default_configENS1_29binary_search_config_selectorIyiEEZNS1_14transform_implILb0ES3_S5_N6thrust23THRUST_200600_302600_NS6detail15normal_iteratorINS8_7pointerIyNS8_11hip_rocprim5par_tENS8_11use_defaultESE_EEEENSA_INSB_IiSD_SE_SE_EEEEZNS1_13binary_searchIS3_S5_NSA_INS8_10device_ptrIyEEEESG_SI_NS1_16binary_search_opENS9_16wrapped_functionINS8_6system6detail7generic6detail18binary_search_lessEbEEEE10hipError_tPvRmT1_T2_T3_mmT4_T5_P12ihipStream_tbEUlRKyE_EESV_SZ_S10_mS11_S14_bEUlT_E_NS1_11comp_targetILNS1_3genE3ELNS1_11target_archE908ELNS1_3gpuE7ELNS1_3repE0EEENS1_30default_config_static_selectorELNS0_4arch9wavefront6targetE1EEEvSY_.uses_vcc, 0
	.set _ZN7rocprim17ROCPRIM_400000_NS6detail17trampoline_kernelINS0_14default_configENS1_29binary_search_config_selectorIyiEEZNS1_14transform_implILb0ES3_S5_N6thrust23THRUST_200600_302600_NS6detail15normal_iteratorINS8_7pointerIyNS8_11hip_rocprim5par_tENS8_11use_defaultESE_EEEENSA_INSB_IiSD_SE_SE_EEEEZNS1_13binary_searchIS3_S5_NSA_INS8_10device_ptrIyEEEESG_SI_NS1_16binary_search_opENS9_16wrapped_functionINS8_6system6detail7generic6detail18binary_search_lessEbEEEE10hipError_tPvRmT1_T2_T3_mmT4_T5_P12ihipStream_tbEUlRKyE_EESV_SZ_S10_mS11_S14_bEUlT_E_NS1_11comp_targetILNS1_3genE3ELNS1_11target_archE908ELNS1_3gpuE7ELNS1_3repE0EEENS1_30default_config_static_selectorELNS0_4arch9wavefront6targetE1EEEvSY_.uses_flat_scratch, 0
	.set _ZN7rocprim17ROCPRIM_400000_NS6detail17trampoline_kernelINS0_14default_configENS1_29binary_search_config_selectorIyiEEZNS1_14transform_implILb0ES3_S5_N6thrust23THRUST_200600_302600_NS6detail15normal_iteratorINS8_7pointerIyNS8_11hip_rocprim5par_tENS8_11use_defaultESE_EEEENSA_INSB_IiSD_SE_SE_EEEEZNS1_13binary_searchIS3_S5_NSA_INS8_10device_ptrIyEEEESG_SI_NS1_16binary_search_opENS9_16wrapped_functionINS8_6system6detail7generic6detail18binary_search_lessEbEEEE10hipError_tPvRmT1_T2_T3_mmT4_T5_P12ihipStream_tbEUlRKyE_EESV_SZ_S10_mS11_S14_bEUlT_E_NS1_11comp_targetILNS1_3genE3ELNS1_11target_archE908ELNS1_3gpuE7ELNS1_3repE0EEENS1_30default_config_static_selectorELNS0_4arch9wavefront6targetE1EEEvSY_.has_dyn_sized_stack, 0
	.set _ZN7rocprim17ROCPRIM_400000_NS6detail17trampoline_kernelINS0_14default_configENS1_29binary_search_config_selectorIyiEEZNS1_14transform_implILb0ES3_S5_N6thrust23THRUST_200600_302600_NS6detail15normal_iteratorINS8_7pointerIyNS8_11hip_rocprim5par_tENS8_11use_defaultESE_EEEENSA_INSB_IiSD_SE_SE_EEEEZNS1_13binary_searchIS3_S5_NSA_INS8_10device_ptrIyEEEESG_SI_NS1_16binary_search_opENS9_16wrapped_functionINS8_6system6detail7generic6detail18binary_search_lessEbEEEE10hipError_tPvRmT1_T2_T3_mmT4_T5_P12ihipStream_tbEUlRKyE_EESV_SZ_S10_mS11_S14_bEUlT_E_NS1_11comp_targetILNS1_3genE3ELNS1_11target_archE908ELNS1_3gpuE7ELNS1_3repE0EEENS1_30default_config_static_selectorELNS0_4arch9wavefront6targetE1EEEvSY_.has_recursion, 0
	.set _ZN7rocprim17ROCPRIM_400000_NS6detail17trampoline_kernelINS0_14default_configENS1_29binary_search_config_selectorIyiEEZNS1_14transform_implILb0ES3_S5_N6thrust23THRUST_200600_302600_NS6detail15normal_iteratorINS8_7pointerIyNS8_11hip_rocprim5par_tENS8_11use_defaultESE_EEEENSA_INSB_IiSD_SE_SE_EEEEZNS1_13binary_searchIS3_S5_NSA_INS8_10device_ptrIyEEEESG_SI_NS1_16binary_search_opENS9_16wrapped_functionINS8_6system6detail7generic6detail18binary_search_lessEbEEEE10hipError_tPvRmT1_T2_T3_mmT4_T5_P12ihipStream_tbEUlRKyE_EESV_SZ_S10_mS11_S14_bEUlT_E_NS1_11comp_targetILNS1_3genE3ELNS1_11target_archE908ELNS1_3gpuE7ELNS1_3repE0EEENS1_30default_config_static_selectorELNS0_4arch9wavefront6targetE1EEEvSY_.has_indirect_call, 0
	.section	.AMDGPU.csdata,"",@progbits
; Kernel info:
; codeLenInByte = 0
; TotalNumSgprs: 4
; NumVgprs: 0
; ScratchSize: 0
; MemoryBound: 0
; FloatMode: 240
; IeeeMode: 1
; LDSByteSize: 0 bytes/workgroup (compile time only)
; SGPRBlocks: 0
; VGPRBlocks: 0
; NumSGPRsForWavesPerEU: 4
; NumVGPRsForWavesPerEU: 1
; Occupancy: 10
; WaveLimiterHint : 0
; COMPUTE_PGM_RSRC2:SCRATCH_EN: 0
; COMPUTE_PGM_RSRC2:USER_SGPR: 6
; COMPUTE_PGM_RSRC2:TRAP_HANDLER: 0
; COMPUTE_PGM_RSRC2:TGID_X_EN: 1
; COMPUTE_PGM_RSRC2:TGID_Y_EN: 0
; COMPUTE_PGM_RSRC2:TGID_Z_EN: 0
; COMPUTE_PGM_RSRC2:TIDIG_COMP_CNT: 0
	.section	.text._ZN7rocprim17ROCPRIM_400000_NS6detail17trampoline_kernelINS0_14default_configENS1_29binary_search_config_selectorIyiEEZNS1_14transform_implILb0ES3_S5_N6thrust23THRUST_200600_302600_NS6detail15normal_iteratorINS8_7pointerIyNS8_11hip_rocprim5par_tENS8_11use_defaultESE_EEEENSA_INSB_IiSD_SE_SE_EEEEZNS1_13binary_searchIS3_S5_NSA_INS8_10device_ptrIyEEEESG_SI_NS1_16binary_search_opENS9_16wrapped_functionINS8_6system6detail7generic6detail18binary_search_lessEbEEEE10hipError_tPvRmT1_T2_T3_mmT4_T5_P12ihipStream_tbEUlRKyE_EESV_SZ_S10_mS11_S14_bEUlT_E_NS1_11comp_targetILNS1_3genE2ELNS1_11target_archE906ELNS1_3gpuE6ELNS1_3repE0EEENS1_30default_config_static_selectorELNS0_4arch9wavefront6targetE1EEEvSY_,"axG",@progbits,_ZN7rocprim17ROCPRIM_400000_NS6detail17trampoline_kernelINS0_14default_configENS1_29binary_search_config_selectorIyiEEZNS1_14transform_implILb0ES3_S5_N6thrust23THRUST_200600_302600_NS6detail15normal_iteratorINS8_7pointerIyNS8_11hip_rocprim5par_tENS8_11use_defaultESE_EEEENSA_INSB_IiSD_SE_SE_EEEEZNS1_13binary_searchIS3_S5_NSA_INS8_10device_ptrIyEEEESG_SI_NS1_16binary_search_opENS9_16wrapped_functionINS8_6system6detail7generic6detail18binary_search_lessEbEEEE10hipError_tPvRmT1_T2_T3_mmT4_T5_P12ihipStream_tbEUlRKyE_EESV_SZ_S10_mS11_S14_bEUlT_E_NS1_11comp_targetILNS1_3genE2ELNS1_11target_archE906ELNS1_3gpuE6ELNS1_3repE0EEENS1_30default_config_static_selectorELNS0_4arch9wavefront6targetE1EEEvSY_,comdat
	.protected	_ZN7rocprim17ROCPRIM_400000_NS6detail17trampoline_kernelINS0_14default_configENS1_29binary_search_config_selectorIyiEEZNS1_14transform_implILb0ES3_S5_N6thrust23THRUST_200600_302600_NS6detail15normal_iteratorINS8_7pointerIyNS8_11hip_rocprim5par_tENS8_11use_defaultESE_EEEENSA_INSB_IiSD_SE_SE_EEEEZNS1_13binary_searchIS3_S5_NSA_INS8_10device_ptrIyEEEESG_SI_NS1_16binary_search_opENS9_16wrapped_functionINS8_6system6detail7generic6detail18binary_search_lessEbEEEE10hipError_tPvRmT1_T2_T3_mmT4_T5_P12ihipStream_tbEUlRKyE_EESV_SZ_S10_mS11_S14_bEUlT_E_NS1_11comp_targetILNS1_3genE2ELNS1_11target_archE906ELNS1_3gpuE6ELNS1_3repE0EEENS1_30default_config_static_selectorELNS0_4arch9wavefront6targetE1EEEvSY_ ; -- Begin function _ZN7rocprim17ROCPRIM_400000_NS6detail17trampoline_kernelINS0_14default_configENS1_29binary_search_config_selectorIyiEEZNS1_14transform_implILb0ES3_S5_N6thrust23THRUST_200600_302600_NS6detail15normal_iteratorINS8_7pointerIyNS8_11hip_rocprim5par_tENS8_11use_defaultESE_EEEENSA_INSB_IiSD_SE_SE_EEEEZNS1_13binary_searchIS3_S5_NSA_INS8_10device_ptrIyEEEESG_SI_NS1_16binary_search_opENS9_16wrapped_functionINS8_6system6detail7generic6detail18binary_search_lessEbEEEE10hipError_tPvRmT1_T2_T3_mmT4_T5_P12ihipStream_tbEUlRKyE_EESV_SZ_S10_mS11_S14_bEUlT_E_NS1_11comp_targetILNS1_3genE2ELNS1_11target_archE906ELNS1_3gpuE6ELNS1_3repE0EEENS1_30default_config_static_selectorELNS0_4arch9wavefront6targetE1EEEvSY_
	.globl	_ZN7rocprim17ROCPRIM_400000_NS6detail17trampoline_kernelINS0_14default_configENS1_29binary_search_config_selectorIyiEEZNS1_14transform_implILb0ES3_S5_N6thrust23THRUST_200600_302600_NS6detail15normal_iteratorINS8_7pointerIyNS8_11hip_rocprim5par_tENS8_11use_defaultESE_EEEENSA_INSB_IiSD_SE_SE_EEEEZNS1_13binary_searchIS3_S5_NSA_INS8_10device_ptrIyEEEESG_SI_NS1_16binary_search_opENS9_16wrapped_functionINS8_6system6detail7generic6detail18binary_search_lessEbEEEE10hipError_tPvRmT1_T2_T3_mmT4_T5_P12ihipStream_tbEUlRKyE_EESV_SZ_S10_mS11_S14_bEUlT_E_NS1_11comp_targetILNS1_3genE2ELNS1_11target_archE906ELNS1_3gpuE6ELNS1_3repE0EEENS1_30default_config_static_selectorELNS0_4arch9wavefront6targetE1EEEvSY_
	.p2align	8
	.type	_ZN7rocprim17ROCPRIM_400000_NS6detail17trampoline_kernelINS0_14default_configENS1_29binary_search_config_selectorIyiEEZNS1_14transform_implILb0ES3_S5_N6thrust23THRUST_200600_302600_NS6detail15normal_iteratorINS8_7pointerIyNS8_11hip_rocprim5par_tENS8_11use_defaultESE_EEEENSA_INSB_IiSD_SE_SE_EEEEZNS1_13binary_searchIS3_S5_NSA_INS8_10device_ptrIyEEEESG_SI_NS1_16binary_search_opENS9_16wrapped_functionINS8_6system6detail7generic6detail18binary_search_lessEbEEEE10hipError_tPvRmT1_T2_T3_mmT4_T5_P12ihipStream_tbEUlRKyE_EESV_SZ_S10_mS11_S14_bEUlT_E_NS1_11comp_targetILNS1_3genE2ELNS1_11target_archE906ELNS1_3gpuE6ELNS1_3repE0EEENS1_30default_config_static_selectorELNS0_4arch9wavefront6targetE1EEEvSY_,@function
_ZN7rocprim17ROCPRIM_400000_NS6detail17trampoline_kernelINS0_14default_configENS1_29binary_search_config_selectorIyiEEZNS1_14transform_implILb0ES3_S5_N6thrust23THRUST_200600_302600_NS6detail15normal_iteratorINS8_7pointerIyNS8_11hip_rocprim5par_tENS8_11use_defaultESE_EEEENSA_INSB_IiSD_SE_SE_EEEEZNS1_13binary_searchIS3_S5_NSA_INS8_10device_ptrIyEEEESG_SI_NS1_16binary_search_opENS9_16wrapped_functionINS8_6system6detail7generic6detail18binary_search_lessEbEEEE10hipError_tPvRmT1_T2_T3_mmT4_T5_P12ihipStream_tbEUlRKyE_EESV_SZ_S10_mS11_S14_bEUlT_E_NS1_11comp_targetILNS1_3genE2ELNS1_11target_archE906ELNS1_3gpuE6ELNS1_3repE0EEENS1_30default_config_static_selectorELNS0_4arch9wavefront6targetE1EEEvSY_: ; @_ZN7rocprim17ROCPRIM_400000_NS6detail17trampoline_kernelINS0_14default_configENS1_29binary_search_config_selectorIyiEEZNS1_14transform_implILb0ES3_S5_N6thrust23THRUST_200600_302600_NS6detail15normal_iteratorINS8_7pointerIyNS8_11hip_rocprim5par_tENS8_11use_defaultESE_EEEENSA_INSB_IiSD_SE_SE_EEEEZNS1_13binary_searchIS3_S5_NSA_INS8_10device_ptrIyEEEESG_SI_NS1_16binary_search_opENS9_16wrapped_functionINS8_6system6detail7generic6detail18binary_search_lessEbEEEE10hipError_tPvRmT1_T2_T3_mmT4_T5_P12ihipStream_tbEUlRKyE_EESV_SZ_S10_mS11_S14_bEUlT_E_NS1_11comp_targetILNS1_3genE2ELNS1_11target_archE906ELNS1_3gpuE6ELNS1_3repE0EEENS1_30default_config_static_selectorELNS0_4arch9wavefront6targetE1EEEvSY_
; %bb.0:
	s_load_dwordx4 s[0:3], s[4:5], 0x0
	s_load_dwordx4 s[8:11], s[4:5], 0x18
	s_load_dwordx2 s[14:15], s[4:5], 0x28
	s_load_dword s7, s[4:5], 0x38
	s_waitcnt lgkmcnt(0)
	s_lshl_b64 s[12:13], s[2:3], 3
	s_add_u32 s18, s0, s12
	s_addc_u32 s19, s1, s13
	s_lshl_b32 s12, s6, 8
	s_add_i32 s7, s7, -1
	s_cmp_lg_u32 s6, s7
	s_mov_b32 s13, 0
	s_cbranch_scc0 .LBB666_6
; %bb.1:
	s_lshl_b64 s[0:1], s[12:13], 3
	s_add_u32 s0, s18, s0
	s_addc_u32 s1, s19, s1
	v_lshlrev_b32_e32 v1, 3, v0
	v_mov_b32_e32 v2, s1
	v_add_co_u32_e32 v1, vcc, s0, v1
	v_addc_co_u32_e32 v2, vcc, 0, v2, vcc
	flat_load_dwordx2 v[2:3], v[1:2]
	v_mov_b32_e32 v4, 0
	v_mov_b32_e32 v1, 0
	s_cmp_eq_u64 s[14:15], 0
	s_mov_b64 s[0:1], 0
	v_mov_b32_e32 v5, 0
	s_cbranch_scc1 .LBB666_5
; %bb.2:
	v_mov_b32_e32 v6, s14
	v_mov_b32_e32 v7, s15
	;; [unrolled: 1-line block ×3, first 2 shown]
.LBB666_3:                              ; =>This Inner Loop Header: Depth=1
	v_sub_co_u32_e32 v9, vcc, v6, v4
	v_subb_co_u32_e32 v10, vcc, v7, v5, vcc
	v_lshrrev_b64 v[11:12], 1, v[9:10]
	v_lshrrev_b64 v[9:10], 6, v[9:10]
	v_add_co_u32_e32 v11, vcc, v11, v4
	v_addc_co_u32_e32 v12, vcc, v12, v5, vcc
	v_add_co_u32_e32 v9, vcc, v11, v9
	v_addc_co_u32_e32 v10, vcc, v12, v10, vcc
	v_lshlrev_b64 v[11:12], 3, v[9:10]
	v_add_co_u32_e32 v11, vcc, s10, v11
	v_addc_co_u32_e32 v12, vcc, v8, v12, vcc
	global_load_dwordx2 v[11:12], v[11:12], off
	v_add_co_u32_e32 v13, vcc, 1, v9
	v_addc_co_u32_e32 v14, vcc, 0, v10, vcc
	s_waitcnt vmcnt(0) lgkmcnt(0)
	v_cmp_lt_u64_e32 vcc, v[11:12], v[2:3]
	v_cndmask_b32_e32 v7, v10, v7, vcc
	v_cndmask_b32_e32 v6, v9, v6, vcc
	;; [unrolled: 1-line block ×4, first 2 shown]
	v_cmp_ge_u64_e32 vcc, v[4:5], v[6:7]
	s_or_b64 s[0:1], vcc, s[0:1]
	s_andn2_b64 exec, exec, s[0:1]
	s_cbranch_execnz .LBB666_3
; %bb.4:
	s_or_b64 exec, exec, s[0:1]
.LBB666_5:
	v_cmp_eq_u64_e64 s[6:7], s[14:15], v[4:5]
	v_cmp_ne_u64_e64 s[16:17], s[14:15], v[4:5]
	s_branch .LBB666_14
.LBB666_6:
	s_mov_b64 s[16:17], 0
	s_mov_b64 s[6:7], 0
                                        ; implicit-def: $vgpr2_vgpr3
                                        ; implicit-def: $vgpr4_vgpr5
	s_cbranch_execz .LBB666_14
; %bb.7:
	s_load_dword s0, s[4:5], 0x10
                                        ; implicit-def: $vgpr2_vgpr3
                                        ; implicit-def: $vgpr4_vgpr5
	s_waitcnt lgkmcnt(0)
	s_sub_i32 s0, s0, s12
	v_cmp_gt_u32_e32 vcc, s0, v0
	s_and_saveexec_b64 s[4:5], vcc
	s_cbranch_execz .LBB666_13
; %bb.8:
	s_lshl_b64 s[0:1], s[12:13], 3
	s_add_u32 s0, s18, s0
	s_addc_u32 s1, s19, s1
	v_lshlrev_b32_e32 v1, 3, v0
	s_waitcnt vmcnt(0)
	v_mov_b32_e32 v2, s1
	v_add_co_u32_e32 v1, vcc, s0, v1
	v_addc_co_u32_e32 v2, vcc, 0, v2, vcc
	flat_load_dwordx2 v[2:3], v[1:2]
	v_mov_b32_e32 v4, 0
	v_mov_b32_e32 v1, 0
	s_cmp_eq_u64 s[14:15], 0
	s_mov_b64 s[0:1], 0
	v_mov_b32_e32 v5, 0
	s_cbranch_scc1 .LBB666_12
; %bb.9:
	v_mov_b32_e32 v6, s14
	v_mov_b32_e32 v7, s15
	;; [unrolled: 1-line block ×3, first 2 shown]
.LBB666_10:                             ; =>This Inner Loop Header: Depth=1
	v_sub_co_u32_e32 v9, vcc, v6, v4
	v_subb_co_u32_e32 v10, vcc, v7, v5, vcc
	v_lshrrev_b64 v[11:12], 1, v[9:10]
	v_lshrrev_b64 v[9:10], 6, v[9:10]
	v_add_co_u32_e32 v11, vcc, v11, v4
	v_addc_co_u32_e32 v12, vcc, v12, v5, vcc
	v_add_co_u32_e32 v9, vcc, v11, v9
	v_addc_co_u32_e32 v10, vcc, v12, v10, vcc
	v_lshlrev_b64 v[11:12], 3, v[9:10]
	v_add_co_u32_e32 v11, vcc, s10, v11
	v_addc_co_u32_e32 v12, vcc, v8, v12, vcc
	global_load_dwordx2 v[11:12], v[11:12], off
	v_add_co_u32_e32 v13, vcc, 1, v9
	v_addc_co_u32_e32 v14, vcc, 0, v10, vcc
	s_waitcnt vmcnt(0) lgkmcnt(0)
	v_cmp_lt_u64_e32 vcc, v[11:12], v[2:3]
	v_cndmask_b32_e32 v7, v10, v7, vcc
	v_cndmask_b32_e32 v6, v9, v6, vcc
	;; [unrolled: 1-line block ×4, first 2 shown]
	v_cmp_ge_u64_e32 vcc, v[4:5], v[6:7]
	s_or_b64 s[0:1], vcc, s[0:1]
	s_andn2_b64 exec, exec, s[0:1]
	s_cbranch_execnz .LBB666_10
; %bb.11:
	s_or_b64 exec, exec, s[0:1]
.LBB666_12:
	v_cmp_eq_u64_e32 vcc, s[14:15], v[4:5]
	v_cmp_ne_u64_e64 s[0:1], s[14:15], v[4:5]
	s_andn2_b64 s[6:7], s[6:7], exec
	s_and_b64 s[14:15], vcc, exec
	s_or_b64 s[6:7], s[6:7], s[14:15]
	s_andn2_b64 s[14:15], s[16:17], exec
	s_and_b64 s[0:1], s[0:1], exec
	s_or_b64 s[16:17], s[14:15], s[0:1]
.LBB666_13:
	s_or_b64 exec, exec, s[4:5]
.LBB666_14:
	v_mov_b32_e32 v6, 0
	s_and_saveexec_b64 s[0:1], s[16:17]
	s_cbranch_execnz .LBB666_17
; %bb.15:
	s_or_b64 exec, exec, s[0:1]
	s_and_saveexec_b64 s[0:1], s[6:7]
	s_cbranch_execnz .LBB666_18
.LBB666_16:
	s_endpgm
.LBB666_17:
	v_lshlrev_b64 v[4:5], 3, v[4:5]
	v_mov_b32_e32 v6, s11
	v_add_co_u32_e32 v4, vcc, s10, v4
	v_addc_co_u32_e32 v5, vcc, v6, v5, vcc
	global_load_dwordx2 v[4:5], v[4:5], off
	s_or_b64 s[6:7], s[6:7], exec
	s_waitcnt vmcnt(0) lgkmcnt(0)
	v_cmp_ge_u64_e32 vcc, v[2:3], v[4:5]
	v_cndmask_b32_e64 v6, 0, 1, vcc
	s_or_b64 exec, exec, s[0:1]
	s_and_saveexec_b64 s[0:1], s[6:7]
	s_cbranch_execz .LBB666_16
.LBB666_18:
	s_lshl_b64 s[0:1], s[2:3], 2
	s_add_u32 s2, s8, s0
	s_addc_u32 s3, s9, s1
	s_lshl_b64 s[0:1], s[12:13], 2
	s_add_u32 s0, s2, s0
	v_lshlrev_b64 v[0:1], 2, v[0:1]
	s_addc_u32 s1, s3, s1
	s_waitcnt vmcnt(0) lgkmcnt(0)
	v_mov_b32_e32 v2, s1
	v_add_co_u32_e32 v0, vcc, s0, v0
	v_addc_co_u32_e32 v1, vcc, v2, v1, vcc
	flat_store_dword v[0:1], v6
	s_endpgm
	.section	.rodata,"a",@progbits
	.p2align	6, 0x0
	.amdhsa_kernel _ZN7rocprim17ROCPRIM_400000_NS6detail17trampoline_kernelINS0_14default_configENS1_29binary_search_config_selectorIyiEEZNS1_14transform_implILb0ES3_S5_N6thrust23THRUST_200600_302600_NS6detail15normal_iteratorINS8_7pointerIyNS8_11hip_rocprim5par_tENS8_11use_defaultESE_EEEENSA_INSB_IiSD_SE_SE_EEEEZNS1_13binary_searchIS3_S5_NSA_INS8_10device_ptrIyEEEESG_SI_NS1_16binary_search_opENS9_16wrapped_functionINS8_6system6detail7generic6detail18binary_search_lessEbEEEE10hipError_tPvRmT1_T2_T3_mmT4_T5_P12ihipStream_tbEUlRKyE_EESV_SZ_S10_mS11_S14_bEUlT_E_NS1_11comp_targetILNS1_3genE2ELNS1_11target_archE906ELNS1_3gpuE6ELNS1_3repE0EEENS1_30default_config_static_selectorELNS0_4arch9wavefront6targetE1EEEvSY_
		.amdhsa_group_segment_fixed_size 0
		.amdhsa_private_segment_fixed_size 0
		.amdhsa_kernarg_size 312
		.amdhsa_user_sgpr_count 6
		.amdhsa_user_sgpr_private_segment_buffer 1
		.amdhsa_user_sgpr_dispatch_ptr 0
		.amdhsa_user_sgpr_queue_ptr 0
		.amdhsa_user_sgpr_kernarg_segment_ptr 1
		.amdhsa_user_sgpr_dispatch_id 0
		.amdhsa_user_sgpr_flat_scratch_init 0
		.amdhsa_user_sgpr_private_segment_size 0
		.amdhsa_uses_dynamic_stack 0
		.amdhsa_system_sgpr_private_segment_wavefront_offset 0
		.amdhsa_system_sgpr_workgroup_id_x 1
		.amdhsa_system_sgpr_workgroup_id_y 0
		.amdhsa_system_sgpr_workgroup_id_z 0
		.amdhsa_system_sgpr_workgroup_info 0
		.amdhsa_system_vgpr_workitem_id 0
		.amdhsa_next_free_vgpr 15
		.amdhsa_next_free_sgpr 20
		.amdhsa_reserve_vcc 1
		.amdhsa_reserve_flat_scratch 0
		.amdhsa_float_round_mode_32 0
		.amdhsa_float_round_mode_16_64 0
		.amdhsa_float_denorm_mode_32 3
		.amdhsa_float_denorm_mode_16_64 3
		.amdhsa_dx10_clamp 1
		.amdhsa_ieee_mode 1
		.amdhsa_fp16_overflow 0
		.amdhsa_exception_fp_ieee_invalid_op 0
		.amdhsa_exception_fp_denorm_src 0
		.amdhsa_exception_fp_ieee_div_zero 0
		.amdhsa_exception_fp_ieee_overflow 0
		.amdhsa_exception_fp_ieee_underflow 0
		.amdhsa_exception_fp_ieee_inexact 0
		.amdhsa_exception_int_div_zero 0
	.end_amdhsa_kernel
	.section	.text._ZN7rocprim17ROCPRIM_400000_NS6detail17trampoline_kernelINS0_14default_configENS1_29binary_search_config_selectorIyiEEZNS1_14transform_implILb0ES3_S5_N6thrust23THRUST_200600_302600_NS6detail15normal_iteratorINS8_7pointerIyNS8_11hip_rocprim5par_tENS8_11use_defaultESE_EEEENSA_INSB_IiSD_SE_SE_EEEEZNS1_13binary_searchIS3_S5_NSA_INS8_10device_ptrIyEEEESG_SI_NS1_16binary_search_opENS9_16wrapped_functionINS8_6system6detail7generic6detail18binary_search_lessEbEEEE10hipError_tPvRmT1_T2_T3_mmT4_T5_P12ihipStream_tbEUlRKyE_EESV_SZ_S10_mS11_S14_bEUlT_E_NS1_11comp_targetILNS1_3genE2ELNS1_11target_archE906ELNS1_3gpuE6ELNS1_3repE0EEENS1_30default_config_static_selectorELNS0_4arch9wavefront6targetE1EEEvSY_,"axG",@progbits,_ZN7rocprim17ROCPRIM_400000_NS6detail17trampoline_kernelINS0_14default_configENS1_29binary_search_config_selectorIyiEEZNS1_14transform_implILb0ES3_S5_N6thrust23THRUST_200600_302600_NS6detail15normal_iteratorINS8_7pointerIyNS8_11hip_rocprim5par_tENS8_11use_defaultESE_EEEENSA_INSB_IiSD_SE_SE_EEEEZNS1_13binary_searchIS3_S5_NSA_INS8_10device_ptrIyEEEESG_SI_NS1_16binary_search_opENS9_16wrapped_functionINS8_6system6detail7generic6detail18binary_search_lessEbEEEE10hipError_tPvRmT1_T2_T3_mmT4_T5_P12ihipStream_tbEUlRKyE_EESV_SZ_S10_mS11_S14_bEUlT_E_NS1_11comp_targetILNS1_3genE2ELNS1_11target_archE906ELNS1_3gpuE6ELNS1_3repE0EEENS1_30default_config_static_selectorELNS0_4arch9wavefront6targetE1EEEvSY_,comdat
.Lfunc_end666:
	.size	_ZN7rocprim17ROCPRIM_400000_NS6detail17trampoline_kernelINS0_14default_configENS1_29binary_search_config_selectorIyiEEZNS1_14transform_implILb0ES3_S5_N6thrust23THRUST_200600_302600_NS6detail15normal_iteratorINS8_7pointerIyNS8_11hip_rocprim5par_tENS8_11use_defaultESE_EEEENSA_INSB_IiSD_SE_SE_EEEEZNS1_13binary_searchIS3_S5_NSA_INS8_10device_ptrIyEEEESG_SI_NS1_16binary_search_opENS9_16wrapped_functionINS8_6system6detail7generic6detail18binary_search_lessEbEEEE10hipError_tPvRmT1_T2_T3_mmT4_T5_P12ihipStream_tbEUlRKyE_EESV_SZ_S10_mS11_S14_bEUlT_E_NS1_11comp_targetILNS1_3genE2ELNS1_11target_archE906ELNS1_3gpuE6ELNS1_3repE0EEENS1_30default_config_static_selectorELNS0_4arch9wavefront6targetE1EEEvSY_, .Lfunc_end666-_ZN7rocprim17ROCPRIM_400000_NS6detail17trampoline_kernelINS0_14default_configENS1_29binary_search_config_selectorIyiEEZNS1_14transform_implILb0ES3_S5_N6thrust23THRUST_200600_302600_NS6detail15normal_iteratorINS8_7pointerIyNS8_11hip_rocprim5par_tENS8_11use_defaultESE_EEEENSA_INSB_IiSD_SE_SE_EEEEZNS1_13binary_searchIS3_S5_NSA_INS8_10device_ptrIyEEEESG_SI_NS1_16binary_search_opENS9_16wrapped_functionINS8_6system6detail7generic6detail18binary_search_lessEbEEEE10hipError_tPvRmT1_T2_T3_mmT4_T5_P12ihipStream_tbEUlRKyE_EESV_SZ_S10_mS11_S14_bEUlT_E_NS1_11comp_targetILNS1_3genE2ELNS1_11target_archE906ELNS1_3gpuE6ELNS1_3repE0EEENS1_30default_config_static_selectorELNS0_4arch9wavefront6targetE1EEEvSY_
                                        ; -- End function
	.set _ZN7rocprim17ROCPRIM_400000_NS6detail17trampoline_kernelINS0_14default_configENS1_29binary_search_config_selectorIyiEEZNS1_14transform_implILb0ES3_S5_N6thrust23THRUST_200600_302600_NS6detail15normal_iteratorINS8_7pointerIyNS8_11hip_rocprim5par_tENS8_11use_defaultESE_EEEENSA_INSB_IiSD_SE_SE_EEEEZNS1_13binary_searchIS3_S5_NSA_INS8_10device_ptrIyEEEESG_SI_NS1_16binary_search_opENS9_16wrapped_functionINS8_6system6detail7generic6detail18binary_search_lessEbEEEE10hipError_tPvRmT1_T2_T3_mmT4_T5_P12ihipStream_tbEUlRKyE_EESV_SZ_S10_mS11_S14_bEUlT_E_NS1_11comp_targetILNS1_3genE2ELNS1_11target_archE906ELNS1_3gpuE6ELNS1_3repE0EEENS1_30default_config_static_selectorELNS0_4arch9wavefront6targetE1EEEvSY_.num_vgpr, 15
	.set _ZN7rocprim17ROCPRIM_400000_NS6detail17trampoline_kernelINS0_14default_configENS1_29binary_search_config_selectorIyiEEZNS1_14transform_implILb0ES3_S5_N6thrust23THRUST_200600_302600_NS6detail15normal_iteratorINS8_7pointerIyNS8_11hip_rocprim5par_tENS8_11use_defaultESE_EEEENSA_INSB_IiSD_SE_SE_EEEEZNS1_13binary_searchIS3_S5_NSA_INS8_10device_ptrIyEEEESG_SI_NS1_16binary_search_opENS9_16wrapped_functionINS8_6system6detail7generic6detail18binary_search_lessEbEEEE10hipError_tPvRmT1_T2_T3_mmT4_T5_P12ihipStream_tbEUlRKyE_EESV_SZ_S10_mS11_S14_bEUlT_E_NS1_11comp_targetILNS1_3genE2ELNS1_11target_archE906ELNS1_3gpuE6ELNS1_3repE0EEENS1_30default_config_static_selectorELNS0_4arch9wavefront6targetE1EEEvSY_.num_agpr, 0
	.set _ZN7rocprim17ROCPRIM_400000_NS6detail17trampoline_kernelINS0_14default_configENS1_29binary_search_config_selectorIyiEEZNS1_14transform_implILb0ES3_S5_N6thrust23THRUST_200600_302600_NS6detail15normal_iteratorINS8_7pointerIyNS8_11hip_rocprim5par_tENS8_11use_defaultESE_EEEENSA_INSB_IiSD_SE_SE_EEEEZNS1_13binary_searchIS3_S5_NSA_INS8_10device_ptrIyEEEESG_SI_NS1_16binary_search_opENS9_16wrapped_functionINS8_6system6detail7generic6detail18binary_search_lessEbEEEE10hipError_tPvRmT1_T2_T3_mmT4_T5_P12ihipStream_tbEUlRKyE_EESV_SZ_S10_mS11_S14_bEUlT_E_NS1_11comp_targetILNS1_3genE2ELNS1_11target_archE906ELNS1_3gpuE6ELNS1_3repE0EEENS1_30default_config_static_selectorELNS0_4arch9wavefront6targetE1EEEvSY_.numbered_sgpr, 20
	.set _ZN7rocprim17ROCPRIM_400000_NS6detail17trampoline_kernelINS0_14default_configENS1_29binary_search_config_selectorIyiEEZNS1_14transform_implILb0ES3_S5_N6thrust23THRUST_200600_302600_NS6detail15normal_iteratorINS8_7pointerIyNS8_11hip_rocprim5par_tENS8_11use_defaultESE_EEEENSA_INSB_IiSD_SE_SE_EEEEZNS1_13binary_searchIS3_S5_NSA_INS8_10device_ptrIyEEEESG_SI_NS1_16binary_search_opENS9_16wrapped_functionINS8_6system6detail7generic6detail18binary_search_lessEbEEEE10hipError_tPvRmT1_T2_T3_mmT4_T5_P12ihipStream_tbEUlRKyE_EESV_SZ_S10_mS11_S14_bEUlT_E_NS1_11comp_targetILNS1_3genE2ELNS1_11target_archE906ELNS1_3gpuE6ELNS1_3repE0EEENS1_30default_config_static_selectorELNS0_4arch9wavefront6targetE1EEEvSY_.num_named_barrier, 0
	.set _ZN7rocprim17ROCPRIM_400000_NS6detail17trampoline_kernelINS0_14default_configENS1_29binary_search_config_selectorIyiEEZNS1_14transform_implILb0ES3_S5_N6thrust23THRUST_200600_302600_NS6detail15normal_iteratorINS8_7pointerIyNS8_11hip_rocprim5par_tENS8_11use_defaultESE_EEEENSA_INSB_IiSD_SE_SE_EEEEZNS1_13binary_searchIS3_S5_NSA_INS8_10device_ptrIyEEEESG_SI_NS1_16binary_search_opENS9_16wrapped_functionINS8_6system6detail7generic6detail18binary_search_lessEbEEEE10hipError_tPvRmT1_T2_T3_mmT4_T5_P12ihipStream_tbEUlRKyE_EESV_SZ_S10_mS11_S14_bEUlT_E_NS1_11comp_targetILNS1_3genE2ELNS1_11target_archE906ELNS1_3gpuE6ELNS1_3repE0EEENS1_30default_config_static_selectorELNS0_4arch9wavefront6targetE1EEEvSY_.private_seg_size, 0
	.set _ZN7rocprim17ROCPRIM_400000_NS6detail17trampoline_kernelINS0_14default_configENS1_29binary_search_config_selectorIyiEEZNS1_14transform_implILb0ES3_S5_N6thrust23THRUST_200600_302600_NS6detail15normal_iteratorINS8_7pointerIyNS8_11hip_rocprim5par_tENS8_11use_defaultESE_EEEENSA_INSB_IiSD_SE_SE_EEEEZNS1_13binary_searchIS3_S5_NSA_INS8_10device_ptrIyEEEESG_SI_NS1_16binary_search_opENS9_16wrapped_functionINS8_6system6detail7generic6detail18binary_search_lessEbEEEE10hipError_tPvRmT1_T2_T3_mmT4_T5_P12ihipStream_tbEUlRKyE_EESV_SZ_S10_mS11_S14_bEUlT_E_NS1_11comp_targetILNS1_3genE2ELNS1_11target_archE906ELNS1_3gpuE6ELNS1_3repE0EEENS1_30default_config_static_selectorELNS0_4arch9wavefront6targetE1EEEvSY_.uses_vcc, 1
	.set _ZN7rocprim17ROCPRIM_400000_NS6detail17trampoline_kernelINS0_14default_configENS1_29binary_search_config_selectorIyiEEZNS1_14transform_implILb0ES3_S5_N6thrust23THRUST_200600_302600_NS6detail15normal_iteratorINS8_7pointerIyNS8_11hip_rocprim5par_tENS8_11use_defaultESE_EEEENSA_INSB_IiSD_SE_SE_EEEEZNS1_13binary_searchIS3_S5_NSA_INS8_10device_ptrIyEEEESG_SI_NS1_16binary_search_opENS9_16wrapped_functionINS8_6system6detail7generic6detail18binary_search_lessEbEEEE10hipError_tPvRmT1_T2_T3_mmT4_T5_P12ihipStream_tbEUlRKyE_EESV_SZ_S10_mS11_S14_bEUlT_E_NS1_11comp_targetILNS1_3genE2ELNS1_11target_archE906ELNS1_3gpuE6ELNS1_3repE0EEENS1_30default_config_static_selectorELNS0_4arch9wavefront6targetE1EEEvSY_.uses_flat_scratch, 0
	.set _ZN7rocprim17ROCPRIM_400000_NS6detail17trampoline_kernelINS0_14default_configENS1_29binary_search_config_selectorIyiEEZNS1_14transform_implILb0ES3_S5_N6thrust23THRUST_200600_302600_NS6detail15normal_iteratorINS8_7pointerIyNS8_11hip_rocprim5par_tENS8_11use_defaultESE_EEEENSA_INSB_IiSD_SE_SE_EEEEZNS1_13binary_searchIS3_S5_NSA_INS8_10device_ptrIyEEEESG_SI_NS1_16binary_search_opENS9_16wrapped_functionINS8_6system6detail7generic6detail18binary_search_lessEbEEEE10hipError_tPvRmT1_T2_T3_mmT4_T5_P12ihipStream_tbEUlRKyE_EESV_SZ_S10_mS11_S14_bEUlT_E_NS1_11comp_targetILNS1_3genE2ELNS1_11target_archE906ELNS1_3gpuE6ELNS1_3repE0EEENS1_30default_config_static_selectorELNS0_4arch9wavefront6targetE1EEEvSY_.has_dyn_sized_stack, 0
	.set _ZN7rocprim17ROCPRIM_400000_NS6detail17trampoline_kernelINS0_14default_configENS1_29binary_search_config_selectorIyiEEZNS1_14transform_implILb0ES3_S5_N6thrust23THRUST_200600_302600_NS6detail15normal_iteratorINS8_7pointerIyNS8_11hip_rocprim5par_tENS8_11use_defaultESE_EEEENSA_INSB_IiSD_SE_SE_EEEEZNS1_13binary_searchIS3_S5_NSA_INS8_10device_ptrIyEEEESG_SI_NS1_16binary_search_opENS9_16wrapped_functionINS8_6system6detail7generic6detail18binary_search_lessEbEEEE10hipError_tPvRmT1_T2_T3_mmT4_T5_P12ihipStream_tbEUlRKyE_EESV_SZ_S10_mS11_S14_bEUlT_E_NS1_11comp_targetILNS1_3genE2ELNS1_11target_archE906ELNS1_3gpuE6ELNS1_3repE0EEENS1_30default_config_static_selectorELNS0_4arch9wavefront6targetE1EEEvSY_.has_recursion, 0
	.set _ZN7rocprim17ROCPRIM_400000_NS6detail17trampoline_kernelINS0_14default_configENS1_29binary_search_config_selectorIyiEEZNS1_14transform_implILb0ES3_S5_N6thrust23THRUST_200600_302600_NS6detail15normal_iteratorINS8_7pointerIyNS8_11hip_rocprim5par_tENS8_11use_defaultESE_EEEENSA_INSB_IiSD_SE_SE_EEEEZNS1_13binary_searchIS3_S5_NSA_INS8_10device_ptrIyEEEESG_SI_NS1_16binary_search_opENS9_16wrapped_functionINS8_6system6detail7generic6detail18binary_search_lessEbEEEE10hipError_tPvRmT1_T2_T3_mmT4_T5_P12ihipStream_tbEUlRKyE_EESV_SZ_S10_mS11_S14_bEUlT_E_NS1_11comp_targetILNS1_3genE2ELNS1_11target_archE906ELNS1_3gpuE6ELNS1_3repE0EEENS1_30default_config_static_selectorELNS0_4arch9wavefront6targetE1EEEvSY_.has_indirect_call, 0
	.section	.AMDGPU.csdata,"",@progbits
; Kernel info:
; codeLenInByte = 696
; TotalNumSgprs: 24
; NumVgprs: 15
; ScratchSize: 0
; MemoryBound: 0
; FloatMode: 240
; IeeeMode: 1
; LDSByteSize: 0 bytes/workgroup (compile time only)
; SGPRBlocks: 2
; VGPRBlocks: 3
; NumSGPRsForWavesPerEU: 24
; NumVGPRsForWavesPerEU: 15
; Occupancy: 10
; WaveLimiterHint : 0
; COMPUTE_PGM_RSRC2:SCRATCH_EN: 0
; COMPUTE_PGM_RSRC2:USER_SGPR: 6
; COMPUTE_PGM_RSRC2:TRAP_HANDLER: 0
; COMPUTE_PGM_RSRC2:TGID_X_EN: 1
; COMPUTE_PGM_RSRC2:TGID_Y_EN: 0
; COMPUTE_PGM_RSRC2:TGID_Z_EN: 0
; COMPUTE_PGM_RSRC2:TIDIG_COMP_CNT: 0
	.section	.text._ZN7rocprim17ROCPRIM_400000_NS6detail17trampoline_kernelINS0_14default_configENS1_29binary_search_config_selectorIyiEEZNS1_14transform_implILb0ES3_S5_N6thrust23THRUST_200600_302600_NS6detail15normal_iteratorINS8_7pointerIyNS8_11hip_rocprim5par_tENS8_11use_defaultESE_EEEENSA_INSB_IiSD_SE_SE_EEEEZNS1_13binary_searchIS3_S5_NSA_INS8_10device_ptrIyEEEESG_SI_NS1_16binary_search_opENS9_16wrapped_functionINS8_6system6detail7generic6detail18binary_search_lessEbEEEE10hipError_tPvRmT1_T2_T3_mmT4_T5_P12ihipStream_tbEUlRKyE_EESV_SZ_S10_mS11_S14_bEUlT_E_NS1_11comp_targetILNS1_3genE10ELNS1_11target_archE1201ELNS1_3gpuE5ELNS1_3repE0EEENS1_30default_config_static_selectorELNS0_4arch9wavefront6targetE1EEEvSY_,"axG",@progbits,_ZN7rocprim17ROCPRIM_400000_NS6detail17trampoline_kernelINS0_14default_configENS1_29binary_search_config_selectorIyiEEZNS1_14transform_implILb0ES3_S5_N6thrust23THRUST_200600_302600_NS6detail15normal_iteratorINS8_7pointerIyNS8_11hip_rocprim5par_tENS8_11use_defaultESE_EEEENSA_INSB_IiSD_SE_SE_EEEEZNS1_13binary_searchIS3_S5_NSA_INS8_10device_ptrIyEEEESG_SI_NS1_16binary_search_opENS9_16wrapped_functionINS8_6system6detail7generic6detail18binary_search_lessEbEEEE10hipError_tPvRmT1_T2_T3_mmT4_T5_P12ihipStream_tbEUlRKyE_EESV_SZ_S10_mS11_S14_bEUlT_E_NS1_11comp_targetILNS1_3genE10ELNS1_11target_archE1201ELNS1_3gpuE5ELNS1_3repE0EEENS1_30default_config_static_selectorELNS0_4arch9wavefront6targetE1EEEvSY_,comdat
	.protected	_ZN7rocprim17ROCPRIM_400000_NS6detail17trampoline_kernelINS0_14default_configENS1_29binary_search_config_selectorIyiEEZNS1_14transform_implILb0ES3_S5_N6thrust23THRUST_200600_302600_NS6detail15normal_iteratorINS8_7pointerIyNS8_11hip_rocprim5par_tENS8_11use_defaultESE_EEEENSA_INSB_IiSD_SE_SE_EEEEZNS1_13binary_searchIS3_S5_NSA_INS8_10device_ptrIyEEEESG_SI_NS1_16binary_search_opENS9_16wrapped_functionINS8_6system6detail7generic6detail18binary_search_lessEbEEEE10hipError_tPvRmT1_T2_T3_mmT4_T5_P12ihipStream_tbEUlRKyE_EESV_SZ_S10_mS11_S14_bEUlT_E_NS1_11comp_targetILNS1_3genE10ELNS1_11target_archE1201ELNS1_3gpuE5ELNS1_3repE0EEENS1_30default_config_static_selectorELNS0_4arch9wavefront6targetE1EEEvSY_ ; -- Begin function _ZN7rocprim17ROCPRIM_400000_NS6detail17trampoline_kernelINS0_14default_configENS1_29binary_search_config_selectorIyiEEZNS1_14transform_implILb0ES3_S5_N6thrust23THRUST_200600_302600_NS6detail15normal_iteratorINS8_7pointerIyNS8_11hip_rocprim5par_tENS8_11use_defaultESE_EEEENSA_INSB_IiSD_SE_SE_EEEEZNS1_13binary_searchIS3_S5_NSA_INS8_10device_ptrIyEEEESG_SI_NS1_16binary_search_opENS9_16wrapped_functionINS8_6system6detail7generic6detail18binary_search_lessEbEEEE10hipError_tPvRmT1_T2_T3_mmT4_T5_P12ihipStream_tbEUlRKyE_EESV_SZ_S10_mS11_S14_bEUlT_E_NS1_11comp_targetILNS1_3genE10ELNS1_11target_archE1201ELNS1_3gpuE5ELNS1_3repE0EEENS1_30default_config_static_selectorELNS0_4arch9wavefront6targetE1EEEvSY_
	.globl	_ZN7rocprim17ROCPRIM_400000_NS6detail17trampoline_kernelINS0_14default_configENS1_29binary_search_config_selectorIyiEEZNS1_14transform_implILb0ES3_S5_N6thrust23THRUST_200600_302600_NS6detail15normal_iteratorINS8_7pointerIyNS8_11hip_rocprim5par_tENS8_11use_defaultESE_EEEENSA_INSB_IiSD_SE_SE_EEEEZNS1_13binary_searchIS3_S5_NSA_INS8_10device_ptrIyEEEESG_SI_NS1_16binary_search_opENS9_16wrapped_functionINS8_6system6detail7generic6detail18binary_search_lessEbEEEE10hipError_tPvRmT1_T2_T3_mmT4_T5_P12ihipStream_tbEUlRKyE_EESV_SZ_S10_mS11_S14_bEUlT_E_NS1_11comp_targetILNS1_3genE10ELNS1_11target_archE1201ELNS1_3gpuE5ELNS1_3repE0EEENS1_30default_config_static_selectorELNS0_4arch9wavefront6targetE1EEEvSY_
	.p2align	8
	.type	_ZN7rocprim17ROCPRIM_400000_NS6detail17trampoline_kernelINS0_14default_configENS1_29binary_search_config_selectorIyiEEZNS1_14transform_implILb0ES3_S5_N6thrust23THRUST_200600_302600_NS6detail15normal_iteratorINS8_7pointerIyNS8_11hip_rocprim5par_tENS8_11use_defaultESE_EEEENSA_INSB_IiSD_SE_SE_EEEEZNS1_13binary_searchIS3_S5_NSA_INS8_10device_ptrIyEEEESG_SI_NS1_16binary_search_opENS9_16wrapped_functionINS8_6system6detail7generic6detail18binary_search_lessEbEEEE10hipError_tPvRmT1_T2_T3_mmT4_T5_P12ihipStream_tbEUlRKyE_EESV_SZ_S10_mS11_S14_bEUlT_E_NS1_11comp_targetILNS1_3genE10ELNS1_11target_archE1201ELNS1_3gpuE5ELNS1_3repE0EEENS1_30default_config_static_selectorELNS0_4arch9wavefront6targetE1EEEvSY_,@function
_ZN7rocprim17ROCPRIM_400000_NS6detail17trampoline_kernelINS0_14default_configENS1_29binary_search_config_selectorIyiEEZNS1_14transform_implILb0ES3_S5_N6thrust23THRUST_200600_302600_NS6detail15normal_iteratorINS8_7pointerIyNS8_11hip_rocprim5par_tENS8_11use_defaultESE_EEEENSA_INSB_IiSD_SE_SE_EEEEZNS1_13binary_searchIS3_S5_NSA_INS8_10device_ptrIyEEEESG_SI_NS1_16binary_search_opENS9_16wrapped_functionINS8_6system6detail7generic6detail18binary_search_lessEbEEEE10hipError_tPvRmT1_T2_T3_mmT4_T5_P12ihipStream_tbEUlRKyE_EESV_SZ_S10_mS11_S14_bEUlT_E_NS1_11comp_targetILNS1_3genE10ELNS1_11target_archE1201ELNS1_3gpuE5ELNS1_3repE0EEENS1_30default_config_static_selectorELNS0_4arch9wavefront6targetE1EEEvSY_: ; @_ZN7rocprim17ROCPRIM_400000_NS6detail17trampoline_kernelINS0_14default_configENS1_29binary_search_config_selectorIyiEEZNS1_14transform_implILb0ES3_S5_N6thrust23THRUST_200600_302600_NS6detail15normal_iteratorINS8_7pointerIyNS8_11hip_rocprim5par_tENS8_11use_defaultESE_EEEENSA_INSB_IiSD_SE_SE_EEEEZNS1_13binary_searchIS3_S5_NSA_INS8_10device_ptrIyEEEESG_SI_NS1_16binary_search_opENS9_16wrapped_functionINS8_6system6detail7generic6detail18binary_search_lessEbEEEE10hipError_tPvRmT1_T2_T3_mmT4_T5_P12ihipStream_tbEUlRKyE_EESV_SZ_S10_mS11_S14_bEUlT_E_NS1_11comp_targetILNS1_3genE10ELNS1_11target_archE1201ELNS1_3gpuE5ELNS1_3repE0EEENS1_30default_config_static_selectorELNS0_4arch9wavefront6targetE1EEEvSY_
; %bb.0:
	.section	.rodata,"a",@progbits
	.p2align	6, 0x0
	.amdhsa_kernel _ZN7rocprim17ROCPRIM_400000_NS6detail17trampoline_kernelINS0_14default_configENS1_29binary_search_config_selectorIyiEEZNS1_14transform_implILb0ES3_S5_N6thrust23THRUST_200600_302600_NS6detail15normal_iteratorINS8_7pointerIyNS8_11hip_rocprim5par_tENS8_11use_defaultESE_EEEENSA_INSB_IiSD_SE_SE_EEEEZNS1_13binary_searchIS3_S5_NSA_INS8_10device_ptrIyEEEESG_SI_NS1_16binary_search_opENS9_16wrapped_functionINS8_6system6detail7generic6detail18binary_search_lessEbEEEE10hipError_tPvRmT1_T2_T3_mmT4_T5_P12ihipStream_tbEUlRKyE_EESV_SZ_S10_mS11_S14_bEUlT_E_NS1_11comp_targetILNS1_3genE10ELNS1_11target_archE1201ELNS1_3gpuE5ELNS1_3repE0EEENS1_30default_config_static_selectorELNS0_4arch9wavefront6targetE1EEEvSY_
		.amdhsa_group_segment_fixed_size 0
		.amdhsa_private_segment_fixed_size 0
		.amdhsa_kernarg_size 56
		.amdhsa_user_sgpr_count 6
		.amdhsa_user_sgpr_private_segment_buffer 1
		.amdhsa_user_sgpr_dispatch_ptr 0
		.amdhsa_user_sgpr_queue_ptr 0
		.amdhsa_user_sgpr_kernarg_segment_ptr 1
		.amdhsa_user_sgpr_dispatch_id 0
		.amdhsa_user_sgpr_flat_scratch_init 0
		.amdhsa_user_sgpr_private_segment_size 0
		.amdhsa_uses_dynamic_stack 0
		.amdhsa_system_sgpr_private_segment_wavefront_offset 0
		.amdhsa_system_sgpr_workgroup_id_x 1
		.amdhsa_system_sgpr_workgroup_id_y 0
		.amdhsa_system_sgpr_workgroup_id_z 0
		.amdhsa_system_sgpr_workgroup_info 0
		.amdhsa_system_vgpr_workitem_id 0
		.amdhsa_next_free_vgpr 1
		.amdhsa_next_free_sgpr 0
		.amdhsa_reserve_vcc 0
		.amdhsa_reserve_flat_scratch 0
		.amdhsa_float_round_mode_32 0
		.amdhsa_float_round_mode_16_64 0
		.amdhsa_float_denorm_mode_32 3
		.amdhsa_float_denorm_mode_16_64 3
		.amdhsa_dx10_clamp 1
		.amdhsa_ieee_mode 1
		.amdhsa_fp16_overflow 0
		.amdhsa_exception_fp_ieee_invalid_op 0
		.amdhsa_exception_fp_denorm_src 0
		.amdhsa_exception_fp_ieee_div_zero 0
		.amdhsa_exception_fp_ieee_overflow 0
		.amdhsa_exception_fp_ieee_underflow 0
		.amdhsa_exception_fp_ieee_inexact 0
		.amdhsa_exception_int_div_zero 0
	.end_amdhsa_kernel
	.section	.text._ZN7rocprim17ROCPRIM_400000_NS6detail17trampoline_kernelINS0_14default_configENS1_29binary_search_config_selectorIyiEEZNS1_14transform_implILb0ES3_S5_N6thrust23THRUST_200600_302600_NS6detail15normal_iteratorINS8_7pointerIyNS8_11hip_rocprim5par_tENS8_11use_defaultESE_EEEENSA_INSB_IiSD_SE_SE_EEEEZNS1_13binary_searchIS3_S5_NSA_INS8_10device_ptrIyEEEESG_SI_NS1_16binary_search_opENS9_16wrapped_functionINS8_6system6detail7generic6detail18binary_search_lessEbEEEE10hipError_tPvRmT1_T2_T3_mmT4_T5_P12ihipStream_tbEUlRKyE_EESV_SZ_S10_mS11_S14_bEUlT_E_NS1_11comp_targetILNS1_3genE10ELNS1_11target_archE1201ELNS1_3gpuE5ELNS1_3repE0EEENS1_30default_config_static_selectorELNS0_4arch9wavefront6targetE1EEEvSY_,"axG",@progbits,_ZN7rocprim17ROCPRIM_400000_NS6detail17trampoline_kernelINS0_14default_configENS1_29binary_search_config_selectorIyiEEZNS1_14transform_implILb0ES3_S5_N6thrust23THRUST_200600_302600_NS6detail15normal_iteratorINS8_7pointerIyNS8_11hip_rocprim5par_tENS8_11use_defaultESE_EEEENSA_INSB_IiSD_SE_SE_EEEEZNS1_13binary_searchIS3_S5_NSA_INS8_10device_ptrIyEEEESG_SI_NS1_16binary_search_opENS9_16wrapped_functionINS8_6system6detail7generic6detail18binary_search_lessEbEEEE10hipError_tPvRmT1_T2_T3_mmT4_T5_P12ihipStream_tbEUlRKyE_EESV_SZ_S10_mS11_S14_bEUlT_E_NS1_11comp_targetILNS1_3genE10ELNS1_11target_archE1201ELNS1_3gpuE5ELNS1_3repE0EEENS1_30default_config_static_selectorELNS0_4arch9wavefront6targetE1EEEvSY_,comdat
.Lfunc_end667:
	.size	_ZN7rocprim17ROCPRIM_400000_NS6detail17trampoline_kernelINS0_14default_configENS1_29binary_search_config_selectorIyiEEZNS1_14transform_implILb0ES3_S5_N6thrust23THRUST_200600_302600_NS6detail15normal_iteratorINS8_7pointerIyNS8_11hip_rocprim5par_tENS8_11use_defaultESE_EEEENSA_INSB_IiSD_SE_SE_EEEEZNS1_13binary_searchIS3_S5_NSA_INS8_10device_ptrIyEEEESG_SI_NS1_16binary_search_opENS9_16wrapped_functionINS8_6system6detail7generic6detail18binary_search_lessEbEEEE10hipError_tPvRmT1_T2_T3_mmT4_T5_P12ihipStream_tbEUlRKyE_EESV_SZ_S10_mS11_S14_bEUlT_E_NS1_11comp_targetILNS1_3genE10ELNS1_11target_archE1201ELNS1_3gpuE5ELNS1_3repE0EEENS1_30default_config_static_selectorELNS0_4arch9wavefront6targetE1EEEvSY_, .Lfunc_end667-_ZN7rocprim17ROCPRIM_400000_NS6detail17trampoline_kernelINS0_14default_configENS1_29binary_search_config_selectorIyiEEZNS1_14transform_implILb0ES3_S5_N6thrust23THRUST_200600_302600_NS6detail15normal_iteratorINS8_7pointerIyNS8_11hip_rocprim5par_tENS8_11use_defaultESE_EEEENSA_INSB_IiSD_SE_SE_EEEEZNS1_13binary_searchIS3_S5_NSA_INS8_10device_ptrIyEEEESG_SI_NS1_16binary_search_opENS9_16wrapped_functionINS8_6system6detail7generic6detail18binary_search_lessEbEEEE10hipError_tPvRmT1_T2_T3_mmT4_T5_P12ihipStream_tbEUlRKyE_EESV_SZ_S10_mS11_S14_bEUlT_E_NS1_11comp_targetILNS1_3genE10ELNS1_11target_archE1201ELNS1_3gpuE5ELNS1_3repE0EEENS1_30default_config_static_selectorELNS0_4arch9wavefront6targetE1EEEvSY_
                                        ; -- End function
	.set _ZN7rocprim17ROCPRIM_400000_NS6detail17trampoline_kernelINS0_14default_configENS1_29binary_search_config_selectorIyiEEZNS1_14transform_implILb0ES3_S5_N6thrust23THRUST_200600_302600_NS6detail15normal_iteratorINS8_7pointerIyNS8_11hip_rocprim5par_tENS8_11use_defaultESE_EEEENSA_INSB_IiSD_SE_SE_EEEEZNS1_13binary_searchIS3_S5_NSA_INS8_10device_ptrIyEEEESG_SI_NS1_16binary_search_opENS9_16wrapped_functionINS8_6system6detail7generic6detail18binary_search_lessEbEEEE10hipError_tPvRmT1_T2_T3_mmT4_T5_P12ihipStream_tbEUlRKyE_EESV_SZ_S10_mS11_S14_bEUlT_E_NS1_11comp_targetILNS1_3genE10ELNS1_11target_archE1201ELNS1_3gpuE5ELNS1_3repE0EEENS1_30default_config_static_selectorELNS0_4arch9wavefront6targetE1EEEvSY_.num_vgpr, 0
	.set _ZN7rocprim17ROCPRIM_400000_NS6detail17trampoline_kernelINS0_14default_configENS1_29binary_search_config_selectorIyiEEZNS1_14transform_implILb0ES3_S5_N6thrust23THRUST_200600_302600_NS6detail15normal_iteratorINS8_7pointerIyNS8_11hip_rocprim5par_tENS8_11use_defaultESE_EEEENSA_INSB_IiSD_SE_SE_EEEEZNS1_13binary_searchIS3_S5_NSA_INS8_10device_ptrIyEEEESG_SI_NS1_16binary_search_opENS9_16wrapped_functionINS8_6system6detail7generic6detail18binary_search_lessEbEEEE10hipError_tPvRmT1_T2_T3_mmT4_T5_P12ihipStream_tbEUlRKyE_EESV_SZ_S10_mS11_S14_bEUlT_E_NS1_11comp_targetILNS1_3genE10ELNS1_11target_archE1201ELNS1_3gpuE5ELNS1_3repE0EEENS1_30default_config_static_selectorELNS0_4arch9wavefront6targetE1EEEvSY_.num_agpr, 0
	.set _ZN7rocprim17ROCPRIM_400000_NS6detail17trampoline_kernelINS0_14default_configENS1_29binary_search_config_selectorIyiEEZNS1_14transform_implILb0ES3_S5_N6thrust23THRUST_200600_302600_NS6detail15normal_iteratorINS8_7pointerIyNS8_11hip_rocprim5par_tENS8_11use_defaultESE_EEEENSA_INSB_IiSD_SE_SE_EEEEZNS1_13binary_searchIS3_S5_NSA_INS8_10device_ptrIyEEEESG_SI_NS1_16binary_search_opENS9_16wrapped_functionINS8_6system6detail7generic6detail18binary_search_lessEbEEEE10hipError_tPvRmT1_T2_T3_mmT4_T5_P12ihipStream_tbEUlRKyE_EESV_SZ_S10_mS11_S14_bEUlT_E_NS1_11comp_targetILNS1_3genE10ELNS1_11target_archE1201ELNS1_3gpuE5ELNS1_3repE0EEENS1_30default_config_static_selectorELNS0_4arch9wavefront6targetE1EEEvSY_.numbered_sgpr, 0
	.set _ZN7rocprim17ROCPRIM_400000_NS6detail17trampoline_kernelINS0_14default_configENS1_29binary_search_config_selectorIyiEEZNS1_14transform_implILb0ES3_S5_N6thrust23THRUST_200600_302600_NS6detail15normal_iteratorINS8_7pointerIyNS8_11hip_rocprim5par_tENS8_11use_defaultESE_EEEENSA_INSB_IiSD_SE_SE_EEEEZNS1_13binary_searchIS3_S5_NSA_INS8_10device_ptrIyEEEESG_SI_NS1_16binary_search_opENS9_16wrapped_functionINS8_6system6detail7generic6detail18binary_search_lessEbEEEE10hipError_tPvRmT1_T2_T3_mmT4_T5_P12ihipStream_tbEUlRKyE_EESV_SZ_S10_mS11_S14_bEUlT_E_NS1_11comp_targetILNS1_3genE10ELNS1_11target_archE1201ELNS1_3gpuE5ELNS1_3repE0EEENS1_30default_config_static_selectorELNS0_4arch9wavefront6targetE1EEEvSY_.num_named_barrier, 0
	.set _ZN7rocprim17ROCPRIM_400000_NS6detail17trampoline_kernelINS0_14default_configENS1_29binary_search_config_selectorIyiEEZNS1_14transform_implILb0ES3_S5_N6thrust23THRUST_200600_302600_NS6detail15normal_iteratorINS8_7pointerIyNS8_11hip_rocprim5par_tENS8_11use_defaultESE_EEEENSA_INSB_IiSD_SE_SE_EEEEZNS1_13binary_searchIS3_S5_NSA_INS8_10device_ptrIyEEEESG_SI_NS1_16binary_search_opENS9_16wrapped_functionINS8_6system6detail7generic6detail18binary_search_lessEbEEEE10hipError_tPvRmT1_T2_T3_mmT4_T5_P12ihipStream_tbEUlRKyE_EESV_SZ_S10_mS11_S14_bEUlT_E_NS1_11comp_targetILNS1_3genE10ELNS1_11target_archE1201ELNS1_3gpuE5ELNS1_3repE0EEENS1_30default_config_static_selectorELNS0_4arch9wavefront6targetE1EEEvSY_.private_seg_size, 0
	.set _ZN7rocprim17ROCPRIM_400000_NS6detail17trampoline_kernelINS0_14default_configENS1_29binary_search_config_selectorIyiEEZNS1_14transform_implILb0ES3_S5_N6thrust23THRUST_200600_302600_NS6detail15normal_iteratorINS8_7pointerIyNS8_11hip_rocprim5par_tENS8_11use_defaultESE_EEEENSA_INSB_IiSD_SE_SE_EEEEZNS1_13binary_searchIS3_S5_NSA_INS8_10device_ptrIyEEEESG_SI_NS1_16binary_search_opENS9_16wrapped_functionINS8_6system6detail7generic6detail18binary_search_lessEbEEEE10hipError_tPvRmT1_T2_T3_mmT4_T5_P12ihipStream_tbEUlRKyE_EESV_SZ_S10_mS11_S14_bEUlT_E_NS1_11comp_targetILNS1_3genE10ELNS1_11target_archE1201ELNS1_3gpuE5ELNS1_3repE0EEENS1_30default_config_static_selectorELNS0_4arch9wavefront6targetE1EEEvSY_.uses_vcc, 0
	.set _ZN7rocprim17ROCPRIM_400000_NS6detail17trampoline_kernelINS0_14default_configENS1_29binary_search_config_selectorIyiEEZNS1_14transform_implILb0ES3_S5_N6thrust23THRUST_200600_302600_NS6detail15normal_iteratorINS8_7pointerIyNS8_11hip_rocprim5par_tENS8_11use_defaultESE_EEEENSA_INSB_IiSD_SE_SE_EEEEZNS1_13binary_searchIS3_S5_NSA_INS8_10device_ptrIyEEEESG_SI_NS1_16binary_search_opENS9_16wrapped_functionINS8_6system6detail7generic6detail18binary_search_lessEbEEEE10hipError_tPvRmT1_T2_T3_mmT4_T5_P12ihipStream_tbEUlRKyE_EESV_SZ_S10_mS11_S14_bEUlT_E_NS1_11comp_targetILNS1_3genE10ELNS1_11target_archE1201ELNS1_3gpuE5ELNS1_3repE0EEENS1_30default_config_static_selectorELNS0_4arch9wavefront6targetE1EEEvSY_.uses_flat_scratch, 0
	.set _ZN7rocprim17ROCPRIM_400000_NS6detail17trampoline_kernelINS0_14default_configENS1_29binary_search_config_selectorIyiEEZNS1_14transform_implILb0ES3_S5_N6thrust23THRUST_200600_302600_NS6detail15normal_iteratorINS8_7pointerIyNS8_11hip_rocprim5par_tENS8_11use_defaultESE_EEEENSA_INSB_IiSD_SE_SE_EEEEZNS1_13binary_searchIS3_S5_NSA_INS8_10device_ptrIyEEEESG_SI_NS1_16binary_search_opENS9_16wrapped_functionINS8_6system6detail7generic6detail18binary_search_lessEbEEEE10hipError_tPvRmT1_T2_T3_mmT4_T5_P12ihipStream_tbEUlRKyE_EESV_SZ_S10_mS11_S14_bEUlT_E_NS1_11comp_targetILNS1_3genE10ELNS1_11target_archE1201ELNS1_3gpuE5ELNS1_3repE0EEENS1_30default_config_static_selectorELNS0_4arch9wavefront6targetE1EEEvSY_.has_dyn_sized_stack, 0
	.set _ZN7rocprim17ROCPRIM_400000_NS6detail17trampoline_kernelINS0_14default_configENS1_29binary_search_config_selectorIyiEEZNS1_14transform_implILb0ES3_S5_N6thrust23THRUST_200600_302600_NS6detail15normal_iteratorINS8_7pointerIyNS8_11hip_rocprim5par_tENS8_11use_defaultESE_EEEENSA_INSB_IiSD_SE_SE_EEEEZNS1_13binary_searchIS3_S5_NSA_INS8_10device_ptrIyEEEESG_SI_NS1_16binary_search_opENS9_16wrapped_functionINS8_6system6detail7generic6detail18binary_search_lessEbEEEE10hipError_tPvRmT1_T2_T3_mmT4_T5_P12ihipStream_tbEUlRKyE_EESV_SZ_S10_mS11_S14_bEUlT_E_NS1_11comp_targetILNS1_3genE10ELNS1_11target_archE1201ELNS1_3gpuE5ELNS1_3repE0EEENS1_30default_config_static_selectorELNS0_4arch9wavefront6targetE1EEEvSY_.has_recursion, 0
	.set _ZN7rocprim17ROCPRIM_400000_NS6detail17trampoline_kernelINS0_14default_configENS1_29binary_search_config_selectorIyiEEZNS1_14transform_implILb0ES3_S5_N6thrust23THRUST_200600_302600_NS6detail15normal_iteratorINS8_7pointerIyNS8_11hip_rocprim5par_tENS8_11use_defaultESE_EEEENSA_INSB_IiSD_SE_SE_EEEEZNS1_13binary_searchIS3_S5_NSA_INS8_10device_ptrIyEEEESG_SI_NS1_16binary_search_opENS9_16wrapped_functionINS8_6system6detail7generic6detail18binary_search_lessEbEEEE10hipError_tPvRmT1_T2_T3_mmT4_T5_P12ihipStream_tbEUlRKyE_EESV_SZ_S10_mS11_S14_bEUlT_E_NS1_11comp_targetILNS1_3genE10ELNS1_11target_archE1201ELNS1_3gpuE5ELNS1_3repE0EEENS1_30default_config_static_selectorELNS0_4arch9wavefront6targetE1EEEvSY_.has_indirect_call, 0
	.section	.AMDGPU.csdata,"",@progbits
; Kernel info:
; codeLenInByte = 0
; TotalNumSgprs: 4
; NumVgprs: 0
; ScratchSize: 0
; MemoryBound: 0
; FloatMode: 240
; IeeeMode: 1
; LDSByteSize: 0 bytes/workgroup (compile time only)
; SGPRBlocks: 0
; VGPRBlocks: 0
; NumSGPRsForWavesPerEU: 4
; NumVGPRsForWavesPerEU: 1
; Occupancy: 10
; WaveLimiterHint : 0
; COMPUTE_PGM_RSRC2:SCRATCH_EN: 0
; COMPUTE_PGM_RSRC2:USER_SGPR: 6
; COMPUTE_PGM_RSRC2:TRAP_HANDLER: 0
; COMPUTE_PGM_RSRC2:TGID_X_EN: 1
; COMPUTE_PGM_RSRC2:TGID_Y_EN: 0
; COMPUTE_PGM_RSRC2:TGID_Z_EN: 0
; COMPUTE_PGM_RSRC2:TIDIG_COMP_CNT: 0
	.section	.text._ZN7rocprim17ROCPRIM_400000_NS6detail17trampoline_kernelINS0_14default_configENS1_29binary_search_config_selectorIyiEEZNS1_14transform_implILb0ES3_S5_N6thrust23THRUST_200600_302600_NS6detail15normal_iteratorINS8_7pointerIyNS8_11hip_rocprim5par_tENS8_11use_defaultESE_EEEENSA_INSB_IiSD_SE_SE_EEEEZNS1_13binary_searchIS3_S5_NSA_INS8_10device_ptrIyEEEESG_SI_NS1_16binary_search_opENS9_16wrapped_functionINS8_6system6detail7generic6detail18binary_search_lessEbEEEE10hipError_tPvRmT1_T2_T3_mmT4_T5_P12ihipStream_tbEUlRKyE_EESV_SZ_S10_mS11_S14_bEUlT_E_NS1_11comp_targetILNS1_3genE10ELNS1_11target_archE1200ELNS1_3gpuE4ELNS1_3repE0EEENS1_30default_config_static_selectorELNS0_4arch9wavefront6targetE1EEEvSY_,"axG",@progbits,_ZN7rocprim17ROCPRIM_400000_NS6detail17trampoline_kernelINS0_14default_configENS1_29binary_search_config_selectorIyiEEZNS1_14transform_implILb0ES3_S5_N6thrust23THRUST_200600_302600_NS6detail15normal_iteratorINS8_7pointerIyNS8_11hip_rocprim5par_tENS8_11use_defaultESE_EEEENSA_INSB_IiSD_SE_SE_EEEEZNS1_13binary_searchIS3_S5_NSA_INS8_10device_ptrIyEEEESG_SI_NS1_16binary_search_opENS9_16wrapped_functionINS8_6system6detail7generic6detail18binary_search_lessEbEEEE10hipError_tPvRmT1_T2_T3_mmT4_T5_P12ihipStream_tbEUlRKyE_EESV_SZ_S10_mS11_S14_bEUlT_E_NS1_11comp_targetILNS1_3genE10ELNS1_11target_archE1200ELNS1_3gpuE4ELNS1_3repE0EEENS1_30default_config_static_selectorELNS0_4arch9wavefront6targetE1EEEvSY_,comdat
	.protected	_ZN7rocprim17ROCPRIM_400000_NS6detail17trampoline_kernelINS0_14default_configENS1_29binary_search_config_selectorIyiEEZNS1_14transform_implILb0ES3_S5_N6thrust23THRUST_200600_302600_NS6detail15normal_iteratorINS8_7pointerIyNS8_11hip_rocprim5par_tENS8_11use_defaultESE_EEEENSA_INSB_IiSD_SE_SE_EEEEZNS1_13binary_searchIS3_S5_NSA_INS8_10device_ptrIyEEEESG_SI_NS1_16binary_search_opENS9_16wrapped_functionINS8_6system6detail7generic6detail18binary_search_lessEbEEEE10hipError_tPvRmT1_T2_T3_mmT4_T5_P12ihipStream_tbEUlRKyE_EESV_SZ_S10_mS11_S14_bEUlT_E_NS1_11comp_targetILNS1_3genE10ELNS1_11target_archE1200ELNS1_3gpuE4ELNS1_3repE0EEENS1_30default_config_static_selectorELNS0_4arch9wavefront6targetE1EEEvSY_ ; -- Begin function _ZN7rocprim17ROCPRIM_400000_NS6detail17trampoline_kernelINS0_14default_configENS1_29binary_search_config_selectorIyiEEZNS1_14transform_implILb0ES3_S5_N6thrust23THRUST_200600_302600_NS6detail15normal_iteratorINS8_7pointerIyNS8_11hip_rocprim5par_tENS8_11use_defaultESE_EEEENSA_INSB_IiSD_SE_SE_EEEEZNS1_13binary_searchIS3_S5_NSA_INS8_10device_ptrIyEEEESG_SI_NS1_16binary_search_opENS9_16wrapped_functionINS8_6system6detail7generic6detail18binary_search_lessEbEEEE10hipError_tPvRmT1_T2_T3_mmT4_T5_P12ihipStream_tbEUlRKyE_EESV_SZ_S10_mS11_S14_bEUlT_E_NS1_11comp_targetILNS1_3genE10ELNS1_11target_archE1200ELNS1_3gpuE4ELNS1_3repE0EEENS1_30default_config_static_selectorELNS0_4arch9wavefront6targetE1EEEvSY_
	.globl	_ZN7rocprim17ROCPRIM_400000_NS6detail17trampoline_kernelINS0_14default_configENS1_29binary_search_config_selectorIyiEEZNS1_14transform_implILb0ES3_S5_N6thrust23THRUST_200600_302600_NS6detail15normal_iteratorINS8_7pointerIyNS8_11hip_rocprim5par_tENS8_11use_defaultESE_EEEENSA_INSB_IiSD_SE_SE_EEEEZNS1_13binary_searchIS3_S5_NSA_INS8_10device_ptrIyEEEESG_SI_NS1_16binary_search_opENS9_16wrapped_functionINS8_6system6detail7generic6detail18binary_search_lessEbEEEE10hipError_tPvRmT1_T2_T3_mmT4_T5_P12ihipStream_tbEUlRKyE_EESV_SZ_S10_mS11_S14_bEUlT_E_NS1_11comp_targetILNS1_3genE10ELNS1_11target_archE1200ELNS1_3gpuE4ELNS1_3repE0EEENS1_30default_config_static_selectorELNS0_4arch9wavefront6targetE1EEEvSY_
	.p2align	8
	.type	_ZN7rocprim17ROCPRIM_400000_NS6detail17trampoline_kernelINS0_14default_configENS1_29binary_search_config_selectorIyiEEZNS1_14transform_implILb0ES3_S5_N6thrust23THRUST_200600_302600_NS6detail15normal_iteratorINS8_7pointerIyNS8_11hip_rocprim5par_tENS8_11use_defaultESE_EEEENSA_INSB_IiSD_SE_SE_EEEEZNS1_13binary_searchIS3_S5_NSA_INS8_10device_ptrIyEEEESG_SI_NS1_16binary_search_opENS9_16wrapped_functionINS8_6system6detail7generic6detail18binary_search_lessEbEEEE10hipError_tPvRmT1_T2_T3_mmT4_T5_P12ihipStream_tbEUlRKyE_EESV_SZ_S10_mS11_S14_bEUlT_E_NS1_11comp_targetILNS1_3genE10ELNS1_11target_archE1200ELNS1_3gpuE4ELNS1_3repE0EEENS1_30default_config_static_selectorELNS0_4arch9wavefront6targetE1EEEvSY_,@function
_ZN7rocprim17ROCPRIM_400000_NS6detail17trampoline_kernelINS0_14default_configENS1_29binary_search_config_selectorIyiEEZNS1_14transform_implILb0ES3_S5_N6thrust23THRUST_200600_302600_NS6detail15normal_iteratorINS8_7pointerIyNS8_11hip_rocprim5par_tENS8_11use_defaultESE_EEEENSA_INSB_IiSD_SE_SE_EEEEZNS1_13binary_searchIS3_S5_NSA_INS8_10device_ptrIyEEEESG_SI_NS1_16binary_search_opENS9_16wrapped_functionINS8_6system6detail7generic6detail18binary_search_lessEbEEEE10hipError_tPvRmT1_T2_T3_mmT4_T5_P12ihipStream_tbEUlRKyE_EESV_SZ_S10_mS11_S14_bEUlT_E_NS1_11comp_targetILNS1_3genE10ELNS1_11target_archE1200ELNS1_3gpuE4ELNS1_3repE0EEENS1_30default_config_static_selectorELNS0_4arch9wavefront6targetE1EEEvSY_: ; @_ZN7rocprim17ROCPRIM_400000_NS6detail17trampoline_kernelINS0_14default_configENS1_29binary_search_config_selectorIyiEEZNS1_14transform_implILb0ES3_S5_N6thrust23THRUST_200600_302600_NS6detail15normal_iteratorINS8_7pointerIyNS8_11hip_rocprim5par_tENS8_11use_defaultESE_EEEENSA_INSB_IiSD_SE_SE_EEEEZNS1_13binary_searchIS3_S5_NSA_INS8_10device_ptrIyEEEESG_SI_NS1_16binary_search_opENS9_16wrapped_functionINS8_6system6detail7generic6detail18binary_search_lessEbEEEE10hipError_tPvRmT1_T2_T3_mmT4_T5_P12ihipStream_tbEUlRKyE_EESV_SZ_S10_mS11_S14_bEUlT_E_NS1_11comp_targetILNS1_3genE10ELNS1_11target_archE1200ELNS1_3gpuE4ELNS1_3repE0EEENS1_30default_config_static_selectorELNS0_4arch9wavefront6targetE1EEEvSY_
; %bb.0:
	.section	.rodata,"a",@progbits
	.p2align	6, 0x0
	.amdhsa_kernel _ZN7rocprim17ROCPRIM_400000_NS6detail17trampoline_kernelINS0_14default_configENS1_29binary_search_config_selectorIyiEEZNS1_14transform_implILb0ES3_S5_N6thrust23THRUST_200600_302600_NS6detail15normal_iteratorINS8_7pointerIyNS8_11hip_rocprim5par_tENS8_11use_defaultESE_EEEENSA_INSB_IiSD_SE_SE_EEEEZNS1_13binary_searchIS3_S5_NSA_INS8_10device_ptrIyEEEESG_SI_NS1_16binary_search_opENS9_16wrapped_functionINS8_6system6detail7generic6detail18binary_search_lessEbEEEE10hipError_tPvRmT1_T2_T3_mmT4_T5_P12ihipStream_tbEUlRKyE_EESV_SZ_S10_mS11_S14_bEUlT_E_NS1_11comp_targetILNS1_3genE10ELNS1_11target_archE1200ELNS1_3gpuE4ELNS1_3repE0EEENS1_30default_config_static_selectorELNS0_4arch9wavefront6targetE1EEEvSY_
		.amdhsa_group_segment_fixed_size 0
		.amdhsa_private_segment_fixed_size 0
		.amdhsa_kernarg_size 56
		.amdhsa_user_sgpr_count 6
		.amdhsa_user_sgpr_private_segment_buffer 1
		.amdhsa_user_sgpr_dispatch_ptr 0
		.amdhsa_user_sgpr_queue_ptr 0
		.amdhsa_user_sgpr_kernarg_segment_ptr 1
		.amdhsa_user_sgpr_dispatch_id 0
		.amdhsa_user_sgpr_flat_scratch_init 0
		.amdhsa_user_sgpr_private_segment_size 0
		.amdhsa_uses_dynamic_stack 0
		.amdhsa_system_sgpr_private_segment_wavefront_offset 0
		.amdhsa_system_sgpr_workgroup_id_x 1
		.amdhsa_system_sgpr_workgroup_id_y 0
		.amdhsa_system_sgpr_workgroup_id_z 0
		.amdhsa_system_sgpr_workgroup_info 0
		.amdhsa_system_vgpr_workitem_id 0
		.amdhsa_next_free_vgpr 1
		.amdhsa_next_free_sgpr 0
		.amdhsa_reserve_vcc 0
		.amdhsa_reserve_flat_scratch 0
		.amdhsa_float_round_mode_32 0
		.amdhsa_float_round_mode_16_64 0
		.amdhsa_float_denorm_mode_32 3
		.amdhsa_float_denorm_mode_16_64 3
		.amdhsa_dx10_clamp 1
		.amdhsa_ieee_mode 1
		.amdhsa_fp16_overflow 0
		.amdhsa_exception_fp_ieee_invalid_op 0
		.amdhsa_exception_fp_denorm_src 0
		.amdhsa_exception_fp_ieee_div_zero 0
		.amdhsa_exception_fp_ieee_overflow 0
		.amdhsa_exception_fp_ieee_underflow 0
		.amdhsa_exception_fp_ieee_inexact 0
		.amdhsa_exception_int_div_zero 0
	.end_amdhsa_kernel
	.section	.text._ZN7rocprim17ROCPRIM_400000_NS6detail17trampoline_kernelINS0_14default_configENS1_29binary_search_config_selectorIyiEEZNS1_14transform_implILb0ES3_S5_N6thrust23THRUST_200600_302600_NS6detail15normal_iteratorINS8_7pointerIyNS8_11hip_rocprim5par_tENS8_11use_defaultESE_EEEENSA_INSB_IiSD_SE_SE_EEEEZNS1_13binary_searchIS3_S5_NSA_INS8_10device_ptrIyEEEESG_SI_NS1_16binary_search_opENS9_16wrapped_functionINS8_6system6detail7generic6detail18binary_search_lessEbEEEE10hipError_tPvRmT1_T2_T3_mmT4_T5_P12ihipStream_tbEUlRKyE_EESV_SZ_S10_mS11_S14_bEUlT_E_NS1_11comp_targetILNS1_3genE10ELNS1_11target_archE1200ELNS1_3gpuE4ELNS1_3repE0EEENS1_30default_config_static_selectorELNS0_4arch9wavefront6targetE1EEEvSY_,"axG",@progbits,_ZN7rocprim17ROCPRIM_400000_NS6detail17trampoline_kernelINS0_14default_configENS1_29binary_search_config_selectorIyiEEZNS1_14transform_implILb0ES3_S5_N6thrust23THRUST_200600_302600_NS6detail15normal_iteratorINS8_7pointerIyNS8_11hip_rocprim5par_tENS8_11use_defaultESE_EEEENSA_INSB_IiSD_SE_SE_EEEEZNS1_13binary_searchIS3_S5_NSA_INS8_10device_ptrIyEEEESG_SI_NS1_16binary_search_opENS9_16wrapped_functionINS8_6system6detail7generic6detail18binary_search_lessEbEEEE10hipError_tPvRmT1_T2_T3_mmT4_T5_P12ihipStream_tbEUlRKyE_EESV_SZ_S10_mS11_S14_bEUlT_E_NS1_11comp_targetILNS1_3genE10ELNS1_11target_archE1200ELNS1_3gpuE4ELNS1_3repE0EEENS1_30default_config_static_selectorELNS0_4arch9wavefront6targetE1EEEvSY_,comdat
.Lfunc_end668:
	.size	_ZN7rocprim17ROCPRIM_400000_NS6detail17trampoline_kernelINS0_14default_configENS1_29binary_search_config_selectorIyiEEZNS1_14transform_implILb0ES3_S5_N6thrust23THRUST_200600_302600_NS6detail15normal_iteratorINS8_7pointerIyNS8_11hip_rocprim5par_tENS8_11use_defaultESE_EEEENSA_INSB_IiSD_SE_SE_EEEEZNS1_13binary_searchIS3_S5_NSA_INS8_10device_ptrIyEEEESG_SI_NS1_16binary_search_opENS9_16wrapped_functionINS8_6system6detail7generic6detail18binary_search_lessEbEEEE10hipError_tPvRmT1_T2_T3_mmT4_T5_P12ihipStream_tbEUlRKyE_EESV_SZ_S10_mS11_S14_bEUlT_E_NS1_11comp_targetILNS1_3genE10ELNS1_11target_archE1200ELNS1_3gpuE4ELNS1_3repE0EEENS1_30default_config_static_selectorELNS0_4arch9wavefront6targetE1EEEvSY_, .Lfunc_end668-_ZN7rocprim17ROCPRIM_400000_NS6detail17trampoline_kernelINS0_14default_configENS1_29binary_search_config_selectorIyiEEZNS1_14transform_implILb0ES3_S5_N6thrust23THRUST_200600_302600_NS6detail15normal_iteratorINS8_7pointerIyNS8_11hip_rocprim5par_tENS8_11use_defaultESE_EEEENSA_INSB_IiSD_SE_SE_EEEEZNS1_13binary_searchIS3_S5_NSA_INS8_10device_ptrIyEEEESG_SI_NS1_16binary_search_opENS9_16wrapped_functionINS8_6system6detail7generic6detail18binary_search_lessEbEEEE10hipError_tPvRmT1_T2_T3_mmT4_T5_P12ihipStream_tbEUlRKyE_EESV_SZ_S10_mS11_S14_bEUlT_E_NS1_11comp_targetILNS1_3genE10ELNS1_11target_archE1200ELNS1_3gpuE4ELNS1_3repE0EEENS1_30default_config_static_selectorELNS0_4arch9wavefront6targetE1EEEvSY_
                                        ; -- End function
	.set _ZN7rocprim17ROCPRIM_400000_NS6detail17trampoline_kernelINS0_14default_configENS1_29binary_search_config_selectorIyiEEZNS1_14transform_implILb0ES3_S5_N6thrust23THRUST_200600_302600_NS6detail15normal_iteratorINS8_7pointerIyNS8_11hip_rocprim5par_tENS8_11use_defaultESE_EEEENSA_INSB_IiSD_SE_SE_EEEEZNS1_13binary_searchIS3_S5_NSA_INS8_10device_ptrIyEEEESG_SI_NS1_16binary_search_opENS9_16wrapped_functionINS8_6system6detail7generic6detail18binary_search_lessEbEEEE10hipError_tPvRmT1_T2_T3_mmT4_T5_P12ihipStream_tbEUlRKyE_EESV_SZ_S10_mS11_S14_bEUlT_E_NS1_11comp_targetILNS1_3genE10ELNS1_11target_archE1200ELNS1_3gpuE4ELNS1_3repE0EEENS1_30default_config_static_selectorELNS0_4arch9wavefront6targetE1EEEvSY_.num_vgpr, 0
	.set _ZN7rocprim17ROCPRIM_400000_NS6detail17trampoline_kernelINS0_14default_configENS1_29binary_search_config_selectorIyiEEZNS1_14transform_implILb0ES3_S5_N6thrust23THRUST_200600_302600_NS6detail15normal_iteratorINS8_7pointerIyNS8_11hip_rocprim5par_tENS8_11use_defaultESE_EEEENSA_INSB_IiSD_SE_SE_EEEEZNS1_13binary_searchIS3_S5_NSA_INS8_10device_ptrIyEEEESG_SI_NS1_16binary_search_opENS9_16wrapped_functionINS8_6system6detail7generic6detail18binary_search_lessEbEEEE10hipError_tPvRmT1_T2_T3_mmT4_T5_P12ihipStream_tbEUlRKyE_EESV_SZ_S10_mS11_S14_bEUlT_E_NS1_11comp_targetILNS1_3genE10ELNS1_11target_archE1200ELNS1_3gpuE4ELNS1_3repE0EEENS1_30default_config_static_selectorELNS0_4arch9wavefront6targetE1EEEvSY_.num_agpr, 0
	.set _ZN7rocprim17ROCPRIM_400000_NS6detail17trampoline_kernelINS0_14default_configENS1_29binary_search_config_selectorIyiEEZNS1_14transform_implILb0ES3_S5_N6thrust23THRUST_200600_302600_NS6detail15normal_iteratorINS8_7pointerIyNS8_11hip_rocprim5par_tENS8_11use_defaultESE_EEEENSA_INSB_IiSD_SE_SE_EEEEZNS1_13binary_searchIS3_S5_NSA_INS8_10device_ptrIyEEEESG_SI_NS1_16binary_search_opENS9_16wrapped_functionINS8_6system6detail7generic6detail18binary_search_lessEbEEEE10hipError_tPvRmT1_T2_T3_mmT4_T5_P12ihipStream_tbEUlRKyE_EESV_SZ_S10_mS11_S14_bEUlT_E_NS1_11comp_targetILNS1_3genE10ELNS1_11target_archE1200ELNS1_3gpuE4ELNS1_3repE0EEENS1_30default_config_static_selectorELNS0_4arch9wavefront6targetE1EEEvSY_.numbered_sgpr, 0
	.set _ZN7rocprim17ROCPRIM_400000_NS6detail17trampoline_kernelINS0_14default_configENS1_29binary_search_config_selectorIyiEEZNS1_14transform_implILb0ES3_S5_N6thrust23THRUST_200600_302600_NS6detail15normal_iteratorINS8_7pointerIyNS8_11hip_rocprim5par_tENS8_11use_defaultESE_EEEENSA_INSB_IiSD_SE_SE_EEEEZNS1_13binary_searchIS3_S5_NSA_INS8_10device_ptrIyEEEESG_SI_NS1_16binary_search_opENS9_16wrapped_functionINS8_6system6detail7generic6detail18binary_search_lessEbEEEE10hipError_tPvRmT1_T2_T3_mmT4_T5_P12ihipStream_tbEUlRKyE_EESV_SZ_S10_mS11_S14_bEUlT_E_NS1_11comp_targetILNS1_3genE10ELNS1_11target_archE1200ELNS1_3gpuE4ELNS1_3repE0EEENS1_30default_config_static_selectorELNS0_4arch9wavefront6targetE1EEEvSY_.num_named_barrier, 0
	.set _ZN7rocprim17ROCPRIM_400000_NS6detail17trampoline_kernelINS0_14default_configENS1_29binary_search_config_selectorIyiEEZNS1_14transform_implILb0ES3_S5_N6thrust23THRUST_200600_302600_NS6detail15normal_iteratorINS8_7pointerIyNS8_11hip_rocprim5par_tENS8_11use_defaultESE_EEEENSA_INSB_IiSD_SE_SE_EEEEZNS1_13binary_searchIS3_S5_NSA_INS8_10device_ptrIyEEEESG_SI_NS1_16binary_search_opENS9_16wrapped_functionINS8_6system6detail7generic6detail18binary_search_lessEbEEEE10hipError_tPvRmT1_T2_T3_mmT4_T5_P12ihipStream_tbEUlRKyE_EESV_SZ_S10_mS11_S14_bEUlT_E_NS1_11comp_targetILNS1_3genE10ELNS1_11target_archE1200ELNS1_3gpuE4ELNS1_3repE0EEENS1_30default_config_static_selectorELNS0_4arch9wavefront6targetE1EEEvSY_.private_seg_size, 0
	.set _ZN7rocprim17ROCPRIM_400000_NS6detail17trampoline_kernelINS0_14default_configENS1_29binary_search_config_selectorIyiEEZNS1_14transform_implILb0ES3_S5_N6thrust23THRUST_200600_302600_NS6detail15normal_iteratorINS8_7pointerIyNS8_11hip_rocprim5par_tENS8_11use_defaultESE_EEEENSA_INSB_IiSD_SE_SE_EEEEZNS1_13binary_searchIS3_S5_NSA_INS8_10device_ptrIyEEEESG_SI_NS1_16binary_search_opENS9_16wrapped_functionINS8_6system6detail7generic6detail18binary_search_lessEbEEEE10hipError_tPvRmT1_T2_T3_mmT4_T5_P12ihipStream_tbEUlRKyE_EESV_SZ_S10_mS11_S14_bEUlT_E_NS1_11comp_targetILNS1_3genE10ELNS1_11target_archE1200ELNS1_3gpuE4ELNS1_3repE0EEENS1_30default_config_static_selectorELNS0_4arch9wavefront6targetE1EEEvSY_.uses_vcc, 0
	.set _ZN7rocprim17ROCPRIM_400000_NS6detail17trampoline_kernelINS0_14default_configENS1_29binary_search_config_selectorIyiEEZNS1_14transform_implILb0ES3_S5_N6thrust23THRUST_200600_302600_NS6detail15normal_iteratorINS8_7pointerIyNS8_11hip_rocprim5par_tENS8_11use_defaultESE_EEEENSA_INSB_IiSD_SE_SE_EEEEZNS1_13binary_searchIS3_S5_NSA_INS8_10device_ptrIyEEEESG_SI_NS1_16binary_search_opENS9_16wrapped_functionINS8_6system6detail7generic6detail18binary_search_lessEbEEEE10hipError_tPvRmT1_T2_T3_mmT4_T5_P12ihipStream_tbEUlRKyE_EESV_SZ_S10_mS11_S14_bEUlT_E_NS1_11comp_targetILNS1_3genE10ELNS1_11target_archE1200ELNS1_3gpuE4ELNS1_3repE0EEENS1_30default_config_static_selectorELNS0_4arch9wavefront6targetE1EEEvSY_.uses_flat_scratch, 0
	.set _ZN7rocprim17ROCPRIM_400000_NS6detail17trampoline_kernelINS0_14default_configENS1_29binary_search_config_selectorIyiEEZNS1_14transform_implILb0ES3_S5_N6thrust23THRUST_200600_302600_NS6detail15normal_iteratorINS8_7pointerIyNS8_11hip_rocprim5par_tENS8_11use_defaultESE_EEEENSA_INSB_IiSD_SE_SE_EEEEZNS1_13binary_searchIS3_S5_NSA_INS8_10device_ptrIyEEEESG_SI_NS1_16binary_search_opENS9_16wrapped_functionINS8_6system6detail7generic6detail18binary_search_lessEbEEEE10hipError_tPvRmT1_T2_T3_mmT4_T5_P12ihipStream_tbEUlRKyE_EESV_SZ_S10_mS11_S14_bEUlT_E_NS1_11comp_targetILNS1_3genE10ELNS1_11target_archE1200ELNS1_3gpuE4ELNS1_3repE0EEENS1_30default_config_static_selectorELNS0_4arch9wavefront6targetE1EEEvSY_.has_dyn_sized_stack, 0
	.set _ZN7rocprim17ROCPRIM_400000_NS6detail17trampoline_kernelINS0_14default_configENS1_29binary_search_config_selectorIyiEEZNS1_14transform_implILb0ES3_S5_N6thrust23THRUST_200600_302600_NS6detail15normal_iteratorINS8_7pointerIyNS8_11hip_rocprim5par_tENS8_11use_defaultESE_EEEENSA_INSB_IiSD_SE_SE_EEEEZNS1_13binary_searchIS3_S5_NSA_INS8_10device_ptrIyEEEESG_SI_NS1_16binary_search_opENS9_16wrapped_functionINS8_6system6detail7generic6detail18binary_search_lessEbEEEE10hipError_tPvRmT1_T2_T3_mmT4_T5_P12ihipStream_tbEUlRKyE_EESV_SZ_S10_mS11_S14_bEUlT_E_NS1_11comp_targetILNS1_3genE10ELNS1_11target_archE1200ELNS1_3gpuE4ELNS1_3repE0EEENS1_30default_config_static_selectorELNS0_4arch9wavefront6targetE1EEEvSY_.has_recursion, 0
	.set _ZN7rocprim17ROCPRIM_400000_NS6detail17trampoline_kernelINS0_14default_configENS1_29binary_search_config_selectorIyiEEZNS1_14transform_implILb0ES3_S5_N6thrust23THRUST_200600_302600_NS6detail15normal_iteratorINS8_7pointerIyNS8_11hip_rocprim5par_tENS8_11use_defaultESE_EEEENSA_INSB_IiSD_SE_SE_EEEEZNS1_13binary_searchIS3_S5_NSA_INS8_10device_ptrIyEEEESG_SI_NS1_16binary_search_opENS9_16wrapped_functionINS8_6system6detail7generic6detail18binary_search_lessEbEEEE10hipError_tPvRmT1_T2_T3_mmT4_T5_P12ihipStream_tbEUlRKyE_EESV_SZ_S10_mS11_S14_bEUlT_E_NS1_11comp_targetILNS1_3genE10ELNS1_11target_archE1200ELNS1_3gpuE4ELNS1_3repE0EEENS1_30default_config_static_selectorELNS0_4arch9wavefront6targetE1EEEvSY_.has_indirect_call, 0
	.section	.AMDGPU.csdata,"",@progbits
; Kernel info:
; codeLenInByte = 0
; TotalNumSgprs: 4
; NumVgprs: 0
; ScratchSize: 0
; MemoryBound: 0
; FloatMode: 240
; IeeeMode: 1
; LDSByteSize: 0 bytes/workgroup (compile time only)
; SGPRBlocks: 0
; VGPRBlocks: 0
; NumSGPRsForWavesPerEU: 4
; NumVGPRsForWavesPerEU: 1
; Occupancy: 10
; WaveLimiterHint : 0
; COMPUTE_PGM_RSRC2:SCRATCH_EN: 0
; COMPUTE_PGM_RSRC2:USER_SGPR: 6
; COMPUTE_PGM_RSRC2:TRAP_HANDLER: 0
; COMPUTE_PGM_RSRC2:TGID_X_EN: 1
; COMPUTE_PGM_RSRC2:TGID_Y_EN: 0
; COMPUTE_PGM_RSRC2:TGID_Z_EN: 0
; COMPUTE_PGM_RSRC2:TIDIG_COMP_CNT: 0
	.section	.text._ZN7rocprim17ROCPRIM_400000_NS6detail17trampoline_kernelINS0_14default_configENS1_29binary_search_config_selectorIyiEEZNS1_14transform_implILb0ES3_S5_N6thrust23THRUST_200600_302600_NS6detail15normal_iteratorINS8_7pointerIyNS8_11hip_rocprim5par_tENS8_11use_defaultESE_EEEENSA_INSB_IiSD_SE_SE_EEEEZNS1_13binary_searchIS3_S5_NSA_INS8_10device_ptrIyEEEESG_SI_NS1_16binary_search_opENS9_16wrapped_functionINS8_6system6detail7generic6detail18binary_search_lessEbEEEE10hipError_tPvRmT1_T2_T3_mmT4_T5_P12ihipStream_tbEUlRKyE_EESV_SZ_S10_mS11_S14_bEUlT_E_NS1_11comp_targetILNS1_3genE9ELNS1_11target_archE1100ELNS1_3gpuE3ELNS1_3repE0EEENS1_30default_config_static_selectorELNS0_4arch9wavefront6targetE1EEEvSY_,"axG",@progbits,_ZN7rocprim17ROCPRIM_400000_NS6detail17trampoline_kernelINS0_14default_configENS1_29binary_search_config_selectorIyiEEZNS1_14transform_implILb0ES3_S5_N6thrust23THRUST_200600_302600_NS6detail15normal_iteratorINS8_7pointerIyNS8_11hip_rocprim5par_tENS8_11use_defaultESE_EEEENSA_INSB_IiSD_SE_SE_EEEEZNS1_13binary_searchIS3_S5_NSA_INS8_10device_ptrIyEEEESG_SI_NS1_16binary_search_opENS9_16wrapped_functionINS8_6system6detail7generic6detail18binary_search_lessEbEEEE10hipError_tPvRmT1_T2_T3_mmT4_T5_P12ihipStream_tbEUlRKyE_EESV_SZ_S10_mS11_S14_bEUlT_E_NS1_11comp_targetILNS1_3genE9ELNS1_11target_archE1100ELNS1_3gpuE3ELNS1_3repE0EEENS1_30default_config_static_selectorELNS0_4arch9wavefront6targetE1EEEvSY_,comdat
	.protected	_ZN7rocprim17ROCPRIM_400000_NS6detail17trampoline_kernelINS0_14default_configENS1_29binary_search_config_selectorIyiEEZNS1_14transform_implILb0ES3_S5_N6thrust23THRUST_200600_302600_NS6detail15normal_iteratorINS8_7pointerIyNS8_11hip_rocprim5par_tENS8_11use_defaultESE_EEEENSA_INSB_IiSD_SE_SE_EEEEZNS1_13binary_searchIS3_S5_NSA_INS8_10device_ptrIyEEEESG_SI_NS1_16binary_search_opENS9_16wrapped_functionINS8_6system6detail7generic6detail18binary_search_lessEbEEEE10hipError_tPvRmT1_T2_T3_mmT4_T5_P12ihipStream_tbEUlRKyE_EESV_SZ_S10_mS11_S14_bEUlT_E_NS1_11comp_targetILNS1_3genE9ELNS1_11target_archE1100ELNS1_3gpuE3ELNS1_3repE0EEENS1_30default_config_static_selectorELNS0_4arch9wavefront6targetE1EEEvSY_ ; -- Begin function _ZN7rocprim17ROCPRIM_400000_NS6detail17trampoline_kernelINS0_14default_configENS1_29binary_search_config_selectorIyiEEZNS1_14transform_implILb0ES3_S5_N6thrust23THRUST_200600_302600_NS6detail15normal_iteratorINS8_7pointerIyNS8_11hip_rocprim5par_tENS8_11use_defaultESE_EEEENSA_INSB_IiSD_SE_SE_EEEEZNS1_13binary_searchIS3_S5_NSA_INS8_10device_ptrIyEEEESG_SI_NS1_16binary_search_opENS9_16wrapped_functionINS8_6system6detail7generic6detail18binary_search_lessEbEEEE10hipError_tPvRmT1_T2_T3_mmT4_T5_P12ihipStream_tbEUlRKyE_EESV_SZ_S10_mS11_S14_bEUlT_E_NS1_11comp_targetILNS1_3genE9ELNS1_11target_archE1100ELNS1_3gpuE3ELNS1_3repE0EEENS1_30default_config_static_selectorELNS0_4arch9wavefront6targetE1EEEvSY_
	.globl	_ZN7rocprim17ROCPRIM_400000_NS6detail17trampoline_kernelINS0_14default_configENS1_29binary_search_config_selectorIyiEEZNS1_14transform_implILb0ES3_S5_N6thrust23THRUST_200600_302600_NS6detail15normal_iteratorINS8_7pointerIyNS8_11hip_rocprim5par_tENS8_11use_defaultESE_EEEENSA_INSB_IiSD_SE_SE_EEEEZNS1_13binary_searchIS3_S5_NSA_INS8_10device_ptrIyEEEESG_SI_NS1_16binary_search_opENS9_16wrapped_functionINS8_6system6detail7generic6detail18binary_search_lessEbEEEE10hipError_tPvRmT1_T2_T3_mmT4_T5_P12ihipStream_tbEUlRKyE_EESV_SZ_S10_mS11_S14_bEUlT_E_NS1_11comp_targetILNS1_3genE9ELNS1_11target_archE1100ELNS1_3gpuE3ELNS1_3repE0EEENS1_30default_config_static_selectorELNS0_4arch9wavefront6targetE1EEEvSY_
	.p2align	8
	.type	_ZN7rocprim17ROCPRIM_400000_NS6detail17trampoline_kernelINS0_14default_configENS1_29binary_search_config_selectorIyiEEZNS1_14transform_implILb0ES3_S5_N6thrust23THRUST_200600_302600_NS6detail15normal_iteratorINS8_7pointerIyNS8_11hip_rocprim5par_tENS8_11use_defaultESE_EEEENSA_INSB_IiSD_SE_SE_EEEEZNS1_13binary_searchIS3_S5_NSA_INS8_10device_ptrIyEEEESG_SI_NS1_16binary_search_opENS9_16wrapped_functionINS8_6system6detail7generic6detail18binary_search_lessEbEEEE10hipError_tPvRmT1_T2_T3_mmT4_T5_P12ihipStream_tbEUlRKyE_EESV_SZ_S10_mS11_S14_bEUlT_E_NS1_11comp_targetILNS1_3genE9ELNS1_11target_archE1100ELNS1_3gpuE3ELNS1_3repE0EEENS1_30default_config_static_selectorELNS0_4arch9wavefront6targetE1EEEvSY_,@function
_ZN7rocprim17ROCPRIM_400000_NS6detail17trampoline_kernelINS0_14default_configENS1_29binary_search_config_selectorIyiEEZNS1_14transform_implILb0ES3_S5_N6thrust23THRUST_200600_302600_NS6detail15normal_iteratorINS8_7pointerIyNS8_11hip_rocprim5par_tENS8_11use_defaultESE_EEEENSA_INSB_IiSD_SE_SE_EEEEZNS1_13binary_searchIS3_S5_NSA_INS8_10device_ptrIyEEEESG_SI_NS1_16binary_search_opENS9_16wrapped_functionINS8_6system6detail7generic6detail18binary_search_lessEbEEEE10hipError_tPvRmT1_T2_T3_mmT4_T5_P12ihipStream_tbEUlRKyE_EESV_SZ_S10_mS11_S14_bEUlT_E_NS1_11comp_targetILNS1_3genE9ELNS1_11target_archE1100ELNS1_3gpuE3ELNS1_3repE0EEENS1_30default_config_static_selectorELNS0_4arch9wavefront6targetE1EEEvSY_: ; @_ZN7rocprim17ROCPRIM_400000_NS6detail17trampoline_kernelINS0_14default_configENS1_29binary_search_config_selectorIyiEEZNS1_14transform_implILb0ES3_S5_N6thrust23THRUST_200600_302600_NS6detail15normal_iteratorINS8_7pointerIyNS8_11hip_rocprim5par_tENS8_11use_defaultESE_EEEENSA_INSB_IiSD_SE_SE_EEEEZNS1_13binary_searchIS3_S5_NSA_INS8_10device_ptrIyEEEESG_SI_NS1_16binary_search_opENS9_16wrapped_functionINS8_6system6detail7generic6detail18binary_search_lessEbEEEE10hipError_tPvRmT1_T2_T3_mmT4_T5_P12ihipStream_tbEUlRKyE_EESV_SZ_S10_mS11_S14_bEUlT_E_NS1_11comp_targetILNS1_3genE9ELNS1_11target_archE1100ELNS1_3gpuE3ELNS1_3repE0EEENS1_30default_config_static_selectorELNS0_4arch9wavefront6targetE1EEEvSY_
; %bb.0:
	.section	.rodata,"a",@progbits
	.p2align	6, 0x0
	.amdhsa_kernel _ZN7rocprim17ROCPRIM_400000_NS6detail17trampoline_kernelINS0_14default_configENS1_29binary_search_config_selectorIyiEEZNS1_14transform_implILb0ES3_S5_N6thrust23THRUST_200600_302600_NS6detail15normal_iteratorINS8_7pointerIyNS8_11hip_rocprim5par_tENS8_11use_defaultESE_EEEENSA_INSB_IiSD_SE_SE_EEEEZNS1_13binary_searchIS3_S5_NSA_INS8_10device_ptrIyEEEESG_SI_NS1_16binary_search_opENS9_16wrapped_functionINS8_6system6detail7generic6detail18binary_search_lessEbEEEE10hipError_tPvRmT1_T2_T3_mmT4_T5_P12ihipStream_tbEUlRKyE_EESV_SZ_S10_mS11_S14_bEUlT_E_NS1_11comp_targetILNS1_3genE9ELNS1_11target_archE1100ELNS1_3gpuE3ELNS1_3repE0EEENS1_30default_config_static_selectorELNS0_4arch9wavefront6targetE1EEEvSY_
		.amdhsa_group_segment_fixed_size 0
		.amdhsa_private_segment_fixed_size 0
		.amdhsa_kernarg_size 56
		.amdhsa_user_sgpr_count 6
		.amdhsa_user_sgpr_private_segment_buffer 1
		.amdhsa_user_sgpr_dispatch_ptr 0
		.amdhsa_user_sgpr_queue_ptr 0
		.amdhsa_user_sgpr_kernarg_segment_ptr 1
		.amdhsa_user_sgpr_dispatch_id 0
		.amdhsa_user_sgpr_flat_scratch_init 0
		.amdhsa_user_sgpr_private_segment_size 0
		.amdhsa_uses_dynamic_stack 0
		.amdhsa_system_sgpr_private_segment_wavefront_offset 0
		.amdhsa_system_sgpr_workgroup_id_x 1
		.amdhsa_system_sgpr_workgroup_id_y 0
		.amdhsa_system_sgpr_workgroup_id_z 0
		.amdhsa_system_sgpr_workgroup_info 0
		.amdhsa_system_vgpr_workitem_id 0
		.amdhsa_next_free_vgpr 1
		.amdhsa_next_free_sgpr 0
		.amdhsa_reserve_vcc 0
		.amdhsa_reserve_flat_scratch 0
		.amdhsa_float_round_mode_32 0
		.amdhsa_float_round_mode_16_64 0
		.amdhsa_float_denorm_mode_32 3
		.amdhsa_float_denorm_mode_16_64 3
		.amdhsa_dx10_clamp 1
		.amdhsa_ieee_mode 1
		.amdhsa_fp16_overflow 0
		.amdhsa_exception_fp_ieee_invalid_op 0
		.amdhsa_exception_fp_denorm_src 0
		.amdhsa_exception_fp_ieee_div_zero 0
		.amdhsa_exception_fp_ieee_overflow 0
		.amdhsa_exception_fp_ieee_underflow 0
		.amdhsa_exception_fp_ieee_inexact 0
		.amdhsa_exception_int_div_zero 0
	.end_amdhsa_kernel
	.section	.text._ZN7rocprim17ROCPRIM_400000_NS6detail17trampoline_kernelINS0_14default_configENS1_29binary_search_config_selectorIyiEEZNS1_14transform_implILb0ES3_S5_N6thrust23THRUST_200600_302600_NS6detail15normal_iteratorINS8_7pointerIyNS8_11hip_rocprim5par_tENS8_11use_defaultESE_EEEENSA_INSB_IiSD_SE_SE_EEEEZNS1_13binary_searchIS3_S5_NSA_INS8_10device_ptrIyEEEESG_SI_NS1_16binary_search_opENS9_16wrapped_functionINS8_6system6detail7generic6detail18binary_search_lessEbEEEE10hipError_tPvRmT1_T2_T3_mmT4_T5_P12ihipStream_tbEUlRKyE_EESV_SZ_S10_mS11_S14_bEUlT_E_NS1_11comp_targetILNS1_3genE9ELNS1_11target_archE1100ELNS1_3gpuE3ELNS1_3repE0EEENS1_30default_config_static_selectorELNS0_4arch9wavefront6targetE1EEEvSY_,"axG",@progbits,_ZN7rocprim17ROCPRIM_400000_NS6detail17trampoline_kernelINS0_14default_configENS1_29binary_search_config_selectorIyiEEZNS1_14transform_implILb0ES3_S5_N6thrust23THRUST_200600_302600_NS6detail15normal_iteratorINS8_7pointerIyNS8_11hip_rocprim5par_tENS8_11use_defaultESE_EEEENSA_INSB_IiSD_SE_SE_EEEEZNS1_13binary_searchIS3_S5_NSA_INS8_10device_ptrIyEEEESG_SI_NS1_16binary_search_opENS9_16wrapped_functionINS8_6system6detail7generic6detail18binary_search_lessEbEEEE10hipError_tPvRmT1_T2_T3_mmT4_T5_P12ihipStream_tbEUlRKyE_EESV_SZ_S10_mS11_S14_bEUlT_E_NS1_11comp_targetILNS1_3genE9ELNS1_11target_archE1100ELNS1_3gpuE3ELNS1_3repE0EEENS1_30default_config_static_selectorELNS0_4arch9wavefront6targetE1EEEvSY_,comdat
.Lfunc_end669:
	.size	_ZN7rocprim17ROCPRIM_400000_NS6detail17trampoline_kernelINS0_14default_configENS1_29binary_search_config_selectorIyiEEZNS1_14transform_implILb0ES3_S5_N6thrust23THRUST_200600_302600_NS6detail15normal_iteratorINS8_7pointerIyNS8_11hip_rocprim5par_tENS8_11use_defaultESE_EEEENSA_INSB_IiSD_SE_SE_EEEEZNS1_13binary_searchIS3_S5_NSA_INS8_10device_ptrIyEEEESG_SI_NS1_16binary_search_opENS9_16wrapped_functionINS8_6system6detail7generic6detail18binary_search_lessEbEEEE10hipError_tPvRmT1_T2_T3_mmT4_T5_P12ihipStream_tbEUlRKyE_EESV_SZ_S10_mS11_S14_bEUlT_E_NS1_11comp_targetILNS1_3genE9ELNS1_11target_archE1100ELNS1_3gpuE3ELNS1_3repE0EEENS1_30default_config_static_selectorELNS0_4arch9wavefront6targetE1EEEvSY_, .Lfunc_end669-_ZN7rocprim17ROCPRIM_400000_NS6detail17trampoline_kernelINS0_14default_configENS1_29binary_search_config_selectorIyiEEZNS1_14transform_implILb0ES3_S5_N6thrust23THRUST_200600_302600_NS6detail15normal_iteratorINS8_7pointerIyNS8_11hip_rocprim5par_tENS8_11use_defaultESE_EEEENSA_INSB_IiSD_SE_SE_EEEEZNS1_13binary_searchIS3_S5_NSA_INS8_10device_ptrIyEEEESG_SI_NS1_16binary_search_opENS9_16wrapped_functionINS8_6system6detail7generic6detail18binary_search_lessEbEEEE10hipError_tPvRmT1_T2_T3_mmT4_T5_P12ihipStream_tbEUlRKyE_EESV_SZ_S10_mS11_S14_bEUlT_E_NS1_11comp_targetILNS1_3genE9ELNS1_11target_archE1100ELNS1_3gpuE3ELNS1_3repE0EEENS1_30default_config_static_selectorELNS0_4arch9wavefront6targetE1EEEvSY_
                                        ; -- End function
	.set _ZN7rocprim17ROCPRIM_400000_NS6detail17trampoline_kernelINS0_14default_configENS1_29binary_search_config_selectorIyiEEZNS1_14transform_implILb0ES3_S5_N6thrust23THRUST_200600_302600_NS6detail15normal_iteratorINS8_7pointerIyNS8_11hip_rocprim5par_tENS8_11use_defaultESE_EEEENSA_INSB_IiSD_SE_SE_EEEEZNS1_13binary_searchIS3_S5_NSA_INS8_10device_ptrIyEEEESG_SI_NS1_16binary_search_opENS9_16wrapped_functionINS8_6system6detail7generic6detail18binary_search_lessEbEEEE10hipError_tPvRmT1_T2_T3_mmT4_T5_P12ihipStream_tbEUlRKyE_EESV_SZ_S10_mS11_S14_bEUlT_E_NS1_11comp_targetILNS1_3genE9ELNS1_11target_archE1100ELNS1_3gpuE3ELNS1_3repE0EEENS1_30default_config_static_selectorELNS0_4arch9wavefront6targetE1EEEvSY_.num_vgpr, 0
	.set _ZN7rocprim17ROCPRIM_400000_NS6detail17trampoline_kernelINS0_14default_configENS1_29binary_search_config_selectorIyiEEZNS1_14transform_implILb0ES3_S5_N6thrust23THRUST_200600_302600_NS6detail15normal_iteratorINS8_7pointerIyNS8_11hip_rocprim5par_tENS8_11use_defaultESE_EEEENSA_INSB_IiSD_SE_SE_EEEEZNS1_13binary_searchIS3_S5_NSA_INS8_10device_ptrIyEEEESG_SI_NS1_16binary_search_opENS9_16wrapped_functionINS8_6system6detail7generic6detail18binary_search_lessEbEEEE10hipError_tPvRmT1_T2_T3_mmT4_T5_P12ihipStream_tbEUlRKyE_EESV_SZ_S10_mS11_S14_bEUlT_E_NS1_11comp_targetILNS1_3genE9ELNS1_11target_archE1100ELNS1_3gpuE3ELNS1_3repE0EEENS1_30default_config_static_selectorELNS0_4arch9wavefront6targetE1EEEvSY_.num_agpr, 0
	.set _ZN7rocprim17ROCPRIM_400000_NS6detail17trampoline_kernelINS0_14default_configENS1_29binary_search_config_selectorIyiEEZNS1_14transform_implILb0ES3_S5_N6thrust23THRUST_200600_302600_NS6detail15normal_iteratorINS8_7pointerIyNS8_11hip_rocprim5par_tENS8_11use_defaultESE_EEEENSA_INSB_IiSD_SE_SE_EEEEZNS1_13binary_searchIS3_S5_NSA_INS8_10device_ptrIyEEEESG_SI_NS1_16binary_search_opENS9_16wrapped_functionINS8_6system6detail7generic6detail18binary_search_lessEbEEEE10hipError_tPvRmT1_T2_T3_mmT4_T5_P12ihipStream_tbEUlRKyE_EESV_SZ_S10_mS11_S14_bEUlT_E_NS1_11comp_targetILNS1_3genE9ELNS1_11target_archE1100ELNS1_3gpuE3ELNS1_3repE0EEENS1_30default_config_static_selectorELNS0_4arch9wavefront6targetE1EEEvSY_.numbered_sgpr, 0
	.set _ZN7rocprim17ROCPRIM_400000_NS6detail17trampoline_kernelINS0_14default_configENS1_29binary_search_config_selectorIyiEEZNS1_14transform_implILb0ES3_S5_N6thrust23THRUST_200600_302600_NS6detail15normal_iteratorINS8_7pointerIyNS8_11hip_rocprim5par_tENS8_11use_defaultESE_EEEENSA_INSB_IiSD_SE_SE_EEEEZNS1_13binary_searchIS3_S5_NSA_INS8_10device_ptrIyEEEESG_SI_NS1_16binary_search_opENS9_16wrapped_functionINS8_6system6detail7generic6detail18binary_search_lessEbEEEE10hipError_tPvRmT1_T2_T3_mmT4_T5_P12ihipStream_tbEUlRKyE_EESV_SZ_S10_mS11_S14_bEUlT_E_NS1_11comp_targetILNS1_3genE9ELNS1_11target_archE1100ELNS1_3gpuE3ELNS1_3repE0EEENS1_30default_config_static_selectorELNS0_4arch9wavefront6targetE1EEEvSY_.num_named_barrier, 0
	.set _ZN7rocprim17ROCPRIM_400000_NS6detail17trampoline_kernelINS0_14default_configENS1_29binary_search_config_selectorIyiEEZNS1_14transform_implILb0ES3_S5_N6thrust23THRUST_200600_302600_NS6detail15normal_iteratorINS8_7pointerIyNS8_11hip_rocprim5par_tENS8_11use_defaultESE_EEEENSA_INSB_IiSD_SE_SE_EEEEZNS1_13binary_searchIS3_S5_NSA_INS8_10device_ptrIyEEEESG_SI_NS1_16binary_search_opENS9_16wrapped_functionINS8_6system6detail7generic6detail18binary_search_lessEbEEEE10hipError_tPvRmT1_T2_T3_mmT4_T5_P12ihipStream_tbEUlRKyE_EESV_SZ_S10_mS11_S14_bEUlT_E_NS1_11comp_targetILNS1_3genE9ELNS1_11target_archE1100ELNS1_3gpuE3ELNS1_3repE0EEENS1_30default_config_static_selectorELNS0_4arch9wavefront6targetE1EEEvSY_.private_seg_size, 0
	.set _ZN7rocprim17ROCPRIM_400000_NS6detail17trampoline_kernelINS0_14default_configENS1_29binary_search_config_selectorIyiEEZNS1_14transform_implILb0ES3_S5_N6thrust23THRUST_200600_302600_NS6detail15normal_iteratorINS8_7pointerIyNS8_11hip_rocprim5par_tENS8_11use_defaultESE_EEEENSA_INSB_IiSD_SE_SE_EEEEZNS1_13binary_searchIS3_S5_NSA_INS8_10device_ptrIyEEEESG_SI_NS1_16binary_search_opENS9_16wrapped_functionINS8_6system6detail7generic6detail18binary_search_lessEbEEEE10hipError_tPvRmT1_T2_T3_mmT4_T5_P12ihipStream_tbEUlRKyE_EESV_SZ_S10_mS11_S14_bEUlT_E_NS1_11comp_targetILNS1_3genE9ELNS1_11target_archE1100ELNS1_3gpuE3ELNS1_3repE0EEENS1_30default_config_static_selectorELNS0_4arch9wavefront6targetE1EEEvSY_.uses_vcc, 0
	.set _ZN7rocprim17ROCPRIM_400000_NS6detail17trampoline_kernelINS0_14default_configENS1_29binary_search_config_selectorIyiEEZNS1_14transform_implILb0ES3_S5_N6thrust23THRUST_200600_302600_NS6detail15normal_iteratorINS8_7pointerIyNS8_11hip_rocprim5par_tENS8_11use_defaultESE_EEEENSA_INSB_IiSD_SE_SE_EEEEZNS1_13binary_searchIS3_S5_NSA_INS8_10device_ptrIyEEEESG_SI_NS1_16binary_search_opENS9_16wrapped_functionINS8_6system6detail7generic6detail18binary_search_lessEbEEEE10hipError_tPvRmT1_T2_T3_mmT4_T5_P12ihipStream_tbEUlRKyE_EESV_SZ_S10_mS11_S14_bEUlT_E_NS1_11comp_targetILNS1_3genE9ELNS1_11target_archE1100ELNS1_3gpuE3ELNS1_3repE0EEENS1_30default_config_static_selectorELNS0_4arch9wavefront6targetE1EEEvSY_.uses_flat_scratch, 0
	.set _ZN7rocprim17ROCPRIM_400000_NS6detail17trampoline_kernelINS0_14default_configENS1_29binary_search_config_selectorIyiEEZNS1_14transform_implILb0ES3_S5_N6thrust23THRUST_200600_302600_NS6detail15normal_iteratorINS8_7pointerIyNS8_11hip_rocprim5par_tENS8_11use_defaultESE_EEEENSA_INSB_IiSD_SE_SE_EEEEZNS1_13binary_searchIS3_S5_NSA_INS8_10device_ptrIyEEEESG_SI_NS1_16binary_search_opENS9_16wrapped_functionINS8_6system6detail7generic6detail18binary_search_lessEbEEEE10hipError_tPvRmT1_T2_T3_mmT4_T5_P12ihipStream_tbEUlRKyE_EESV_SZ_S10_mS11_S14_bEUlT_E_NS1_11comp_targetILNS1_3genE9ELNS1_11target_archE1100ELNS1_3gpuE3ELNS1_3repE0EEENS1_30default_config_static_selectorELNS0_4arch9wavefront6targetE1EEEvSY_.has_dyn_sized_stack, 0
	.set _ZN7rocprim17ROCPRIM_400000_NS6detail17trampoline_kernelINS0_14default_configENS1_29binary_search_config_selectorIyiEEZNS1_14transform_implILb0ES3_S5_N6thrust23THRUST_200600_302600_NS6detail15normal_iteratorINS8_7pointerIyNS8_11hip_rocprim5par_tENS8_11use_defaultESE_EEEENSA_INSB_IiSD_SE_SE_EEEEZNS1_13binary_searchIS3_S5_NSA_INS8_10device_ptrIyEEEESG_SI_NS1_16binary_search_opENS9_16wrapped_functionINS8_6system6detail7generic6detail18binary_search_lessEbEEEE10hipError_tPvRmT1_T2_T3_mmT4_T5_P12ihipStream_tbEUlRKyE_EESV_SZ_S10_mS11_S14_bEUlT_E_NS1_11comp_targetILNS1_3genE9ELNS1_11target_archE1100ELNS1_3gpuE3ELNS1_3repE0EEENS1_30default_config_static_selectorELNS0_4arch9wavefront6targetE1EEEvSY_.has_recursion, 0
	.set _ZN7rocprim17ROCPRIM_400000_NS6detail17trampoline_kernelINS0_14default_configENS1_29binary_search_config_selectorIyiEEZNS1_14transform_implILb0ES3_S5_N6thrust23THRUST_200600_302600_NS6detail15normal_iteratorINS8_7pointerIyNS8_11hip_rocprim5par_tENS8_11use_defaultESE_EEEENSA_INSB_IiSD_SE_SE_EEEEZNS1_13binary_searchIS3_S5_NSA_INS8_10device_ptrIyEEEESG_SI_NS1_16binary_search_opENS9_16wrapped_functionINS8_6system6detail7generic6detail18binary_search_lessEbEEEE10hipError_tPvRmT1_T2_T3_mmT4_T5_P12ihipStream_tbEUlRKyE_EESV_SZ_S10_mS11_S14_bEUlT_E_NS1_11comp_targetILNS1_3genE9ELNS1_11target_archE1100ELNS1_3gpuE3ELNS1_3repE0EEENS1_30default_config_static_selectorELNS0_4arch9wavefront6targetE1EEEvSY_.has_indirect_call, 0
	.section	.AMDGPU.csdata,"",@progbits
; Kernel info:
; codeLenInByte = 0
; TotalNumSgprs: 4
; NumVgprs: 0
; ScratchSize: 0
; MemoryBound: 0
; FloatMode: 240
; IeeeMode: 1
; LDSByteSize: 0 bytes/workgroup (compile time only)
; SGPRBlocks: 0
; VGPRBlocks: 0
; NumSGPRsForWavesPerEU: 4
; NumVGPRsForWavesPerEU: 1
; Occupancy: 10
; WaveLimiterHint : 0
; COMPUTE_PGM_RSRC2:SCRATCH_EN: 0
; COMPUTE_PGM_RSRC2:USER_SGPR: 6
; COMPUTE_PGM_RSRC2:TRAP_HANDLER: 0
; COMPUTE_PGM_RSRC2:TGID_X_EN: 1
; COMPUTE_PGM_RSRC2:TGID_Y_EN: 0
; COMPUTE_PGM_RSRC2:TGID_Z_EN: 0
; COMPUTE_PGM_RSRC2:TIDIG_COMP_CNT: 0
	.section	.text._ZN7rocprim17ROCPRIM_400000_NS6detail17trampoline_kernelINS0_14default_configENS1_29binary_search_config_selectorIyiEEZNS1_14transform_implILb0ES3_S5_N6thrust23THRUST_200600_302600_NS6detail15normal_iteratorINS8_7pointerIyNS8_11hip_rocprim5par_tENS8_11use_defaultESE_EEEENSA_INSB_IiSD_SE_SE_EEEEZNS1_13binary_searchIS3_S5_NSA_INS8_10device_ptrIyEEEESG_SI_NS1_16binary_search_opENS9_16wrapped_functionINS8_6system6detail7generic6detail18binary_search_lessEbEEEE10hipError_tPvRmT1_T2_T3_mmT4_T5_P12ihipStream_tbEUlRKyE_EESV_SZ_S10_mS11_S14_bEUlT_E_NS1_11comp_targetILNS1_3genE8ELNS1_11target_archE1030ELNS1_3gpuE2ELNS1_3repE0EEENS1_30default_config_static_selectorELNS0_4arch9wavefront6targetE1EEEvSY_,"axG",@progbits,_ZN7rocprim17ROCPRIM_400000_NS6detail17trampoline_kernelINS0_14default_configENS1_29binary_search_config_selectorIyiEEZNS1_14transform_implILb0ES3_S5_N6thrust23THRUST_200600_302600_NS6detail15normal_iteratorINS8_7pointerIyNS8_11hip_rocprim5par_tENS8_11use_defaultESE_EEEENSA_INSB_IiSD_SE_SE_EEEEZNS1_13binary_searchIS3_S5_NSA_INS8_10device_ptrIyEEEESG_SI_NS1_16binary_search_opENS9_16wrapped_functionINS8_6system6detail7generic6detail18binary_search_lessEbEEEE10hipError_tPvRmT1_T2_T3_mmT4_T5_P12ihipStream_tbEUlRKyE_EESV_SZ_S10_mS11_S14_bEUlT_E_NS1_11comp_targetILNS1_3genE8ELNS1_11target_archE1030ELNS1_3gpuE2ELNS1_3repE0EEENS1_30default_config_static_selectorELNS0_4arch9wavefront6targetE1EEEvSY_,comdat
	.protected	_ZN7rocprim17ROCPRIM_400000_NS6detail17trampoline_kernelINS0_14default_configENS1_29binary_search_config_selectorIyiEEZNS1_14transform_implILb0ES3_S5_N6thrust23THRUST_200600_302600_NS6detail15normal_iteratorINS8_7pointerIyNS8_11hip_rocprim5par_tENS8_11use_defaultESE_EEEENSA_INSB_IiSD_SE_SE_EEEEZNS1_13binary_searchIS3_S5_NSA_INS8_10device_ptrIyEEEESG_SI_NS1_16binary_search_opENS9_16wrapped_functionINS8_6system6detail7generic6detail18binary_search_lessEbEEEE10hipError_tPvRmT1_T2_T3_mmT4_T5_P12ihipStream_tbEUlRKyE_EESV_SZ_S10_mS11_S14_bEUlT_E_NS1_11comp_targetILNS1_3genE8ELNS1_11target_archE1030ELNS1_3gpuE2ELNS1_3repE0EEENS1_30default_config_static_selectorELNS0_4arch9wavefront6targetE1EEEvSY_ ; -- Begin function _ZN7rocprim17ROCPRIM_400000_NS6detail17trampoline_kernelINS0_14default_configENS1_29binary_search_config_selectorIyiEEZNS1_14transform_implILb0ES3_S5_N6thrust23THRUST_200600_302600_NS6detail15normal_iteratorINS8_7pointerIyNS8_11hip_rocprim5par_tENS8_11use_defaultESE_EEEENSA_INSB_IiSD_SE_SE_EEEEZNS1_13binary_searchIS3_S5_NSA_INS8_10device_ptrIyEEEESG_SI_NS1_16binary_search_opENS9_16wrapped_functionINS8_6system6detail7generic6detail18binary_search_lessEbEEEE10hipError_tPvRmT1_T2_T3_mmT4_T5_P12ihipStream_tbEUlRKyE_EESV_SZ_S10_mS11_S14_bEUlT_E_NS1_11comp_targetILNS1_3genE8ELNS1_11target_archE1030ELNS1_3gpuE2ELNS1_3repE0EEENS1_30default_config_static_selectorELNS0_4arch9wavefront6targetE1EEEvSY_
	.globl	_ZN7rocprim17ROCPRIM_400000_NS6detail17trampoline_kernelINS0_14default_configENS1_29binary_search_config_selectorIyiEEZNS1_14transform_implILb0ES3_S5_N6thrust23THRUST_200600_302600_NS6detail15normal_iteratorINS8_7pointerIyNS8_11hip_rocprim5par_tENS8_11use_defaultESE_EEEENSA_INSB_IiSD_SE_SE_EEEEZNS1_13binary_searchIS3_S5_NSA_INS8_10device_ptrIyEEEESG_SI_NS1_16binary_search_opENS9_16wrapped_functionINS8_6system6detail7generic6detail18binary_search_lessEbEEEE10hipError_tPvRmT1_T2_T3_mmT4_T5_P12ihipStream_tbEUlRKyE_EESV_SZ_S10_mS11_S14_bEUlT_E_NS1_11comp_targetILNS1_3genE8ELNS1_11target_archE1030ELNS1_3gpuE2ELNS1_3repE0EEENS1_30default_config_static_selectorELNS0_4arch9wavefront6targetE1EEEvSY_
	.p2align	8
	.type	_ZN7rocprim17ROCPRIM_400000_NS6detail17trampoline_kernelINS0_14default_configENS1_29binary_search_config_selectorIyiEEZNS1_14transform_implILb0ES3_S5_N6thrust23THRUST_200600_302600_NS6detail15normal_iteratorINS8_7pointerIyNS8_11hip_rocprim5par_tENS8_11use_defaultESE_EEEENSA_INSB_IiSD_SE_SE_EEEEZNS1_13binary_searchIS3_S5_NSA_INS8_10device_ptrIyEEEESG_SI_NS1_16binary_search_opENS9_16wrapped_functionINS8_6system6detail7generic6detail18binary_search_lessEbEEEE10hipError_tPvRmT1_T2_T3_mmT4_T5_P12ihipStream_tbEUlRKyE_EESV_SZ_S10_mS11_S14_bEUlT_E_NS1_11comp_targetILNS1_3genE8ELNS1_11target_archE1030ELNS1_3gpuE2ELNS1_3repE0EEENS1_30default_config_static_selectorELNS0_4arch9wavefront6targetE1EEEvSY_,@function
_ZN7rocprim17ROCPRIM_400000_NS6detail17trampoline_kernelINS0_14default_configENS1_29binary_search_config_selectorIyiEEZNS1_14transform_implILb0ES3_S5_N6thrust23THRUST_200600_302600_NS6detail15normal_iteratorINS8_7pointerIyNS8_11hip_rocprim5par_tENS8_11use_defaultESE_EEEENSA_INSB_IiSD_SE_SE_EEEEZNS1_13binary_searchIS3_S5_NSA_INS8_10device_ptrIyEEEESG_SI_NS1_16binary_search_opENS9_16wrapped_functionINS8_6system6detail7generic6detail18binary_search_lessEbEEEE10hipError_tPvRmT1_T2_T3_mmT4_T5_P12ihipStream_tbEUlRKyE_EESV_SZ_S10_mS11_S14_bEUlT_E_NS1_11comp_targetILNS1_3genE8ELNS1_11target_archE1030ELNS1_3gpuE2ELNS1_3repE0EEENS1_30default_config_static_selectorELNS0_4arch9wavefront6targetE1EEEvSY_: ; @_ZN7rocprim17ROCPRIM_400000_NS6detail17trampoline_kernelINS0_14default_configENS1_29binary_search_config_selectorIyiEEZNS1_14transform_implILb0ES3_S5_N6thrust23THRUST_200600_302600_NS6detail15normal_iteratorINS8_7pointerIyNS8_11hip_rocprim5par_tENS8_11use_defaultESE_EEEENSA_INSB_IiSD_SE_SE_EEEEZNS1_13binary_searchIS3_S5_NSA_INS8_10device_ptrIyEEEESG_SI_NS1_16binary_search_opENS9_16wrapped_functionINS8_6system6detail7generic6detail18binary_search_lessEbEEEE10hipError_tPvRmT1_T2_T3_mmT4_T5_P12ihipStream_tbEUlRKyE_EESV_SZ_S10_mS11_S14_bEUlT_E_NS1_11comp_targetILNS1_3genE8ELNS1_11target_archE1030ELNS1_3gpuE2ELNS1_3repE0EEENS1_30default_config_static_selectorELNS0_4arch9wavefront6targetE1EEEvSY_
; %bb.0:
	.section	.rodata,"a",@progbits
	.p2align	6, 0x0
	.amdhsa_kernel _ZN7rocprim17ROCPRIM_400000_NS6detail17trampoline_kernelINS0_14default_configENS1_29binary_search_config_selectorIyiEEZNS1_14transform_implILb0ES3_S5_N6thrust23THRUST_200600_302600_NS6detail15normal_iteratorINS8_7pointerIyNS8_11hip_rocprim5par_tENS8_11use_defaultESE_EEEENSA_INSB_IiSD_SE_SE_EEEEZNS1_13binary_searchIS3_S5_NSA_INS8_10device_ptrIyEEEESG_SI_NS1_16binary_search_opENS9_16wrapped_functionINS8_6system6detail7generic6detail18binary_search_lessEbEEEE10hipError_tPvRmT1_T2_T3_mmT4_T5_P12ihipStream_tbEUlRKyE_EESV_SZ_S10_mS11_S14_bEUlT_E_NS1_11comp_targetILNS1_3genE8ELNS1_11target_archE1030ELNS1_3gpuE2ELNS1_3repE0EEENS1_30default_config_static_selectorELNS0_4arch9wavefront6targetE1EEEvSY_
		.amdhsa_group_segment_fixed_size 0
		.amdhsa_private_segment_fixed_size 0
		.amdhsa_kernarg_size 56
		.amdhsa_user_sgpr_count 6
		.amdhsa_user_sgpr_private_segment_buffer 1
		.amdhsa_user_sgpr_dispatch_ptr 0
		.amdhsa_user_sgpr_queue_ptr 0
		.amdhsa_user_sgpr_kernarg_segment_ptr 1
		.amdhsa_user_sgpr_dispatch_id 0
		.amdhsa_user_sgpr_flat_scratch_init 0
		.amdhsa_user_sgpr_private_segment_size 0
		.amdhsa_uses_dynamic_stack 0
		.amdhsa_system_sgpr_private_segment_wavefront_offset 0
		.amdhsa_system_sgpr_workgroup_id_x 1
		.amdhsa_system_sgpr_workgroup_id_y 0
		.amdhsa_system_sgpr_workgroup_id_z 0
		.amdhsa_system_sgpr_workgroup_info 0
		.amdhsa_system_vgpr_workitem_id 0
		.amdhsa_next_free_vgpr 1
		.amdhsa_next_free_sgpr 0
		.amdhsa_reserve_vcc 0
		.amdhsa_reserve_flat_scratch 0
		.amdhsa_float_round_mode_32 0
		.amdhsa_float_round_mode_16_64 0
		.amdhsa_float_denorm_mode_32 3
		.amdhsa_float_denorm_mode_16_64 3
		.amdhsa_dx10_clamp 1
		.amdhsa_ieee_mode 1
		.amdhsa_fp16_overflow 0
		.amdhsa_exception_fp_ieee_invalid_op 0
		.amdhsa_exception_fp_denorm_src 0
		.amdhsa_exception_fp_ieee_div_zero 0
		.amdhsa_exception_fp_ieee_overflow 0
		.amdhsa_exception_fp_ieee_underflow 0
		.amdhsa_exception_fp_ieee_inexact 0
		.amdhsa_exception_int_div_zero 0
	.end_amdhsa_kernel
	.section	.text._ZN7rocprim17ROCPRIM_400000_NS6detail17trampoline_kernelINS0_14default_configENS1_29binary_search_config_selectorIyiEEZNS1_14transform_implILb0ES3_S5_N6thrust23THRUST_200600_302600_NS6detail15normal_iteratorINS8_7pointerIyNS8_11hip_rocprim5par_tENS8_11use_defaultESE_EEEENSA_INSB_IiSD_SE_SE_EEEEZNS1_13binary_searchIS3_S5_NSA_INS8_10device_ptrIyEEEESG_SI_NS1_16binary_search_opENS9_16wrapped_functionINS8_6system6detail7generic6detail18binary_search_lessEbEEEE10hipError_tPvRmT1_T2_T3_mmT4_T5_P12ihipStream_tbEUlRKyE_EESV_SZ_S10_mS11_S14_bEUlT_E_NS1_11comp_targetILNS1_3genE8ELNS1_11target_archE1030ELNS1_3gpuE2ELNS1_3repE0EEENS1_30default_config_static_selectorELNS0_4arch9wavefront6targetE1EEEvSY_,"axG",@progbits,_ZN7rocprim17ROCPRIM_400000_NS6detail17trampoline_kernelINS0_14default_configENS1_29binary_search_config_selectorIyiEEZNS1_14transform_implILb0ES3_S5_N6thrust23THRUST_200600_302600_NS6detail15normal_iteratorINS8_7pointerIyNS8_11hip_rocprim5par_tENS8_11use_defaultESE_EEEENSA_INSB_IiSD_SE_SE_EEEEZNS1_13binary_searchIS3_S5_NSA_INS8_10device_ptrIyEEEESG_SI_NS1_16binary_search_opENS9_16wrapped_functionINS8_6system6detail7generic6detail18binary_search_lessEbEEEE10hipError_tPvRmT1_T2_T3_mmT4_T5_P12ihipStream_tbEUlRKyE_EESV_SZ_S10_mS11_S14_bEUlT_E_NS1_11comp_targetILNS1_3genE8ELNS1_11target_archE1030ELNS1_3gpuE2ELNS1_3repE0EEENS1_30default_config_static_selectorELNS0_4arch9wavefront6targetE1EEEvSY_,comdat
.Lfunc_end670:
	.size	_ZN7rocprim17ROCPRIM_400000_NS6detail17trampoline_kernelINS0_14default_configENS1_29binary_search_config_selectorIyiEEZNS1_14transform_implILb0ES3_S5_N6thrust23THRUST_200600_302600_NS6detail15normal_iteratorINS8_7pointerIyNS8_11hip_rocprim5par_tENS8_11use_defaultESE_EEEENSA_INSB_IiSD_SE_SE_EEEEZNS1_13binary_searchIS3_S5_NSA_INS8_10device_ptrIyEEEESG_SI_NS1_16binary_search_opENS9_16wrapped_functionINS8_6system6detail7generic6detail18binary_search_lessEbEEEE10hipError_tPvRmT1_T2_T3_mmT4_T5_P12ihipStream_tbEUlRKyE_EESV_SZ_S10_mS11_S14_bEUlT_E_NS1_11comp_targetILNS1_3genE8ELNS1_11target_archE1030ELNS1_3gpuE2ELNS1_3repE0EEENS1_30default_config_static_selectorELNS0_4arch9wavefront6targetE1EEEvSY_, .Lfunc_end670-_ZN7rocprim17ROCPRIM_400000_NS6detail17trampoline_kernelINS0_14default_configENS1_29binary_search_config_selectorIyiEEZNS1_14transform_implILb0ES3_S5_N6thrust23THRUST_200600_302600_NS6detail15normal_iteratorINS8_7pointerIyNS8_11hip_rocprim5par_tENS8_11use_defaultESE_EEEENSA_INSB_IiSD_SE_SE_EEEEZNS1_13binary_searchIS3_S5_NSA_INS8_10device_ptrIyEEEESG_SI_NS1_16binary_search_opENS9_16wrapped_functionINS8_6system6detail7generic6detail18binary_search_lessEbEEEE10hipError_tPvRmT1_T2_T3_mmT4_T5_P12ihipStream_tbEUlRKyE_EESV_SZ_S10_mS11_S14_bEUlT_E_NS1_11comp_targetILNS1_3genE8ELNS1_11target_archE1030ELNS1_3gpuE2ELNS1_3repE0EEENS1_30default_config_static_selectorELNS0_4arch9wavefront6targetE1EEEvSY_
                                        ; -- End function
	.set _ZN7rocprim17ROCPRIM_400000_NS6detail17trampoline_kernelINS0_14default_configENS1_29binary_search_config_selectorIyiEEZNS1_14transform_implILb0ES3_S5_N6thrust23THRUST_200600_302600_NS6detail15normal_iteratorINS8_7pointerIyNS8_11hip_rocprim5par_tENS8_11use_defaultESE_EEEENSA_INSB_IiSD_SE_SE_EEEEZNS1_13binary_searchIS3_S5_NSA_INS8_10device_ptrIyEEEESG_SI_NS1_16binary_search_opENS9_16wrapped_functionINS8_6system6detail7generic6detail18binary_search_lessEbEEEE10hipError_tPvRmT1_T2_T3_mmT4_T5_P12ihipStream_tbEUlRKyE_EESV_SZ_S10_mS11_S14_bEUlT_E_NS1_11comp_targetILNS1_3genE8ELNS1_11target_archE1030ELNS1_3gpuE2ELNS1_3repE0EEENS1_30default_config_static_selectorELNS0_4arch9wavefront6targetE1EEEvSY_.num_vgpr, 0
	.set _ZN7rocprim17ROCPRIM_400000_NS6detail17trampoline_kernelINS0_14default_configENS1_29binary_search_config_selectorIyiEEZNS1_14transform_implILb0ES3_S5_N6thrust23THRUST_200600_302600_NS6detail15normal_iteratorINS8_7pointerIyNS8_11hip_rocprim5par_tENS8_11use_defaultESE_EEEENSA_INSB_IiSD_SE_SE_EEEEZNS1_13binary_searchIS3_S5_NSA_INS8_10device_ptrIyEEEESG_SI_NS1_16binary_search_opENS9_16wrapped_functionINS8_6system6detail7generic6detail18binary_search_lessEbEEEE10hipError_tPvRmT1_T2_T3_mmT4_T5_P12ihipStream_tbEUlRKyE_EESV_SZ_S10_mS11_S14_bEUlT_E_NS1_11comp_targetILNS1_3genE8ELNS1_11target_archE1030ELNS1_3gpuE2ELNS1_3repE0EEENS1_30default_config_static_selectorELNS0_4arch9wavefront6targetE1EEEvSY_.num_agpr, 0
	.set _ZN7rocprim17ROCPRIM_400000_NS6detail17trampoline_kernelINS0_14default_configENS1_29binary_search_config_selectorIyiEEZNS1_14transform_implILb0ES3_S5_N6thrust23THRUST_200600_302600_NS6detail15normal_iteratorINS8_7pointerIyNS8_11hip_rocprim5par_tENS8_11use_defaultESE_EEEENSA_INSB_IiSD_SE_SE_EEEEZNS1_13binary_searchIS3_S5_NSA_INS8_10device_ptrIyEEEESG_SI_NS1_16binary_search_opENS9_16wrapped_functionINS8_6system6detail7generic6detail18binary_search_lessEbEEEE10hipError_tPvRmT1_T2_T3_mmT4_T5_P12ihipStream_tbEUlRKyE_EESV_SZ_S10_mS11_S14_bEUlT_E_NS1_11comp_targetILNS1_3genE8ELNS1_11target_archE1030ELNS1_3gpuE2ELNS1_3repE0EEENS1_30default_config_static_selectorELNS0_4arch9wavefront6targetE1EEEvSY_.numbered_sgpr, 0
	.set _ZN7rocprim17ROCPRIM_400000_NS6detail17trampoline_kernelINS0_14default_configENS1_29binary_search_config_selectorIyiEEZNS1_14transform_implILb0ES3_S5_N6thrust23THRUST_200600_302600_NS6detail15normal_iteratorINS8_7pointerIyNS8_11hip_rocprim5par_tENS8_11use_defaultESE_EEEENSA_INSB_IiSD_SE_SE_EEEEZNS1_13binary_searchIS3_S5_NSA_INS8_10device_ptrIyEEEESG_SI_NS1_16binary_search_opENS9_16wrapped_functionINS8_6system6detail7generic6detail18binary_search_lessEbEEEE10hipError_tPvRmT1_T2_T3_mmT4_T5_P12ihipStream_tbEUlRKyE_EESV_SZ_S10_mS11_S14_bEUlT_E_NS1_11comp_targetILNS1_3genE8ELNS1_11target_archE1030ELNS1_3gpuE2ELNS1_3repE0EEENS1_30default_config_static_selectorELNS0_4arch9wavefront6targetE1EEEvSY_.num_named_barrier, 0
	.set _ZN7rocprim17ROCPRIM_400000_NS6detail17trampoline_kernelINS0_14default_configENS1_29binary_search_config_selectorIyiEEZNS1_14transform_implILb0ES3_S5_N6thrust23THRUST_200600_302600_NS6detail15normal_iteratorINS8_7pointerIyNS8_11hip_rocprim5par_tENS8_11use_defaultESE_EEEENSA_INSB_IiSD_SE_SE_EEEEZNS1_13binary_searchIS3_S5_NSA_INS8_10device_ptrIyEEEESG_SI_NS1_16binary_search_opENS9_16wrapped_functionINS8_6system6detail7generic6detail18binary_search_lessEbEEEE10hipError_tPvRmT1_T2_T3_mmT4_T5_P12ihipStream_tbEUlRKyE_EESV_SZ_S10_mS11_S14_bEUlT_E_NS1_11comp_targetILNS1_3genE8ELNS1_11target_archE1030ELNS1_3gpuE2ELNS1_3repE0EEENS1_30default_config_static_selectorELNS0_4arch9wavefront6targetE1EEEvSY_.private_seg_size, 0
	.set _ZN7rocprim17ROCPRIM_400000_NS6detail17trampoline_kernelINS0_14default_configENS1_29binary_search_config_selectorIyiEEZNS1_14transform_implILb0ES3_S5_N6thrust23THRUST_200600_302600_NS6detail15normal_iteratorINS8_7pointerIyNS8_11hip_rocprim5par_tENS8_11use_defaultESE_EEEENSA_INSB_IiSD_SE_SE_EEEEZNS1_13binary_searchIS3_S5_NSA_INS8_10device_ptrIyEEEESG_SI_NS1_16binary_search_opENS9_16wrapped_functionINS8_6system6detail7generic6detail18binary_search_lessEbEEEE10hipError_tPvRmT1_T2_T3_mmT4_T5_P12ihipStream_tbEUlRKyE_EESV_SZ_S10_mS11_S14_bEUlT_E_NS1_11comp_targetILNS1_3genE8ELNS1_11target_archE1030ELNS1_3gpuE2ELNS1_3repE0EEENS1_30default_config_static_selectorELNS0_4arch9wavefront6targetE1EEEvSY_.uses_vcc, 0
	.set _ZN7rocprim17ROCPRIM_400000_NS6detail17trampoline_kernelINS0_14default_configENS1_29binary_search_config_selectorIyiEEZNS1_14transform_implILb0ES3_S5_N6thrust23THRUST_200600_302600_NS6detail15normal_iteratorINS8_7pointerIyNS8_11hip_rocprim5par_tENS8_11use_defaultESE_EEEENSA_INSB_IiSD_SE_SE_EEEEZNS1_13binary_searchIS3_S5_NSA_INS8_10device_ptrIyEEEESG_SI_NS1_16binary_search_opENS9_16wrapped_functionINS8_6system6detail7generic6detail18binary_search_lessEbEEEE10hipError_tPvRmT1_T2_T3_mmT4_T5_P12ihipStream_tbEUlRKyE_EESV_SZ_S10_mS11_S14_bEUlT_E_NS1_11comp_targetILNS1_3genE8ELNS1_11target_archE1030ELNS1_3gpuE2ELNS1_3repE0EEENS1_30default_config_static_selectorELNS0_4arch9wavefront6targetE1EEEvSY_.uses_flat_scratch, 0
	.set _ZN7rocprim17ROCPRIM_400000_NS6detail17trampoline_kernelINS0_14default_configENS1_29binary_search_config_selectorIyiEEZNS1_14transform_implILb0ES3_S5_N6thrust23THRUST_200600_302600_NS6detail15normal_iteratorINS8_7pointerIyNS8_11hip_rocprim5par_tENS8_11use_defaultESE_EEEENSA_INSB_IiSD_SE_SE_EEEEZNS1_13binary_searchIS3_S5_NSA_INS8_10device_ptrIyEEEESG_SI_NS1_16binary_search_opENS9_16wrapped_functionINS8_6system6detail7generic6detail18binary_search_lessEbEEEE10hipError_tPvRmT1_T2_T3_mmT4_T5_P12ihipStream_tbEUlRKyE_EESV_SZ_S10_mS11_S14_bEUlT_E_NS1_11comp_targetILNS1_3genE8ELNS1_11target_archE1030ELNS1_3gpuE2ELNS1_3repE0EEENS1_30default_config_static_selectorELNS0_4arch9wavefront6targetE1EEEvSY_.has_dyn_sized_stack, 0
	.set _ZN7rocprim17ROCPRIM_400000_NS6detail17trampoline_kernelINS0_14default_configENS1_29binary_search_config_selectorIyiEEZNS1_14transform_implILb0ES3_S5_N6thrust23THRUST_200600_302600_NS6detail15normal_iteratorINS8_7pointerIyNS8_11hip_rocprim5par_tENS8_11use_defaultESE_EEEENSA_INSB_IiSD_SE_SE_EEEEZNS1_13binary_searchIS3_S5_NSA_INS8_10device_ptrIyEEEESG_SI_NS1_16binary_search_opENS9_16wrapped_functionINS8_6system6detail7generic6detail18binary_search_lessEbEEEE10hipError_tPvRmT1_T2_T3_mmT4_T5_P12ihipStream_tbEUlRKyE_EESV_SZ_S10_mS11_S14_bEUlT_E_NS1_11comp_targetILNS1_3genE8ELNS1_11target_archE1030ELNS1_3gpuE2ELNS1_3repE0EEENS1_30default_config_static_selectorELNS0_4arch9wavefront6targetE1EEEvSY_.has_recursion, 0
	.set _ZN7rocprim17ROCPRIM_400000_NS6detail17trampoline_kernelINS0_14default_configENS1_29binary_search_config_selectorIyiEEZNS1_14transform_implILb0ES3_S5_N6thrust23THRUST_200600_302600_NS6detail15normal_iteratorINS8_7pointerIyNS8_11hip_rocprim5par_tENS8_11use_defaultESE_EEEENSA_INSB_IiSD_SE_SE_EEEEZNS1_13binary_searchIS3_S5_NSA_INS8_10device_ptrIyEEEESG_SI_NS1_16binary_search_opENS9_16wrapped_functionINS8_6system6detail7generic6detail18binary_search_lessEbEEEE10hipError_tPvRmT1_T2_T3_mmT4_T5_P12ihipStream_tbEUlRKyE_EESV_SZ_S10_mS11_S14_bEUlT_E_NS1_11comp_targetILNS1_3genE8ELNS1_11target_archE1030ELNS1_3gpuE2ELNS1_3repE0EEENS1_30default_config_static_selectorELNS0_4arch9wavefront6targetE1EEEvSY_.has_indirect_call, 0
	.section	.AMDGPU.csdata,"",@progbits
; Kernel info:
; codeLenInByte = 0
; TotalNumSgprs: 4
; NumVgprs: 0
; ScratchSize: 0
; MemoryBound: 0
; FloatMode: 240
; IeeeMode: 1
; LDSByteSize: 0 bytes/workgroup (compile time only)
; SGPRBlocks: 0
; VGPRBlocks: 0
; NumSGPRsForWavesPerEU: 4
; NumVGPRsForWavesPerEU: 1
; Occupancy: 10
; WaveLimiterHint : 0
; COMPUTE_PGM_RSRC2:SCRATCH_EN: 0
; COMPUTE_PGM_RSRC2:USER_SGPR: 6
; COMPUTE_PGM_RSRC2:TRAP_HANDLER: 0
; COMPUTE_PGM_RSRC2:TGID_X_EN: 1
; COMPUTE_PGM_RSRC2:TGID_Y_EN: 0
; COMPUTE_PGM_RSRC2:TGID_Z_EN: 0
; COMPUTE_PGM_RSRC2:TIDIG_COMP_CNT: 0
	.section	.text._ZN7rocprim17ROCPRIM_400000_NS6detail17trampoline_kernelINS0_14default_configENS1_29binary_search_config_selectorIjiEEZNS1_14transform_implILb0ES3_S5_N6thrust23THRUST_200600_302600_NS6detail15normal_iteratorINS8_7pointerIjNS8_11hip_rocprim5par_tENS8_11use_defaultESE_EEEENSA_INSB_IiSD_SE_SE_EEEEZNS1_13binary_searchIS3_S5_NSA_INS8_10device_ptrIjEEEESG_SI_NS1_16binary_search_opENS9_16wrapped_functionINS8_6system6detail7generic6detail18binary_search_lessEbEEEE10hipError_tPvRmT1_T2_T3_mmT4_T5_P12ihipStream_tbEUlRKjE_EESV_SZ_S10_mS11_S14_bEUlT_E_NS1_11comp_targetILNS1_3genE0ELNS1_11target_archE4294967295ELNS1_3gpuE0ELNS1_3repE0EEENS1_30default_config_static_selectorELNS0_4arch9wavefront6targetE1EEEvSY_,"axG",@progbits,_ZN7rocprim17ROCPRIM_400000_NS6detail17trampoline_kernelINS0_14default_configENS1_29binary_search_config_selectorIjiEEZNS1_14transform_implILb0ES3_S5_N6thrust23THRUST_200600_302600_NS6detail15normal_iteratorINS8_7pointerIjNS8_11hip_rocprim5par_tENS8_11use_defaultESE_EEEENSA_INSB_IiSD_SE_SE_EEEEZNS1_13binary_searchIS3_S5_NSA_INS8_10device_ptrIjEEEESG_SI_NS1_16binary_search_opENS9_16wrapped_functionINS8_6system6detail7generic6detail18binary_search_lessEbEEEE10hipError_tPvRmT1_T2_T3_mmT4_T5_P12ihipStream_tbEUlRKjE_EESV_SZ_S10_mS11_S14_bEUlT_E_NS1_11comp_targetILNS1_3genE0ELNS1_11target_archE4294967295ELNS1_3gpuE0ELNS1_3repE0EEENS1_30default_config_static_selectorELNS0_4arch9wavefront6targetE1EEEvSY_,comdat
	.protected	_ZN7rocprim17ROCPRIM_400000_NS6detail17trampoline_kernelINS0_14default_configENS1_29binary_search_config_selectorIjiEEZNS1_14transform_implILb0ES3_S5_N6thrust23THRUST_200600_302600_NS6detail15normal_iteratorINS8_7pointerIjNS8_11hip_rocprim5par_tENS8_11use_defaultESE_EEEENSA_INSB_IiSD_SE_SE_EEEEZNS1_13binary_searchIS3_S5_NSA_INS8_10device_ptrIjEEEESG_SI_NS1_16binary_search_opENS9_16wrapped_functionINS8_6system6detail7generic6detail18binary_search_lessEbEEEE10hipError_tPvRmT1_T2_T3_mmT4_T5_P12ihipStream_tbEUlRKjE_EESV_SZ_S10_mS11_S14_bEUlT_E_NS1_11comp_targetILNS1_3genE0ELNS1_11target_archE4294967295ELNS1_3gpuE0ELNS1_3repE0EEENS1_30default_config_static_selectorELNS0_4arch9wavefront6targetE1EEEvSY_ ; -- Begin function _ZN7rocprim17ROCPRIM_400000_NS6detail17trampoline_kernelINS0_14default_configENS1_29binary_search_config_selectorIjiEEZNS1_14transform_implILb0ES3_S5_N6thrust23THRUST_200600_302600_NS6detail15normal_iteratorINS8_7pointerIjNS8_11hip_rocprim5par_tENS8_11use_defaultESE_EEEENSA_INSB_IiSD_SE_SE_EEEEZNS1_13binary_searchIS3_S5_NSA_INS8_10device_ptrIjEEEESG_SI_NS1_16binary_search_opENS9_16wrapped_functionINS8_6system6detail7generic6detail18binary_search_lessEbEEEE10hipError_tPvRmT1_T2_T3_mmT4_T5_P12ihipStream_tbEUlRKjE_EESV_SZ_S10_mS11_S14_bEUlT_E_NS1_11comp_targetILNS1_3genE0ELNS1_11target_archE4294967295ELNS1_3gpuE0ELNS1_3repE0EEENS1_30default_config_static_selectorELNS0_4arch9wavefront6targetE1EEEvSY_
	.globl	_ZN7rocprim17ROCPRIM_400000_NS6detail17trampoline_kernelINS0_14default_configENS1_29binary_search_config_selectorIjiEEZNS1_14transform_implILb0ES3_S5_N6thrust23THRUST_200600_302600_NS6detail15normal_iteratorINS8_7pointerIjNS8_11hip_rocprim5par_tENS8_11use_defaultESE_EEEENSA_INSB_IiSD_SE_SE_EEEEZNS1_13binary_searchIS3_S5_NSA_INS8_10device_ptrIjEEEESG_SI_NS1_16binary_search_opENS9_16wrapped_functionINS8_6system6detail7generic6detail18binary_search_lessEbEEEE10hipError_tPvRmT1_T2_T3_mmT4_T5_P12ihipStream_tbEUlRKjE_EESV_SZ_S10_mS11_S14_bEUlT_E_NS1_11comp_targetILNS1_3genE0ELNS1_11target_archE4294967295ELNS1_3gpuE0ELNS1_3repE0EEENS1_30default_config_static_selectorELNS0_4arch9wavefront6targetE1EEEvSY_
	.p2align	8
	.type	_ZN7rocprim17ROCPRIM_400000_NS6detail17trampoline_kernelINS0_14default_configENS1_29binary_search_config_selectorIjiEEZNS1_14transform_implILb0ES3_S5_N6thrust23THRUST_200600_302600_NS6detail15normal_iteratorINS8_7pointerIjNS8_11hip_rocprim5par_tENS8_11use_defaultESE_EEEENSA_INSB_IiSD_SE_SE_EEEEZNS1_13binary_searchIS3_S5_NSA_INS8_10device_ptrIjEEEESG_SI_NS1_16binary_search_opENS9_16wrapped_functionINS8_6system6detail7generic6detail18binary_search_lessEbEEEE10hipError_tPvRmT1_T2_T3_mmT4_T5_P12ihipStream_tbEUlRKjE_EESV_SZ_S10_mS11_S14_bEUlT_E_NS1_11comp_targetILNS1_3genE0ELNS1_11target_archE4294967295ELNS1_3gpuE0ELNS1_3repE0EEENS1_30default_config_static_selectorELNS0_4arch9wavefront6targetE1EEEvSY_,@function
_ZN7rocprim17ROCPRIM_400000_NS6detail17trampoline_kernelINS0_14default_configENS1_29binary_search_config_selectorIjiEEZNS1_14transform_implILb0ES3_S5_N6thrust23THRUST_200600_302600_NS6detail15normal_iteratorINS8_7pointerIjNS8_11hip_rocprim5par_tENS8_11use_defaultESE_EEEENSA_INSB_IiSD_SE_SE_EEEEZNS1_13binary_searchIS3_S5_NSA_INS8_10device_ptrIjEEEESG_SI_NS1_16binary_search_opENS9_16wrapped_functionINS8_6system6detail7generic6detail18binary_search_lessEbEEEE10hipError_tPvRmT1_T2_T3_mmT4_T5_P12ihipStream_tbEUlRKjE_EESV_SZ_S10_mS11_S14_bEUlT_E_NS1_11comp_targetILNS1_3genE0ELNS1_11target_archE4294967295ELNS1_3gpuE0ELNS1_3repE0EEENS1_30default_config_static_selectorELNS0_4arch9wavefront6targetE1EEEvSY_: ; @_ZN7rocprim17ROCPRIM_400000_NS6detail17trampoline_kernelINS0_14default_configENS1_29binary_search_config_selectorIjiEEZNS1_14transform_implILb0ES3_S5_N6thrust23THRUST_200600_302600_NS6detail15normal_iteratorINS8_7pointerIjNS8_11hip_rocprim5par_tENS8_11use_defaultESE_EEEENSA_INSB_IiSD_SE_SE_EEEEZNS1_13binary_searchIS3_S5_NSA_INS8_10device_ptrIjEEEESG_SI_NS1_16binary_search_opENS9_16wrapped_functionINS8_6system6detail7generic6detail18binary_search_lessEbEEEE10hipError_tPvRmT1_T2_T3_mmT4_T5_P12ihipStream_tbEUlRKjE_EESV_SZ_S10_mS11_S14_bEUlT_E_NS1_11comp_targetILNS1_3genE0ELNS1_11target_archE4294967295ELNS1_3gpuE0ELNS1_3repE0EEENS1_30default_config_static_selectorELNS0_4arch9wavefront6targetE1EEEvSY_
; %bb.0:
	.section	.rodata,"a",@progbits
	.p2align	6, 0x0
	.amdhsa_kernel _ZN7rocprim17ROCPRIM_400000_NS6detail17trampoline_kernelINS0_14default_configENS1_29binary_search_config_selectorIjiEEZNS1_14transform_implILb0ES3_S5_N6thrust23THRUST_200600_302600_NS6detail15normal_iteratorINS8_7pointerIjNS8_11hip_rocprim5par_tENS8_11use_defaultESE_EEEENSA_INSB_IiSD_SE_SE_EEEEZNS1_13binary_searchIS3_S5_NSA_INS8_10device_ptrIjEEEESG_SI_NS1_16binary_search_opENS9_16wrapped_functionINS8_6system6detail7generic6detail18binary_search_lessEbEEEE10hipError_tPvRmT1_T2_T3_mmT4_T5_P12ihipStream_tbEUlRKjE_EESV_SZ_S10_mS11_S14_bEUlT_E_NS1_11comp_targetILNS1_3genE0ELNS1_11target_archE4294967295ELNS1_3gpuE0ELNS1_3repE0EEENS1_30default_config_static_selectorELNS0_4arch9wavefront6targetE1EEEvSY_
		.amdhsa_group_segment_fixed_size 0
		.amdhsa_private_segment_fixed_size 0
		.amdhsa_kernarg_size 56
		.amdhsa_user_sgpr_count 6
		.amdhsa_user_sgpr_private_segment_buffer 1
		.amdhsa_user_sgpr_dispatch_ptr 0
		.amdhsa_user_sgpr_queue_ptr 0
		.amdhsa_user_sgpr_kernarg_segment_ptr 1
		.amdhsa_user_sgpr_dispatch_id 0
		.amdhsa_user_sgpr_flat_scratch_init 0
		.amdhsa_user_sgpr_private_segment_size 0
		.amdhsa_uses_dynamic_stack 0
		.amdhsa_system_sgpr_private_segment_wavefront_offset 0
		.amdhsa_system_sgpr_workgroup_id_x 1
		.amdhsa_system_sgpr_workgroup_id_y 0
		.amdhsa_system_sgpr_workgroup_id_z 0
		.amdhsa_system_sgpr_workgroup_info 0
		.amdhsa_system_vgpr_workitem_id 0
		.amdhsa_next_free_vgpr 1
		.amdhsa_next_free_sgpr 0
		.amdhsa_reserve_vcc 0
		.amdhsa_reserve_flat_scratch 0
		.amdhsa_float_round_mode_32 0
		.amdhsa_float_round_mode_16_64 0
		.amdhsa_float_denorm_mode_32 3
		.amdhsa_float_denorm_mode_16_64 3
		.amdhsa_dx10_clamp 1
		.amdhsa_ieee_mode 1
		.amdhsa_fp16_overflow 0
		.amdhsa_exception_fp_ieee_invalid_op 0
		.amdhsa_exception_fp_denorm_src 0
		.amdhsa_exception_fp_ieee_div_zero 0
		.amdhsa_exception_fp_ieee_overflow 0
		.amdhsa_exception_fp_ieee_underflow 0
		.amdhsa_exception_fp_ieee_inexact 0
		.amdhsa_exception_int_div_zero 0
	.end_amdhsa_kernel
	.section	.text._ZN7rocprim17ROCPRIM_400000_NS6detail17trampoline_kernelINS0_14default_configENS1_29binary_search_config_selectorIjiEEZNS1_14transform_implILb0ES3_S5_N6thrust23THRUST_200600_302600_NS6detail15normal_iteratorINS8_7pointerIjNS8_11hip_rocprim5par_tENS8_11use_defaultESE_EEEENSA_INSB_IiSD_SE_SE_EEEEZNS1_13binary_searchIS3_S5_NSA_INS8_10device_ptrIjEEEESG_SI_NS1_16binary_search_opENS9_16wrapped_functionINS8_6system6detail7generic6detail18binary_search_lessEbEEEE10hipError_tPvRmT1_T2_T3_mmT4_T5_P12ihipStream_tbEUlRKjE_EESV_SZ_S10_mS11_S14_bEUlT_E_NS1_11comp_targetILNS1_3genE0ELNS1_11target_archE4294967295ELNS1_3gpuE0ELNS1_3repE0EEENS1_30default_config_static_selectorELNS0_4arch9wavefront6targetE1EEEvSY_,"axG",@progbits,_ZN7rocprim17ROCPRIM_400000_NS6detail17trampoline_kernelINS0_14default_configENS1_29binary_search_config_selectorIjiEEZNS1_14transform_implILb0ES3_S5_N6thrust23THRUST_200600_302600_NS6detail15normal_iteratorINS8_7pointerIjNS8_11hip_rocprim5par_tENS8_11use_defaultESE_EEEENSA_INSB_IiSD_SE_SE_EEEEZNS1_13binary_searchIS3_S5_NSA_INS8_10device_ptrIjEEEESG_SI_NS1_16binary_search_opENS9_16wrapped_functionINS8_6system6detail7generic6detail18binary_search_lessEbEEEE10hipError_tPvRmT1_T2_T3_mmT4_T5_P12ihipStream_tbEUlRKjE_EESV_SZ_S10_mS11_S14_bEUlT_E_NS1_11comp_targetILNS1_3genE0ELNS1_11target_archE4294967295ELNS1_3gpuE0ELNS1_3repE0EEENS1_30default_config_static_selectorELNS0_4arch9wavefront6targetE1EEEvSY_,comdat
.Lfunc_end671:
	.size	_ZN7rocprim17ROCPRIM_400000_NS6detail17trampoline_kernelINS0_14default_configENS1_29binary_search_config_selectorIjiEEZNS1_14transform_implILb0ES3_S5_N6thrust23THRUST_200600_302600_NS6detail15normal_iteratorINS8_7pointerIjNS8_11hip_rocprim5par_tENS8_11use_defaultESE_EEEENSA_INSB_IiSD_SE_SE_EEEEZNS1_13binary_searchIS3_S5_NSA_INS8_10device_ptrIjEEEESG_SI_NS1_16binary_search_opENS9_16wrapped_functionINS8_6system6detail7generic6detail18binary_search_lessEbEEEE10hipError_tPvRmT1_T2_T3_mmT4_T5_P12ihipStream_tbEUlRKjE_EESV_SZ_S10_mS11_S14_bEUlT_E_NS1_11comp_targetILNS1_3genE0ELNS1_11target_archE4294967295ELNS1_3gpuE0ELNS1_3repE0EEENS1_30default_config_static_selectorELNS0_4arch9wavefront6targetE1EEEvSY_, .Lfunc_end671-_ZN7rocprim17ROCPRIM_400000_NS6detail17trampoline_kernelINS0_14default_configENS1_29binary_search_config_selectorIjiEEZNS1_14transform_implILb0ES3_S5_N6thrust23THRUST_200600_302600_NS6detail15normal_iteratorINS8_7pointerIjNS8_11hip_rocprim5par_tENS8_11use_defaultESE_EEEENSA_INSB_IiSD_SE_SE_EEEEZNS1_13binary_searchIS3_S5_NSA_INS8_10device_ptrIjEEEESG_SI_NS1_16binary_search_opENS9_16wrapped_functionINS8_6system6detail7generic6detail18binary_search_lessEbEEEE10hipError_tPvRmT1_T2_T3_mmT4_T5_P12ihipStream_tbEUlRKjE_EESV_SZ_S10_mS11_S14_bEUlT_E_NS1_11comp_targetILNS1_3genE0ELNS1_11target_archE4294967295ELNS1_3gpuE0ELNS1_3repE0EEENS1_30default_config_static_selectorELNS0_4arch9wavefront6targetE1EEEvSY_
                                        ; -- End function
	.set _ZN7rocprim17ROCPRIM_400000_NS6detail17trampoline_kernelINS0_14default_configENS1_29binary_search_config_selectorIjiEEZNS1_14transform_implILb0ES3_S5_N6thrust23THRUST_200600_302600_NS6detail15normal_iteratorINS8_7pointerIjNS8_11hip_rocprim5par_tENS8_11use_defaultESE_EEEENSA_INSB_IiSD_SE_SE_EEEEZNS1_13binary_searchIS3_S5_NSA_INS8_10device_ptrIjEEEESG_SI_NS1_16binary_search_opENS9_16wrapped_functionINS8_6system6detail7generic6detail18binary_search_lessEbEEEE10hipError_tPvRmT1_T2_T3_mmT4_T5_P12ihipStream_tbEUlRKjE_EESV_SZ_S10_mS11_S14_bEUlT_E_NS1_11comp_targetILNS1_3genE0ELNS1_11target_archE4294967295ELNS1_3gpuE0ELNS1_3repE0EEENS1_30default_config_static_selectorELNS0_4arch9wavefront6targetE1EEEvSY_.num_vgpr, 0
	.set _ZN7rocprim17ROCPRIM_400000_NS6detail17trampoline_kernelINS0_14default_configENS1_29binary_search_config_selectorIjiEEZNS1_14transform_implILb0ES3_S5_N6thrust23THRUST_200600_302600_NS6detail15normal_iteratorINS8_7pointerIjNS8_11hip_rocprim5par_tENS8_11use_defaultESE_EEEENSA_INSB_IiSD_SE_SE_EEEEZNS1_13binary_searchIS3_S5_NSA_INS8_10device_ptrIjEEEESG_SI_NS1_16binary_search_opENS9_16wrapped_functionINS8_6system6detail7generic6detail18binary_search_lessEbEEEE10hipError_tPvRmT1_T2_T3_mmT4_T5_P12ihipStream_tbEUlRKjE_EESV_SZ_S10_mS11_S14_bEUlT_E_NS1_11comp_targetILNS1_3genE0ELNS1_11target_archE4294967295ELNS1_3gpuE0ELNS1_3repE0EEENS1_30default_config_static_selectorELNS0_4arch9wavefront6targetE1EEEvSY_.num_agpr, 0
	.set _ZN7rocprim17ROCPRIM_400000_NS6detail17trampoline_kernelINS0_14default_configENS1_29binary_search_config_selectorIjiEEZNS1_14transform_implILb0ES3_S5_N6thrust23THRUST_200600_302600_NS6detail15normal_iteratorINS8_7pointerIjNS8_11hip_rocprim5par_tENS8_11use_defaultESE_EEEENSA_INSB_IiSD_SE_SE_EEEEZNS1_13binary_searchIS3_S5_NSA_INS8_10device_ptrIjEEEESG_SI_NS1_16binary_search_opENS9_16wrapped_functionINS8_6system6detail7generic6detail18binary_search_lessEbEEEE10hipError_tPvRmT1_T2_T3_mmT4_T5_P12ihipStream_tbEUlRKjE_EESV_SZ_S10_mS11_S14_bEUlT_E_NS1_11comp_targetILNS1_3genE0ELNS1_11target_archE4294967295ELNS1_3gpuE0ELNS1_3repE0EEENS1_30default_config_static_selectorELNS0_4arch9wavefront6targetE1EEEvSY_.numbered_sgpr, 0
	.set _ZN7rocprim17ROCPRIM_400000_NS6detail17trampoline_kernelINS0_14default_configENS1_29binary_search_config_selectorIjiEEZNS1_14transform_implILb0ES3_S5_N6thrust23THRUST_200600_302600_NS6detail15normal_iteratorINS8_7pointerIjNS8_11hip_rocprim5par_tENS8_11use_defaultESE_EEEENSA_INSB_IiSD_SE_SE_EEEEZNS1_13binary_searchIS3_S5_NSA_INS8_10device_ptrIjEEEESG_SI_NS1_16binary_search_opENS9_16wrapped_functionINS8_6system6detail7generic6detail18binary_search_lessEbEEEE10hipError_tPvRmT1_T2_T3_mmT4_T5_P12ihipStream_tbEUlRKjE_EESV_SZ_S10_mS11_S14_bEUlT_E_NS1_11comp_targetILNS1_3genE0ELNS1_11target_archE4294967295ELNS1_3gpuE0ELNS1_3repE0EEENS1_30default_config_static_selectorELNS0_4arch9wavefront6targetE1EEEvSY_.num_named_barrier, 0
	.set _ZN7rocprim17ROCPRIM_400000_NS6detail17trampoline_kernelINS0_14default_configENS1_29binary_search_config_selectorIjiEEZNS1_14transform_implILb0ES3_S5_N6thrust23THRUST_200600_302600_NS6detail15normal_iteratorINS8_7pointerIjNS8_11hip_rocprim5par_tENS8_11use_defaultESE_EEEENSA_INSB_IiSD_SE_SE_EEEEZNS1_13binary_searchIS3_S5_NSA_INS8_10device_ptrIjEEEESG_SI_NS1_16binary_search_opENS9_16wrapped_functionINS8_6system6detail7generic6detail18binary_search_lessEbEEEE10hipError_tPvRmT1_T2_T3_mmT4_T5_P12ihipStream_tbEUlRKjE_EESV_SZ_S10_mS11_S14_bEUlT_E_NS1_11comp_targetILNS1_3genE0ELNS1_11target_archE4294967295ELNS1_3gpuE0ELNS1_3repE0EEENS1_30default_config_static_selectorELNS0_4arch9wavefront6targetE1EEEvSY_.private_seg_size, 0
	.set _ZN7rocprim17ROCPRIM_400000_NS6detail17trampoline_kernelINS0_14default_configENS1_29binary_search_config_selectorIjiEEZNS1_14transform_implILb0ES3_S5_N6thrust23THRUST_200600_302600_NS6detail15normal_iteratorINS8_7pointerIjNS8_11hip_rocprim5par_tENS8_11use_defaultESE_EEEENSA_INSB_IiSD_SE_SE_EEEEZNS1_13binary_searchIS3_S5_NSA_INS8_10device_ptrIjEEEESG_SI_NS1_16binary_search_opENS9_16wrapped_functionINS8_6system6detail7generic6detail18binary_search_lessEbEEEE10hipError_tPvRmT1_T2_T3_mmT4_T5_P12ihipStream_tbEUlRKjE_EESV_SZ_S10_mS11_S14_bEUlT_E_NS1_11comp_targetILNS1_3genE0ELNS1_11target_archE4294967295ELNS1_3gpuE0ELNS1_3repE0EEENS1_30default_config_static_selectorELNS0_4arch9wavefront6targetE1EEEvSY_.uses_vcc, 0
	.set _ZN7rocprim17ROCPRIM_400000_NS6detail17trampoline_kernelINS0_14default_configENS1_29binary_search_config_selectorIjiEEZNS1_14transform_implILb0ES3_S5_N6thrust23THRUST_200600_302600_NS6detail15normal_iteratorINS8_7pointerIjNS8_11hip_rocprim5par_tENS8_11use_defaultESE_EEEENSA_INSB_IiSD_SE_SE_EEEEZNS1_13binary_searchIS3_S5_NSA_INS8_10device_ptrIjEEEESG_SI_NS1_16binary_search_opENS9_16wrapped_functionINS8_6system6detail7generic6detail18binary_search_lessEbEEEE10hipError_tPvRmT1_T2_T3_mmT4_T5_P12ihipStream_tbEUlRKjE_EESV_SZ_S10_mS11_S14_bEUlT_E_NS1_11comp_targetILNS1_3genE0ELNS1_11target_archE4294967295ELNS1_3gpuE0ELNS1_3repE0EEENS1_30default_config_static_selectorELNS0_4arch9wavefront6targetE1EEEvSY_.uses_flat_scratch, 0
	.set _ZN7rocprim17ROCPRIM_400000_NS6detail17trampoline_kernelINS0_14default_configENS1_29binary_search_config_selectorIjiEEZNS1_14transform_implILb0ES3_S5_N6thrust23THRUST_200600_302600_NS6detail15normal_iteratorINS8_7pointerIjNS8_11hip_rocprim5par_tENS8_11use_defaultESE_EEEENSA_INSB_IiSD_SE_SE_EEEEZNS1_13binary_searchIS3_S5_NSA_INS8_10device_ptrIjEEEESG_SI_NS1_16binary_search_opENS9_16wrapped_functionINS8_6system6detail7generic6detail18binary_search_lessEbEEEE10hipError_tPvRmT1_T2_T3_mmT4_T5_P12ihipStream_tbEUlRKjE_EESV_SZ_S10_mS11_S14_bEUlT_E_NS1_11comp_targetILNS1_3genE0ELNS1_11target_archE4294967295ELNS1_3gpuE0ELNS1_3repE0EEENS1_30default_config_static_selectorELNS0_4arch9wavefront6targetE1EEEvSY_.has_dyn_sized_stack, 0
	.set _ZN7rocprim17ROCPRIM_400000_NS6detail17trampoline_kernelINS0_14default_configENS1_29binary_search_config_selectorIjiEEZNS1_14transform_implILb0ES3_S5_N6thrust23THRUST_200600_302600_NS6detail15normal_iteratorINS8_7pointerIjNS8_11hip_rocprim5par_tENS8_11use_defaultESE_EEEENSA_INSB_IiSD_SE_SE_EEEEZNS1_13binary_searchIS3_S5_NSA_INS8_10device_ptrIjEEEESG_SI_NS1_16binary_search_opENS9_16wrapped_functionINS8_6system6detail7generic6detail18binary_search_lessEbEEEE10hipError_tPvRmT1_T2_T3_mmT4_T5_P12ihipStream_tbEUlRKjE_EESV_SZ_S10_mS11_S14_bEUlT_E_NS1_11comp_targetILNS1_3genE0ELNS1_11target_archE4294967295ELNS1_3gpuE0ELNS1_3repE0EEENS1_30default_config_static_selectorELNS0_4arch9wavefront6targetE1EEEvSY_.has_recursion, 0
	.set _ZN7rocprim17ROCPRIM_400000_NS6detail17trampoline_kernelINS0_14default_configENS1_29binary_search_config_selectorIjiEEZNS1_14transform_implILb0ES3_S5_N6thrust23THRUST_200600_302600_NS6detail15normal_iteratorINS8_7pointerIjNS8_11hip_rocprim5par_tENS8_11use_defaultESE_EEEENSA_INSB_IiSD_SE_SE_EEEEZNS1_13binary_searchIS3_S5_NSA_INS8_10device_ptrIjEEEESG_SI_NS1_16binary_search_opENS9_16wrapped_functionINS8_6system6detail7generic6detail18binary_search_lessEbEEEE10hipError_tPvRmT1_T2_T3_mmT4_T5_P12ihipStream_tbEUlRKjE_EESV_SZ_S10_mS11_S14_bEUlT_E_NS1_11comp_targetILNS1_3genE0ELNS1_11target_archE4294967295ELNS1_3gpuE0ELNS1_3repE0EEENS1_30default_config_static_selectorELNS0_4arch9wavefront6targetE1EEEvSY_.has_indirect_call, 0
	.section	.AMDGPU.csdata,"",@progbits
; Kernel info:
; codeLenInByte = 0
; TotalNumSgprs: 4
; NumVgprs: 0
; ScratchSize: 0
; MemoryBound: 0
; FloatMode: 240
; IeeeMode: 1
; LDSByteSize: 0 bytes/workgroup (compile time only)
; SGPRBlocks: 0
; VGPRBlocks: 0
; NumSGPRsForWavesPerEU: 4
; NumVGPRsForWavesPerEU: 1
; Occupancy: 10
; WaveLimiterHint : 0
; COMPUTE_PGM_RSRC2:SCRATCH_EN: 0
; COMPUTE_PGM_RSRC2:USER_SGPR: 6
; COMPUTE_PGM_RSRC2:TRAP_HANDLER: 0
; COMPUTE_PGM_RSRC2:TGID_X_EN: 1
; COMPUTE_PGM_RSRC2:TGID_Y_EN: 0
; COMPUTE_PGM_RSRC2:TGID_Z_EN: 0
; COMPUTE_PGM_RSRC2:TIDIG_COMP_CNT: 0
	.section	.text._ZN7rocprim17ROCPRIM_400000_NS6detail17trampoline_kernelINS0_14default_configENS1_29binary_search_config_selectorIjiEEZNS1_14transform_implILb0ES3_S5_N6thrust23THRUST_200600_302600_NS6detail15normal_iteratorINS8_7pointerIjNS8_11hip_rocprim5par_tENS8_11use_defaultESE_EEEENSA_INSB_IiSD_SE_SE_EEEEZNS1_13binary_searchIS3_S5_NSA_INS8_10device_ptrIjEEEESG_SI_NS1_16binary_search_opENS9_16wrapped_functionINS8_6system6detail7generic6detail18binary_search_lessEbEEEE10hipError_tPvRmT1_T2_T3_mmT4_T5_P12ihipStream_tbEUlRKjE_EESV_SZ_S10_mS11_S14_bEUlT_E_NS1_11comp_targetILNS1_3genE5ELNS1_11target_archE942ELNS1_3gpuE9ELNS1_3repE0EEENS1_30default_config_static_selectorELNS0_4arch9wavefront6targetE1EEEvSY_,"axG",@progbits,_ZN7rocprim17ROCPRIM_400000_NS6detail17trampoline_kernelINS0_14default_configENS1_29binary_search_config_selectorIjiEEZNS1_14transform_implILb0ES3_S5_N6thrust23THRUST_200600_302600_NS6detail15normal_iteratorINS8_7pointerIjNS8_11hip_rocprim5par_tENS8_11use_defaultESE_EEEENSA_INSB_IiSD_SE_SE_EEEEZNS1_13binary_searchIS3_S5_NSA_INS8_10device_ptrIjEEEESG_SI_NS1_16binary_search_opENS9_16wrapped_functionINS8_6system6detail7generic6detail18binary_search_lessEbEEEE10hipError_tPvRmT1_T2_T3_mmT4_T5_P12ihipStream_tbEUlRKjE_EESV_SZ_S10_mS11_S14_bEUlT_E_NS1_11comp_targetILNS1_3genE5ELNS1_11target_archE942ELNS1_3gpuE9ELNS1_3repE0EEENS1_30default_config_static_selectorELNS0_4arch9wavefront6targetE1EEEvSY_,comdat
	.protected	_ZN7rocprim17ROCPRIM_400000_NS6detail17trampoline_kernelINS0_14default_configENS1_29binary_search_config_selectorIjiEEZNS1_14transform_implILb0ES3_S5_N6thrust23THRUST_200600_302600_NS6detail15normal_iteratorINS8_7pointerIjNS8_11hip_rocprim5par_tENS8_11use_defaultESE_EEEENSA_INSB_IiSD_SE_SE_EEEEZNS1_13binary_searchIS3_S5_NSA_INS8_10device_ptrIjEEEESG_SI_NS1_16binary_search_opENS9_16wrapped_functionINS8_6system6detail7generic6detail18binary_search_lessEbEEEE10hipError_tPvRmT1_T2_T3_mmT4_T5_P12ihipStream_tbEUlRKjE_EESV_SZ_S10_mS11_S14_bEUlT_E_NS1_11comp_targetILNS1_3genE5ELNS1_11target_archE942ELNS1_3gpuE9ELNS1_3repE0EEENS1_30default_config_static_selectorELNS0_4arch9wavefront6targetE1EEEvSY_ ; -- Begin function _ZN7rocprim17ROCPRIM_400000_NS6detail17trampoline_kernelINS0_14default_configENS1_29binary_search_config_selectorIjiEEZNS1_14transform_implILb0ES3_S5_N6thrust23THRUST_200600_302600_NS6detail15normal_iteratorINS8_7pointerIjNS8_11hip_rocprim5par_tENS8_11use_defaultESE_EEEENSA_INSB_IiSD_SE_SE_EEEEZNS1_13binary_searchIS3_S5_NSA_INS8_10device_ptrIjEEEESG_SI_NS1_16binary_search_opENS9_16wrapped_functionINS8_6system6detail7generic6detail18binary_search_lessEbEEEE10hipError_tPvRmT1_T2_T3_mmT4_T5_P12ihipStream_tbEUlRKjE_EESV_SZ_S10_mS11_S14_bEUlT_E_NS1_11comp_targetILNS1_3genE5ELNS1_11target_archE942ELNS1_3gpuE9ELNS1_3repE0EEENS1_30default_config_static_selectorELNS0_4arch9wavefront6targetE1EEEvSY_
	.globl	_ZN7rocprim17ROCPRIM_400000_NS6detail17trampoline_kernelINS0_14default_configENS1_29binary_search_config_selectorIjiEEZNS1_14transform_implILb0ES3_S5_N6thrust23THRUST_200600_302600_NS6detail15normal_iteratorINS8_7pointerIjNS8_11hip_rocprim5par_tENS8_11use_defaultESE_EEEENSA_INSB_IiSD_SE_SE_EEEEZNS1_13binary_searchIS3_S5_NSA_INS8_10device_ptrIjEEEESG_SI_NS1_16binary_search_opENS9_16wrapped_functionINS8_6system6detail7generic6detail18binary_search_lessEbEEEE10hipError_tPvRmT1_T2_T3_mmT4_T5_P12ihipStream_tbEUlRKjE_EESV_SZ_S10_mS11_S14_bEUlT_E_NS1_11comp_targetILNS1_3genE5ELNS1_11target_archE942ELNS1_3gpuE9ELNS1_3repE0EEENS1_30default_config_static_selectorELNS0_4arch9wavefront6targetE1EEEvSY_
	.p2align	8
	.type	_ZN7rocprim17ROCPRIM_400000_NS6detail17trampoline_kernelINS0_14default_configENS1_29binary_search_config_selectorIjiEEZNS1_14transform_implILb0ES3_S5_N6thrust23THRUST_200600_302600_NS6detail15normal_iteratorINS8_7pointerIjNS8_11hip_rocprim5par_tENS8_11use_defaultESE_EEEENSA_INSB_IiSD_SE_SE_EEEEZNS1_13binary_searchIS3_S5_NSA_INS8_10device_ptrIjEEEESG_SI_NS1_16binary_search_opENS9_16wrapped_functionINS8_6system6detail7generic6detail18binary_search_lessEbEEEE10hipError_tPvRmT1_T2_T3_mmT4_T5_P12ihipStream_tbEUlRKjE_EESV_SZ_S10_mS11_S14_bEUlT_E_NS1_11comp_targetILNS1_3genE5ELNS1_11target_archE942ELNS1_3gpuE9ELNS1_3repE0EEENS1_30default_config_static_selectorELNS0_4arch9wavefront6targetE1EEEvSY_,@function
_ZN7rocprim17ROCPRIM_400000_NS6detail17trampoline_kernelINS0_14default_configENS1_29binary_search_config_selectorIjiEEZNS1_14transform_implILb0ES3_S5_N6thrust23THRUST_200600_302600_NS6detail15normal_iteratorINS8_7pointerIjNS8_11hip_rocprim5par_tENS8_11use_defaultESE_EEEENSA_INSB_IiSD_SE_SE_EEEEZNS1_13binary_searchIS3_S5_NSA_INS8_10device_ptrIjEEEESG_SI_NS1_16binary_search_opENS9_16wrapped_functionINS8_6system6detail7generic6detail18binary_search_lessEbEEEE10hipError_tPvRmT1_T2_T3_mmT4_T5_P12ihipStream_tbEUlRKjE_EESV_SZ_S10_mS11_S14_bEUlT_E_NS1_11comp_targetILNS1_3genE5ELNS1_11target_archE942ELNS1_3gpuE9ELNS1_3repE0EEENS1_30default_config_static_selectorELNS0_4arch9wavefront6targetE1EEEvSY_: ; @_ZN7rocprim17ROCPRIM_400000_NS6detail17trampoline_kernelINS0_14default_configENS1_29binary_search_config_selectorIjiEEZNS1_14transform_implILb0ES3_S5_N6thrust23THRUST_200600_302600_NS6detail15normal_iteratorINS8_7pointerIjNS8_11hip_rocprim5par_tENS8_11use_defaultESE_EEEENSA_INSB_IiSD_SE_SE_EEEEZNS1_13binary_searchIS3_S5_NSA_INS8_10device_ptrIjEEEESG_SI_NS1_16binary_search_opENS9_16wrapped_functionINS8_6system6detail7generic6detail18binary_search_lessEbEEEE10hipError_tPvRmT1_T2_T3_mmT4_T5_P12ihipStream_tbEUlRKjE_EESV_SZ_S10_mS11_S14_bEUlT_E_NS1_11comp_targetILNS1_3genE5ELNS1_11target_archE942ELNS1_3gpuE9ELNS1_3repE0EEENS1_30default_config_static_selectorELNS0_4arch9wavefront6targetE1EEEvSY_
; %bb.0:
	.section	.rodata,"a",@progbits
	.p2align	6, 0x0
	.amdhsa_kernel _ZN7rocprim17ROCPRIM_400000_NS6detail17trampoline_kernelINS0_14default_configENS1_29binary_search_config_selectorIjiEEZNS1_14transform_implILb0ES3_S5_N6thrust23THRUST_200600_302600_NS6detail15normal_iteratorINS8_7pointerIjNS8_11hip_rocprim5par_tENS8_11use_defaultESE_EEEENSA_INSB_IiSD_SE_SE_EEEEZNS1_13binary_searchIS3_S5_NSA_INS8_10device_ptrIjEEEESG_SI_NS1_16binary_search_opENS9_16wrapped_functionINS8_6system6detail7generic6detail18binary_search_lessEbEEEE10hipError_tPvRmT1_T2_T3_mmT4_T5_P12ihipStream_tbEUlRKjE_EESV_SZ_S10_mS11_S14_bEUlT_E_NS1_11comp_targetILNS1_3genE5ELNS1_11target_archE942ELNS1_3gpuE9ELNS1_3repE0EEENS1_30default_config_static_selectorELNS0_4arch9wavefront6targetE1EEEvSY_
		.amdhsa_group_segment_fixed_size 0
		.amdhsa_private_segment_fixed_size 0
		.amdhsa_kernarg_size 56
		.amdhsa_user_sgpr_count 6
		.amdhsa_user_sgpr_private_segment_buffer 1
		.amdhsa_user_sgpr_dispatch_ptr 0
		.amdhsa_user_sgpr_queue_ptr 0
		.amdhsa_user_sgpr_kernarg_segment_ptr 1
		.amdhsa_user_sgpr_dispatch_id 0
		.amdhsa_user_sgpr_flat_scratch_init 0
		.amdhsa_user_sgpr_private_segment_size 0
		.amdhsa_uses_dynamic_stack 0
		.amdhsa_system_sgpr_private_segment_wavefront_offset 0
		.amdhsa_system_sgpr_workgroup_id_x 1
		.amdhsa_system_sgpr_workgroup_id_y 0
		.amdhsa_system_sgpr_workgroup_id_z 0
		.amdhsa_system_sgpr_workgroup_info 0
		.amdhsa_system_vgpr_workitem_id 0
		.amdhsa_next_free_vgpr 1
		.amdhsa_next_free_sgpr 0
		.amdhsa_reserve_vcc 0
		.amdhsa_reserve_flat_scratch 0
		.amdhsa_float_round_mode_32 0
		.amdhsa_float_round_mode_16_64 0
		.amdhsa_float_denorm_mode_32 3
		.amdhsa_float_denorm_mode_16_64 3
		.amdhsa_dx10_clamp 1
		.amdhsa_ieee_mode 1
		.amdhsa_fp16_overflow 0
		.amdhsa_exception_fp_ieee_invalid_op 0
		.amdhsa_exception_fp_denorm_src 0
		.amdhsa_exception_fp_ieee_div_zero 0
		.amdhsa_exception_fp_ieee_overflow 0
		.amdhsa_exception_fp_ieee_underflow 0
		.amdhsa_exception_fp_ieee_inexact 0
		.amdhsa_exception_int_div_zero 0
	.end_amdhsa_kernel
	.section	.text._ZN7rocprim17ROCPRIM_400000_NS6detail17trampoline_kernelINS0_14default_configENS1_29binary_search_config_selectorIjiEEZNS1_14transform_implILb0ES3_S5_N6thrust23THRUST_200600_302600_NS6detail15normal_iteratorINS8_7pointerIjNS8_11hip_rocprim5par_tENS8_11use_defaultESE_EEEENSA_INSB_IiSD_SE_SE_EEEEZNS1_13binary_searchIS3_S5_NSA_INS8_10device_ptrIjEEEESG_SI_NS1_16binary_search_opENS9_16wrapped_functionINS8_6system6detail7generic6detail18binary_search_lessEbEEEE10hipError_tPvRmT1_T2_T3_mmT4_T5_P12ihipStream_tbEUlRKjE_EESV_SZ_S10_mS11_S14_bEUlT_E_NS1_11comp_targetILNS1_3genE5ELNS1_11target_archE942ELNS1_3gpuE9ELNS1_3repE0EEENS1_30default_config_static_selectorELNS0_4arch9wavefront6targetE1EEEvSY_,"axG",@progbits,_ZN7rocprim17ROCPRIM_400000_NS6detail17trampoline_kernelINS0_14default_configENS1_29binary_search_config_selectorIjiEEZNS1_14transform_implILb0ES3_S5_N6thrust23THRUST_200600_302600_NS6detail15normal_iteratorINS8_7pointerIjNS8_11hip_rocprim5par_tENS8_11use_defaultESE_EEEENSA_INSB_IiSD_SE_SE_EEEEZNS1_13binary_searchIS3_S5_NSA_INS8_10device_ptrIjEEEESG_SI_NS1_16binary_search_opENS9_16wrapped_functionINS8_6system6detail7generic6detail18binary_search_lessEbEEEE10hipError_tPvRmT1_T2_T3_mmT4_T5_P12ihipStream_tbEUlRKjE_EESV_SZ_S10_mS11_S14_bEUlT_E_NS1_11comp_targetILNS1_3genE5ELNS1_11target_archE942ELNS1_3gpuE9ELNS1_3repE0EEENS1_30default_config_static_selectorELNS0_4arch9wavefront6targetE1EEEvSY_,comdat
.Lfunc_end672:
	.size	_ZN7rocprim17ROCPRIM_400000_NS6detail17trampoline_kernelINS0_14default_configENS1_29binary_search_config_selectorIjiEEZNS1_14transform_implILb0ES3_S5_N6thrust23THRUST_200600_302600_NS6detail15normal_iteratorINS8_7pointerIjNS8_11hip_rocprim5par_tENS8_11use_defaultESE_EEEENSA_INSB_IiSD_SE_SE_EEEEZNS1_13binary_searchIS3_S5_NSA_INS8_10device_ptrIjEEEESG_SI_NS1_16binary_search_opENS9_16wrapped_functionINS8_6system6detail7generic6detail18binary_search_lessEbEEEE10hipError_tPvRmT1_T2_T3_mmT4_T5_P12ihipStream_tbEUlRKjE_EESV_SZ_S10_mS11_S14_bEUlT_E_NS1_11comp_targetILNS1_3genE5ELNS1_11target_archE942ELNS1_3gpuE9ELNS1_3repE0EEENS1_30default_config_static_selectorELNS0_4arch9wavefront6targetE1EEEvSY_, .Lfunc_end672-_ZN7rocprim17ROCPRIM_400000_NS6detail17trampoline_kernelINS0_14default_configENS1_29binary_search_config_selectorIjiEEZNS1_14transform_implILb0ES3_S5_N6thrust23THRUST_200600_302600_NS6detail15normal_iteratorINS8_7pointerIjNS8_11hip_rocprim5par_tENS8_11use_defaultESE_EEEENSA_INSB_IiSD_SE_SE_EEEEZNS1_13binary_searchIS3_S5_NSA_INS8_10device_ptrIjEEEESG_SI_NS1_16binary_search_opENS9_16wrapped_functionINS8_6system6detail7generic6detail18binary_search_lessEbEEEE10hipError_tPvRmT1_T2_T3_mmT4_T5_P12ihipStream_tbEUlRKjE_EESV_SZ_S10_mS11_S14_bEUlT_E_NS1_11comp_targetILNS1_3genE5ELNS1_11target_archE942ELNS1_3gpuE9ELNS1_3repE0EEENS1_30default_config_static_selectorELNS0_4arch9wavefront6targetE1EEEvSY_
                                        ; -- End function
	.set _ZN7rocprim17ROCPRIM_400000_NS6detail17trampoline_kernelINS0_14default_configENS1_29binary_search_config_selectorIjiEEZNS1_14transform_implILb0ES3_S5_N6thrust23THRUST_200600_302600_NS6detail15normal_iteratorINS8_7pointerIjNS8_11hip_rocprim5par_tENS8_11use_defaultESE_EEEENSA_INSB_IiSD_SE_SE_EEEEZNS1_13binary_searchIS3_S5_NSA_INS8_10device_ptrIjEEEESG_SI_NS1_16binary_search_opENS9_16wrapped_functionINS8_6system6detail7generic6detail18binary_search_lessEbEEEE10hipError_tPvRmT1_T2_T3_mmT4_T5_P12ihipStream_tbEUlRKjE_EESV_SZ_S10_mS11_S14_bEUlT_E_NS1_11comp_targetILNS1_3genE5ELNS1_11target_archE942ELNS1_3gpuE9ELNS1_3repE0EEENS1_30default_config_static_selectorELNS0_4arch9wavefront6targetE1EEEvSY_.num_vgpr, 0
	.set _ZN7rocprim17ROCPRIM_400000_NS6detail17trampoline_kernelINS0_14default_configENS1_29binary_search_config_selectorIjiEEZNS1_14transform_implILb0ES3_S5_N6thrust23THRUST_200600_302600_NS6detail15normal_iteratorINS8_7pointerIjNS8_11hip_rocprim5par_tENS8_11use_defaultESE_EEEENSA_INSB_IiSD_SE_SE_EEEEZNS1_13binary_searchIS3_S5_NSA_INS8_10device_ptrIjEEEESG_SI_NS1_16binary_search_opENS9_16wrapped_functionINS8_6system6detail7generic6detail18binary_search_lessEbEEEE10hipError_tPvRmT1_T2_T3_mmT4_T5_P12ihipStream_tbEUlRKjE_EESV_SZ_S10_mS11_S14_bEUlT_E_NS1_11comp_targetILNS1_3genE5ELNS1_11target_archE942ELNS1_3gpuE9ELNS1_3repE0EEENS1_30default_config_static_selectorELNS0_4arch9wavefront6targetE1EEEvSY_.num_agpr, 0
	.set _ZN7rocprim17ROCPRIM_400000_NS6detail17trampoline_kernelINS0_14default_configENS1_29binary_search_config_selectorIjiEEZNS1_14transform_implILb0ES3_S5_N6thrust23THRUST_200600_302600_NS6detail15normal_iteratorINS8_7pointerIjNS8_11hip_rocprim5par_tENS8_11use_defaultESE_EEEENSA_INSB_IiSD_SE_SE_EEEEZNS1_13binary_searchIS3_S5_NSA_INS8_10device_ptrIjEEEESG_SI_NS1_16binary_search_opENS9_16wrapped_functionINS8_6system6detail7generic6detail18binary_search_lessEbEEEE10hipError_tPvRmT1_T2_T3_mmT4_T5_P12ihipStream_tbEUlRKjE_EESV_SZ_S10_mS11_S14_bEUlT_E_NS1_11comp_targetILNS1_3genE5ELNS1_11target_archE942ELNS1_3gpuE9ELNS1_3repE0EEENS1_30default_config_static_selectorELNS0_4arch9wavefront6targetE1EEEvSY_.numbered_sgpr, 0
	.set _ZN7rocprim17ROCPRIM_400000_NS6detail17trampoline_kernelINS0_14default_configENS1_29binary_search_config_selectorIjiEEZNS1_14transform_implILb0ES3_S5_N6thrust23THRUST_200600_302600_NS6detail15normal_iteratorINS8_7pointerIjNS8_11hip_rocprim5par_tENS8_11use_defaultESE_EEEENSA_INSB_IiSD_SE_SE_EEEEZNS1_13binary_searchIS3_S5_NSA_INS8_10device_ptrIjEEEESG_SI_NS1_16binary_search_opENS9_16wrapped_functionINS8_6system6detail7generic6detail18binary_search_lessEbEEEE10hipError_tPvRmT1_T2_T3_mmT4_T5_P12ihipStream_tbEUlRKjE_EESV_SZ_S10_mS11_S14_bEUlT_E_NS1_11comp_targetILNS1_3genE5ELNS1_11target_archE942ELNS1_3gpuE9ELNS1_3repE0EEENS1_30default_config_static_selectorELNS0_4arch9wavefront6targetE1EEEvSY_.num_named_barrier, 0
	.set _ZN7rocprim17ROCPRIM_400000_NS6detail17trampoline_kernelINS0_14default_configENS1_29binary_search_config_selectorIjiEEZNS1_14transform_implILb0ES3_S5_N6thrust23THRUST_200600_302600_NS6detail15normal_iteratorINS8_7pointerIjNS8_11hip_rocprim5par_tENS8_11use_defaultESE_EEEENSA_INSB_IiSD_SE_SE_EEEEZNS1_13binary_searchIS3_S5_NSA_INS8_10device_ptrIjEEEESG_SI_NS1_16binary_search_opENS9_16wrapped_functionINS8_6system6detail7generic6detail18binary_search_lessEbEEEE10hipError_tPvRmT1_T2_T3_mmT4_T5_P12ihipStream_tbEUlRKjE_EESV_SZ_S10_mS11_S14_bEUlT_E_NS1_11comp_targetILNS1_3genE5ELNS1_11target_archE942ELNS1_3gpuE9ELNS1_3repE0EEENS1_30default_config_static_selectorELNS0_4arch9wavefront6targetE1EEEvSY_.private_seg_size, 0
	.set _ZN7rocprim17ROCPRIM_400000_NS6detail17trampoline_kernelINS0_14default_configENS1_29binary_search_config_selectorIjiEEZNS1_14transform_implILb0ES3_S5_N6thrust23THRUST_200600_302600_NS6detail15normal_iteratorINS8_7pointerIjNS8_11hip_rocprim5par_tENS8_11use_defaultESE_EEEENSA_INSB_IiSD_SE_SE_EEEEZNS1_13binary_searchIS3_S5_NSA_INS8_10device_ptrIjEEEESG_SI_NS1_16binary_search_opENS9_16wrapped_functionINS8_6system6detail7generic6detail18binary_search_lessEbEEEE10hipError_tPvRmT1_T2_T3_mmT4_T5_P12ihipStream_tbEUlRKjE_EESV_SZ_S10_mS11_S14_bEUlT_E_NS1_11comp_targetILNS1_3genE5ELNS1_11target_archE942ELNS1_3gpuE9ELNS1_3repE0EEENS1_30default_config_static_selectorELNS0_4arch9wavefront6targetE1EEEvSY_.uses_vcc, 0
	.set _ZN7rocprim17ROCPRIM_400000_NS6detail17trampoline_kernelINS0_14default_configENS1_29binary_search_config_selectorIjiEEZNS1_14transform_implILb0ES3_S5_N6thrust23THRUST_200600_302600_NS6detail15normal_iteratorINS8_7pointerIjNS8_11hip_rocprim5par_tENS8_11use_defaultESE_EEEENSA_INSB_IiSD_SE_SE_EEEEZNS1_13binary_searchIS3_S5_NSA_INS8_10device_ptrIjEEEESG_SI_NS1_16binary_search_opENS9_16wrapped_functionINS8_6system6detail7generic6detail18binary_search_lessEbEEEE10hipError_tPvRmT1_T2_T3_mmT4_T5_P12ihipStream_tbEUlRKjE_EESV_SZ_S10_mS11_S14_bEUlT_E_NS1_11comp_targetILNS1_3genE5ELNS1_11target_archE942ELNS1_3gpuE9ELNS1_3repE0EEENS1_30default_config_static_selectorELNS0_4arch9wavefront6targetE1EEEvSY_.uses_flat_scratch, 0
	.set _ZN7rocprim17ROCPRIM_400000_NS6detail17trampoline_kernelINS0_14default_configENS1_29binary_search_config_selectorIjiEEZNS1_14transform_implILb0ES3_S5_N6thrust23THRUST_200600_302600_NS6detail15normal_iteratorINS8_7pointerIjNS8_11hip_rocprim5par_tENS8_11use_defaultESE_EEEENSA_INSB_IiSD_SE_SE_EEEEZNS1_13binary_searchIS3_S5_NSA_INS8_10device_ptrIjEEEESG_SI_NS1_16binary_search_opENS9_16wrapped_functionINS8_6system6detail7generic6detail18binary_search_lessEbEEEE10hipError_tPvRmT1_T2_T3_mmT4_T5_P12ihipStream_tbEUlRKjE_EESV_SZ_S10_mS11_S14_bEUlT_E_NS1_11comp_targetILNS1_3genE5ELNS1_11target_archE942ELNS1_3gpuE9ELNS1_3repE0EEENS1_30default_config_static_selectorELNS0_4arch9wavefront6targetE1EEEvSY_.has_dyn_sized_stack, 0
	.set _ZN7rocprim17ROCPRIM_400000_NS6detail17trampoline_kernelINS0_14default_configENS1_29binary_search_config_selectorIjiEEZNS1_14transform_implILb0ES3_S5_N6thrust23THRUST_200600_302600_NS6detail15normal_iteratorINS8_7pointerIjNS8_11hip_rocprim5par_tENS8_11use_defaultESE_EEEENSA_INSB_IiSD_SE_SE_EEEEZNS1_13binary_searchIS3_S5_NSA_INS8_10device_ptrIjEEEESG_SI_NS1_16binary_search_opENS9_16wrapped_functionINS8_6system6detail7generic6detail18binary_search_lessEbEEEE10hipError_tPvRmT1_T2_T3_mmT4_T5_P12ihipStream_tbEUlRKjE_EESV_SZ_S10_mS11_S14_bEUlT_E_NS1_11comp_targetILNS1_3genE5ELNS1_11target_archE942ELNS1_3gpuE9ELNS1_3repE0EEENS1_30default_config_static_selectorELNS0_4arch9wavefront6targetE1EEEvSY_.has_recursion, 0
	.set _ZN7rocprim17ROCPRIM_400000_NS6detail17trampoline_kernelINS0_14default_configENS1_29binary_search_config_selectorIjiEEZNS1_14transform_implILb0ES3_S5_N6thrust23THRUST_200600_302600_NS6detail15normal_iteratorINS8_7pointerIjNS8_11hip_rocprim5par_tENS8_11use_defaultESE_EEEENSA_INSB_IiSD_SE_SE_EEEEZNS1_13binary_searchIS3_S5_NSA_INS8_10device_ptrIjEEEESG_SI_NS1_16binary_search_opENS9_16wrapped_functionINS8_6system6detail7generic6detail18binary_search_lessEbEEEE10hipError_tPvRmT1_T2_T3_mmT4_T5_P12ihipStream_tbEUlRKjE_EESV_SZ_S10_mS11_S14_bEUlT_E_NS1_11comp_targetILNS1_3genE5ELNS1_11target_archE942ELNS1_3gpuE9ELNS1_3repE0EEENS1_30default_config_static_selectorELNS0_4arch9wavefront6targetE1EEEvSY_.has_indirect_call, 0
	.section	.AMDGPU.csdata,"",@progbits
; Kernel info:
; codeLenInByte = 0
; TotalNumSgprs: 4
; NumVgprs: 0
; ScratchSize: 0
; MemoryBound: 0
; FloatMode: 240
; IeeeMode: 1
; LDSByteSize: 0 bytes/workgroup (compile time only)
; SGPRBlocks: 0
; VGPRBlocks: 0
; NumSGPRsForWavesPerEU: 4
; NumVGPRsForWavesPerEU: 1
; Occupancy: 10
; WaveLimiterHint : 0
; COMPUTE_PGM_RSRC2:SCRATCH_EN: 0
; COMPUTE_PGM_RSRC2:USER_SGPR: 6
; COMPUTE_PGM_RSRC2:TRAP_HANDLER: 0
; COMPUTE_PGM_RSRC2:TGID_X_EN: 1
; COMPUTE_PGM_RSRC2:TGID_Y_EN: 0
; COMPUTE_PGM_RSRC2:TGID_Z_EN: 0
; COMPUTE_PGM_RSRC2:TIDIG_COMP_CNT: 0
	.section	.text._ZN7rocprim17ROCPRIM_400000_NS6detail17trampoline_kernelINS0_14default_configENS1_29binary_search_config_selectorIjiEEZNS1_14transform_implILb0ES3_S5_N6thrust23THRUST_200600_302600_NS6detail15normal_iteratorINS8_7pointerIjNS8_11hip_rocprim5par_tENS8_11use_defaultESE_EEEENSA_INSB_IiSD_SE_SE_EEEEZNS1_13binary_searchIS3_S5_NSA_INS8_10device_ptrIjEEEESG_SI_NS1_16binary_search_opENS9_16wrapped_functionINS8_6system6detail7generic6detail18binary_search_lessEbEEEE10hipError_tPvRmT1_T2_T3_mmT4_T5_P12ihipStream_tbEUlRKjE_EESV_SZ_S10_mS11_S14_bEUlT_E_NS1_11comp_targetILNS1_3genE4ELNS1_11target_archE910ELNS1_3gpuE8ELNS1_3repE0EEENS1_30default_config_static_selectorELNS0_4arch9wavefront6targetE1EEEvSY_,"axG",@progbits,_ZN7rocprim17ROCPRIM_400000_NS6detail17trampoline_kernelINS0_14default_configENS1_29binary_search_config_selectorIjiEEZNS1_14transform_implILb0ES3_S5_N6thrust23THRUST_200600_302600_NS6detail15normal_iteratorINS8_7pointerIjNS8_11hip_rocprim5par_tENS8_11use_defaultESE_EEEENSA_INSB_IiSD_SE_SE_EEEEZNS1_13binary_searchIS3_S5_NSA_INS8_10device_ptrIjEEEESG_SI_NS1_16binary_search_opENS9_16wrapped_functionINS8_6system6detail7generic6detail18binary_search_lessEbEEEE10hipError_tPvRmT1_T2_T3_mmT4_T5_P12ihipStream_tbEUlRKjE_EESV_SZ_S10_mS11_S14_bEUlT_E_NS1_11comp_targetILNS1_3genE4ELNS1_11target_archE910ELNS1_3gpuE8ELNS1_3repE0EEENS1_30default_config_static_selectorELNS0_4arch9wavefront6targetE1EEEvSY_,comdat
	.protected	_ZN7rocprim17ROCPRIM_400000_NS6detail17trampoline_kernelINS0_14default_configENS1_29binary_search_config_selectorIjiEEZNS1_14transform_implILb0ES3_S5_N6thrust23THRUST_200600_302600_NS6detail15normal_iteratorINS8_7pointerIjNS8_11hip_rocprim5par_tENS8_11use_defaultESE_EEEENSA_INSB_IiSD_SE_SE_EEEEZNS1_13binary_searchIS3_S5_NSA_INS8_10device_ptrIjEEEESG_SI_NS1_16binary_search_opENS9_16wrapped_functionINS8_6system6detail7generic6detail18binary_search_lessEbEEEE10hipError_tPvRmT1_T2_T3_mmT4_T5_P12ihipStream_tbEUlRKjE_EESV_SZ_S10_mS11_S14_bEUlT_E_NS1_11comp_targetILNS1_3genE4ELNS1_11target_archE910ELNS1_3gpuE8ELNS1_3repE0EEENS1_30default_config_static_selectorELNS0_4arch9wavefront6targetE1EEEvSY_ ; -- Begin function _ZN7rocprim17ROCPRIM_400000_NS6detail17trampoline_kernelINS0_14default_configENS1_29binary_search_config_selectorIjiEEZNS1_14transform_implILb0ES3_S5_N6thrust23THRUST_200600_302600_NS6detail15normal_iteratorINS8_7pointerIjNS8_11hip_rocprim5par_tENS8_11use_defaultESE_EEEENSA_INSB_IiSD_SE_SE_EEEEZNS1_13binary_searchIS3_S5_NSA_INS8_10device_ptrIjEEEESG_SI_NS1_16binary_search_opENS9_16wrapped_functionINS8_6system6detail7generic6detail18binary_search_lessEbEEEE10hipError_tPvRmT1_T2_T3_mmT4_T5_P12ihipStream_tbEUlRKjE_EESV_SZ_S10_mS11_S14_bEUlT_E_NS1_11comp_targetILNS1_3genE4ELNS1_11target_archE910ELNS1_3gpuE8ELNS1_3repE0EEENS1_30default_config_static_selectorELNS0_4arch9wavefront6targetE1EEEvSY_
	.globl	_ZN7rocprim17ROCPRIM_400000_NS6detail17trampoline_kernelINS0_14default_configENS1_29binary_search_config_selectorIjiEEZNS1_14transform_implILb0ES3_S5_N6thrust23THRUST_200600_302600_NS6detail15normal_iteratorINS8_7pointerIjNS8_11hip_rocprim5par_tENS8_11use_defaultESE_EEEENSA_INSB_IiSD_SE_SE_EEEEZNS1_13binary_searchIS3_S5_NSA_INS8_10device_ptrIjEEEESG_SI_NS1_16binary_search_opENS9_16wrapped_functionINS8_6system6detail7generic6detail18binary_search_lessEbEEEE10hipError_tPvRmT1_T2_T3_mmT4_T5_P12ihipStream_tbEUlRKjE_EESV_SZ_S10_mS11_S14_bEUlT_E_NS1_11comp_targetILNS1_3genE4ELNS1_11target_archE910ELNS1_3gpuE8ELNS1_3repE0EEENS1_30default_config_static_selectorELNS0_4arch9wavefront6targetE1EEEvSY_
	.p2align	8
	.type	_ZN7rocprim17ROCPRIM_400000_NS6detail17trampoline_kernelINS0_14default_configENS1_29binary_search_config_selectorIjiEEZNS1_14transform_implILb0ES3_S5_N6thrust23THRUST_200600_302600_NS6detail15normal_iteratorINS8_7pointerIjNS8_11hip_rocprim5par_tENS8_11use_defaultESE_EEEENSA_INSB_IiSD_SE_SE_EEEEZNS1_13binary_searchIS3_S5_NSA_INS8_10device_ptrIjEEEESG_SI_NS1_16binary_search_opENS9_16wrapped_functionINS8_6system6detail7generic6detail18binary_search_lessEbEEEE10hipError_tPvRmT1_T2_T3_mmT4_T5_P12ihipStream_tbEUlRKjE_EESV_SZ_S10_mS11_S14_bEUlT_E_NS1_11comp_targetILNS1_3genE4ELNS1_11target_archE910ELNS1_3gpuE8ELNS1_3repE0EEENS1_30default_config_static_selectorELNS0_4arch9wavefront6targetE1EEEvSY_,@function
_ZN7rocprim17ROCPRIM_400000_NS6detail17trampoline_kernelINS0_14default_configENS1_29binary_search_config_selectorIjiEEZNS1_14transform_implILb0ES3_S5_N6thrust23THRUST_200600_302600_NS6detail15normal_iteratorINS8_7pointerIjNS8_11hip_rocprim5par_tENS8_11use_defaultESE_EEEENSA_INSB_IiSD_SE_SE_EEEEZNS1_13binary_searchIS3_S5_NSA_INS8_10device_ptrIjEEEESG_SI_NS1_16binary_search_opENS9_16wrapped_functionINS8_6system6detail7generic6detail18binary_search_lessEbEEEE10hipError_tPvRmT1_T2_T3_mmT4_T5_P12ihipStream_tbEUlRKjE_EESV_SZ_S10_mS11_S14_bEUlT_E_NS1_11comp_targetILNS1_3genE4ELNS1_11target_archE910ELNS1_3gpuE8ELNS1_3repE0EEENS1_30default_config_static_selectorELNS0_4arch9wavefront6targetE1EEEvSY_: ; @_ZN7rocprim17ROCPRIM_400000_NS6detail17trampoline_kernelINS0_14default_configENS1_29binary_search_config_selectorIjiEEZNS1_14transform_implILb0ES3_S5_N6thrust23THRUST_200600_302600_NS6detail15normal_iteratorINS8_7pointerIjNS8_11hip_rocprim5par_tENS8_11use_defaultESE_EEEENSA_INSB_IiSD_SE_SE_EEEEZNS1_13binary_searchIS3_S5_NSA_INS8_10device_ptrIjEEEESG_SI_NS1_16binary_search_opENS9_16wrapped_functionINS8_6system6detail7generic6detail18binary_search_lessEbEEEE10hipError_tPvRmT1_T2_T3_mmT4_T5_P12ihipStream_tbEUlRKjE_EESV_SZ_S10_mS11_S14_bEUlT_E_NS1_11comp_targetILNS1_3genE4ELNS1_11target_archE910ELNS1_3gpuE8ELNS1_3repE0EEENS1_30default_config_static_selectorELNS0_4arch9wavefront6targetE1EEEvSY_
; %bb.0:
	.section	.rodata,"a",@progbits
	.p2align	6, 0x0
	.amdhsa_kernel _ZN7rocprim17ROCPRIM_400000_NS6detail17trampoline_kernelINS0_14default_configENS1_29binary_search_config_selectorIjiEEZNS1_14transform_implILb0ES3_S5_N6thrust23THRUST_200600_302600_NS6detail15normal_iteratorINS8_7pointerIjNS8_11hip_rocprim5par_tENS8_11use_defaultESE_EEEENSA_INSB_IiSD_SE_SE_EEEEZNS1_13binary_searchIS3_S5_NSA_INS8_10device_ptrIjEEEESG_SI_NS1_16binary_search_opENS9_16wrapped_functionINS8_6system6detail7generic6detail18binary_search_lessEbEEEE10hipError_tPvRmT1_T2_T3_mmT4_T5_P12ihipStream_tbEUlRKjE_EESV_SZ_S10_mS11_S14_bEUlT_E_NS1_11comp_targetILNS1_3genE4ELNS1_11target_archE910ELNS1_3gpuE8ELNS1_3repE0EEENS1_30default_config_static_selectorELNS0_4arch9wavefront6targetE1EEEvSY_
		.amdhsa_group_segment_fixed_size 0
		.amdhsa_private_segment_fixed_size 0
		.amdhsa_kernarg_size 56
		.amdhsa_user_sgpr_count 6
		.amdhsa_user_sgpr_private_segment_buffer 1
		.amdhsa_user_sgpr_dispatch_ptr 0
		.amdhsa_user_sgpr_queue_ptr 0
		.amdhsa_user_sgpr_kernarg_segment_ptr 1
		.amdhsa_user_sgpr_dispatch_id 0
		.amdhsa_user_sgpr_flat_scratch_init 0
		.amdhsa_user_sgpr_private_segment_size 0
		.amdhsa_uses_dynamic_stack 0
		.amdhsa_system_sgpr_private_segment_wavefront_offset 0
		.amdhsa_system_sgpr_workgroup_id_x 1
		.amdhsa_system_sgpr_workgroup_id_y 0
		.amdhsa_system_sgpr_workgroup_id_z 0
		.amdhsa_system_sgpr_workgroup_info 0
		.amdhsa_system_vgpr_workitem_id 0
		.amdhsa_next_free_vgpr 1
		.amdhsa_next_free_sgpr 0
		.amdhsa_reserve_vcc 0
		.amdhsa_reserve_flat_scratch 0
		.amdhsa_float_round_mode_32 0
		.amdhsa_float_round_mode_16_64 0
		.amdhsa_float_denorm_mode_32 3
		.amdhsa_float_denorm_mode_16_64 3
		.amdhsa_dx10_clamp 1
		.amdhsa_ieee_mode 1
		.amdhsa_fp16_overflow 0
		.amdhsa_exception_fp_ieee_invalid_op 0
		.amdhsa_exception_fp_denorm_src 0
		.amdhsa_exception_fp_ieee_div_zero 0
		.amdhsa_exception_fp_ieee_overflow 0
		.amdhsa_exception_fp_ieee_underflow 0
		.amdhsa_exception_fp_ieee_inexact 0
		.amdhsa_exception_int_div_zero 0
	.end_amdhsa_kernel
	.section	.text._ZN7rocprim17ROCPRIM_400000_NS6detail17trampoline_kernelINS0_14default_configENS1_29binary_search_config_selectorIjiEEZNS1_14transform_implILb0ES3_S5_N6thrust23THRUST_200600_302600_NS6detail15normal_iteratorINS8_7pointerIjNS8_11hip_rocprim5par_tENS8_11use_defaultESE_EEEENSA_INSB_IiSD_SE_SE_EEEEZNS1_13binary_searchIS3_S5_NSA_INS8_10device_ptrIjEEEESG_SI_NS1_16binary_search_opENS9_16wrapped_functionINS8_6system6detail7generic6detail18binary_search_lessEbEEEE10hipError_tPvRmT1_T2_T3_mmT4_T5_P12ihipStream_tbEUlRKjE_EESV_SZ_S10_mS11_S14_bEUlT_E_NS1_11comp_targetILNS1_3genE4ELNS1_11target_archE910ELNS1_3gpuE8ELNS1_3repE0EEENS1_30default_config_static_selectorELNS0_4arch9wavefront6targetE1EEEvSY_,"axG",@progbits,_ZN7rocprim17ROCPRIM_400000_NS6detail17trampoline_kernelINS0_14default_configENS1_29binary_search_config_selectorIjiEEZNS1_14transform_implILb0ES3_S5_N6thrust23THRUST_200600_302600_NS6detail15normal_iteratorINS8_7pointerIjNS8_11hip_rocprim5par_tENS8_11use_defaultESE_EEEENSA_INSB_IiSD_SE_SE_EEEEZNS1_13binary_searchIS3_S5_NSA_INS8_10device_ptrIjEEEESG_SI_NS1_16binary_search_opENS9_16wrapped_functionINS8_6system6detail7generic6detail18binary_search_lessEbEEEE10hipError_tPvRmT1_T2_T3_mmT4_T5_P12ihipStream_tbEUlRKjE_EESV_SZ_S10_mS11_S14_bEUlT_E_NS1_11comp_targetILNS1_3genE4ELNS1_11target_archE910ELNS1_3gpuE8ELNS1_3repE0EEENS1_30default_config_static_selectorELNS0_4arch9wavefront6targetE1EEEvSY_,comdat
.Lfunc_end673:
	.size	_ZN7rocprim17ROCPRIM_400000_NS6detail17trampoline_kernelINS0_14default_configENS1_29binary_search_config_selectorIjiEEZNS1_14transform_implILb0ES3_S5_N6thrust23THRUST_200600_302600_NS6detail15normal_iteratorINS8_7pointerIjNS8_11hip_rocprim5par_tENS8_11use_defaultESE_EEEENSA_INSB_IiSD_SE_SE_EEEEZNS1_13binary_searchIS3_S5_NSA_INS8_10device_ptrIjEEEESG_SI_NS1_16binary_search_opENS9_16wrapped_functionINS8_6system6detail7generic6detail18binary_search_lessEbEEEE10hipError_tPvRmT1_T2_T3_mmT4_T5_P12ihipStream_tbEUlRKjE_EESV_SZ_S10_mS11_S14_bEUlT_E_NS1_11comp_targetILNS1_3genE4ELNS1_11target_archE910ELNS1_3gpuE8ELNS1_3repE0EEENS1_30default_config_static_selectorELNS0_4arch9wavefront6targetE1EEEvSY_, .Lfunc_end673-_ZN7rocprim17ROCPRIM_400000_NS6detail17trampoline_kernelINS0_14default_configENS1_29binary_search_config_selectorIjiEEZNS1_14transform_implILb0ES3_S5_N6thrust23THRUST_200600_302600_NS6detail15normal_iteratorINS8_7pointerIjNS8_11hip_rocprim5par_tENS8_11use_defaultESE_EEEENSA_INSB_IiSD_SE_SE_EEEEZNS1_13binary_searchIS3_S5_NSA_INS8_10device_ptrIjEEEESG_SI_NS1_16binary_search_opENS9_16wrapped_functionINS8_6system6detail7generic6detail18binary_search_lessEbEEEE10hipError_tPvRmT1_T2_T3_mmT4_T5_P12ihipStream_tbEUlRKjE_EESV_SZ_S10_mS11_S14_bEUlT_E_NS1_11comp_targetILNS1_3genE4ELNS1_11target_archE910ELNS1_3gpuE8ELNS1_3repE0EEENS1_30default_config_static_selectorELNS0_4arch9wavefront6targetE1EEEvSY_
                                        ; -- End function
	.set _ZN7rocprim17ROCPRIM_400000_NS6detail17trampoline_kernelINS0_14default_configENS1_29binary_search_config_selectorIjiEEZNS1_14transform_implILb0ES3_S5_N6thrust23THRUST_200600_302600_NS6detail15normal_iteratorINS8_7pointerIjNS8_11hip_rocprim5par_tENS8_11use_defaultESE_EEEENSA_INSB_IiSD_SE_SE_EEEEZNS1_13binary_searchIS3_S5_NSA_INS8_10device_ptrIjEEEESG_SI_NS1_16binary_search_opENS9_16wrapped_functionINS8_6system6detail7generic6detail18binary_search_lessEbEEEE10hipError_tPvRmT1_T2_T3_mmT4_T5_P12ihipStream_tbEUlRKjE_EESV_SZ_S10_mS11_S14_bEUlT_E_NS1_11comp_targetILNS1_3genE4ELNS1_11target_archE910ELNS1_3gpuE8ELNS1_3repE0EEENS1_30default_config_static_selectorELNS0_4arch9wavefront6targetE1EEEvSY_.num_vgpr, 0
	.set _ZN7rocprim17ROCPRIM_400000_NS6detail17trampoline_kernelINS0_14default_configENS1_29binary_search_config_selectorIjiEEZNS1_14transform_implILb0ES3_S5_N6thrust23THRUST_200600_302600_NS6detail15normal_iteratorINS8_7pointerIjNS8_11hip_rocprim5par_tENS8_11use_defaultESE_EEEENSA_INSB_IiSD_SE_SE_EEEEZNS1_13binary_searchIS3_S5_NSA_INS8_10device_ptrIjEEEESG_SI_NS1_16binary_search_opENS9_16wrapped_functionINS8_6system6detail7generic6detail18binary_search_lessEbEEEE10hipError_tPvRmT1_T2_T3_mmT4_T5_P12ihipStream_tbEUlRKjE_EESV_SZ_S10_mS11_S14_bEUlT_E_NS1_11comp_targetILNS1_3genE4ELNS1_11target_archE910ELNS1_3gpuE8ELNS1_3repE0EEENS1_30default_config_static_selectorELNS0_4arch9wavefront6targetE1EEEvSY_.num_agpr, 0
	.set _ZN7rocprim17ROCPRIM_400000_NS6detail17trampoline_kernelINS0_14default_configENS1_29binary_search_config_selectorIjiEEZNS1_14transform_implILb0ES3_S5_N6thrust23THRUST_200600_302600_NS6detail15normal_iteratorINS8_7pointerIjNS8_11hip_rocprim5par_tENS8_11use_defaultESE_EEEENSA_INSB_IiSD_SE_SE_EEEEZNS1_13binary_searchIS3_S5_NSA_INS8_10device_ptrIjEEEESG_SI_NS1_16binary_search_opENS9_16wrapped_functionINS8_6system6detail7generic6detail18binary_search_lessEbEEEE10hipError_tPvRmT1_T2_T3_mmT4_T5_P12ihipStream_tbEUlRKjE_EESV_SZ_S10_mS11_S14_bEUlT_E_NS1_11comp_targetILNS1_3genE4ELNS1_11target_archE910ELNS1_3gpuE8ELNS1_3repE0EEENS1_30default_config_static_selectorELNS0_4arch9wavefront6targetE1EEEvSY_.numbered_sgpr, 0
	.set _ZN7rocprim17ROCPRIM_400000_NS6detail17trampoline_kernelINS0_14default_configENS1_29binary_search_config_selectorIjiEEZNS1_14transform_implILb0ES3_S5_N6thrust23THRUST_200600_302600_NS6detail15normal_iteratorINS8_7pointerIjNS8_11hip_rocprim5par_tENS8_11use_defaultESE_EEEENSA_INSB_IiSD_SE_SE_EEEEZNS1_13binary_searchIS3_S5_NSA_INS8_10device_ptrIjEEEESG_SI_NS1_16binary_search_opENS9_16wrapped_functionINS8_6system6detail7generic6detail18binary_search_lessEbEEEE10hipError_tPvRmT1_T2_T3_mmT4_T5_P12ihipStream_tbEUlRKjE_EESV_SZ_S10_mS11_S14_bEUlT_E_NS1_11comp_targetILNS1_3genE4ELNS1_11target_archE910ELNS1_3gpuE8ELNS1_3repE0EEENS1_30default_config_static_selectorELNS0_4arch9wavefront6targetE1EEEvSY_.num_named_barrier, 0
	.set _ZN7rocprim17ROCPRIM_400000_NS6detail17trampoline_kernelINS0_14default_configENS1_29binary_search_config_selectorIjiEEZNS1_14transform_implILb0ES3_S5_N6thrust23THRUST_200600_302600_NS6detail15normal_iteratorINS8_7pointerIjNS8_11hip_rocprim5par_tENS8_11use_defaultESE_EEEENSA_INSB_IiSD_SE_SE_EEEEZNS1_13binary_searchIS3_S5_NSA_INS8_10device_ptrIjEEEESG_SI_NS1_16binary_search_opENS9_16wrapped_functionINS8_6system6detail7generic6detail18binary_search_lessEbEEEE10hipError_tPvRmT1_T2_T3_mmT4_T5_P12ihipStream_tbEUlRKjE_EESV_SZ_S10_mS11_S14_bEUlT_E_NS1_11comp_targetILNS1_3genE4ELNS1_11target_archE910ELNS1_3gpuE8ELNS1_3repE0EEENS1_30default_config_static_selectorELNS0_4arch9wavefront6targetE1EEEvSY_.private_seg_size, 0
	.set _ZN7rocprim17ROCPRIM_400000_NS6detail17trampoline_kernelINS0_14default_configENS1_29binary_search_config_selectorIjiEEZNS1_14transform_implILb0ES3_S5_N6thrust23THRUST_200600_302600_NS6detail15normal_iteratorINS8_7pointerIjNS8_11hip_rocprim5par_tENS8_11use_defaultESE_EEEENSA_INSB_IiSD_SE_SE_EEEEZNS1_13binary_searchIS3_S5_NSA_INS8_10device_ptrIjEEEESG_SI_NS1_16binary_search_opENS9_16wrapped_functionINS8_6system6detail7generic6detail18binary_search_lessEbEEEE10hipError_tPvRmT1_T2_T3_mmT4_T5_P12ihipStream_tbEUlRKjE_EESV_SZ_S10_mS11_S14_bEUlT_E_NS1_11comp_targetILNS1_3genE4ELNS1_11target_archE910ELNS1_3gpuE8ELNS1_3repE0EEENS1_30default_config_static_selectorELNS0_4arch9wavefront6targetE1EEEvSY_.uses_vcc, 0
	.set _ZN7rocprim17ROCPRIM_400000_NS6detail17trampoline_kernelINS0_14default_configENS1_29binary_search_config_selectorIjiEEZNS1_14transform_implILb0ES3_S5_N6thrust23THRUST_200600_302600_NS6detail15normal_iteratorINS8_7pointerIjNS8_11hip_rocprim5par_tENS8_11use_defaultESE_EEEENSA_INSB_IiSD_SE_SE_EEEEZNS1_13binary_searchIS3_S5_NSA_INS8_10device_ptrIjEEEESG_SI_NS1_16binary_search_opENS9_16wrapped_functionINS8_6system6detail7generic6detail18binary_search_lessEbEEEE10hipError_tPvRmT1_T2_T3_mmT4_T5_P12ihipStream_tbEUlRKjE_EESV_SZ_S10_mS11_S14_bEUlT_E_NS1_11comp_targetILNS1_3genE4ELNS1_11target_archE910ELNS1_3gpuE8ELNS1_3repE0EEENS1_30default_config_static_selectorELNS0_4arch9wavefront6targetE1EEEvSY_.uses_flat_scratch, 0
	.set _ZN7rocprim17ROCPRIM_400000_NS6detail17trampoline_kernelINS0_14default_configENS1_29binary_search_config_selectorIjiEEZNS1_14transform_implILb0ES3_S5_N6thrust23THRUST_200600_302600_NS6detail15normal_iteratorINS8_7pointerIjNS8_11hip_rocprim5par_tENS8_11use_defaultESE_EEEENSA_INSB_IiSD_SE_SE_EEEEZNS1_13binary_searchIS3_S5_NSA_INS8_10device_ptrIjEEEESG_SI_NS1_16binary_search_opENS9_16wrapped_functionINS8_6system6detail7generic6detail18binary_search_lessEbEEEE10hipError_tPvRmT1_T2_T3_mmT4_T5_P12ihipStream_tbEUlRKjE_EESV_SZ_S10_mS11_S14_bEUlT_E_NS1_11comp_targetILNS1_3genE4ELNS1_11target_archE910ELNS1_3gpuE8ELNS1_3repE0EEENS1_30default_config_static_selectorELNS0_4arch9wavefront6targetE1EEEvSY_.has_dyn_sized_stack, 0
	.set _ZN7rocprim17ROCPRIM_400000_NS6detail17trampoline_kernelINS0_14default_configENS1_29binary_search_config_selectorIjiEEZNS1_14transform_implILb0ES3_S5_N6thrust23THRUST_200600_302600_NS6detail15normal_iteratorINS8_7pointerIjNS8_11hip_rocprim5par_tENS8_11use_defaultESE_EEEENSA_INSB_IiSD_SE_SE_EEEEZNS1_13binary_searchIS3_S5_NSA_INS8_10device_ptrIjEEEESG_SI_NS1_16binary_search_opENS9_16wrapped_functionINS8_6system6detail7generic6detail18binary_search_lessEbEEEE10hipError_tPvRmT1_T2_T3_mmT4_T5_P12ihipStream_tbEUlRKjE_EESV_SZ_S10_mS11_S14_bEUlT_E_NS1_11comp_targetILNS1_3genE4ELNS1_11target_archE910ELNS1_3gpuE8ELNS1_3repE0EEENS1_30default_config_static_selectorELNS0_4arch9wavefront6targetE1EEEvSY_.has_recursion, 0
	.set _ZN7rocprim17ROCPRIM_400000_NS6detail17trampoline_kernelINS0_14default_configENS1_29binary_search_config_selectorIjiEEZNS1_14transform_implILb0ES3_S5_N6thrust23THRUST_200600_302600_NS6detail15normal_iteratorINS8_7pointerIjNS8_11hip_rocprim5par_tENS8_11use_defaultESE_EEEENSA_INSB_IiSD_SE_SE_EEEEZNS1_13binary_searchIS3_S5_NSA_INS8_10device_ptrIjEEEESG_SI_NS1_16binary_search_opENS9_16wrapped_functionINS8_6system6detail7generic6detail18binary_search_lessEbEEEE10hipError_tPvRmT1_T2_T3_mmT4_T5_P12ihipStream_tbEUlRKjE_EESV_SZ_S10_mS11_S14_bEUlT_E_NS1_11comp_targetILNS1_3genE4ELNS1_11target_archE910ELNS1_3gpuE8ELNS1_3repE0EEENS1_30default_config_static_selectorELNS0_4arch9wavefront6targetE1EEEvSY_.has_indirect_call, 0
	.section	.AMDGPU.csdata,"",@progbits
; Kernel info:
; codeLenInByte = 0
; TotalNumSgprs: 4
; NumVgprs: 0
; ScratchSize: 0
; MemoryBound: 0
; FloatMode: 240
; IeeeMode: 1
; LDSByteSize: 0 bytes/workgroup (compile time only)
; SGPRBlocks: 0
; VGPRBlocks: 0
; NumSGPRsForWavesPerEU: 4
; NumVGPRsForWavesPerEU: 1
; Occupancy: 10
; WaveLimiterHint : 0
; COMPUTE_PGM_RSRC2:SCRATCH_EN: 0
; COMPUTE_PGM_RSRC2:USER_SGPR: 6
; COMPUTE_PGM_RSRC2:TRAP_HANDLER: 0
; COMPUTE_PGM_RSRC2:TGID_X_EN: 1
; COMPUTE_PGM_RSRC2:TGID_Y_EN: 0
; COMPUTE_PGM_RSRC2:TGID_Z_EN: 0
; COMPUTE_PGM_RSRC2:TIDIG_COMP_CNT: 0
	.section	.text._ZN7rocprim17ROCPRIM_400000_NS6detail17trampoline_kernelINS0_14default_configENS1_29binary_search_config_selectorIjiEEZNS1_14transform_implILb0ES3_S5_N6thrust23THRUST_200600_302600_NS6detail15normal_iteratorINS8_7pointerIjNS8_11hip_rocprim5par_tENS8_11use_defaultESE_EEEENSA_INSB_IiSD_SE_SE_EEEEZNS1_13binary_searchIS3_S5_NSA_INS8_10device_ptrIjEEEESG_SI_NS1_16binary_search_opENS9_16wrapped_functionINS8_6system6detail7generic6detail18binary_search_lessEbEEEE10hipError_tPvRmT1_T2_T3_mmT4_T5_P12ihipStream_tbEUlRKjE_EESV_SZ_S10_mS11_S14_bEUlT_E_NS1_11comp_targetILNS1_3genE3ELNS1_11target_archE908ELNS1_3gpuE7ELNS1_3repE0EEENS1_30default_config_static_selectorELNS0_4arch9wavefront6targetE1EEEvSY_,"axG",@progbits,_ZN7rocprim17ROCPRIM_400000_NS6detail17trampoline_kernelINS0_14default_configENS1_29binary_search_config_selectorIjiEEZNS1_14transform_implILb0ES3_S5_N6thrust23THRUST_200600_302600_NS6detail15normal_iteratorINS8_7pointerIjNS8_11hip_rocprim5par_tENS8_11use_defaultESE_EEEENSA_INSB_IiSD_SE_SE_EEEEZNS1_13binary_searchIS3_S5_NSA_INS8_10device_ptrIjEEEESG_SI_NS1_16binary_search_opENS9_16wrapped_functionINS8_6system6detail7generic6detail18binary_search_lessEbEEEE10hipError_tPvRmT1_T2_T3_mmT4_T5_P12ihipStream_tbEUlRKjE_EESV_SZ_S10_mS11_S14_bEUlT_E_NS1_11comp_targetILNS1_3genE3ELNS1_11target_archE908ELNS1_3gpuE7ELNS1_3repE0EEENS1_30default_config_static_selectorELNS0_4arch9wavefront6targetE1EEEvSY_,comdat
	.protected	_ZN7rocprim17ROCPRIM_400000_NS6detail17trampoline_kernelINS0_14default_configENS1_29binary_search_config_selectorIjiEEZNS1_14transform_implILb0ES3_S5_N6thrust23THRUST_200600_302600_NS6detail15normal_iteratorINS8_7pointerIjNS8_11hip_rocprim5par_tENS8_11use_defaultESE_EEEENSA_INSB_IiSD_SE_SE_EEEEZNS1_13binary_searchIS3_S5_NSA_INS8_10device_ptrIjEEEESG_SI_NS1_16binary_search_opENS9_16wrapped_functionINS8_6system6detail7generic6detail18binary_search_lessEbEEEE10hipError_tPvRmT1_T2_T3_mmT4_T5_P12ihipStream_tbEUlRKjE_EESV_SZ_S10_mS11_S14_bEUlT_E_NS1_11comp_targetILNS1_3genE3ELNS1_11target_archE908ELNS1_3gpuE7ELNS1_3repE0EEENS1_30default_config_static_selectorELNS0_4arch9wavefront6targetE1EEEvSY_ ; -- Begin function _ZN7rocprim17ROCPRIM_400000_NS6detail17trampoline_kernelINS0_14default_configENS1_29binary_search_config_selectorIjiEEZNS1_14transform_implILb0ES3_S5_N6thrust23THRUST_200600_302600_NS6detail15normal_iteratorINS8_7pointerIjNS8_11hip_rocprim5par_tENS8_11use_defaultESE_EEEENSA_INSB_IiSD_SE_SE_EEEEZNS1_13binary_searchIS3_S5_NSA_INS8_10device_ptrIjEEEESG_SI_NS1_16binary_search_opENS9_16wrapped_functionINS8_6system6detail7generic6detail18binary_search_lessEbEEEE10hipError_tPvRmT1_T2_T3_mmT4_T5_P12ihipStream_tbEUlRKjE_EESV_SZ_S10_mS11_S14_bEUlT_E_NS1_11comp_targetILNS1_3genE3ELNS1_11target_archE908ELNS1_3gpuE7ELNS1_3repE0EEENS1_30default_config_static_selectorELNS0_4arch9wavefront6targetE1EEEvSY_
	.globl	_ZN7rocprim17ROCPRIM_400000_NS6detail17trampoline_kernelINS0_14default_configENS1_29binary_search_config_selectorIjiEEZNS1_14transform_implILb0ES3_S5_N6thrust23THRUST_200600_302600_NS6detail15normal_iteratorINS8_7pointerIjNS8_11hip_rocprim5par_tENS8_11use_defaultESE_EEEENSA_INSB_IiSD_SE_SE_EEEEZNS1_13binary_searchIS3_S5_NSA_INS8_10device_ptrIjEEEESG_SI_NS1_16binary_search_opENS9_16wrapped_functionINS8_6system6detail7generic6detail18binary_search_lessEbEEEE10hipError_tPvRmT1_T2_T3_mmT4_T5_P12ihipStream_tbEUlRKjE_EESV_SZ_S10_mS11_S14_bEUlT_E_NS1_11comp_targetILNS1_3genE3ELNS1_11target_archE908ELNS1_3gpuE7ELNS1_3repE0EEENS1_30default_config_static_selectorELNS0_4arch9wavefront6targetE1EEEvSY_
	.p2align	8
	.type	_ZN7rocprim17ROCPRIM_400000_NS6detail17trampoline_kernelINS0_14default_configENS1_29binary_search_config_selectorIjiEEZNS1_14transform_implILb0ES3_S5_N6thrust23THRUST_200600_302600_NS6detail15normal_iteratorINS8_7pointerIjNS8_11hip_rocprim5par_tENS8_11use_defaultESE_EEEENSA_INSB_IiSD_SE_SE_EEEEZNS1_13binary_searchIS3_S5_NSA_INS8_10device_ptrIjEEEESG_SI_NS1_16binary_search_opENS9_16wrapped_functionINS8_6system6detail7generic6detail18binary_search_lessEbEEEE10hipError_tPvRmT1_T2_T3_mmT4_T5_P12ihipStream_tbEUlRKjE_EESV_SZ_S10_mS11_S14_bEUlT_E_NS1_11comp_targetILNS1_3genE3ELNS1_11target_archE908ELNS1_3gpuE7ELNS1_3repE0EEENS1_30default_config_static_selectorELNS0_4arch9wavefront6targetE1EEEvSY_,@function
_ZN7rocprim17ROCPRIM_400000_NS6detail17trampoline_kernelINS0_14default_configENS1_29binary_search_config_selectorIjiEEZNS1_14transform_implILb0ES3_S5_N6thrust23THRUST_200600_302600_NS6detail15normal_iteratorINS8_7pointerIjNS8_11hip_rocprim5par_tENS8_11use_defaultESE_EEEENSA_INSB_IiSD_SE_SE_EEEEZNS1_13binary_searchIS3_S5_NSA_INS8_10device_ptrIjEEEESG_SI_NS1_16binary_search_opENS9_16wrapped_functionINS8_6system6detail7generic6detail18binary_search_lessEbEEEE10hipError_tPvRmT1_T2_T3_mmT4_T5_P12ihipStream_tbEUlRKjE_EESV_SZ_S10_mS11_S14_bEUlT_E_NS1_11comp_targetILNS1_3genE3ELNS1_11target_archE908ELNS1_3gpuE7ELNS1_3repE0EEENS1_30default_config_static_selectorELNS0_4arch9wavefront6targetE1EEEvSY_: ; @_ZN7rocprim17ROCPRIM_400000_NS6detail17trampoline_kernelINS0_14default_configENS1_29binary_search_config_selectorIjiEEZNS1_14transform_implILb0ES3_S5_N6thrust23THRUST_200600_302600_NS6detail15normal_iteratorINS8_7pointerIjNS8_11hip_rocprim5par_tENS8_11use_defaultESE_EEEENSA_INSB_IiSD_SE_SE_EEEEZNS1_13binary_searchIS3_S5_NSA_INS8_10device_ptrIjEEEESG_SI_NS1_16binary_search_opENS9_16wrapped_functionINS8_6system6detail7generic6detail18binary_search_lessEbEEEE10hipError_tPvRmT1_T2_T3_mmT4_T5_P12ihipStream_tbEUlRKjE_EESV_SZ_S10_mS11_S14_bEUlT_E_NS1_11comp_targetILNS1_3genE3ELNS1_11target_archE908ELNS1_3gpuE7ELNS1_3repE0EEENS1_30default_config_static_selectorELNS0_4arch9wavefront6targetE1EEEvSY_
; %bb.0:
	.section	.rodata,"a",@progbits
	.p2align	6, 0x0
	.amdhsa_kernel _ZN7rocprim17ROCPRIM_400000_NS6detail17trampoline_kernelINS0_14default_configENS1_29binary_search_config_selectorIjiEEZNS1_14transform_implILb0ES3_S5_N6thrust23THRUST_200600_302600_NS6detail15normal_iteratorINS8_7pointerIjNS8_11hip_rocprim5par_tENS8_11use_defaultESE_EEEENSA_INSB_IiSD_SE_SE_EEEEZNS1_13binary_searchIS3_S5_NSA_INS8_10device_ptrIjEEEESG_SI_NS1_16binary_search_opENS9_16wrapped_functionINS8_6system6detail7generic6detail18binary_search_lessEbEEEE10hipError_tPvRmT1_T2_T3_mmT4_T5_P12ihipStream_tbEUlRKjE_EESV_SZ_S10_mS11_S14_bEUlT_E_NS1_11comp_targetILNS1_3genE3ELNS1_11target_archE908ELNS1_3gpuE7ELNS1_3repE0EEENS1_30default_config_static_selectorELNS0_4arch9wavefront6targetE1EEEvSY_
		.amdhsa_group_segment_fixed_size 0
		.amdhsa_private_segment_fixed_size 0
		.amdhsa_kernarg_size 56
		.amdhsa_user_sgpr_count 6
		.amdhsa_user_sgpr_private_segment_buffer 1
		.amdhsa_user_sgpr_dispatch_ptr 0
		.amdhsa_user_sgpr_queue_ptr 0
		.amdhsa_user_sgpr_kernarg_segment_ptr 1
		.amdhsa_user_sgpr_dispatch_id 0
		.amdhsa_user_sgpr_flat_scratch_init 0
		.amdhsa_user_sgpr_private_segment_size 0
		.amdhsa_uses_dynamic_stack 0
		.amdhsa_system_sgpr_private_segment_wavefront_offset 0
		.amdhsa_system_sgpr_workgroup_id_x 1
		.amdhsa_system_sgpr_workgroup_id_y 0
		.amdhsa_system_sgpr_workgroup_id_z 0
		.amdhsa_system_sgpr_workgroup_info 0
		.amdhsa_system_vgpr_workitem_id 0
		.amdhsa_next_free_vgpr 1
		.amdhsa_next_free_sgpr 0
		.amdhsa_reserve_vcc 0
		.amdhsa_reserve_flat_scratch 0
		.amdhsa_float_round_mode_32 0
		.amdhsa_float_round_mode_16_64 0
		.amdhsa_float_denorm_mode_32 3
		.amdhsa_float_denorm_mode_16_64 3
		.amdhsa_dx10_clamp 1
		.amdhsa_ieee_mode 1
		.amdhsa_fp16_overflow 0
		.amdhsa_exception_fp_ieee_invalid_op 0
		.amdhsa_exception_fp_denorm_src 0
		.amdhsa_exception_fp_ieee_div_zero 0
		.amdhsa_exception_fp_ieee_overflow 0
		.amdhsa_exception_fp_ieee_underflow 0
		.amdhsa_exception_fp_ieee_inexact 0
		.amdhsa_exception_int_div_zero 0
	.end_amdhsa_kernel
	.section	.text._ZN7rocprim17ROCPRIM_400000_NS6detail17trampoline_kernelINS0_14default_configENS1_29binary_search_config_selectorIjiEEZNS1_14transform_implILb0ES3_S5_N6thrust23THRUST_200600_302600_NS6detail15normal_iteratorINS8_7pointerIjNS8_11hip_rocprim5par_tENS8_11use_defaultESE_EEEENSA_INSB_IiSD_SE_SE_EEEEZNS1_13binary_searchIS3_S5_NSA_INS8_10device_ptrIjEEEESG_SI_NS1_16binary_search_opENS9_16wrapped_functionINS8_6system6detail7generic6detail18binary_search_lessEbEEEE10hipError_tPvRmT1_T2_T3_mmT4_T5_P12ihipStream_tbEUlRKjE_EESV_SZ_S10_mS11_S14_bEUlT_E_NS1_11comp_targetILNS1_3genE3ELNS1_11target_archE908ELNS1_3gpuE7ELNS1_3repE0EEENS1_30default_config_static_selectorELNS0_4arch9wavefront6targetE1EEEvSY_,"axG",@progbits,_ZN7rocprim17ROCPRIM_400000_NS6detail17trampoline_kernelINS0_14default_configENS1_29binary_search_config_selectorIjiEEZNS1_14transform_implILb0ES3_S5_N6thrust23THRUST_200600_302600_NS6detail15normal_iteratorINS8_7pointerIjNS8_11hip_rocprim5par_tENS8_11use_defaultESE_EEEENSA_INSB_IiSD_SE_SE_EEEEZNS1_13binary_searchIS3_S5_NSA_INS8_10device_ptrIjEEEESG_SI_NS1_16binary_search_opENS9_16wrapped_functionINS8_6system6detail7generic6detail18binary_search_lessEbEEEE10hipError_tPvRmT1_T2_T3_mmT4_T5_P12ihipStream_tbEUlRKjE_EESV_SZ_S10_mS11_S14_bEUlT_E_NS1_11comp_targetILNS1_3genE3ELNS1_11target_archE908ELNS1_3gpuE7ELNS1_3repE0EEENS1_30default_config_static_selectorELNS0_4arch9wavefront6targetE1EEEvSY_,comdat
.Lfunc_end674:
	.size	_ZN7rocprim17ROCPRIM_400000_NS6detail17trampoline_kernelINS0_14default_configENS1_29binary_search_config_selectorIjiEEZNS1_14transform_implILb0ES3_S5_N6thrust23THRUST_200600_302600_NS6detail15normal_iteratorINS8_7pointerIjNS8_11hip_rocprim5par_tENS8_11use_defaultESE_EEEENSA_INSB_IiSD_SE_SE_EEEEZNS1_13binary_searchIS3_S5_NSA_INS8_10device_ptrIjEEEESG_SI_NS1_16binary_search_opENS9_16wrapped_functionINS8_6system6detail7generic6detail18binary_search_lessEbEEEE10hipError_tPvRmT1_T2_T3_mmT4_T5_P12ihipStream_tbEUlRKjE_EESV_SZ_S10_mS11_S14_bEUlT_E_NS1_11comp_targetILNS1_3genE3ELNS1_11target_archE908ELNS1_3gpuE7ELNS1_3repE0EEENS1_30default_config_static_selectorELNS0_4arch9wavefront6targetE1EEEvSY_, .Lfunc_end674-_ZN7rocprim17ROCPRIM_400000_NS6detail17trampoline_kernelINS0_14default_configENS1_29binary_search_config_selectorIjiEEZNS1_14transform_implILb0ES3_S5_N6thrust23THRUST_200600_302600_NS6detail15normal_iteratorINS8_7pointerIjNS8_11hip_rocprim5par_tENS8_11use_defaultESE_EEEENSA_INSB_IiSD_SE_SE_EEEEZNS1_13binary_searchIS3_S5_NSA_INS8_10device_ptrIjEEEESG_SI_NS1_16binary_search_opENS9_16wrapped_functionINS8_6system6detail7generic6detail18binary_search_lessEbEEEE10hipError_tPvRmT1_T2_T3_mmT4_T5_P12ihipStream_tbEUlRKjE_EESV_SZ_S10_mS11_S14_bEUlT_E_NS1_11comp_targetILNS1_3genE3ELNS1_11target_archE908ELNS1_3gpuE7ELNS1_3repE0EEENS1_30default_config_static_selectorELNS0_4arch9wavefront6targetE1EEEvSY_
                                        ; -- End function
	.set _ZN7rocprim17ROCPRIM_400000_NS6detail17trampoline_kernelINS0_14default_configENS1_29binary_search_config_selectorIjiEEZNS1_14transform_implILb0ES3_S5_N6thrust23THRUST_200600_302600_NS6detail15normal_iteratorINS8_7pointerIjNS8_11hip_rocprim5par_tENS8_11use_defaultESE_EEEENSA_INSB_IiSD_SE_SE_EEEEZNS1_13binary_searchIS3_S5_NSA_INS8_10device_ptrIjEEEESG_SI_NS1_16binary_search_opENS9_16wrapped_functionINS8_6system6detail7generic6detail18binary_search_lessEbEEEE10hipError_tPvRmT1_T2_T3_mmT4_T5_P12ihipStream_tbEUlRKjE_EESV_SZ_S10_mS11_S14_bEUlT_E_NS1_11comp_targetILNS1_3genE3ELNS1_11target_archE908ELNS1_3gpuE7ELNS1_3repE0EEENS1_30default_config_static_selectorELNS0_4arch9wavefront6targetE1EEEvSY_.num_vgpr, 0
	.set _ZN7rocprim17ROCPRIM_400000_NS6detail17trampoline_kernelINS0_14default_configENS1_29binary_search_config_selectorIjiEEZNS1_14transform_implILb0ES3_S5_N6thrust23THRUST_200600_302600_NS6detail15normal_iteratorINS8_7pointerIjNS8_11hip_rocprim5par_tENS8_11use_defaultESE_EEEENSA_INSB_IiSD_SE_SE_EEEEZNS1_13binary_searchIS3_S5_NSA_INS8_10device_ptrIjEEEESG_SI_NS1_16binary_search_opENS9_16wrapped_functionINS8_6system6detail7generic6detail18binary_search_lessEbEEEE10hipError_tPvRmT1_T2_T3_mmT4_T5_P12ihipStream_tbEUlRKjE_EESV_SZ_S10_mS11_S14_bEUlT_E_NS1_11comp_targetILNS1_3genE3ELNS1_11target_archE908ELNS1_3gpuE7ELNS1_3repE0EEENS1_30default_config_static_selectorELNS0_4arch9wavefront6targetE1EEEvSY_.num_agpr, 0
	.set _ZN7rocprim17ROCPRIM_400000_NS6detail17trampoline_kernelINS0_14default_configENS1_29binary_search_config_selectorIjiEEZNS1_14transform_implILb0ES3_S5_N6thrust23THRUST_200600_302600_NS6detail15normal_iteratorINS8_7pointerIjNS8_11hip_rocprim5par_tENS8_11use_defaultESE_EEEENSA_INSB_IiSD_SE_SE_EEEEZNS1_13binary_searchIS3_S5_NSA_INS8_10device_ptrIjEEEESG_SI_NS1_16binary_search_opENS9_16wrapped_functionINS8_6system6detail7generic6detail18binary_search_lessEbEEEE10hipError_tPvRmT1_T2_T3_mmT4_T5_P12ihipStream_tbEUlRKjE_EESV_SZ_S10_mS11_S14_bEUlT_E_NS1_11comp_targetILNS1_3genE3ELNS1_11target_archE908ELNS1_3gpuE7ELNS1_3repE0EEENS1_30default_config_static_selectorELNS0_4arch9wavefront6targetE1EEEvSY_.numbered_sgpr, 0
	.set _ZN7rocprim17ROCPRIM_400000_NS6detail17trampoline_kernelINS0_14default_configENS1_29binary_search_config_selectorIjiEEZNS1_14transform_implILb0ES3_S5_N6thrust23THRUST_200600_302600_NS6detail15normal_iteratorINS8_7pointerIjNS8_11hip_rocprim5par_tENS8_11use_defaultESE_EEEENSA_INSB_IiSD_SE_SE_EEEEZNS1_13binary_searchIS3_S5_NSA_INS8_10device_ptrIjEEEESG_SI_NS1_16binary_search_opENS9_16wrapped_functionINS8_6system6detail7generic6detail18binary_search_lessEbEEEE10hipError_tPvRmT1_T2_T3_mmT4_T5_P12ihipStream_tbEUlRKjE_EESV_SZ_S10_mS11_S14_bEUlT_E_NS1_11comp_targetILNS1_3genE3ELNS1_11target_archE908ELNS1_3gpuE7ELNS1_3repE0EEENS1_30default_config_static_selectorELNS0_4arch9wavefront6targetE1EEEvSY_.num_named_barrier, 0
	.set _ZN7rocprim17ROCPRIM_400000_NS6detail17trampoline_kernelINS0_14default_configENS1_29binary_search_config_selectorIjiEEZNS1_14transform_implILb0ES3_S5_N6thrust23THRUST_200600_302600_NS6detail15normal_iteratorINS8_7pointerIjNS8_11hip_rocprim5par_tENS8_11use_defaultESE_EEEENSA_INSB_IiSD_SE_SE_EEEEZNS1_13binary_searchIS3_S5_NSA_INS8_10device_ptrIjEEEESG_SI_NS1_16binary_search_opENS9_16wrapped_functionINS8_6system6detail7generic6detail18binary_search_lessEbEEEE10hipError_tPvRmT1_T2_T3_mmT4_T5_P12ihipStream_tbEUlRKjE_EESV_SZ_S10_mS11_S14_bEUlT_E_NS1_11comp_targetILNS1_3genE3ELNS1_11target_archE908ELNS1_3gpuE7ELNS1_3repE0EEENS1_30default_config_static_selectorELNS0_4arch9wavefront6targetE1EEEvSY_.private_seg_size, 0
	.set _ZN7rocprim17ROCPRIM_400000_NS6detail17trampoline_kernelINS0_14default_configENS1_29binary_search_config_selectorIjiEEZNS1_14transform_implILb0ES3_S5_N6thrust23THRUST_200600_302600_NS6detail15normal_iteratorINS8_7pointerIjNS8_11hip_rocprim5par_tENS8_11use_defaultESE_EEEENSA_INSB_IiSD_SE_SE_EEEEZNS1_13binary_searchIS3_S5_NSA_INS8_10device_ptrIjEEEESG_SI_NS1_16binary_search_opENS9_16wrapped_functionINS8_6system6detail7generic6detail18binary_search_lessEbEEEE10hipError_tPvRmT1_T2_T3_mmT4_T5_P12ihipStream_tbEUlRKjE_EESV_SZ_S10_mS11_S14_bEUlT_E_NS1_11comp_targetILNS1_3genE3ELNS1_11target_archE908ELNS1_3gpuE7ELNS1_3repE0EEENS1_30default_config_static_selectorELNS0_4arch9wavefront6targetE1EEEvSY_.uses_vcc, 0
	.set _ZN7rocprim17ROCPRIM_400000_NS6detail17trampoline_kernelINS0_14default_configENS1_29binary_search_config_selectorIjiEEZNS1_14transform_implILb0ES3_S5_N6thrust23THRUST_200600_302600_NS6detail15normal_iteratorINS8_7pointerIjNS8_11hip_rocprim5par_tENS8_11use_defaultESE_EEEENSA_INSB_IiSD_SE_SE_EEEEZNS1_13binary_searchIS3_S5_NSA_INS8_10device_ptrIjEEEESG_SI_NS1_16binary_search_opENS9_16wrapped_functionINS8_6system6detail7generic6detail18binary_search_lessEbEEEE10hipError_tPvRmT1_T2_T3_mmT4_T5_P12ihipStream_tbEUlRKjE_EESV_SZ_S10_mS11_S14_bEUlT_E_NS1_11comp_targetILNS1_3genE3ELNS1_11target_archE908ELNS1_3gpuE7ELNS1_3repE0EEENS1_30default_config_static_selectorELNS0_4arch9wavefront6targetE1EEEvSY_.uses_flat_scratch, 0
	.set _ZN7rocprim17ROCPRIM_400000_NS6detail17trampoline_kernelINS0_14default_configENS1_29binary_search_config_selectorIjiEEZNS1_14transform_implILb0ES3_S5_N6thrust23THRUST_200600_302600_NS6detail15normal_iteratorINS8_7pointerIjNS8_11hip_rocprim5par_tENS8_11use_defaultESE_EEEENSA_INSB_IiSD_SE_SE_EEEEZNS1_13binary_searchIS3_S5_NSA_INS8_10device_ptrIjEEEESG_SI_NS1_16binary_search_opENS9_16wrapped_functionINS8_6system6detail7generic6detail18binary_search_lessEbEEEE10hipError_tPvRmT1_T2_T3_mmT4_T5_P12ihipStream_tbEUlRKjE_EESV_SZ_S10_mS11_S14_bEUlT_E_NS1_11comp_targetILNS1_3genE3ELNS1_11target_archE908ELNS1_3gpuE7ELNS1_3repE0EEENS1_30default_config_static_selectorELNS0_4arch9wavefront6targetE1EEEvSY_.has_dyn_sized_stack, 0
	.set _ZN7rocprim17ROCPRIM_400000_NS6detail17trampoline_kernelINS0_14default_configENS1_29binary_search_config_selectorIjiEEZNS1_14transform_implILb0ES3_S5_N6thrust23THRUST_200600_302600_NS6detail15normal_iteratorINS8_7pointerIjNS8_11hip_rocprim5par_tENS8_11use_defaultESE_EEEENSA_INSB_IiSD_SE_SE_EEEEZNS1_13binary_searchIS3_S5_NSA_INS8_10device_ptrIjEEEESG_SI_NS1_16binary_search_opENS9_16wrapped_functionINS8_6system6detail7generic6detail18binary_search_lessEbEEEE10hipError_tPvRmT1_T2_T3_mmT4_T5_P12ihipStream_tbEUlRKjE_EESV_SZ_S10_mS11_S14_bEUlT_E_NS1_11comp_targetILNS1_3genE3ELNS1_11target_archE908ELNS1_3gpuE7ELNS1_3repE0EEENS1_30default_config_static_selectorELNS0_4arch9wavefront6targetE1EEEvSY_.has_recursion, 0
	.set _ZN7rocprim17ROCPRIM_400000_NS6detail17trampoline_kernelINS0_14default_configENS1_29binary_search_config_selectorIjiEEZNS1_14transform_implILb0ES3_S5_N6thrust23THRUST_200600_302600_NS6detail15normal_iteratorINS8_7pointerIjNS8_11hip_rocprim5par_tENS8_11use_defaultESE_EEEENSA_INSB_IiSD_SE_SE_EEEEZNS1_13binary_searchIS3_S5_NSA_INS8_10device_ptrIjEEEESG_SI_NS1_16binary_search_opENS9_16wrapped_functionINS8_6system6detail7generic6detail18binary_search_lessEbEEEE10hipError_tPvRmT1_T2_T3_mmT4_T5_P12ihipStream_tbEUlRKjE_EESV_SZ_S10_mS11_S14_bEUlT_E_NS1_11comp_targetILNS1_3genE3ELNS1_11target_archE908ELNS1_3gpuE7ELNS1_3repE0EEENS1_30default_config_static_selectorELNS0_4arch9wavefront6targetE1EEEvSY_.has_indirect_call, 0
	.section	.AMDGPU.csdata,"",@progbits
; Kernel info:
; codeLenInByte = 0
; TotalNumSgprs: 4
; NumVgprs: 0
; ScratchSize: 0
; MemoryBound: 0
; FloatMode: 240
; IeeeMode: 1
; LDSByteSize: 0 bytes/workgroup (compile time only)
; SGPRBlocks: 0
; VGPRBlocks: 0
; NumSGPRsForWavesPerEU: 4
; NumVGPRsForWavesPerEU: 1
; Occupancy: 10
; WaveLimiterHint : 0
; COMPUTE_PGM_RSRC2:SCRATCH_EN: 0
; COMPUTE_PGM_RSRC2:USER_SGPR: 6
; COMPUTE_PGM_RSRC2:TRAP_HANDLER: 0
; COMPUTE_PGM_RSRC2:TGID_X_EN: 1
; COMPUTE_PGM_RSRC2:TGID_Y_EN: 0
; COMPUTE_PGM_RSRC2:TGID_Z_EN: 0
; COMPUTE_PGM_RSRC2:TIDIG_COMP_CNT: 0
	.section	.text._ZN7rocprim17ROCPRIM_400000_NS6detail17trampoline_kernelINS0_14default_configENS1_29binary_search_config_selectorIjiEEZNS1_14transform_implILb0ES3_S5_N6thrust23THRUST_200600_302600_NS6detail15normal_iteratorINS8_7pointerIjNS8_11hip_rocprim5par_tENS8_11use_defaultESE_EEEENSA_INSB_IiSD_SE_SE_EEEEZNS1_13binary_searchIS3_S5_NSA_INS8_10device_ptrIjEEEESG_SI_NS1_16binary_search_opENS9_16wrapped_functionINS8_6system6detail7generic6detail18binary_search_lessEbEEEE10hipError_tPvRmT1_T2_T3_mmT4_T5_P12ihipStream_tbEUlRKjE_EESV_SZ_S10_mS11_S14_bEUlT_E_NS1_11comp_targetILNS1_3genE2ELNS1_11target_archE906ELNS1_3gpuE6ELNS1_3repE0EEENS1_30default_config_static_selectorELNS0_4arch9wavefront6targetE1EEEvSY_,"axG",@progbits,_ZN7rocprim17ROCPRIM_400000_NS6detail17trampoline_kernelINS0_14default_configENS1_29binary_search_config_selectorIjiEEZNS1_14transform_implILb0ES3_S5_N6thrust23THRUST_200600_302600_NS6detail15normal_iteratorINS8_7pointerIjNS8_11hip_rocprim5par_tENS8_11use_defaultESE_EEEENSA_INSB_IiSD_SE_SE_EEEEZNS1_13binary_searchIS3_S5_NSA_INS8_10device_ptrIjEEEESG_SI_NS1_16binary_search_opENS9_16wrapped_functionINS8_6system6detail7generic6detail18binary_search_lessEbEEEE10hipError_tPvRmT1_T2_T3_mmT4_T5_P12ihipStream_tbEUlRKjE_EESV_SZ_S10_mS11_S14_bEUlT_E_NS1_11comp_targetILNS1_3genE2ELNS1_11target_archE906ELNS1_3gpuE6ELNS1_3repE0EEENS1_30default_config_static_selectorELNS0_4arch9wavefront6targetE1EEEvSY_,comdat
	.protected	_ZN7rocprim17ROCPRIM_400000_NS6detail17trampoline_kernelINS0_14default_configENS1_29binary_search_config_selectorIjiEEZNS1_14transform_implILb0ES3_S5_N6thrust23THRUST_200600_302600_NS6detail15normal_iteratorINS8_7pointerIjNS8_11hip_rocprim5par_tENS8_11use_defaultESE_EEEENSA_INSB_IiSD_SE_SE_EEEEZNS1_13binary_searchIS3_S5_NSA_INS8_10device_ptrIjEEEESG_SI_NS1_16binary_search_opENS9_16wrapped_functionINS8_6system6detail7generic6detail18binary_search_lessEbEEEE10hipError_tPvRmT1_T2_T3_mmT4_T5_P12ihipStream_tbEUlRKjE_EESV_SZ_S10_mS11_S14_bEUlT_E_NS1_11comp_targetILNS1_3genE2ELNS1_11target_archE906ELNS1_3gpuE6ELNS1_3repE0EEENS1_30default_config_static_selectorELNS0_4arch9wavefront6targetE1EEEvSY_ ; -- Begin function _ZN7rocprim17ROCPRIM_400000_NS6detail17trampoline_kernelINS0_14default_configENS1_29binary_search_config_selectorIjiEEZNS1_14transform_implILb0ES3_S5_N6thrust23THRUST_200600_302600_NS6detail15normal_iteratorINS8_7pointerIjNS8_11hip_rocprim5par_tENS8_11use_defaultESE_EEEENSA_INSB_IiSD_SE_SE_EEEEZNS1_13binary_searchIS3_S5_NSA_INS8_10device_ptrIjEEEESG_SI_NS1_16binary_search_opENS9_16wrapped_functionINS8_6system6detail7generic6detail18binary_search_lessEbEEEE10hipError_tPvRmT1_T2_T3_mmT4_T5_P12ihipStream_tbEUlRKjE_EESV_SZ_S10_mS11_S14_bEUlT_E_NS1_11comp_targetILNS1_3genE2ELNS1_11target_archE906ELNS1_3gpuE6ELNS1_3repE0EEENS1_30default_config_static_selectorELNS0_4arch9wavefront6targetE1EEEvSY_
	.globl	_ZN7rocprim17ROCPRIM_400000_NS6detail17trampoline_kernelINS0_14default_configENS1_29binary_search_config_selectorIjiEEZNS1_14transform_implILb0ES3_S5_N6thrust23THRUST_200600_302600_NS6detail15normal_iteratorINS8_7pointerIjNS8_11hip_rocprim5par_tENS8_11use_defaultESE_EEEENSA_INSB_IiSD_SE_SE_EEEEZNS1_13binary_searchIS3_S5_NSA_INS8_10device_ptrIjEEEESG_SI_NS1_16binary_search_opENS9_16wrapped_functionINS8_6system6detail7generic6detail18binary_search_lessEbEEEE10hipError_tPvRmT1_T2_T3_mmT4_T5_P12ihipStream_tbEUlRKjE_EESV_SZ_S10_mS11_S14_bEUlT_E_NS1_11comp_targetILNS1_3genE2ELNS1_11target_archE906ELNS1_3gpuE6ELNS1_3repE0EEENS1_30default_config_static_selectorELNS0_4arch9wavefront6targetE1EEEvSY_
	.p2align	8
	.type	_ZN7rocprim17ROCPRIM_400000_NS6detail17trampoline_kernelINS0_14default_configENS1_29binary_search_config_selectorIjiEEZNS1_14transform_implILb0ES3_S5_N6thrust23THRUST_200600_302600_NS6detail15normal_iteratorINS8_7pointerIjNS8_11hip_rocprim5par_tENS8_11use_defaultESE_EEEENSA_INSB_IiSD_SE_SE_EEEEZNS1_13binary_searchIS3_S5_NSA_INS8_10device_ptrIjEEEESG_SI_NS1_16binary_search_opENS9_16wrapped_functionINS8_6system6detail7generic6detail18binary_search_lessEbEEEE10hipError_tPvRmT1_T2_T3_mmT4_T5_P12ihipStream_tbEUlRKjE_EESV_SZ_S10_mS11_S14_bEUlT_E_NS1_11comp_targetILNS1_3genE2ELNS1_11target_archE906ELNS1_3gpuE6ELNS1_3repE0EEENS1_30default_config_static_selectorELNS0_4arch9wavefront6targetE1EEEvSY_,@function
_ZN7rocprim17ROCPRIM_400000_NS6detail17trampoline_kernelINS0_14default_configENS1_29binary_search_config_selectorIjiEEZNS1_14transform_implILb0ES3_S5_N6thrust23THRUST_200600_302600_NS6detail15normal_iteratorINS8_7pointerIjNS8_11hip_rocprim5par_tENS8_11use_defaultESE_EEEENSA_INSB_IiSD_SE_SE_EEEEZNS1_13binary_searchIS3_S5_NSA_INS8_10device_ptrIjEEEESG_SI_NS1_16binary_search_opENS9_16wrapped_functionINS8_6system6detail7generic6detail18binary_search_lessEbEEEE10hipError_tPvRmT1_T2_T3_mmT4_T5_P12ihipStream_tbEUlRKjE_EESV_SZ_S10_mS11_S14_bEUlT_E_NS1_11comp_targetILNS1_3genE2ELNS1_11target_archE906ELNS1_3gpuE6ELNS1_3repE0EEENS1_30default_config_static_selectorELNS0_4arch9wavefront6targetE1EEEvSY_: ; @_ZN7rocprim17ROCPRIM_400000_NS6detail17trampoline_kernelINS0_14default_configENS1_29binary_search_config_selectorIjiEEZNS1_14transform_implILb0ES3_S5_N6thrust23THRUST_200600_302600_NS6detail15normal_iteratorINS8_7pointerIjNS8_11hip_rocprim5par_tENS8_11use_defaultESE_EEEENSA_INSB_IiSD_SE_SE_EEEEZNS1_13binary_searchIS3_S5_NSA_INS8_10device_ptrIjEEEESG_SI_NS1_16binary_search_opENS9_16wrapped_functionINS8_6system6detail7generic6detail18binary_search_lessEbEEEE10hipError_tPvRmT1_T2_T3_mmT4_T5_P12ihipStream_tbEUlRKjE_EESV_SZ_S10_mS11_S14_bEUlT_E_NS1_11comp_targetILNS1_3genE2ELNS1_11target_archE906ELNS1_3gpuE6ELNS1_3repE0EEENS1_30default_config_static_selectorELNS0_4arch9wavefront6targetE1EEEvSY_
; %bb.0:
	s_load_dwordx4 s[12:15], s[4:5], 0x0
	s_load_dwordx4 s[8:11], s[4:5], 0x18
	s_load_dwordx2 s[0:1], s[4:5], 0x28
	s_load_dword s7, s[4:5], 0x38
	s_waitcnt lgkmcnt(0)
	s_lshl_b64 s[2:3], s[14:15], 2
	s_add_u32 s18, s12, s2
	s_addc_u32 s19, s13, s3
	s_lshl_b32 s12, s6, 8
	s_add_i32 s7, s7, -1
	s_cmp_lg_u32 s6, s7
	s_mov_b32 s13, 0
	s_cbranch_scc0 .LBB675_6
; %bb.1:
	s_lshl_b64 s[6:7], s[12:13], 2
	s_add_u32 s6, s18, s6
	s_addc_u32 s7, s19, s7
	v_lshlrev_b32_e32 v1, 2, v0
	v_mov_b32_e32 v2, s7
	v_add_co_u32_e32 v1, vcc, s6, v1
	v_addc_co_u32_e32 v2, vcc, 0, v2, vcc
	flat_load_dword v6, v[1:2]
	v_mov_b32_e32 v2, 0
	v_mov_b32_e32 v1, 0
	s_cmp_eq_u64 s[0:1], 0
	s_mov_b64 s[6:7], 0
	v_mov_b32_e32 v3, 0
	s_cbranch_scc1 .LBB675_5
; %bb.2:
	v_mov_b32_e32 v5, s1
	v_mov_b32_e32 v4, s0
	;; [unrolled: 1-line block ×3, first 2 shown]
.LBB675_3:                              ; =>This Inner Loop Header: Depth=1
	v_sub_co_u32_e32 v8, vcc, v4, v2
	v_subb_co_u32_e32 v9, vcc, v5, v3, vcc
	v_lshrrev_b64 v[10:11], 1, v[8:9]
	v_lshrrev_b64 v[8:9], 6, v[8:9]
	v_add_co_u32_e32 v10, vcc, v10, v2
	v_addc_co_u32_e32 v11, vcc, v11, v3, vcc
	v_add_co_u32_e32 v8, vcc, v10, v8
	v_addc_co_u32_e32 v9, vcc, v11, v9, vcc
	v_lshlrev_b64 v[10:11], 2, v[8:9]
	v_add_co_u32_e32 v10, vcc, s10, v10
	v_addc_co_u32_e32 v11, vcc, v7, v11, vcc
	global_load_dword v10, v[10:11], off
	v_add_co_u32_e32 v11, vcc, 1, v8
	v_addc_co_u32_e32 v12, vcc, 0, v9, vcc
	s_waitcnt vmcnt(0) lgkmcnt(0)
	v_cmp_lt_u32_e32 vcc, v10, v6
	v_cndmask_b32_e32 v5, v9, v5, vcc
	v_cndmask_b32_e32 v4, v8, v4, vcc
	;; [unrolled: 1-line block ×4, first 2 shown]
	v_cmp_ge_u64_e32 vcc, v[2:3], v[4:5]
	s_or_b64 s[6:7], vcc, s[6:7]
	s_andn2_b64 exec, exec, s[6:7]
	s_cbranch_execnz .LBB675_3
; %bb.4:
	s_or_b64 exec, exec, s[6:7]
.LBB675_5:
	v_cmp_eq_u64_e64 s[6:7], s[0:1], v[2:3]
	v_cmp_ne_u64_e64 s[14:15], s[0:1], v[2:3]
	s_branch .LBB675_14
.LBB675_6:
	s_mov_b64 s[14:15], 0
	s_mov_b64 s[6:7], 0
                                        ; implicit-def: $vgpr6
                                        ; implicit-def: $vgpr2_vgpr3
	s_cbranch_execz .LBB675_14
; %bb.7:
	s_load_dword s4, s[4:5], 0x10
                                        ; implicit-def: $vgpr6
                                        ; implicit-def: $vgpr2_vgpr3
	s_waitcnt lgkmcnt(0)
	s_sub_i32 s4, s4, s12
	v_cmp_gt_u32_e32 vcc, s4, v0
	s_and_saveexec_b64 s[4:5], vcc
	s_cbranch_execz .LBB675_13
; %bb.8:
	s_lshl_b64 s[16:17], s[12:13], 2
	s_add_u32 s16, s18, s16
	s_addc_u32 s17, s19, s17
	v_lshlrev_b32_e32 v1, 2, v0
	v_mov_b32_e32 v2, s17
	v_add_co_u32_e32 v1, vcc, s16, v1
	v_addc_co_u32_e32 v2, vcc, 0, v2, vcc
	s_waitcnt vmcnt(0)
	flat_load_dword v6, v[1:2]
	v_mov_b32_e32 v2, 0
	v_mov_b32_e32 v1, 0
	s_cmp_eq_u64 s[0:1], 0
	s_mov_b64 s[16:17], 0
	v_mov_b32_e32 v3, 0
	s_cbranch_scc1 .LBB675_12
; %bb.9:
	v_mov_b32_e32 v5, s1
	v_mov_b32_e32 v4, s0
	;; [unrolled: 1-line block ×3, first 2 shown]
.LBB675_10:                             ; =>This Inner Loop Header: Depth=1
	v_sub_co_u32_e32 v8, vcc, v4, v2
	v_subb_co_u32_e32 v9, vcc, v5, v3, vcc
	v_lshrrev_b64 v[10:11], 1, v[8:9]
	v_lshrrev_b64 v[8:9], 6, v[8:9]
	v_add_co_u32_e32 v10, vcc, v10, v2
	v_addc_co_u32_e32 v11, vcc, v11, v3, vcc
	v_add_co_u32_e32 v8, vcc, v10, v8
	v_addc_co_u32_e32 v9, vcc, v11, v9, vcc
	v_lshlrev_b64 v[10:11], 2, v[8:9]
	v_add_co_u32_e32 v10, vcc, s10, v10
	v_addc_co_u32_e32 v11, vcc, v7, v11, vcc
	global_load_dword v10, v[10:11], off
	v_add_co_u32_e32 v11, vcc, 1, v8
	v_addc_co_u32_e32 v12, vcc, 0, v9, vcc
	s_waitcnt vmcnt(0) lgkmcnt(0)
	v_cmp_lt_u32_e32 vcc, v10, v6
	v_cndmask_b32_e32 v5, v9, v5, vcc
	v_cndmask_b32_e32 v4, v8, v4, vcc
	;; [unrolled: 1-line block ×4, first 2 shown]
	v_cmp_ge_u64_e32 vcc, v[2:3], v[4:5]
	s_or_b64 s[16:17], vcc, s[16:17]
	s_andn2_b64 exec, exec, s[16:17]
	s_cbranch_execnz .LBB675_10
; %bb.11:
	s_or_b64 exec, exec, s[16:17]
.LBB675_12:
	v_cmp_eq_u64_e32 vcc, s[0:1], v[2:3]
	v_cmp_ne_u64_e64 s[0:1], s[0:1], v[2:3]
	s_andn2_b64 s[6:7], s[6:7], exec
	s_and_b64 s[16:17], vcc, exec
	s_andn2_b64 s[14:15], s[14:15], exec
	s_and_b64 s[0:1], s[0:1], exec
	s_or_b64 s[6:7], s[6:7], s[16:17]
	s_or_b64 s[14:15], s[14:15], s[0:1]
.LBB675_13:
	s_or_b64 exec, exec, s[4:5]
.LBB675_14:
	v_mov_b32_e32 v4, 0
	s_and_saveexec_b64 s[0:1], s[14:15]
	s_cbranch_execnz .LBB675_17
; %bb.15:
	s_or_b64 exec, exec, s[0:1]
	s_and_saveexec_b64 s[0:1], s[6:7]
	s_cbranch_execnz .LBB675_18
.LBB675_16:
	s_endpgm
.LBB675_17:
	v_lshlrev_b64 v[2:3], 2, v[2:3]
	v_mov_b32_e32 v4, s11
	v_add_co_u32_e32 v2, vcc, s10, v2
	v_addc_co_u32_e32 v3, vcc, v4, v3, vcc
	global_load_dword v2, v[2:3], off
	s_or_b64 s[6:7], s[6:7], exec
	s_waitcnt vmcnt(0) lgkmcnt(0)
	v_cmp_ge_u32_e32 vcc, v6, v2
	v_cndmask_b32_e64 v4, 0, 1, vcc
	s_or_b64 exec, exec, s[0:1]
	s_and_saveexec_b64 s[0:1], s[6:7]
	s_cbranch_execz .LBB675_16
.LBB675_18:
	s_add_u32 s2, s8, s2
	s_addc_u32 s3, s9, s3
	s_lshl_b64 s[0:1], s[12:13], 2
	s_add_u32 s0, s2, s0
	v_lshlrev_b64 v[0:1], 2, v[0:1]
	s_addc_u32 s1, s3, s1
	v_mov_b32_e32 v2, s1
	v_add_co_u32_e32 v0, vcc, s0, v0
	v_addc_co_u32_e32 v1, vcc, v2, v1, vcc
	flat_store_dword v[0:1], v4
	s_endpgm
	.section	.rodata,"a",@progbits
	.p2align	6, 0x0
	.amdhsa_kernel _ZN7rocprim17ROCPRIM_400000_NS6detail17trampoline_kernelINS0_14default_configENS1_29binary_search_config_selectorIjiEEZNS1_14transform_implILb0ES3_S5_N6thrust23THRUST_200600_302600_NS6detail15normal_iteratorINS8_7pointerIjNS8_11hip_rocprim5par_tENS8_11use_defaultESE_EEEENSA_INSB_IiSD_SE_SE_EEEEZNS1_13binary_searchIS3_S5_NSA_INS8_10device_ptrIjEEEESG_SI_NS1_16binary_search_opENS9_16wrapped_functionINS8_6system6detail7generic6detail18binary_search_lessEbEEEE10hipError_tPvRmT1_T2_T3_mmT4_T5_P12ihipStream_tbEUlRKjE_EESV_SZ_S10_mS11_S14_bEUlT_E_NS1_11comp_targetILNS1_3genE2ELNS1_11target_archE906ELNS1_3gpuE6ELNS1_3repE0EEENS1_30default_config_static_selectorELNS0_4arch9wavefront6targetE1EEEvSY_
		.amdhsa_group_segment_fixed_size 0
		.amdhsa_private_segment_fixed_size 0
		.amdhsa_kernarg_size 312
		.amdhsa_user_sgpr_count 6
		.amdhsa_user_sgpr_private_segment_buffer 1
		.amdhsa_user_sgpr_dispatch_ptr 0
		.amdhsa_user_sgpr_queue_ptr 0
		.amdhsa_user_sgpr_kernarg_segment_ptr 1
		.amdhsa_user_sgpr_dispatch_id 0
		.amdhsa_user_sgpr_flat_scratch_init 0
		.amdhsa_user_sgpr_private_segment_size 0
		.amdhsa_uses_dynamic_stack 0
		.amdhsa_system_sgpr_private_segment_wavefront_offset 0
		.amdhsa_system_sgpr_workgroup_id_x 1
		.amdhsa_system_sgpr_workgroup_id_y 0
		.amdhsa_system_sgpr_workgroup_id_z 0
		.amdhsa_system_sgpr_workgroup_info 0
		.amdhsa_system_vgpr_workitem_id 0
		.amdhsa_next_free_vgpr 13
		.amdhsa_next_free_sgpr 20
		.amdhsa_reserve_vcc 1
		.amdhsa_reserve_flat_scratch 0
		.amdhsa_float_round_mode_32 0
		.amdhsa_float_round_mode_16_64 0
		.amdhsa_float_denorm_mode_32 3
		.amdhsa_float_denorm_mode_16_64 3
		.amdhsa_dx10_clamp 1
		.amdhsa_ieee_mode 1
		.amdhsa_fp16_overflow 0
		.amdhsa_exception_fp_ieee_invalid_op 0
		.amdhsa_exception_fp_denorm_src 0
		.amdhsa_exception_fp_ieee_div_zero 0
		.amdhsa_exception_fp_ieee_overflow 0
		.amdhsa_exception_fp_ieee_underflow 0
		.amdhsa_exception_fp_ieee_inexact 0
		.amdhsa_exception_int_div_zero 0
	.end_amdhsa_kernel
	.section	.text._ZN7rocprim17ROCPRIM_400000_NS6detail17trampoline_kernelINS0_14default_configENS1_29binary_search_config_selectorIjiEEZNS1_14transform_implILb0ES3_S5_N6thrust23THRUST_200600_302600_NS6detail15normal_iteratorINS8_7pointerIjNS8_11hip_rocprim5par_tENS8_11use_defaultESE_EEEENSA_INSB_IiSD_SE_SE_EEEEZNS1_13binary_searchIS3_S5_NSA_INS8_10device_ptrIjEEEESG_SI_NS1_16binary_search_opENS9_16wrapped_functionINS8_6system6detail7generic6detail18binary_search_lessEbEEEE10hipError_tPvRmT1_T2_T3_mmT4_T5_P12ihipStream_tbEUlRKjE_EESV_SZ_S10_mS11_S14_bEUlT_E_NS1_11comp_targetILNS1_3genE2ELNS1_11target_archE906ELNS1_3gpuE6ELNS1_3repE0EEENS1_30default_config_static_selectorELNS0_4arch9wavefront6targetE1EEEvSY_,"axG",@progbits,_ZN7rocprim17ROCPRIM_400000_NS6detail17trampoline_kernelINS0_14default_configENS1_29binary_search_config_selectorIjiEEZNS1_14transform_implILb0ES3_S5_N6thrust23THRUST_200600_302600_NS6detail15normal_iteratorINS8_7pointerIjNS8_11hip_rocprim5par_tENS8_11use_defaultESE_EEEENSA_INSB_IiSD_SE_SE_EEEEZNS1_13binary_searchIS3_S5_NSA_INS8_10device_ptrIjEEEESG_SI_NS1_16binary_search_opENS9_16wrapped_functionINS8_6system6detail7generic6detail18binary_search_lessEbEEEE10hipError_tPvRmT1_T2_T3_mmT4_T5_P12ihipStream_tbEUlRKjE_EESV_SZ_S10_mS11_S14_bEUlT_E_NS1_11comp_targetILNS1_3genE2ELNS1_11target_archE906ELNS1_3gpuE6ELNS1_3repE0EEENS1_30default_config_static_selectorELNS0_4arch9wavefront6targetE1EEEvSY_,comdat
.Lfunc_end675:
	.size	_ZN7rocprim17ROCPRIM_400000_NS6detail17trampoline_kernelINS0_14default_configENS1_29binary_search_config_selectorIjiEEZNS1_14transform_implILb0ES3_S5_N6thrust23THRUST_200600_302600_NS6detail15normal_iteratorINS8_7pointerIjNS8_11hip_rocprim5par_tENS8_11use_defaultESE_EEEENSA_INSB_IiSD_SE_SE_EEEEZNS1_13binary_searchIS3_S5_NSA_INS8_10device_ptrIjEEEESG_SI_NS1_16binary_search_opENS9_16wrapped_functionINS8_6system6detail7generic6detail18binary_search_lessEbEEEE10hipError_tPvRmT1_T2_T3_mmT4_T5_P12ihipStream_tbEUlRKjE_EESV_SZ_S10_mS11_S14_bEUlT_E_NS1_11comp_targetILNS1_3genE2ELNS1_11target_archE906ELNS1_3gpuE6ELNS1_3repE0EEENS1_30default_config_static_selectorELNS0_4arch9wavefront6targetE1EEEvSY_, .Lfunc_end675-_ZN7rocprim17ROCPRIM_400000_NS6detail17trampoline_kernelINS0_14default_configENS1_29binary_search_config_selectorIjiEEZNS1_14transform_implILb0ES3_S5_N6thrust23THRUST_200600_302600_NS6detail15normal_iteratorINS8_7pointerIjNS8_11hip_rocprim5par_tENS8_11use_defaultESE_EEEENSA_INSB_IiSD_SE_SE_EEEEZNS1_13binary_searchIS3_S5_NSA_INS8_10device_ptrIjEEEESG_SI_NS1_16binary_search_opENS9_16wrapped_functionINS8_6system6detail7generic6detail18binary_search_lessEbEEEE10hipError_tPvRmT1_T2_T3_mmT4_T5_P12ihipStream_tbEUlRKjE_EESV_SZ_S10_mS11_S14_bEUlT_E_NS1_11comp_targetILNS1_3genE2ELNS1_11target_archE906ELNS1_3gpuE6ELNS1_3repE0EEENS1_30default_config_static_selectorELNS0_4arch9wavefront6targetE1EEEvSY_
                                        ; -- End function
	.set _ZN7rocprim17ROCPRIM_400000_NS6detail17trampoline_kernelINS0_14default_configENS1_29binary_search_config_selectorIjiEEZNS1_14transform_implILb0ES3_S5_N6thrust23THRUST_200600_302600_NS6detail15normal_iteratorINS8_7pointerIjNS8_11hip_rocprim5par_tENS8_11use_defaultESE_EEEENSA_INSB_IiSD_SE_SE_EEEEZNS1_13binary_searchIS3_S5_NSA_INS8_10device_ptrIjEEEESG_SI_NS1_16binary_search_opENS9_16wrapped_functionINS8_6system6detail7generic6detail18binary_search_lessEbEEEE10hipError_tPvRmT1_T2_T3_mmT4_T5_P12ihipStream_tbEUlRKjE_EESV_SZ_S10_mS11_S14_bEUlT_E_NS1_11comp_targetILNS1_3genE2ELNS1_11target_archE906ELNS1_3gpuE6ELNS1_3repE0EEENS1_30default_config_static_selectorELNS0_4arch9wavefront6targetE1EEEvSY_.num_vgpr, 13
	.set _ZN7rocprim17ROCPRIM_400000_NS6detail17trampoline_kernelINS0_14default_configENS1_29binary_search_config_selectorIjiEEZNS1_14transform_implILb0ES3_S5_N6thrust23THRUST_200600_302600_NS6detail15normal_iteratorINS8_7pointerIjNS8_11hip_rocprim5par_tENS8_11use_defaultESE_EEEENSA_INSB_IiSD_SE_SE_EEEEZNS1_13binary_searchIS3_S5_NSA_INS8_10device_ptrIjEEEESG_SI_NS1_16binary_search_opENS9_16wrapped_functionINS8_6system6detail7generic6detail18binary_search_lessEbEEEE10hipError_tPvRmT1_T2_T3_mmT4_T5_P12ihipStream_tbEUlRKjE_EESV_SZ_S10_mS11_S14_bEUlT_E_NS1_11comp_targetILNS1_3genE2ELNS1_11target_archE906ELNS1_3gpuE6ELNS1_3repE0EEENS1_30default_config_static_selectorELNS0_4arch9wavefront6targetE1EEEvSY_.num_agpr, 0
	.set _ZN7rocprim17ROCPRIM_400000_NS6detail17trampoline_kernelINS0_14default_configENS1_29binary_search_config_selectorIjiEEZNS1_14transform_implILb0ES3_S5_N6thrust23THRUST_200600_302600_NS6detail15normal_iteratorINS8_7pointerIjNS8_11hip_rocprim5par_tENS8_11use_defaultESE_EEEENSA_INSB_IiSD_SE_SE_EEEEZNS1_13binary_searchIS3_S5_NSA_INS8_10device_ptrIjEEEESG_SI_NS1_16binary_search_opENS9_16wrapped_functionINS8_6system6detail7generic6detail18binary_search_lessEbEEEE10hipError_tPvRmT1_T2_T3_mmT4_T5_P12ihipStream_tbEUlRKjE_EESV_SZ_S10_mS11_S14_bEUlT_E_NS1_11comp_targetILNS1_3genE2ELNS1_11target_archE906ELNS1_3gpuE6ELNS1_3repE0EEENS1_30default_config_static_selectorELNS0_4arch9wavefront6targetE1EEEvSY_.numbered_sgpr, 20
	.set _ZN7rocprim17ROCPRIM_400000_NS6detail17trampoline_kernelINS0_14default_configENS1_29binary_search_config_selectorIjiEEZNS1_14transform_implILb0ES3_S5_N6thrust23THRUST_200600_302600_NS6detail15normal_iteratorINS8_7pointerIjNS8_11hip_rocprim5par_tENS8_11use_defaultESE_EEEENSA_INSB_IiSD_SE_SE_EEEEZNS1_13binary_searchIS3_S5_NSA_INS8_10device_ptrIjEEEESG_SI_NS1_16binary_search_opENS9_16wrapped_functionINS8_6system6detail7generic6detail18binary_search_lessEbEEEE10hipError_tPvRmT1_T2_T3_mmT4_T5_P12ihipStream_tbEUlRKjE_EESV_SZ_S10_mS11_S14_bEUlT_E_NS1_11comp_targetILNS1_3genE2ELNS1_11target_archE906ELNS1_3gpuE6ELNS1_3repE0EEENS1_30default_config_static_selectorELNS0_4arch9wavefront6targetE1EEEvSY_.num_named_barrier, 0
	.set _ZN7rocprim17ROCPRIM_400000_NS6detail17trampoline_kernelINS0_14default_configENS1_29binary_search_config_selectorIjiEEZNS1_14transform_implILb0ES3_S5_N6thrust23THRUST_200600_302600_NS6detail15normal_iteratorINS8_7pointerIjNS8_11hip_rocprim5par_tENS8_11use_defaultESE_EEEENSA_INSB_IiSD_SE_SE_EEEEZNS1_13binary_searchIS3_S5_NSA_INS8_10device_ptrIjEEEESG_SI_NS1_16binary_search_opENS9_16wrapped_functionINS8_6system6detail7generic6detail18binary_search_lessEbEEEE10hipError_tPvRmT1_T2_T3_mmT4_T5_P12ihipStream_tbEUlRKjE_EESV_SZ_S10_mS11_S14_bEUlT_E_NS1_11comp_targetILNS1_3genE2ELNS1_11target_archE906ELNS1_3gpuE6ELNS1_3repE0EEENS1_30default_config_static_selectorELNS0_4arch9wavefront6targetE1EEEvSY_.private_seg_size, 0
	.set _ZN7rocprim17ROCPRIM_400000_NS6detail17trampoline_kernelINS0_14default_configENS1_29binary_search_config_selectorIjiEEZNS1_14transform_implILb0ES3_S5_N6thrust23THRUST_200600_302600_NS6detail15normal_iteratorINS8_7pointerIjNS8_11hip_rocprim5par_tENS8_11use_defaultESE_EEEENSA_INSB_IiSD_SE_SE_EEEEZNS1_13binary_searchIS3_S5_NSA_INS8_10device_ptrIjEEEESG_SI_NS1_16binary_search_opENS9_16wrapped_functionINS8_6system6detail7generic6detail18binary_search_lessEbEEEE10hipError_tPvRmT1_T2_T3_mmT4_T5_P12ihipStream_tbEUlRKjE_EESV_SZ_S10_mS11_S14_bEUlT_E_NS1_11comp_targetILNS1_3genE2ELNS1_11target_archE906ELNS1_3gpuE6ELNS1_3repE0EEENS1_30default_config_static_selectorELNS0_4arch9wavefront6targetE1EEEvSY_.uses_vcc, 1
	.set _ZN7rocprim17ROCPRIM_400000_NS6detail17trampoline_kernelINS0_14default_configENS1_29binary_search_config_selectorIjiEEZNS1_14transform_implILb0ES3_S5_N6thrust23THRUST_200600_302600_NS6detail15normal_iteratorINS8_7pointerIjNS8_11hip_rocprim5par_tENS8_11use_defaultESE_EEEENSA_INSB_IiSD_SE_SE_EEEEZNS1_13binary_searchIS3_S5_NSA_INS8_10device_ptrIjEEEESG_SI_NS1_16binary_search_opENS9_16wrapped_functionINS8_6system6detail7generic6detail18binary_search_lessEbEEEE10hipError_tPvRmT1_T2_T3_mmT4_T5_P12ihipStream_tbEUlRKjE_EESV_SZ_S10_mS11_S14_bEUlT_E_NS1_11comp_targetILNS1_3genE2ELNS1_11target_archE906ELNS1_3gpuE6ELNS1_3repE0EEENS1_30default_config_static_selectorELNS0_4arch9wavefront6targetE1EEEvSY_.uses_flat_scratch, 0
	.set _ZN7rocprim17ROCPRIM_400000_NS6detail17trampoline_kernelINS0_14default_configENS1_29binary_search_config_selectorIjiEEZNS1_14transform_implILb0ES3_S5_N6thrust23THRUST_200600_302600_NS6detail15normal_iteratorINS8_7pointerIjNS8_11hip_rocprim5par_tENS8_11use_defaultESE_EEEENSA_INSB_IiSD_SE_SE_EEEEZNS1_13binary_searchIS3_S5_NSA_INS8_10device_ptrIjEEEESG_SI_NS1_16binary_search_opENS9_16wrapped_functionINS8_6system6detail7generic6detail18binary_search_lessEbEEEE10hipError_tPvRmT1_T2_T3_mmT4_T5_P12ihipStream_tbEUlRKjE_EESV_SZ_S10_mS11_S14_bEUlT_E_NS1_11comp_targetILNS1_3genE2ELNS1_11target_archE906ELNS1_3gpuE6ELNS1_3repE0EEENS1_30default_config_static_selectorELNS0_4arch9wavefront6targetE1EEEvSY_.has_dyn_sized_stack, 0
	.set _ZN7rocprim17ROCPRIM_400000_NS6detail17trampoline_kernelINS0_14default_configENS1_29binary_search_config_selectorIjiEEZNS1_14transform_implILb0ES3_S5_N6thrust23THRUST_200600_302600_NS6detail15normal_iteratorINS8_7pointerIjNS8_11hip_rocprim5par_tENS8_11use_defaultESE_EEEENSA_INSB_IiSD_SE_SE_EEEEZNS1_13binary_searchIS3_S5_NSA_INS8_10device_ptrIjEEEESG_SI_NS1_16binary_search_opENS9_16wrapped_functionINS8_6system6detail7generic6detail18binary_search_lessEbEEEE10hipError_tPvRmT1_T2_T3_mmT4_T5_P12ihipStream_tbEUlRKjE_EESV_SZ_S10_mS11_S14_bEUlT_E_NS1_11comp_targetILNS1_3genE2ELNS1_11target_archE906ELNS1_3gpuE6ELNS1_3repE0EEENS1_30default_config_static_selectorELNS0_4arch9wavefront6targetE1EEEvSY_.has_recursion, 0
	.set _ZN7rocprim17ROCPRIM_400000_NS6detail17trampoline_kernelINS0_14default_configENS1_29binary_search_config_selectorIjiEEZNS1_14transform_implILb0ES3_S5_N6thrust23THRUST_200600_302600_NS6detail15normal_iteratorINS8_7pointerIjNS8_11hip_rocprim5par_tENS8_11use_defaultESE_EEEENSA_INSB_IiSD_SE_SE_EEEEZNS1_13binary_searchIS3_S5_NSA_INS8_10device_ptrIjEEEESG_SI_NS1_16binary_search_opENS9_16wrapped_functionINS8_6system6detail7generic6detail18binary_search_lessEbEEEE10hipError_tPvRmT1_T2_T3_mmT4_T5_P12ihipStream_tbEUlRKjE_EESV_SZ_S10_mS11_S14_bEUlT_E_NS1_11comp_targetILNS1_3genE2ELNS1_11target_archE906ELNS1_3gpuE6ELNS1_3repE0EEENS1_30default_config_static_selectorELNS0_4arch9wavefront6targetE1EEEvSY_.has_indirect_call, 0
	.section	.AMDGPU.csdata,"",@progbits
; Kernel info:
; codeLenInByte = 688
; TotalNumSgprs: 24
; NumVgprs: 13
; ScratchSize: 0
; MemoryBound: 0
; FloatMode: 240
; IeeeMode: 1
; LDSByteSize: 0 bytes/workgroup (compile time only)
; SGPRBlocks: 2
; VGPRBlocks: 3
; NumSGPRsForWavesPerEU: 24
; NumVGPRsForWavesPerEU: 13
; Occupancy: 10
; WaveLimiterHint : 0
; COMPUTE_PGM_RSRC2:SCRATCH_EN: 0
; COMPUTE_PGM_RSRC2:USER_SGPR: 6
; COMPUTE_PGM_RSRC2:TRAP_HANDLER: 0
; COMPUTE_PGM_RSRC2:TGID_X_EN: 1
; COMPUTE_PGM_RSRC2:TGID_Y_EN: 0
; COMPUTE_PGM_RSRC2:TGID_Z_EN: 0
; COMPUTE_PGM_RSRC2:TIDIG_COMP_CNT: 0
	.section	.text._ZN7rocprim17ROCPRIM_400000_NS6detail17trampoline_kernelINS0_14default_configENS1_29binary_search_config_selectorIjiEEZNS1_14transform_implILb0ES3_S5_N6thrust23THRUST_200600_302600_NS6detail15normal_iteratorINS8_7pointerIjNS8_11hip_rocprim5par_tENS8_11use_defaultESE_EEEENSA_INSB_IiSD_SE_SE_EEEEZNS1_13binary_searchIS3_S5_NSA_INS8_10device_ptrIjEEEESG_SI_NS1_16binary_search_opENS9_16wrapped_functionINS8_6system6detail7generic6detail18binary_search_lessEbEEEE10hipError_tPvRmT1_T2_T3_mmT4_T5_P12ihipStream_tbEUlRKjE_EESV_SZ_S10_mS11_S14_bEUlT_E_NS1_11comp_targetILNS1_3genE10ELNS1_11target_archE1201ELNS1_3gpuE5ELNS1_3repE0EEENS1_30default_config_static_selectorELNS0_4arch9wavefront6targetE1EEEvSY_,"axG",@progbits,_ZN7rocprim17ROCPRIM_400000_NS6detail17trampoline_kernelINS0_14default_configENS1_29binary_search_config_selectorIjiEEZNS1_14transform_implILb0ES3_S5_N6thrust23THRUST_200600_302600_NS6detail15normal_iteratorINS8_7pointerIjNS8_11hip_rocprim5par_tENS8_11use_defaultESE_EEEENSA_INSB_IiSD_SE_SE_EEEEZNS1_13binary_searchIS3_S5_NSA_INS8_10device_ptrIjEEEESG_SI_NS1_16binary_search_opENS9_16wrapped_functionINS8_6system6detail7generic6detail18binary_search_lessEbEEEE10hipError_tPvRmT1_T2_T3_mmT4_T5_P12ihipStream_tbEUlRKjE_EESV_SZ_S10_mS11_S14_bEUlT_E_NS1_11comp_targetILNS1_3genE10ELNS1_11target_archE1201ELNS1_3gpuE5ELNS1_3repE0EEENS1_30default_config_static_selectorELNS0_4arch9wavefront6targetE1EEEvSY_,comdat
	.protected	_ZN7rocprim17ROCPRIM_400000_NS6detail17trampoline_kernelINS0_14default_configENS1_29binary_search_config_selectorIjiEEZNS1_14transform_implILb0ES3_S5_N6thrust23THRUST_200600_302600_NS6detail15normal_iteratorINS8_7pointerIjNS8_11hip_rocprim5par_tENS8_11use_defaultESE_EEEENSA_INSB_IiSD_SE_SE_EEEEZNS1_13binary_searchIS3_S5_NSA_INS8_10device_ptrIjEEEESG_SI_NS1_16binary_search_opENS9_16wrapped_functionINS8_6system6detail7generic6detail18binary_search_lessEbEEEE10hipError_tPvRmT1_T2_T3_mmT4_T5_P12ihipStream_tbEUlRKjE_EESV_SZ_S10_mS11_S14_bEUlT_E_NS1_11comp_targetILNS1_3genE10ELNS1_11target_archE1201ELNS1_3gpuE5ELNS1_3repE0EEENS1_30default_config_static_selectorELNS0_4arch9wavefront6targetE1EEEvSY_ ; -- Begin function _ZN7rocprim17ROCPRIM_400000_NS6detail17trampoline_kernelINS0_14default_configENS1_29binary_search_config_selectorIjiEEZNS1_14transform_implILb0ES3_S5_N6thrust23THRUST_200600_302600_NS6detail15normal_iteratorINS8_7pointerIjNS8_11hip_rocprim5par_tENS8_11use_defaultESE_EEEENSA_INSB_IiSD_SE_SE_EEEEZNS1_13binary_searchIS3_S5_NSA_INS8_10device_ptrIjEEEESG_SI_NS1_16binary_search_opENS9_16wrapped_functionINS8_6system6detail7generic6detail18binary_search_lessEbEEEE10hipError_tPvRmT1_T2_T3_mmT4_T5_P12ihipStream_tbEUlRKjE_EESV_SZ_S10_mS11_S14_bEUlT_E_NS1_11comp_targetILNS1_3genE10ELNS1_11target_archE1201ELNS1_3gpuE5ELNS1_3repE0EEENS1_30default_config_static_selectorELNS0_4arch9wavefront6targetE1EEEvSY_
	.globl	_ZN7rocprim17ROCPRIM_400000_NS6detail17trampoline_kernelINS0_14default_configENS1_29binary_search_config_selectorIjiEEZNS1_14transform_implILb0ES3_S5_N6thrust23THRUST_200600_302600_NS6detail15normal_iteratorINS8_7pointerIjNS8_11hip_rocprim5par_tENS8_11use_defaultESE_EEEENSA_INSB_IiSD_SE_SE_EEEEZNS1_13binary_searchIS3_S5_NSA_INS8_10device_ptrIjEEEESG_SI_NS1_16binary_search_opENS9_16wrapped_functionINS8_6system6detail7generic6detail18binary_search_lessEbEEEE10hipError_tPvRmT1_T2_T3_mmT4_T5_P12ihipStream_tbEUlRKjE_EESV_SZ_S10_mS11_S14_bEUlT_E_NS1_11comp_targetILNS1_3genE10ELNS1_11target_archE1201ELNS1_3gpuE5ELNS1_3repE0EEENS1_30default_config_static_selectorELNS0_4arch9wavefront6targetE1EEEvSY_
	.p2align	8
	.type	_ZN7rocprim17ROCPRIM_400000_NS6detail17trampoline_kernelINS0_14default_configENS1_29binary_search_config_selectorIjiEEZNS1_14transform_implILb0ES3_S5_N6thrust23THRUST_200600_302600_NS6detail15normal_iteratorINS8_7pointerIjNS8_11hip_rocprim5par_tENS8_11use_defaultESE_EEEENSA_INSB_IiSD_SE_SE_EEEEZNS1_13binary_searchIS3_S5_NSA_INS8_10device_ptrIjEEEESG_SI_NS1_16binary_search_opENS9_16wrapped_functionINS8_6system6detail7generic6detail18binary_search_lessEbEEEE10hipError_tPvRmT1_T2_T3_mmT4_T5_P12ihipStream_tbEUlRKjE_EESV_SZ_S10_mS11_S14_bEUlT_E_NS1_11comp_targetILNS1_3genE10ELNS1_11target_archE1201ELNS1_3gpuE5ELNS1_3repE0EEENS1_30default_config_static_selectorELNS0_4arch9wavefront6targetE1EEEvSY_,@function
_ZN7rocprim17ROCPRIM_400000_NS6detail17trampoline_kernelINS0_14default_configENS1_29binary_search_config_selectorIjiEEZNS1_14transform_implILb0ES3_S5_N6thrust23THRUST_200600_302600_NS6detail15normal_iteratorINS8_7pointerIjNS8_11hip_rocprim5par_tENS8_11use_defaultESE_EEEENSA_INSB_IiSD_SE_SE_EEEEZNS1_13binary_searchIS3_S5_NSA_INS8_10device_ptrIjEEEESG_SI_NS1_16binary_search_opENS9_16wrapped_functionINS8_6system6detail7generic6detail18binary_search_lessEbEEEE10hipError_tPvRmT1_T2_T3_mmT4_T5_P12ihipStream_tbEUlRKjE_EESV_SZ_S10_mS11_S14_bEUlT_E_NS1_11comp_targetILNS1_3genE10ELNS1_11target_archE1201ELNS1_3gpuE5ELNS1_3repE0EEENS1_30default_config_static_selectorELNS0_4arch9wavefront6targetE1EEEvSY_: ; @_ZN7rocprim17ROCPRIM_400000_NS6detail17trampoline_kernelINS0_14default_configENS1_29binary_search_config_selectorIjiEEZNS1_14transform_implILb0ES3_S5_N6thrust23THRUST_200600_302600_NS6detail15normal_iteratorINS8_7pointerIjNS8_11hip_rocprim5par_tENS8_11use_defaultESE_EEEENSA_INSB_IiSD_SE_SE_EEEEZNS1_13binary_searchIS3_S5_NSA_INS8_10device_ptrIjEEEESG_SI_NS1_16binary_search_opENS9_16wrapped_functionINS8_6system6detail7generic6detail18binary_search_lessEbEEEE10hipError_tPvRmT1_T2_T3_mmT4_T5_P12ihipStream_tbEUlRKjE_EESV_SZ_S10_mS11_S14_bEUlT_E_NS1_11comp_targetILNS1_3genE10ELNS1_11target_archE1201ELNS1_3gpuE5ELNS1_3repE0EEENS1_30default_config_static_selectorELNS0_4arch9wavefront6targetE1EEEvSY_
; %bb.0:
	.section	.rodata,"a",@progbits
	.p2align	6, 0x0
	.amdhsa_kernel _ZN7rocprim17ROCPRIM_400000_NS6detail17trampoline_kernelINS0_14default_configENS1_29binary_search_config_selectorIjiEEZNS1_14transform_implILb0ES3_S5_N6thrust23THRUST_200600_302600_NS6detail15normal_iteratorINS8_7pointerIjNS8_11hip_rocprim5par_tENS8_11use_defaultESE_EEEENSA_INSB_IiSD_SE_SE_EEEEZNS1_13binary_searchIS3_S5_NSA_INS8_10device_ptrIjEEEESG_SI_NS1_16binary_search_opENS9_16wrapped_functionINS8_6system6detail7generic6detail18binary_search_lessEbEEEE10hipError_tPvRmT1_T2_T3_mmT4_T5_P12ihipStream_tbEUlRKjE_EESV_SZ_S10_mS11_S14_bEUlT_E_NS1_11comp_targetILNS1_3genE10ELNS1_11target_archE1201ELNS1_3gpuE5ELNS1_3repE0EEENS1_30default_config_static_selectorELNS0_4arch9wavefront6targetE1EEEvSY_
		.amdhsa_group_segment_fixed_size 0
		.amdhsa_private_segment_fixed_size 0
		.amdhsa_kernarg_size 56
		.amdhsa_user_sgpr_count 6
		.amdhsa_user_sgpr_private_segment_buffer 1
		.amdhsa_user_sgpr_dispatch_ptr 0
		.amdhsa_user_sgpr_queue_ptr 0
		.amdhsa_user_sgpr_kernarg_segment_ptr 1
		.amdhsa_user_sgpr_dispatch_id 0
		.amdhsa_user_sgpr_flat_scratch_init 0
		.amdhsa_user_sgpr_private_segment_size 0
		.amdhsa_uses_dynamic_stack 0
		.amdhsa_system_sgpr_private_segment_wavefront_offset 0
		.amdhsa_system_sgpr_workgroup_id_x 1
		.amdhsa_system_sgpr_workgroup_id_y 0
		.amdhsa_system_sgpr_workgroup_id_z 0
		.amdhsa_system_sgpr_workgroup_info 0
		.amdhsa_system_vgpr_workitem_id 0
		.amdhsa_next_free_vgpr 1
		.amdhsa_next_free_sgpr 0
		.amdhsa_reserve_vcc 0
		.amdhsa_reserve_flat_scratch 0
		.amdhsa_float_round_mode_32 0
		.amdhsa_float_round_mode_16_64 0
		.amdhsa_float_denorm_mode_32 3
		.amdhsa_float_denorm_mode_16_64 3
		.amdhsa_dx10_clamp 1
		.amdhsa_ieee_mode 1
		.amdhsa_fp16_overflow 0
		.amdhsa_exception_fp_ieee_invalid_op 0
		.amdhsa_exception_fp_denorm_src 0
		.amdhsa_exception_fp_ieee_div_zero 0
		.amdhsa_exception_fp_ieee_overflow 0
		.amdhsa_exception_fp_ieee_underflow 0
		.amdhsa_exception_fp_ieee_inexact 0
		.amdhsa_exception_int_div_zero 0
	.end_amdhsa_kernel
	.section	.text._ZN7rocprim17ROCPRIM_400000_NS6detail17trampoline_kernelINS0_14default_configENS1_29binary_search_config_selectorIjiEEZNS1_14transform_implILb0ES3_S5_N6thrust23THRUST_200600_302600_NS6detail15normal_iteratorINS8_7pointerIjNS8_11hip_rocprim5par_tENS8_11use_defaultESE_EEEENSA_INSB_IiSD_SE_SE_EEEEZNS1_13binary_searchIS3_S5_NSA_INS8_10device_ptrIjEEEESG_SI_NS1_16binary_search_opENS9_16wrapped_functionINS8_6system6detail7generic6detail18binary_search_lessEbEEEE10hipError_tPvRmT1_T2_T3_mmT4_T5_P12ihipStream_tbEUlRKjE_EESV_SZ_S10_mS11_S14_bEUlT_E_NS1_11comp_targetILNS1_3genE10ELNS1_11target_archE1201ELNS1_3gpuE5ELNS1_3repE0EEENS1_30default_config_static_selectorELNS0_4arch9wavefront6targetE1EEEvSY_,"axG",@progbits,_ZN7rocprim17ROCPRIM_400000_NS6detail17trampoline_kernelINS0_14default_configENS1_29binary_search_config_selectorIjiEEZNS1_14transform_implILb0ES3_S5_N6thrust23THRUST_200600_302600_NS6detail15normal_iteratorINS8_7pointerIjNS8_11hip_rocprim5par_tENS8_11use_defaultESE_EEEENSA_INSB_IiSD_SE_SE_EEEEZNS1_13binary_searchIS3_S5_NSA_INS8_10device_ptrIjEEEESG_SI_NS1_16binary_search_opENS9_16wrapped_functionINS8_6system6detail7generic6detail18binary_search_lessEbEEEE10hipError_tPvRmT1_T2_T3_mmT4_T5_P12ihipStream_tbEUlRKjE_EESV_SZ_S10_mS11_S14_bEUlT_E_NS1_11comp_targetILNS1_3genE10ELNS1_11target_archE1201ELNS1_3gpuE5ELNS1_3repE0EEENS1_30default_config_static_selectorELNS0_4arch9wavefront6targetE1EEEvSY_,comdat
.Lfunc_end676:
	.size	_ZN7rocprim17ROCPRIM_400000_NS6detail17trampoline_kernelINS0_14default_configENS1_29binary_search_config_selectorIjiEEZNS1_14transform_implILb0ES3_S5_N6thrust23THRUST_200600_302600_NS6detail15normal_iteratorINS8_7pointerIjNS8_11hip_rocprim5par_tENS8_11use_defaultESE_EEEENSA_INSB_IiSD_SE_SE_EEEEZNS1_13binary_searchIS3_S5_NSA_INS8_10device_ptrIjEEEESG_SI_NS1_16binary_search_opENS9_16wrapped_functionINS8_6system6detail7generic6detail18binary_search_lessEbEEEE10hipError_tPvRmT1_T2_T3_mmT4_T5_P12ihipStream_tbEUlRKjE_EESV_SZ_S10_mS11_S14_bEUlT_E_NS1_11comp_targetILNS1_3genE10ELNS1_11target_archE1201ELNS1_3gpuE5ELNS1_3repE0EEENS1_30default_config_static_selectorELNS0_4arch9wavefront6targetE1EEEvSY_, .Lfunc_end676-_ZN7rocprim17ROCPRIM_400000_NS6detail17trampoline_kernelINS0_14default_configENS1_29binary_search_config_selectorIjiEEZNS1_14transform_implILb0ES3_S5_N6thrust23THRUST_200600_302600_NS6detail15normal_iteratorINS8_7pointerIjNS8_11hip_rocprim5par_tENS8_11use_defaultESE_EEEENSA_INSB_IiSD_SE_SE_EEEEZNS1_13binary_searchIS3_S5_NSA_INS8_10device_ptrIjEEEESG_SI_NS1_16binary_search_opENS9_16wrapped_functionINS8_6system6detail7generic6detail18binary_search_lessEbEEEE10hipError_tPvRmT1_T2_T3_mmT4_T5_P12ihipStream_tbEUlRKjE_EESV_SZ_S10_mS11_S14_bEUlT_E_NS1_11comp_targetILNS1_3genE10ELNS1_11target_archE1201ELNS1_3gpuE5ELNS1_3repE0EEENS1_30default_config_static_selectorELNS0_4arch9wavefront6targetE1EEEvSY_
                                        ; -- End function
	.set _ZN7rocprim17ROCPRIM_400000_NS6detail17trampoline_kernelINS0_14default_configENS1_29binary_search_config_selectorIjiEEZNS1_14transform_implILb0ES3_S5_N6thrust23THRUST_200600_302600_NS6detail15normal_iteratorINS8_7pointerIjNS8_11hip_rocprim5par_tENS8_11use_defaultESE_EEEENSA_INSB_IiSD_SE_SE_EEEEZNS1_13binary_searchIS3_S5_NSA_INS8_10device_ptrIjEEEESG_SI_NS1_16binary_search_opENS9_16wrapped_functionINS8_6system6detail7generic6detail18binary_search_lessEbEEEE10hipError_tPvRmT1_T2_T3_mmT4_T5_P12ihipStream_tbEUlRKjE_EESV_SZ_S10_mS11_S14_bEUlT_E_NS1_11comp_targetILNS1_3genE10ELNS1_11target_archE1201ELNS1_3gpuE5ELNS1_3repE0EEENS1_30default_config_static_selectorELNS0_4arch9wavefront6targetE1EEEvSY_.num_vgpr, 0
	.set _ZN7rocprim17ROCPRIM_400000_NS6detail17trampoline_kernelINS0_14default_configENS1_29binary_search_config_selectorIjiEEZNS1_14transform_implILb0ES3_S5_N6thrust23THRUST_200600_302600_NS6detail15normal_iteratorINS8_7pointerIjNS8_11hip_rocprim5par_tENS8_11use_defaultESE_EEEENSA_INSB_IiSD_SE_SE_EEEEZNS1_13binary_searchIS3_S5_NSA_INS8_10device_ptrIjEEEESG_SI_NS1_16binary_search_opENS9_16wrapped_functionINS8_6system6detail7generic6detail18binary_search_lessEbEEEE10hipError_tPvRmT1_T2_T3_mmT4_T5_P12ihipStream_tbEUlRKjE_EESV_SZ_S10_mS11_S14_bEUlT_E_NS1_11comp_targetILNS1_3genE10ELNS1_11target_archE1201ELNS1_3gpuE5ELNS1_3repE0EEENS1_30default_config_static_selectorELNS0_4arch9wavefront6targetE1EEEvSY_.num_agpr, 0
	.set _ZN7rocprim17ROCPRIM_400000_NS6detail17trampoline_kernelINS0_14default_configENS1_29binary_search_config_selectorIjiEEZNS1_14transform_implILb0ES3_S5_N6thrust23THRUST_200600_302600_NS6detail15normal_iteratorINS8_7pointerIjNS8_11hip_rocprim5par_tENS8_11use_defaultESE_EEEENSA_INSB_IiSD_SE_SE_EEEEZNS1_13binary_searchIS3_S5_NSA_INS8_10device_ptrIjEEEESG_SI_NS1_16binary_search_opENS9_16wrapped_functionINS8_6system6detail7generic6detail18binary_search_lessEbEEEE10hipError_tPvRmT1_T2_T3_mmT4_T5_P12ihipStream_tbEUlRKjE_EESV_SZ_S10_mS11_S14_bEUlT_E_NS1_11comp_targetILNS1_3genE10ELNS1_11target_archE1201ELNS1_3gpuE5ELNS1_3repE0EEENS1_30default_config_static_selectorELNS0_4arch9wavefront6targetE1EEEvSY_.numbered_sgpr, 0
	.set _ZN7rocprim17ROCPRIM_400000_NS6detail17trampoline_kernelINS0_14default_configENS1_29binary_search_config_selectorIjiEEZNS1_14transform_implILb0ES3_S5_N6thrust23THRUST_200600_302600_NS6detail15normal_iteratorINS8_7pointerIjNS8_11hip_rocprim5par_tENS8_11use_defaultESE_EEEENSA_INSB_IiSD_SE_SE_EEEEZNS1_13binary_searchIS3_S5_NSA_INS8_10device_ptrIjEEEESG_SI_NS1_16binary_search_opENS9_16wrapped_functionINS8_6system6detail7generic6detail18binary_search_lessEbEEEE10hipError_tPvRmT1_T2_T3_mmT4_T5_P12ihipStream_tbEUlRKjE_EESV_SZ_S10_mS11_S14_bEUlT_E_NS1_11comp_targetILNS1_3genE10ELNS1_11target_archE1201ELNS1_3gpuE5ELNS1_3repE0EEENS1_30default_config_static_selectorELNS0_4arch9wavefront6targetE1EEEvSY_.num_named_barrier, 0
	.set _ZN7rocprim17ROCPRIM_400000_NS6detail17trampoline_kernelINS0_14default_configENS1_29binary_search_config_selectorIjiEEZNS1_14transform_implILb0ES3_S5_N6thrust23THRUST_200600_302600_NS6detail15normal_iteratorINS8_7pointerIjNS8_11hip_rocprim5par_tENS8_11use_defaultESE_EEEENSA_INSB_IiSD_SE_SE_EEEEZNS1_13binary_searchIS3_S5_NSA_INS8_10device_ptrIjEEEESG_SI_NS1_16binary_search_opENS9_16wrapped_functionINS8_6system6detail7generic6detail18binary_search_lessEbEEEE10hipError_tPvRmT1_T2_T3_mmT4_T5_P12ihipStream_tbEUlRKjE_EESV_SZ_S10_mS11_S14_bEUlT_E_NS1_11comp_targetILNS1_3genE10ELNS1_11target_archE1201ELNS1_3gpuE5ELNS1_3repE0EEENS1_30default_config_static_selectorELNS0_4arch9wavefront6targetE1EEEvSY_.private_seg_size, 0
	.set _ZN7rocprim17ROCPRIM_400000_NS6detail17trampoline_kernelINS0_14default_configENS1_29binary_search_config_selectorIjiEEZNS1_14transform_implILb0ES3_S5_N6thrust23THRUST_200600_302600_NS6detail15normal_iteratorINS8_7pointerIjNS8_11hip_rocprim5par_tENS8_11use_defaultESE_EEEENSA_INSB_IiSD_SE_SE_EEEEZNS1_13binary_searchIS3_S5_NSA_INS8_10device_ptrIjEEEESG_SI_NS1_16binary_search_opENS9_16wrapped_functionINS8_6system6detail7generic6detail18binary_search_lessEbEEEE10hipError_tPvRmT1_T2_T3_mmT4_T5_P12ihipStream_tbEUlRKjE_EESV_SZ_S10_mS11_S14_bEUlT_E_NS1_11comp_targetILNS1_3genE10ELNS1_11target_archE1201ELNS1_3gpuE5ELNS1_3repE0EEENS1_30default_config_static_selectorELNS0_4arch9wavefront6targetE1EEEvSY_.uses_vcc, 0
	.set _ZN7rocprim17ROCPRIM_400000_NS6detail17trampoline_kernelINS0_14default_configENS1_29binary_search_config_selectorIjiEEZNS1_14transform_implILb0ES3_S5_N6thrust23THRUST_200600_302600_NS6detail15normal_iteratorINS8_7pointerIjNS8_11hip_rocprim5par_tENS8_11use_defaultESE_EEEENSA_INSB_IiSD_SE_SE_EEEEZNS1_13binary_searchIS3_S5_NSA_INS8_10device_ptrIjEEEESG_SI_NS1_16binary_search_opENS9_16wrapped_functionINS8_6system6detail7generic6detail18binary_search_lessEbEEEE10hipError_tPvRmT1_T2_T3_mmT4_T5_P12ihipStream_tbEUlRKjE_EESV_SZ_S10_mS11_S14_bEUlT_E_NS1_11comp_targetILNS1_3genE10ELNS1_11target_archE1201ELNS1_3gpuE5ELNS1_3repE0EEENS1_30default_config_static_selectorELNS0_4arch9wavefront6targetE1EEEvSY_.uses_flat_scratch, 0
	.set _ZN7rocprim17ROCPRIM_400000_NS6detail17trampoline_kernelINS0_14default_configENS1_29binary_search_config_selectorIjiEEZNS1_14transform_implILb0ES3_S5_N6thrust23THRUST_200600_302600_NS6detail15normal_iteratorINS8_7pointerIjNS8_11hip_rocprim5par_tENS8_11use_defaultESE_EEEENSA_INSB_IiSD_SE_SE_EEEEZNS1_13binary_searchIS3_S5_NSA_INS8_10device_ptrIjEEEESG_SI_NS1_16binary_search_opENS9_16wrapped_functionINS8_6system6detail7generic6detail18binary_search_lessEbEEEE10hipError_tPvRmT1_T2_T3_mmT4_T5_P12ihipStream_tbEUlRKjE_EESV_SZ_S10_mS11_S14_bEUlT_E_NS1_11comp_targetILNS1_3genE10ELNS1_11target_archE1201ELNS1_3gpuE5ELNS1_3repE0EEENS1_30default_config_static_selectorELNS0_4arch9wavefront6targetE1EEEvSY_.has_dyn_sized_stack, 0
	.set _ZN7rocprim17ROCPRIM_400000_NS6detail17trampoline_kernelINS0_14default_configENS1_29binary_search_config_selectorIjiEEZNS1_14transform_implILb0ES3_S5_N6thrust23THRUST_200600_302600_NS6detail15normal_iteratorINS8_7pointerIjNS8_11hip_rocprim5par_tENS8_11use_defaultESE_EEEENSA_INSB_IiSD_SE_SE_EEEEZNS1_13binary_searchIS3_S5_NSA_INS8_10device_ptrIjEEEESG_SI_NS1_16binary_search_opENS9_16wrapped_functionINS8_6system6detail7generic6detail18binary_search_lessEbEEEE10hipError_tPvRmT1_T2_T3_mmT4_T5_P12ihipStream_tbEUlRKjE_EESV_SZ_S10_mS11_S14_bEUlT_E_NS1_11comp_targetILNS1_3genE10ELNS1_11target_archE1201ELNS1_3gpuE5ELNS1_3repE0EEENS1_30default_config_static_selectorELNS0_4arch9wavefront6targetE1EEEvSY_.has_recursion, 0
	.set _ZN7rocprim17ROCPRIM_400000_NS6detail17trampoline_kernelINS0_14default_configENS1_29binary_search_config_selectorIjiEEZNS1_14transform_implILb0ES3_S5_N6thrust23THRUST_200600_302600_NS6detail15normal_iteratorINS8_7pointerIjNS8_11hip_rocprim5par_tENS8_11use_defaultESE_EEEENSA_INSB_IiSD_SE_SE_EEEEZNS1_13binary_searchIS3_S5_NSA_INS8_10device_ptrIjEEEESG_SI_NS1_16binary_search_opENS9_16wrapped_functionINS8_6system6detail7generic6detail18binary_search_lessEbEEEE10hipError_tPvRmT1_T2_T3_mmT4_T5_P12ihipStream_tbEUlRKjE_EESV_SZ_S10_mS11_S14_bEUlT_E_NS1_11comp_targetILNS1_3genE10ELNS1_11target_archE1201ELNS1_3gpuE5ELNS1_3repE0EEENS1_30default_config_static_selectorELNS0_4arch9wavefront6targetE1EEEvSY_.has_indirect_call, 0
	.section	.AMDGPU.csdata,"",@progbits
; Kernel info:
; codeLenInByte = 0
; TotalNumSgprs: 4
; NumVgprs: 0
; ScratchSize: 0
; MemoryBound: 0
; FloatMode: 240
; IeeeMode: 1
; LDSByteSize: 0 bytes/workgroup (compile time only)
; SGPRBlocks: 0
; VGPRBlocks: 0
; NumSGPRsForWavesPerEU: 4
; NumVGPRsForWavesPerEU: 1
; Occupancy: 10
; WaveLimiterHint : 0
; COMPUTE_PGM_RSRC2:SCRATCH_EN: 0
; COMPUTE_PGM_RSRC2:USER_SGPR: 6
; COMPUTE_PGM_RSRC2:TRAP_HANDLER: 0
; COMPUTE_PGM_RSRC2:TGID_X_EN: 1
; COMPUTE_PGM_RSRC2:TGID_Y_EN: 0
; COMPUTE_PGM_RSRC2:TGID_Z_EN: 0
; COMPUTE_PGM_RSRC2:TIDIG_COMP_CNT: 0
	.section	.text._ZN7rocprim17ROCPRIM_400000_NS6detail17trampoline_kernelINS0_14default_configENS1_29binary_search_config_selectorIjiEEZNS1_14transform_implILb0ES3_S5_N6thrust23THRUST_200600_302600_NS6detail15normal_iteratorINS8_7pointerIjNS8_11hip_rocprim5par_tENS8_11use_defaultESE_EEEENSA_INSB_IiSD_SE_SE_EEEEZNS1_13binary_searchIS3_S5_NSA_INS8_10device_ptrIjEEEESG_SI_NS1_16binary_search_opENS9_16wrapped_functionINS8_6system6detail7generic6detail18binary_search_lessEbEEEE10hipError_tPvRmT1_T2_T3_mmT4_T5_P12ihipStream_tbEUlRKjE_EESV_SZ_S10_mS11_S14_bEUlT_E_NS1_11comp_targetILNS1_3genE10ELNS1_11target_archE1200ELNS1_3gpuE4ELNS1_3repE0EEENS1_30default_config_static_selectorELNS0_4arch9wavefront6targetE1EEEvSY_,"axG",@progbits,_ZN7rocprim17ROCPRIM_400000_NS6detail17trampoline_kernelINS0_14default_configENS1_29binary_search_config_selectorIjiEEZNS1_14transform_implILb0ES3_S5_N6thrust23THRUST_200600_302600_NS6detail15normal_iteratorINS8_7pointerIjNS8_11hip_rocprim5par_tENS8_11use_defaultESE_EEEENSA_INSB_IiSD_SE_SE_EEEEZNS1_13binary_searchIS3_S5_NSA_INS8_10device_ptrIjEEEESG_SI_NS1_16binary_search_opENS9_16wrapped_functionINS8_6system6detail7generic6detail18binary_search_lessEbEEEE10hipError_tPvRmT1_T2_T3_mmT4_T5_P12ihipStream_tbEUlRKjE_EESV_SZ_S10_mS11_S14_bEUlT_E_NS1_11comp_targetILNS1_3genE10ELNS1_11target_archE1200ELNS1_3gpuE4ELNS1_3repE0EEENS1_30default_config_static_selectorELNS0_4arch9wavefront6targetE1EEEvSY_,comdat
	.protected	_ZN7rocprim17ROCPRIM_400000_NS6detail17trampoline_kernelINS0_14default_configENS1_29binary_search_config_selectorIjiEEZNS1_14transform_implILb0ES3_S5_N6thrust23THRUST_200600_302600_NS6detail15normal_iteratorINS8_7pointerIjNS8_11hip_rocprim5par_tENS8_11use_defaultESE_EEEENSA_INSB_IiSD_SE_SE_EEEEZNS1_13binary_searchIS3_S5_NSA_INS8_10device_ptrIjEEEESG_SI_NS1_16binary_search_opENS9_16wrapped_functionINS8_6system6detail7generic6detail18binary_search_lessEbEEEE10hipError_tPvRmT1_T2_T3_mmT4_T5_P12ihipStream_tbEUlRKjE_EESV_SZ_S10_mS11_S14_bEUlT_E_NS1_11comp_targetILNS1_3genE10ELNS1_11target_archE1200ELNS1_3gpuE4ELNS1_3repE0EEENS1_30default_config_static_selectorELNS0_4arch9wavefront6targetE1EEEvSY_ ; -- Begin function _ZN7rocprim17ROCPRIM_400000_NS6detail17trampoline_kernelINS0_14default_configENS1_29binary_search_config_selectorIjiEEZNS1_14transform_implILb0ES3_S5_N6thrust23THRUST_200600_302600_NS6detail15normal_iteratorINS8_7pointerIjNS8_11hip_rocprim5par_tENS8_11use_defaultESE_EEEENSA_INSB_IiSD_SE_SE_EEEEZNS1_13binary_searchIS3_S5_NSA_INS8_10device_ptrIjEEEESG_SI_NS1_16binary_search_opENS9_16wrapped_functionINS8_6system6detail7generic6detail18binary_search_lessEbEEEE10hipError_tPvRmT1_T2_T3_mmT4_T5_P12ihipStream_tbEUlRKjE_EESV_SZ_S10_mS11_S14_bEUlT_E_NS1_11comp_targetILNS1_3genE10ELNS1_11target_archE1200ELNS1_3gpuE4ELNS1_3repE0EEENS1_30default_config_static_selectorELNS0_4arch9wavefront6targetE1EEEvSY_
	.globl	_ZN7rocprim17ROCPRIM_400000_NS6detail17trampoline_kernelINS0_14default_configENS1_29binary_search_config_selectorIjiEEZNS1_14transform_implILb0ES3_S5_N6thrust23THRUST_200600_302600_NS6detail15normal_iteratorINS8_7pointerIjNS8_11hip_rocprim5par_tENS8_11use_defaultESE_EEEENSA_INSB_IiSD_SE_SE_EEEEZNS1_13binary_searchIS3_S5_NSA_INS8_10device_ptrIjEEEESG_SI_NS1_16binary_search_opENS9_16wrapped_functionINS8_6system6detail7generic6detail18binary_search_lessEbEEEE10hipError_tPvRmT1_T2_T3_mmT4_T5_P12ihipStream_tbEUlRKjE_EESV_SZ_S10_mS11_S14_bEUlT_E_NS1_11comp_targetILNS1_3genE10ELNS1_11target_archE1200ELNS1_3gpuE4ELNS1_3repE0EEENS1_30default_config_static_selectorELNS0_4arch9wavefront6targetE1EEEvSY_
	.p2align	8
	.type	_ZN7rocprim17ROCPRIM_400000_NS6detail17trampoline_kernelINS0_14default_configENS1_29binary_search_config_selectorIjiEEZNS1_14transform_implILb0ES3_S5_N6thrust23THRUST_200600_302600_NS6detail15normal_iteratorINS8_7pointerIjNS8_11hip_rocprim5par_tENS8_11use_defaultESE_EEEENSA_INSB_IiSD_SE_SE_EEEEZNS1_13binary_searchIS3_S5_NSA_INS8_10device_ptrIjEEEESG_SI_NS1_16binary_search_opENS9_16wrapped_functionINS8_6system6detail7generic6detail18binary_search_lessEbEEEE10hipError_tPvRmT1_T2_T3_mmT4_T5_P12ihipStream_tbEUlRKjE_EESV_SZ_S10_mS11_S14_bEUlT_E_NS1_11comp_targetILNS1_3genE10ELNS1_11target_archE1200ELNS1_3gpuE4ELNS1_3repE0EEENS1_30default_config_static_selectorELNS0_4arch9wavefront6targetE1EEEvSY_,@function
_ZN7rocprim17ROCPRIM_400000_NS6detail17trampoline_kernelINS0_14default_configENS1_29binary_search_config_selectorIjiEEZNS1_14transform_implILb0ES3_S5_N6thrust23THRUST_200600_302600_NS6detail15normal_iteratorINS8_7pointerIjNS8_11hip_rocprim5par_tENS8_11use_defaultESE_EEEENSA_INSB_IiSD_SE_SE_EEEEZNS1_13binary_searchIS3_S5_NSA_INS8_10device_ptrIjEEEESG_SI_NS1_16binary_search_opENS9_16wrapped_functionINS8_6system6detail7generic6detail18binary_search_lessEbEEEE10hipError_tPvRmT1_T2_T3_mmT4_T5_P12ihipStream_tbEUlRKjE_EESV_SZ_S10_mS11_S14_bEUlT_E_NS1_11comp_targetILNS1_3genE10ELNS1_11target_archE1200ELNS1_3gpuE4ELNS1_3repE0EEENS1_30default_config_static_selectorELNS0_4arch9wavefront6targetE1EEEvSY_: ; @_ZN7rocprim17ROCPRIM_400000_NS6detail17trampoline_kernelINS0_14default_configENS1_29binary_search_config_selectorIjiEEZNS1_14transform_implILb0ES3_S5_N6thrust23THRUST_200600_302600_NS6detail15normal_iteratorINS8_7pointerIjNS8_11hip_rocprim5par_tENS8_11use_defaultESE_EEEENSA_INSB_IiSD_SE_SE_EEEEZNS1_13binary_searchIS3_S5_NSA_INS8_10device_ptrIjEEEESG_SI_NS1_16binary_search_opENS9_16wrapped_functionINS8_6system6detail7generic6detail18binary_search_lessEbEEEE10hipError_tPvRmT1_T2_T3_mmT4_T5_P12ihipStream_tbEUlRKjE_EESV_SZ_S10_mS11_S14_bEUlT_E_NS1_11comp_targetILNS1_3genE10ELNS1_11target_archE1200ELNS1_3gpuE4ELNS1_3repE0EEENS1_30default_config_static_selectorELNS0_4arch9wavefront6targetE1EEEvSY_
; %bb.0:
	.section	.rodata,"a",@progbits
	.p2align	6, 0x0
	.amdhsa_kernel _ZN7rocprim17ROCPRIM_400000_NS6detail17trampoline_kernelINS0_14default_configENS1_29binary_search_config_selectorIjiEEZNS1_14transform_implILb0ES3_S5_N6thrust23THRUST_200600_302600_NS6detail15normal_iteratorINS8_7pointerIjNS8_11hip_rocprim5par_tENS8_11use_defaultESE_EEEENSA_INSB_IiSD_SE_SE_EEEEZNS1_13binary_searchIS3_S5_NSA_INS8_10device_ptrIjEEEESG_SI_NS1_16binary_search_opENS9_16wrapped_functionINS8_6system6detail7generic6detail18binary_search_lessEbEEEE10hipError_tPvRmT1_T2_T3_mmT4_T5_P12ihipStream_tbEUlRKjE_EESV_SZ_S10_mS11_S14_bEUlT_E_NS1_11comp_targetILNS1_3genE10ELNS1_11target_archE1200ELNS1_3gpuE4ELNS1_3repE0EEENS1_30default_config_static_selectorELNS0_4arch9wavefront6targetE1EEEvSY_
		.amdhsa_group_segment_fixed_size 0
		.amdhsa_private_segment_fixed_size 0
		.amdhsa_kernarg_size 56
		.amdhsa_user_sgpr_count 6
		.amdhsa_user_sgpr_private_segment_buffer 1
		.amdhsa_user_sgpr_dispatch_ptr 0
		.amdhsa_user_sgpr_queue_ptr 0
		.amdhsa_user_sgpr_kernarg_segment_ptr 1
		.amdhsa_user_sgpr_dispatch_id 0
		.amdhsa_user_sgpr_flat_scratch_init 0
		.amdhsa_user_sgpr_private_segment_size 0
		.amdhsa_uses_dynamic_stack 0
		.amdhsa_system_sgpr_private_segment_wavefront_offset 0
		.amdhsa_system_sgpr_workgroup_id_x 1
		.amdhsa_system_sgpr_workgroup_id_y 0
		.amdhsa_system_sgpr_workgroup_id_z 0
		.amdhsa_system_sgpr_workgroup_info 0
		.amdhsa_system_vgpr_workitem_id 0
		.amdhsa_next_free_vgpr 1
		.amdhsa_next_free_sgpr 0
		.amdhsa_reserve_vcc 0
		.amdhsa_reserve_flat_scratch 0
		.amdhsa_float_round_mode_32 0
		.amdhsa_float_round_mode_16_64 0
		.amdhsa_float_denorm_mode_32 3
		.amdhsa_float_denorm_mode_16_64 3
		.amdhsa_dx10_clamp 1
		.amdhsa_ieee_mode 1
		.amdhsa_fp16_overflow 0
		.amdhsa_exception_fp_ieee_invalid_op 0
		.amdhsa_exception_fp_denorm_src 0
		.amdhsa_exception_fp_ieee_div_zero 0
		.amdhsa_exception_fp_ieee_overflow 0
		.amdhsa_exception_fp_ieee_underflow 0
		.amdhsa_exception_fp_ieee_inexact 0
		.amdhsa_exception_int_div_zero 0
	.end_amdhsa_kernel
	.section	.text._ZN7rocprim17ROCPRIM_400000_NS6detail17trampoline_kernelINS0_14default_configENS1_29binary_search_config_selectorIjiEEZNS1_14transform_implILb0ES3_S5_N6thrust23THRUST_200600_302600_NS6detail15normal_iteratorINS8_7pointerIjNS8_11hip_rocprim5par_tENS8_11use_defaultESE_EEEENSA_INSB_IiSD_SE_SE_EEEEZNS1_13binary_searchIS3_S5_NSA_INS8_10device_ptrIjEEEESG_SI_NS1_16binary_search_opENS9_16wrapped_functionINS8_6system6detail7generic6detail18binary_search_lessEbEEEE10hipError_tPvRmT1_T2_T3_mmT4_T5_P12ihipStream_tbEUlRKjE_EESV_SZ_S10_mS11_S14_bEUlT_E_NS1_11comp_targetILNS1_3genE10ELNS1_11target_archE1200ELNS1_3gpuE4ELNS1_3repE0EEENS1_30default_config_static_selectorELNS0_4arch9wavefront6targetE1EEEvSY_,"axG",@progbits,_ZN7rocprim17ROCPRIM_400000_NS6detail17trampoline_kernelINS0_14default_configENS1_29binary_search_config_selectorIjiEEZNS1_14transform_implILb0ES3_S5_N6thrust23THRUST_200600_302600_NS6detail15normal_iteratorINS8_7pointerIjNS8_11hip_rocprim5par_tENS8_11use_defaultESE_EEEENSA_INSB_IiSD_SE_SE_EEEEZNS1_13binary_searchIS3_S5_NSA_INS8_10device_ptrIjEEEESG_SI_NS1_16binary_search_opENS9_16wrapped_functionINS8_6system6detail7generic6detail18binary_search_lessEbEEEE10hipError_tPvRmT1_T2_T3_mmT4_T5_P12ihipStream_tbEUlRKjE_EESV_SZ_S10_mS11_S14_bEUlT_E_NS1_11comp_targetILNS1_3genE10ELNS1_11target_archE1200ELNS1_3gpuE4ELNS1_3repE0EEENS1_30default_config_static_selectorELNS0_4arch9wavefront6targetE1EEEvSY_,comdat
.Lfunc_end677:
	.size	_ZN7rocprim17ROCPRIM_400000_NS6detail17trampoline_kernelINS0_14default_configENS1_29binary_search_config_selectorIjiEEZNS1_14transform_implILb0ES3_S5_N6thrust23THRUST_200600_302600_NS6detail15normal_iteratorINS8_7pointerIjNS8_11hip_rocprim5par_tENS8_11use_defaultESE_EEEENSA_INSB_IiSD_SE_SE_EEEEZNS1_13binary_searchIS3_S5_NSA_INS8_10device_ptrIjEEEESG_SI_NS1_16binary_search_opENS9_16wrapped_functionINS8_6system6detail7generic6detail18binary_search_lessEbEEEE10hipError_tPvRmT1_T2_T3_mmT4_T5_P12ihipStream_tbEUlRKjE_EESV_SZ_S10_mS11_S14_bEUlT_E_NS1_11comp_targetILNS1_3genE10ELNS1_11target_archE1200ELNS1_3gpuE4ELNS1_3repE0EEENS1_30default_config_static_selectorELNS0_4arch9wavefront6targetE1EEEvSY_, .Lfunc_end677-_ZN7rocprim17ROCPRIM_400000_NS6detail17trampoline_kernelINS0_14default_configENS1_29binary_search_config_selectorIjiEEZNS1_14transform_implILb0ES3_S5_N6thrust23THRUST_200600_302600_NS6detail15normal_iteratorINS8_7pointerIjNS8_11hip_rocprim5par_tENS8_11use_defaultESE_EEEENSA_INSB_IiSD_SE_SE_EEEEZNS1_13binary_searchIS3_S5_NSA_INS8_10device_ptrIjEEEESG_SI_NS1_16binary_search_opENS9_16wrapped_functionINS8_6system6detail7generic6detail18binary_search_lessEbEEEE10hipError_tPvRmT1_T2_T3_mmT4_T5_P12ihipStream_tbEUlRKjE_EESV_SZ_S10_mS11_S14_bEUlT_E_NS1_11comp_targetILNS1_3genE10ELNS1_11target_archE1200ELNS1_3gpuE4ELNS1_3repE0EEENS1_30default_config_static_selectorELNS0_4arch9wavefront6targetE1EEEvSY_
                                        ; -- End function
	.set _ZN7rocprim17ROCPRIM_400000_NS6detail17trampoline_kernelINS0_14default_configENS1_29binary_search_config_selectorIjiEEZNS1_14transform_implILb0ES3_S5_N6thrust23THRUST_200600_302600_NS6detail15normal_iteratorINS8_7pointerIjNS8_11hip_rocprim5par_tENS8_11use_defaultESE_EEEENSA_INSB_IiSD_SE_SE_EEEEZNS1_13binary_searchIS3_S5_NSA_INS8_10device_ptrIjEEEESG_SI_NS1_16binary_search_opENS9_16wrapped_functionINS8_6system6detail7generic6detail18binary_search_lessEbEEEE10hipError_tPvRmT1_T2_T3_mmT4_T5_P12ihipStream_tbEUlRKjE_EESV_SZ_S10_mS11_S14_bEUlT_E_NS1_11comp_targetILNS1_3genE10ELNS1_11target_archE1200ELNS1_3gpuE4ELNS1_3repE0EEENS1_30default_config_static_selectorELNS0_4arch9wavefront6targetE1EEEvSY_.num_vgpr, 0
	.set _ZN7rocprim17ROCPRIM_400000_NS6detail17trampoline_kernelINS0_14default_configENS1_29binary_search_config_selectorIjiEEZNS1_14transform_implILb0ES3_S5_N6thrust23THRUST_200600_302600_NS6detail15normal_iteratorINS8_7pointerIjNS8_11hip_rocprim5par_tENS8_11use_defaultESE_EEEENSA_INSB_IiSD_SE_SE_EEEEZNS1_13binary_searchIS3_S5_NSA_INS8_10device_ptrIjEEEESG_SI_NS1_16binary_search_opENS9_16wrapped_functionINS8_6system6detail7generic6detail18binary_search_lessEbEEEE10hipError_tPvRmT1_T2_T3_mmT4_T5_P12ihipStream_tbEUlRKjE_EESV_SZ_S10_mS11_S14_bEUlT_E_NS1_11comp_targetILNS1_3genE10ELNS1_11target_archE1200ELNS1_3gpuE4ELNS1_3repE0EEENS1_30default_config_static_selectorELNS0_4arch9wavefront6targetE1EEEvSY_.num_agpr, 0
	.set _ZN7rocprim17ROCPRIM_400000_NS6detail17trampoline_kernelINS0_14default_configENS1_29binary_search_config_selectorIjiEEZNS1_14transform_implILb0ES3_S5_N6thrust23THRUST_200600_302600_NS6detail15normal_iteratorINS8_7pointerIjNS8_11hip_rocprim5par_tENS8_11use_defaultESE_EEEENSA_INSB_IiSD_SE_SE_EEEEZNS1_13binary_searchIS3_S5_NSA_INS8_10device_ptrIjEEEESG_SI_NS1_16binary_search_opENS9_16wrapped_functionINS8_6system6detail7generic6detail18binary_search_lessEbEEEE10hipError_tPvRmT1_T2_T3_mmT4_T5_P12ihipStream_tbEUlRKjE_EESV_SZ_S10_mS11_S14_bEUlT_E_NS1_11comp_targetILNS1_3genE10ELNS1_11target_archE1200ELNS1_3gpuE4ELNS1_3repE0EEENS1_30default_config_static_selectorELNS0_4arch9wavefront6targetE1EEEvSY_.numbered_sgpr, 0
	.set _ZN7rocprim17ROCPRIM_400000_NS6detail17trampoline_kernelINS0_14default_configENS1_29binary_search_config_selectorIjiEEZNS1_14transform_implILb0ES3_S5_N6thrust23THRUST_200600_302600_NS6detail15normal_iteratorINS8_7pointerIjNS8_11hip_rocprim5par_tENS8_11use_defaultESE_EEEENSA_INSB_IiSD_SE_SE_EEEEZNS1_13binary_searchIS3_S5_NSA_INS8_10device_ptrIjEEEESG_SI_NS1_16binary_search_opENS9_16wrapped_functionINS8_6system6detail7generic6detail18binary_search_lessEbEEEE10hipError_tPvRmT1_T2_T3_mmT4_T5_P12ihipStream_tbEUlRKjE_EESV_SZ_S10_mS11_S14_bEUlT_E_NS1_11comp_targetILNS1_3genE10ELNS1_11target_archE1200ELNS1_3gpuE4ELNS1_3repE0EEENS1_30default_config_static_selectorELNS0_4arch9wavefront6targetE1EEEvSY_.num_named_barrier, 0
	.set _ZN7rocprim17ROCPRIM_400000_NS6detail17trampoline_kernelINS0_14default_configENS1_29binary_search_config_selectorIjiEEZNS1_14transform_implILb0ES3_S5_N6thrust23THRUST_200600_302600_NS6detail15normal_iteratorINS8_7pointerIjNS8_11hip_rocprim5par_tENS8_11use_defaultESE_EEEENSA_INSB_IiSD_SE_SE_EEEEZNS1_13binary_searchIS3_S5_NSA_INS8_10device_ptrIjEEEESG_SI_NS1_16binary_search_opENS9_16wrapped_functionINS8_6system6detail7generic6detail18binary_search_lessEbEEEE10hipError_tPvRmT1_T2_T3_mmT4_T5_P12ihipStream_tbEUlRKjE_EESV_SZ_S10_mS11_S14_bEUlT_E_NS1_11comp_targetILNS1_3genE10ELNS1_11target_archE1200ELNS1_3gpuE4ELNS1_3repE0EEENS1_30default_config_static_selectorELNS0_4arch9wavefront6targetE1EEEvSY_.private_seg_size, 0
	.set _ZN7rocprim17ROCPRIM_400000_NS6detail17trampoline_kernelINS0_14default_configENS1_29binary_search_config_selectorIjiEEZNS1_14transform_implILb0ES3_S5_N6thrust23THRUST_200600_302600_NS6detail15normal_iteratorINS8_7pointerIjNS8_11hip_rocprim5par_tENS8_11use_defaultESE_EEEENSA_INSB_IiSD_SE_SE_EEEEZNS1_13binary_searchIS3_S5_NSA_INS8_10device_ptrIjEEEESG_SI_NS1_16binary_search_opENS9_16wrapped_functionINS8_6system6detail7generic6detail18binary_search_lessEbEEEE10hipError_tPvRmT1_T2_T3_mmT4_T5_P12ihipStream_tbEUlRKjE_EESV_SZ_S10_mS11_S14_bEUlT_E_NS1_11comp_targetILNS1_3genE10ELNS1_11target_archE1200ELNS1_3gpuE4ELNS1_3repE0EEENS1_30default_config_static_selectorELNS0_4arch9wavefront6targetE1EEEvSY_.uses_vcc, 0
	.set _ZN7rocprim17ROCPRIM_400000_NS6detail17trampoline_kernelINS0_14default_configENS1_29binary_search_config_selectorIjiEEZNS1_14transform_implILb0ES3_S5_N6thrust23THRUST_200600_302600_NS6detail15normal_iteratorINS8_7pointerIjNS8_11hip_rocprim5par_tENS8_11use_defaultESE_EEEENSA_INSB_IiSD_SE_SE_EEEEZNS1_13binary_searchIS3_S5_NSA_INS8_10device_ptrIjEEEESG_SI_NS1_16binary_search_opENS9_16wrapped_functionINS8_6system6detail7generic6detail18binary_search_lessEbEEEE10hipError_tPvRmT1_T2_T3_mmT4_T5_P12ihipStream_tbEUlRKjE_EESV_SZ_S10_mS11_S14_bEUlT_E_NS1_11comp_targetILNS1_3genE10ELNS1_11target_archE1200ELNS1_3gpuE4ELNS1_3repE0EEENS1_30default_config_static_selectorELNS0_4arch9wavefront6targetE1EEEvSY_.uses_flat_scratch, 0
	.set _ZN7rocprim17ROCPRIM_400000_NS6detail17trampoline_kernelINS0_14default_configENS1_29binary_search_config_selectorIjiEEZNS1_14transform_implILb0ES3_S5_N6thrust23THRUST_200600_302600_NS6detail15normal_iteratorINS8_7pointerIjNS8_11hip_rocprim5par_tENS8_11use_defaultESE_EEEENSA_INSB_IiSD_SE_SE_EEEEZNS1_13binary_searchIS3_S5_NSA_INS8_10device_ptrIjEEEESG_SI_NS1_16binary_search_opENS9_16wrapped_functionINS8_6system6detail7generic6detail18binary_search_lessEbEEEE10hipError_tPvRmT1_T2_T3_mmT4_T5_P12ihipStream_tbEUlRKjE_EESV_SZ_S10_mS11_S14_bEUlT_E_NS1_11comp_targetILNS1_3genE10ELNS1_11target_archE1200ELNS1_3gpuE4ELNS1_3repE0EEENS1_30default_config_static_selectorELNS0_4arch9wavefront6targetE1EEEvSY_.has_dyn_sized_stack, 0
	.set _ZN7rocprim17ROCPRIM_400000_NS6detail17trampoline_kernelINS0_14default_configENS1_29binary_search_config_selectorIjiEEZNS1_14transform_implILb0ES3_S5_N6thrust23THRUST_200600_302600_NS6detail15normal_iteratorINS8_7pointerIjNS8_11hip_rocprim5par_tENS8_11use_defaultESE_EEEENSA_INSB_IiSD_SE_SE_EEEEZNS1_13binary_searchIS3_S5_NSA_INS8_10device_ptrIjEEEESG_SI_NS1_16binary_search_opENS9_16wrapped_functionINS8_6system6detail7generic6detail18binary_search_lessEbEEEE10hipError_tPvRmT1_T2_T3_mmT4_T5_P12ihipStream_tbEUlRKjE_EESV_SZ_S10_mS11_S14_bEUlT_E_NS1_11comp_targetILNS1_3genE10ELNS1_11target_archE1200ELNS1_3gpuE4ELNS1_3repE0EEENS1_30default_config_static_selectorELNS0_4arch9wavefront6targetE1EEEvSY_.has_recursion, 0
	.set _ZN7rocprim17ROCPRIM_400000_NS6detail17trampoline_kernelINS0_14default_configENS1_29binary_search_config_selectorIjiEEZNS1_14transform_implILb0ES3_S5_N6thrust23THRUST_200600_302600_NS6detail15normal_iteratorINS8_7pointerIjNS8_11hip_rocprim5par_tENS8_11use_defaultESE_EEEENSA_INSB_IiSD_SE_SE_EEEEZNS1_13binary_searchIS3_S5_NSA_INS8_10device_ptrIjEEEESG_SI_NS1_16binary_search_opENS9_16wrapped_functionINS8_6system6detail7generic6detail18binary_search_lessEbEEEE10hipError_tPvRmT1_T2_T3_mmT4_T5_P12ihipStream_tbEUlRKjE_EESV_SZ_S10_mS11_S14_bEUlT_E_NS1_11comp_targetILNS1_3genE10ELNS1_11target_archE1200ELNS1_3gpuE4ELNS1_3repE0EEENS1_30default_config_static_selectorELNS0_4arch9wavefront6targetE1EEEvSY_.has_indirect_call, 0
	.section	.AMDGPU.csdata,"",@progbits
; Kernel info:
; codeLenInByte = 0
; TotalNumSgprs: 4
; NumVgprs: 0
; ScratchSize: 0
; MemoryBound: 0
; FloatMode: 240
; IeeeMode: 1
; LDSByteSize: 0 bytes/workgroup (compile time only)
; SGPRBlocks: 0
; VGPRBlocks: 0
; NumSGPRsForWavesPerEU: 4
; NumVGPRsForWavesPerEU: 1
; Occupancy: 10
; WaveLimiterHint : 0
; COMPUTE_PGM_RSRC2:SCRATCH_EN: 0
; COMPUTE_PGM_RSRC2:USER_SGPR: 6
; COMPUTE_PGM_RSRC2:TRAP_HANDLER: 0
; COMPUTE_PGM_RSRC2:TGID_X_EN: 1
; COMPUTE_PGM_RSRC2:TGID_Y_EN: 0
; COMPUTE_PGM_RSRC2:TGID_Z_EN: 0
; COMPUTE_PGM_RSRC2:TIDIG_COMP_CNT: 0
	.section	.text._ZN7rocprim17ROCPRIM_400000_NS6detail17trampoline_kernelINS0_14default_configENS1_29binary_search_config_selectorIjiEEZNS1_14transform_implILb0ES3_S5_N6thrust23THRUST_200600_302600_NS6detail15normal_iteratorINS8_7pointerIjNS8_11hip_rocprim5par_tENS8_11use_defaultESE_EEEENSA_INSB_IiSD_SE_SE_EEEEZNS1_13binary_searchIS3_S5_NSA_INS8_10device_ptrIjEEEESG_SI_NS1_16binary_search_opENS9_16wrapped_functionINS8_6system6detail7generic6detail18binary_search_lessEbEEEE10hipError_tPvRmT1_T2_T3_mmT4_T5_P12ihipStream_tbEUlRKjE_EESV_SZ_S10_mS11_S14_bEUlT_E_NS1_11comp_targetILNS1_3genE9ELNS1_11target_archE1100ELNS1_3gpuE3ELNS1_3repE0EEENS1_30default_config_static_selectorELNS0_4arch9wavefront6targetE1EEEvSY_,"axG",@progbits,_ZN7rocprim17ROCPRIM_400000_NS6detail17trampoline_kernelINS0_14default_configENS1_29binary_search_config_selectorIjiEEZNS1_14transform_implILb0ES3_S5_N6thrust23THRUST_200600_302600_NS6detail15normal_iteratorINS8_7pointerIjNS8_11hip_rocprim5par_tENS8_11use_defaultESE_EEEENSA_INSB_IiSD_SE_SE_EEEEZNS1_13binary_searchIS3_S5_NSA_INS8_10device_ptrIjEEEESG_SI_NS1_16binary_search_opENS9_16wrapped_functionINS8_6system6detail7generic6detail18binary_search_lessEbEEEE10hipError_tPvRmT1_T2_T3_mmT4_T5_P12ihipStream_tbEUlRKjE_EESV_SZ_S10_mS11_S14_bEUlT_E_NS1_11comp_targetILNS1_3genE9ELNS1_11target_archE1100ELNS1_3gpuE3ELNS1_3repE0EEENS1_30default_config_static_selectorELNS0_4arch9wavefront6targetE1EEEvSY_,comdat
	.protected	_ZN7rocprim17ROCPRIM_400000_NS6detail17trampoline_kernelINS0_14default_configENS1_29binary_search_config_selectorIjiEEZNS1_14transform_implILb0ES3_S5_N6thrust23THRUST_200600_302600_NS6detail15normal_iteratorINS8_7pointerIjNS8_11hip_rocprim5par_tENS8_11use_defaultESE_EEEENSA_INSB_IiSD_SE_SE_EEEEZNS1_13binary_searchIS3_S5_NSA_INS8_10device_ptrIjEEEESG_SI_NS1_16binary_search_opENS9_16wrapped_functionINS8_6system6detail7generic6detail18binary_search_lessEbEEEE10hipError_tPvRmT1_T2_T3_mmT4_T5_P12ihipStream_tbEUlRKjE_EESV_SZ_S10_mS11_S14_bEUlT_E_NS1_11comp_targetILNS1_3genE9ELNS1_11target_archE1100ELNS1_3gpuE3ELNS1_3repE0EEENS1_30default_config_static_selectorELNS0_4arch9wavefront6targetE1EEEvSY_ ; -- Begin function _ZN7rocprim17ROCPRIM_400000_NS6detail17trampoline_kernelINS0_14default_configENS1_29binary_search_config_selectorIjiEEZNS1_14transform_implILb0ES3_S5_N6thrust23THRUST_200600_302600_NS6detail15normal_iteratorINS8_7pointerIjNS8_11hip_rocprim5par_tENS8_11use_defaultESE_EEEENSA_INSB_IiSD_SE_SE_EEEEZNS1_13binary_searchIS3_S5_NSA_INS8_10device_ptrIjEEEESG_SI_NS1_16binary_search_opENS9_16wrapped_functionINS8_6system6detail7generic6detail18binary_search_lessEbEEEE10hipError_tPvRmT1_T2_T3_mmT4_T5_P12ihipStream_tbEUlRKjE_EESV_SZ_S10_mS11_S14_bEUlT_E_NS1_11comp_targetILNS1_3genE9ELNS1_11target_archE1100ELNS1_3gpuE3ELNS1_3repE0EEENS1_30default_config_static_selectorELNS0_4arch9wavefront6targetE1EEEvSY_
	.globl	_ZN7rocprim17ROCPRIM_400000_NS6detail17trampoline_kernelINS0_14default_configENS1_29binary_search_config_selectorIjiEEZNS1_14transform_implILb0ES3_S5_N6thrust23THRUST_200600_302600_NS6detail15normal_iteratorINS8_7pointerIjNS8_11hip_rocprim5par_tENS8_11use_defaultESE_EEEENSA_INSB_IiSD_SE_SE_EEEEZNS1_13binary_searchIS3_S5_NSA_INS8_10device_ptrIjEEEESG_SI_NS1_16binary_search_opENS9_16wrapped_functionINS8_6system6detail7generic6detail18binary_search_lessEbEEEE10hipError_tPvRmT1_T2_T3_mmT4_T5_P12ihipStream_tbEUlRKjE_EESV_SZ_S10_mS11_S14_bEUlT_E_NS1_11comp_targetILNS1_3genE9ELNS1_11target_archE1100ELNS1_3gpuE3ELNS1_3repE0EEENS1_30default_config_static_selectorELNS0_4arch9wavefront6targetE1EEEvSY_
	.p2align	8
	.type	_ZN7rocprim17ROCPRIM_400000_NS6detail17trampoline_kernelINS0_14default_configENS1_29binary_search_config_selectorIjiEEZNS1_14transform_implILb0ES3_S5_N6thrust23THRUST_200600_302600_NS6detail15normal_iteratorINS8_7pointerIjNS8_11hip_rocprim5par_tENS8_11use_defaultESE_EEEENSA_INSB_IiSD_SE_SE_EEEEZNS1_13binary_searchIS3_S5_NSA_INS8_10device_ptrIjEEEESG_SI_NS1_16binary_search_opENS9_16wrapped_functionINS8_6system6detail7generic6detail18binary_search_lessEbEEEE10hipError_tPvRmT1_T2_T3_mmT4_T5_P12ihipStream_tbEUlRKjE_EESV_SZ_S10_mS11_S14_bEUlT_E_NS1_11comp_targetILNS1_3genE9ELNS1_11target_archE1100ELNS1_3gpuE3ELNS1_3repE0EEENS1_30default_config_static_selectorELNS0_4arch9wavefront6targetE1EEEvSY_,@function
_ZN7rocprim17ROCPRIM_400000_NS6detail17trampoline_kernelINS0_14default_configENS1_29binary_search_config_selectorIjiEEZNS1_14transform_implILb0ES3_S5_N6thrust23THRUST_200600_302600_NS6detail15normal_iteratorINS8_7pointerIjNS8_11hip_rocprim5par_tENS8_11use_defaultESE_EEEENSA_INSB_IiSD_SE_SE_EEEEZNS1_13binary_searchIS3_S5_NSA_INS8_10device_ptrIjEEEESG_SI_NS1_16binary_search_opENS9_16wrapped_functionINS8_6system6detail7generic6detail18binary_search_lessEbEEEE10hipError_tPvRmT1_T2_T3_mmT4_T5_P12ihipStream_tbEUlRKjE_EESV_SZ_S10_mS11_S14_bEUlT_E_NS1_11comp_targetILNS1_3genE9ELNS1_11target_archE1100ELNS1_3gpuE3ELNS1_3repE0EEENS1_30default_config_static_selectorELNS0_4arch9wavefront6targetE1EEEvSY_: ; @_ZN7rocprim17ROCPRIM_400000_NS6detail17trampoline_kernelINS0_14default_configENS1_29binary_search_config_selectorIjiEEZNS1_14transform_implILb0ES3_S5_N6thrust23THRUST_200600_302600_NS6detail15normal_iteratorINS8_7pointerIjNS8_11hip_rocprim5par_tENS8_11use_defaultESE_EEEENSA_INSB_IiSD_SE_SE_EEEEZNS1_13binary_searchIS3_S5_NSA_INS8_10device_ptrIjEEEESG_SI_NS1_16binary_search_opENS9_16wrapped_functionINS8_6system6detail7generic6detail18binary_search_lessEbEEEE10hipError_tPvRmT1_T2_T3_mmT4_T5_P12ihipStream_tbEUlRKjE_EESV_SZ_S10_mS11_S14_bEUlT_E_NS1_11comp_targetILNS1_3genE9ELNS1_11target_archE1100ELNS1_3gpuE3ELNS1_3repE0EEENS1_30default_config_static_selectorELNS0_4arch9wavefront6targetE1EEEvSY_
; %bb.0:
	.section	.rodata,"a",@progbits
	.p2align	6, 0x0
	.amdhsa_kernel _ZN7rocprim17ROCPRIM_400000_NS6detail17trampoline_kernelINS0_14default_configENS1_29binary_search_config_selectorIjiEEZNS1_14transform_implILb0ES3_S5_N6thrust23THRUST_200600_302600_NS6detail15normal_iteratorINS8_7pointerIjNS8_11hip_rocprim5par_tENS8_11use_defaultESE_EEEENSA_INSB_IiSD_SE_SE_EEEEZNS1_13binary_searchIS3_S5_NSA_INS8_10device_ptrIjEEEESG_SI_NS1_16binary_search_opENS9_16wrapped_functionINS8_6system6detail7generic6detail18binary_search_lessEbEEEE10hipError_tPvRmT1_T2_T3_mmT4_T5_P12ihipStream_tbEUlRKjE_EESV_SZ_S10_mS11_S14_bEUlT_E_NS1_11comp_targetILNS1_3genE9ELNS1_11target_archE1100ELNS1_3gpuE3ELNS1_3repE0EEENS1_30default_config_static_selectorELNS0_4arch9wavefront6targetE1EEEvSY_
		.amdhsa_group_segment_fixed_size 0
		.amdhsa_private_segment_fixed_size 0
		.amdhsa_kernarg_size 56
		.amdhsa_user_sgpr_count 6
		.amdhsa_user_sgpr_private_segment_buffer 1
		.amdhsa_user_sgpr_dispatch_ptr 0
		.amdhsa_user_sgpr_queue_ptr 0
		.amdhsa_user_sgpr_kernarg_segment_ptr 1
		.amdhsa_user_sgpr_dispatch_id 0
		.amdhsa_user_sgpr_flat_scratch_init 0
		.amdhsa_user_sgpr_private_segment_size 0
		.amdhsa_uses_dynamic_stack 0
		.amdhsa_system_sgpr_private_segment_wavefront_offset 0
		.amdhsa_system_sgpr_workgroup_id_x 1
		.amdhsa_system_sgpr_workgroup_id_y 0
		.amdhsa_system_sgpr_workgroup_id_z 0
		.amdhsa_system_sgpr_workgroup_info 0
		.amdhsa_system_vgpr_workitem_id 0
		.amdhsa_next_free_vgpr 1
		.amdhsa_next_free_sgpr 0
		.amdhsa_reserve_vcc 0
		.amdhsa_reserve_flat_scratch 0
		.amdhsa_float_round_mode_32 0
		.amdhsa_float_round_mode_16_64 0
		.amdhsa_float_denorm_mode_32 3
		.amdhsa_float_denorm_mode_16_64 3
		.amdhsa_dx10_clamp 1
		.amdhsa_ieee_mode 1
		.amdhsa_fp16_overflow 0
		.amdhsa_exception_fp_ieee_invalid_op 0
		.amdhsa_exception_fp_denorm_src 0
		.amdhsa_exception_fp_ieee_div_zero 0
		.amdhsa_exception_fp_ieee_overflow 0
		.amdhsa_exception_fp_ieee_underflow 0
		.amdhsa_exception_fp_ieee_inexact 0
		.amdhsa_exception_int_div_zero 0
	.end_amdhsa_kernel
	.section	.text._ZN7rocprim17ROCPRIM_400000_NS6detail17trampoline_kernelINS0_14default_configENS1_29binary_search_config_selectorIjiEEZNS1_14transform_implILb0ES3_S5_N6thrust23THRUST_200600_302600_NS6detail15normal_iteratorINS8_7pointerIjNS8_11hip_rocprim5par_tENS8_11use_defaultESE_EEEENSA_INSB_IiSD_SE_SE_EEEEZNS1_13binary_searchIS3_S5_NSA_INS8_10device_ptrIjEEEESG_SI_NS1_16binary_search_opENS9_16wrapped_functionINS8_6system6detail7generic6detail18binary_search_lessEbEEEE10hipError_tPvRmT1_T2_T3_mmT4_T5_P12ihipStream_tbEUlRKjE_EESV_SZ_S10_mS11_S14_bEUlT_E_NS1_11comp_targetILNS1_3genE9ELNS1_11target_archE1100ELNS1_3gpuE3ELNS1_3repE0EEENS1_30default_config_static_selectorELNS0_4arch9wavefront6targetE1EEEvSY_,"axG",@progbits,_ZN7rocprim17ROCPRIM_400000_NS6detail17trampoline_kernelINS0_14default_configENS1_29binary_search_config_selectorIjiEEZNS1_14transform_implILb0ES3_S5_N6thrust23THRUST_200600_302600_NS6detail15normal_iteratorINS8_7pointerIjNS8_11hip_rocprim5par_tENS8_11use_defaultESE_EEEENSA_INSB_IiSD_SE_SE_EEEEZNS1_13binary_searchIS3_S5_NSA_INS8_10device_ptrIjEEEESG_SI_NS1_16binary_search_opENS9_16wrapped_functionINS8_6system6detail7generic6detail18binary_search_lessEbEEEE10hipError_tPvRmT1_T2_T3_mmT4_T5_P12ihipStream_tbEUlRKjE_EESV_SZ_S10_mS11_S14_bEUlT_E_NS1_11comp_targetILNS1_3genE9ELNS1_11target_archE1100ELNS1_3gpuE3ELNS1_3repE0EEENS1_30default_config_static_selectorELNS0_4arch9wavefront6targetE1EEEvSY_,comdat
.Lfunc_end678:
	.size	_ZN7rocprim17ROCPRIM_400000_NS6detail17trampoline_kernelINS0_14default_configENS1_29binary_search_config_selectorIjiEEZNS1_14transform_implILb0ES3_S5_N6thrust23THRUST_200600_302600_NS6detail15normal_iteratorINS8_7pointerIjNS8_11hip_rocprim5par_tENS8_11use_defaultESE_EEEENSA_INSB_IiSD_SE_SE_EEEEZNS1_13binary_searchIS3_S5_NSA_INS8_10device_ptrIjEEEESG_SI_NS1_16binary_search_opENS9_16wrapped_functionINS8_6system6detail7generic6detail18binary_search_lessEbEEEE10hipError_tPvRmT1_T2_T3_mmT4_T5_P12ihipStream_tbEUlRKjE_EESV_SZ_S10_mS11_S14_bEUlT_E_NS1_11comp_targetILNS1_3genE9ELNS1_11target_archE1100ELNS1_3gpuE3ELNS1_3repE0EEENS1_30default_config_static_selectorELNS0_4arch9wavefront6targetE1EEEvSY_, .Lfunc_end678-_ZN7rocprim17ROCPRIM_400000_NS6detail17trampoline_kernelINS0_14default_configENS1_29binary_search_config_selectorIjiEEZNS1_14transform_implILb0ES3_S5_N6thrust23THRUST_200600_302600_NS6detail15normal_iteratorINS8_7pointerIjNS8_11hip_rocprim5par_tENS8_11use_defaultESE_EEEENSA_INSB_IiSD_SE_SE_EEEEZNS1_13binary_searchIS3_S5_NSA_INS8_10device_ptrIjEEEESG_SI_NS1_16binary_search_opENS9_16wrapped_functionINS8_6system6detail7generic6detail18binary_search_lessEbEEEE10hipError_tPvRmT1_T2_T3_mmT4_T5_P12ihipStream_tbEUlRKjE_EESV_SZ_S10_mS11_S14_bEUlT_E_NS1_11comp_targetILNS1_3genE9ELNS1_11target_archE1100ELNS1_3gpuE3ELNS1_3repE0EEENS1_30default_config_static_selectorELNS0_4arch9wavefront6targetE1EEEvSY_
                                        ; -- End function
	.set _ZN7rocprim17ROCPRIM_400000_NS6detail17trampoline_kernelINS0_14default_configENS1_29binary_search_config_selectorIjiEEZNS1_14transform_implILb0ES3_S5_N6thrust23THRUST_200600_302600_NS6detail15normal_iteratorINS8_7pointerIjNS8_11hip_rocprim5par_tENS8_11use_defaultESE_EEEENSA_INSB_IiSD_SE_SE_EEEEZNS1_13binary_searchIS3_S5_NSA_INS8_10device_ptrIjEEEESG_SI_NS1_16binary_search_opENS9_16wrapped_functionINS8_6system6detail7generic6detail18binary_search_lessEbEEEE10hipError_tPvRmT1_T2_T3_mmT4_T5_P12ihipStream_tbEUlRKjE_EESV_SZ_S10_mS11_S14_bEUlT_E_NS1_11comp_targetILNS1_3genE9ELNS1_11target_archE1100ELNS1_3gpuE3ELNS1_3repE0EEENS1_30default_config_static_selectorELNS0_4arch9wavefront6targetE1EEEvSY_.num_vgpr, 0
	.set _ZN7rocprim17ROCPRIM_400000_NS6detail17trampoline_kernelINS0_14default_configENS1_29binary_search_config_selectorIjiEEZNS1_14transform_implILb0ES3_S5_N6thrust23THRUST_200600_302600_NS6detail15normal_iteratorINS8_7pointerIjNS8_11hip_rocprim5par_tENS8_11use_defaultESE_EEEENSA_INSB_IiSD_SE_SE_EEEEZNS1_13binary_searchIS3_S5_NSA_INS8_10device_ptrIjEEEESG_SI_NS1_16binary_search_opENS9_16wrapped_functionINS8_6system6detail7generic6detail18binary_search_lessEbEEEE10hipError_tPvRmT1_T2_T3_mmT4_T5_P12ihipStream_tbEUlRKjE_EESV_SZ_S10_mS11_S14_bEUlT_E_NS1_11comp_targetILNS1_3genE9ELNS1_11target_archE1100ELNS1_3gpuE3ELNS1_3repE0EEENS1_30default_config_static_selectorELNS0_4arch9wavefront6targetE1EEEvSY_.num_agpr, 0
	.set _ZN7rocprim17ROCPRIM_400000_NS6detail17trampoline_kernelINS0_14default_configENS1_29binary_search_config_selectorIjiEEZNS1_14transform_implILb0ES3_S5_N6thrust23THRUST_200600_302600_NS6detail15normal_iteratorINS8_7pointerIjNS8_11hip_rocprim5par_tENS8_11use_defaultESE_EEEENSA_INSB_IiSD_SE_SE_EEEEZNS1_13binary_searchIS3_S5_NSA_INS8_10device_ptrIjEEEESG_SI_NS1_16binary_search_opENS9_16wrapped_functionINS8_6system6detail7generic6detail18binary_search_lessEbEEEE10hipError_tPvRmT1_T2_T3_mmT4_T5_P12ihipStream_tbEUlRKjE_EESV_SZ_S10_mS11_S14_bEUlT_E_NS1_11comp_targetILNS1_3genE9ELNS1_11target_archE1100ELNS1_3gpuE3ELNS1_3repE0EEENS1_30default_config_static_selectorELNS0_4arch9wavefront6targetE1EEEvSY_.numbered_sgpr, 0
	.set _ZN7rocprim17ROCPRIM_400000_NS6detail17trampoline_kernelINS0_14default_configENS1_29binary_search_config_selectorIjiEEZNS1_14transform_implILb0ES3_S5_N6thrust23THRUST_200600_302600_NS6detail15normal_iteratorINS8_7pointerIjNS8_11hip_rocprim5par_tENS8_11use_defaultESE_EEEENSA_INSB_IiSD_SE_SE_EEEEZNS1_13binary_searchIS3_S5_NSA_INS8_10device_ptrIjEEEESG_SI_NS1_16binary_search_opENS9_16wrapped_functionINS8_6system6detail7generic6detail18binary_search_lessEbEEEE10hipError_tPvRmT1_T2_T3_mmT4_T5_P12ihipStream_tbEUlRKjE_EESV_SZ_S10_mS11_S14_bEUlT_E_NS1_11comp_targetILNS1_3genE9ELNS1_11target_archE1100ELNS1_3gpuE3ELNS1_3repE0EEENS1_30default_config_static_selectorELNS0_4arch9wavefront6targetE1EEEvSY_.num_named_barrier, 0
	.set _ZN7rocprim17ROCPRIM_400000_NS6detail17trampoline_kernelINS0_14default_configENS1_29binary_search_config_selectorIjiEEZNS1_14transform_implILb0ES3_S5_N6thrust23THRUST_200600_302600_NS6detail15normal_iteratorINS8_7pointerIjNS8_11hip_rocprim5par_tENS8_11use_defaultESE_EEEENSA_INSB_IiSD_SE_SE_EEEEZNS1_13binary_searchIS3_S5_NSA_INS8_10device_ptrIjEEEESG_SI_NS1_16binary_search_opENS9_16wrapped_functionINS8_6system6detail7generic6detail18binary_search_lessEbEEEE10hipError_tPvRmT1_T2_T3_mmT4_T5_P12ihipStream_tbEUlRKjE_EESV_SZ_S10_mS11_S14_bEUlT_E_NS1_11comp_targetILNS1_3genE9ELNS1_11target_archE1100ELNS1_3gpuE3ELNS1_3repE0EEENS1_30default_config_static_selectorELNS0_4arch9wavefront6targetE1EEEvSY_.private_seg_size, 0
	.set _ZN7rocprim17ROCPRIM_400000_NS6detail17trampoline_kernelINS0_14default_configENS1_29binary_search_config_selectorIjiEEZNS1_14transform_implILb0ES3_S5_N6thrust23THRUST_200600_302600_NS6detail15normal_iteratorINS8_7pointerIjNS8_11hip_rocprim5par_tENS8_11use_defaultESE_EEEENSA_INSB_IiSD_SE_SE_EEEEZNS1_13binary_searchIS3_S5_NSA_INS8_10device_ptrIjEEEESG_SI_NS1_16binary_search_opENS9_16wrapped_functionINS8_6system6detail7generic6detail18binary_search_lessEbEEEE10hipError_tPvRmT1_T2_T3_mmT4_T5_P12ihipStream_tbEUlRKjE_EESV_SZ_S10_mS11_S14_bEUlT_E_NS1_11comp_targetILNS1_3genE9ELNS1_11target_archE1100ELNS1_3gpuE3ELNS1_3repE0EEENS1_30default_config_static_selectorELNS0_4arch9wavefront6targetE1EEEvSY_.uses_vcc, 0
	.set _ZN7rocprim17ROCPRIM_400000_NS6detail17trampoline_kernelINS0_14default_configENS1_29binary_search_config_selectorIjiEEZNS1_14transform_implILb0ES3_S5_N6thrust23THRUST_200600_302600_NS6detail15normal_iteratorINS8_7pointerIjNS8_11hip_rocprim5par_tENS8_11use_defaultESE_EEEENSA_INSB_IiSD_SE_SE_EEEEZNS1_13binary_searchIS3_S5_NSA_INS8_10device_ptrIjEEEESG_SI_NS1_16binary_search_opENS9_16wrapped_functionINS8_6system6detail7generic6detail18binary_search_lessEbEEEE10hipError_tPvRmT1_T2_T3_mmT4_T5_P12ihipStream_tbEUlRKjE_EESV_SZ_S10_mS11_S14_bEUlT_E_NS1_11comp_targetILNS1_3genE9ELNS1_11target_archE1100ELNS1_3gpuE3ELNS1_3repE0EEENS1_30default_config_static_selectorELNS0_4arch9wavefront6targetE1EEEvSY_.uses_flat_scratch, 0
	.set _ZN7rocprim17ROCPRIM_400000_NS6detail17trampoline_kernelINS0_14default_configENS1_29binary_search_config_selectorIjiEEZNS1_14transform_implILb0ES3_S5_N6thrust23THRUST_200600_302600_NS6detail15normal_iteratorINS8_7pointerIjNS8_11hip_rocprim5par_tENS8_11use_defaultESE_EEEENSA_INSB_IiSD_SE_SE_EEEEZNS1_13binary_searchIS3_S5_NSA_INS8_10device_ptrIjEEEESG_SI_NS1_16binary_search_opENS9_16wrapped_functionINS8_6system6detail7generic6detail18binary_search_lessEbEEEE10hipError_tPvRmT1_T2_T3_mmT4_T5_P12ihipStream_tbEUlRKjE_EESV_SZ_S10_mS11_S14_bEUlT_E_NS1_11comp_targetILNS1_3genE9ELNS1_11target_archE1100ELNS1_3gpuE3ELNS1_3repE0EEENS1_30default_config_static_selectorELNS0_4arch9wavefront6targetE1EEEvSY_.has_dyn_sized_stack, 0
	.set _ZN7rocprim17ROCPRIM_400000_NS6detail17trampoline_kernelINS0_14default_configENS1_29binary_search_config_selectorIjiEEZNS1_14transform_implILb0ES3_S5_N6thrust23THRUST_200600_302600_NS6detail15normal_iteratorINS8_7pointerIjNS8_11hip_rocprim5par_tENS8_11use_defaultESE_EEEENSA_INSB_IiSD_SE_SE_EEEEZNS1_13binary_searchIS3_S5_NSA_INS8_10device_ptrIjEEEESG_SI_NS1_16binary_search_opENS9_16wrapped_functionINS8_6system6detail7generic6detail18binary_search_lessEbEEEE10hipError_tPvRmT1_T2_T3_mmT4_T5_P12ihipStream_tbEUlRKjE_EESV_SZ_S10_mS11_S14_bEUlT_E_NS1_11comp_targetILNS1_3genE9ELNS1_11target_archE1100ELNS1_3gpuE3ELNS1_3repE0EEENS1_30default_config_static_selectorELNS0_4arch9wavefront6targetE1EEEvSY_.has_recursion, 0
	.set _ZN7rocprim17ROCPRIM_400000_NS6detail17trampoline_kernelINS0_14default_configENS1_29binary_search_config_selectorIjiEEZNS1_14transform_implILb0ES3_S5_N6thrust23THRUST_200600_302600_NS6detail15normal_iteratorINS8_7pointerIjNS8_11hip_rocprim5par_tENS8_11use_defaultESE_EEEENSA_INSB_IiSD_SE_SE_EEEEZNS1_13binary_searchIS3_S5_NSA_INS8_10device_ptrIjEEEESG_SI_NS1_16binary_search_opENS9_16wrapped_functionINS8_6system6detail7generic6detail18binary_search_lessEbEEEE10hipError_tPvRmT1_T2_T3_mmT4_T5_P12ihipStream_tbEUlRKjE_EESV_SZ_S10_mS11_S14_bEUlT_E_NS1_11comp_targetILNS1_3genE9ELNS1_11target_archE1100ELNS1_3gpuE3ELNS1_3repE0EEENS1_30default_config_static_selectorELNS0_4arch9wavefront6targetE1EEEvSY_.has_indirect_call, 0
	.section	.AMDGPU.csdata,"",@progbits
; Kernel info:
; codeLenInByte = 0
; TotalNumSgprs: 4
; NumVgprs: 0
; ScratchSize: 0
; MemoryBound: 0
; FloatMode: 240
; IeeeMode: 1
; LDSByteSize: 0 bytes/workgroup (compile time only)
; SGPRBlocks: 0
; VGPRBlocks: 0
; NumSGPRsForWavesPerEU: 4
; NumVGPRsForWavesPerEU: 1
; Occupancy: 10
; WaveLimiterHint : 0
; COMPUTE_PGM_RSRC2:SCRATCH_EN: 0
; COMPUTE_PGM_RSRC2:USER_SGPR: 6
; COMPUTE_PGM_RSRC2:TRAP_HANDLER: 0
; COMPUTE_PGM_RSRC2:TGID_X_EN: 1
; COMPUTE_PGM_RSRC2:TGID_Y_EN: 0
; COMPUTE_PGM_RSRC2:TGID_Z_EN: 0
; COMPUTE_PGM_RSRC2:TIDIG_COMP_CNT: 0
	.section	.text._ZN7rocprim17ROCPRIM_400000_NS6detail17trampoline_kernelINS0_14default_configENS1_29binary_search_config_selectorIjiEEZNS1_14transform_implILb0ES3_S5_N6thrust23THRUST_200600_302600_NS6detail15normal_iteratorINS8_7pointerIjNS8_11hip_rocprim5par_tENS8_11use_defaultESE_EEEENSA_INSB_IiSD_SE_SE_EEEEZNS1_13binary_searchIS3_S5_NSA_INS8_10device_ptrIjEEEESG_SI_NS1_16binary_search_opENS9_16wrapped_functionINS8_6system6detail7generic6detail18binary_search_lessEbEEEE10hipError_tPvRmT1_T2_T3_mmT4_T5_P12ihipStream_tbEUlRKjE_EESV_SZ_S10_mS11_S14_bEUlT_E_NS1_11comp_targetILNS1_3genE8ELNS1_11target_archE1030ELNS1_3gpuE2ELNS1_3repE0EEENS1_30default_config_static_selectorELNS0_4arch9wavefront6targetE1EEEvSY_,"axG",@progbits,_ZN7rocprim17ROCPRIM_400000_NS6detail17trampoline_kernelINS0_14default_configENS1_29binary_search_config_selectorIjiEEZNS1_14transform_implILb0ES3_S5_N6thrust23THRUST_200600_302600_NS6detail15normal_iteratorINS8_7pointerIjNS8_11hip_rocprim5par_tENS8_11use_defaultESE_EEEENSA_INSB_IiSD_SE_SE_EEEEZNS1_13binary_searchIS3_S5_NSA_INS8_10device_ptrIjEEEESG_SI_NS1_16binary_search_opENS9_16wrapped_functionINS8_6system6detail7generic6detail18binary_search_lessEbEEEE10hipError_tPvRmT1_T2_T3_mmT4_T5_P12ihipStream_tbEUlRKjE_EESV_SZ_S10_mS11_S14_bEUlT_E_NS1_11comp_targetILNS1_3genE8ELNS1_11target_archE1030ELNS1_3gpuE2ELNS1_3repE0EEENS1_30default_config_static_selectorELNS0_4arch9wavefront6targetE1EEEvSY_,comdat
	.protected	_ZN7rocprim17ROCPRIM_400000_NS6detail17trampoline_kernelINS0_14default_configENS1_29binary_search_config_selectorIjiEEZNS1_14transform_implILb0ES3_S5_N6thrust23THRUST_200600_302600_NS6detail15normal_iteratorINS8_7pointerIjNS8_11hip_rocprim5par_tENS8_11use_defaultESE_EEEENSA_INSB_IiSD_SE_SE_EEEEZNS1_13binary_searchIS3_S5_NSA_INS8_10device_ptrIjEEEESG_SI_NS1_16binary_search_opENS9_16wrapped_functionINS8_6system6detail7generic6detail18binary_search_lessEbEEEE10hipError_tPvRmT1_T2_T3_mmT4_T5_P12ihipStream_tbEUlRKjE_EESV_SZ_S10_mS11_S14_bEUlT_E_NS1_11comp_targetILNS1_3genE8ELNS1_11target_archE1030ELNS1_3gpuE2ELNS1_3repE0EEENS1_30default_config_static_selectorELNS0_4arch9wavefront6targetE1EEEvSY_ ; -- Begin function _ZN7rocprim17ROCPRIM_400000_NS6detail17trampoline_kernelINS0_14default_configENS1_29binary_search_config_selectorIjiEEZNS1_14transform_implILb0ES3_S5_N6thrust23THRUST_200600_302600_NS6detail15normal_iteratorINS8_7pointerIjNS8_11hip_rocprim5par_tENS8_11use_defaultESE_EEEENSA_INSB_IiSD_SE_SE_EEEEZNS1_13binary_searchIS3_S5_NSA_INS8_10device_ptrIjEEEESG_SI_NS1_16binary_search_opENS9_16wrapped_functionINS8_6system6detail7generic6detail18binary_search_lessEbEEEE10hipError_tPvRmT1_T2_T3_mmT4_T5_P12ihipStream_tbEUlRKjE_EESV_SZ_S10_mS11_S14_bEUlT_E_NS1_11comp_targetILNS1_3genE8ELNS1_11target_archE1030ELNS1_3gpuE2ELNS1_3repE0EEENS1_30default_config_static_selectorELNS0_4arch9wavefront6targetE1EEEvSY_
	.globl	_ZN7rocprim17ROCPRIM_400000_NS6detail17trampoline_kernelINS0_14default_configENS1_29binary_search_config_selectorIjiEEZNS1_14transform_implILb0ES3_S5_N6thrust23THRUST_200600_302600_NS6detail15normal_iteratorINS8_7pointerIjNS8_11hip_rocprim5par_tENS8_11use_defaultESE_EEEENSA_INSB_IiSD_SE_SE_EEEEZNS1_13binary_searchIS3_S5_NSA_INS8_10device_ptrIjEEEESG_SI_NS1_16binary_search_opENS9_16wrapped_functionINS8_6system6detail7generic6detail18binary_search_lessEbEEEE10hipError_tPvRmT1_T2_T3_mmT4_T5_P12ihipStream_tbEUlRKjE_EESV_SZ_S10_mS11_S14_bEUlT_E_NS1_11comp_targetILNS1_3genE8ELNS1_11target_archE1030ELNS1_3gpuE2ELNS1_3repE0EEENS1_30default_config_static_selectorELNS0_4arch9wavefront6targetE1EEEvSY_
	.p2align	8
	.type	_ZN7rocprim17ROCPRIM_400000_NS6detail17trampoline_kernelINS0_14default_configENS1_29binary_search_config_selectorIjiEEZNS1_14transform_implILb0ES3_S5_N6thrust23THRUST_200600_302600_NS6detail15normal_iteratorINS8_7pointerIjNS8_11hip_rocprim5par_tENS8_11use_defaultESE_EEEENSA_INSB_IiSD_SE_SE_EEEEZNS1_13binary_searchIS3_S5_NSA_INS8_10device_ptrIjEEEESG_SI_NS1_16binary_search_opENS9_16wrapped_functionINS8_6system6detail7generic6detail18binary_search_lessEbEEEE10hipError_tPvRmT1_T2_T3_mmT4_T5_P12ihipStream_tbEUlRKjE_EESV_SZ_S10_mS11_S14_bEUlT_E_NS1_11comp_targetILNS1_3genE8ELNS1_11target_archE1030ELNS1_3gpuE2ELNS1_3repE0EEENS1_30default_config_static_selectorELNS0_4arch9wavefront6targetE1EEEvSY_,@function
_ZN7rocprim17ROCPRIM_400000_NS6detail17trampoline_kernelINS0_14default_configENS1_29binary_search_config_selectorIjiEEZNS1_14transform_implILb0ES3_S5_N6thrust23THRUST_200600_302600_NS6detail15normal_iteratorINS8_7pointerIjNS8_11hip_rocprim5par_tENS8_11use_defaultESE_EEEENSA_INSB_IiSD_SE_SE_EEEEZNS1_13binary_searchIS3_S5_NSA_INS8_10device_ptrIjEEEESG_SI_NS1_16binary_search_opENS9_16wrapped_functionINS8_6system6detail7generic6detail18binary_search_lessEbEEEE10hipError_tPvRmT1_T2_T3_mmT4_T5_P12ihipStream_tbEUlRKjE_EESV_SZ_S10_mS11_S14_bEUlT_E_NS1_11comp_targetILNS1_3genE8ELNS1_11target_archE1030ELNS1_3gpuE2ELNS1_3repE0EEENS1_30default_config_static_selectorELNS0_4arch9wavefront6targetE1EEEvSY_: ; @_ZN7rocprim17ROCPRIM_400000_NS6detail17trampoline_kernelINS0_14default_configENS1_29binary_search_config_selectorIjiEEZNS1_14transform_implILb0ES3_S5_N6thrust23THRUST_200600_302600_NS6detail15normal_iteratorINS8_7pointerIjNS8_11hip_rocprim5par_tENS8_11use_defaultESE_EEEENSA_INSB_IiSD_SE_SE_EEEEZNS1_13binary_searchIS3_S5_NSA_INS8_10device_ptrIjEEEESG_SI_NS1_16binary_search_opENS9_16wrapped_functionINS8_6system6detail7generic6detail18binary_search_lessEbEEEE10hipError_tPvRmT1_T2_T3_mmT4_T5_P12ihipStream_tbEUlRKjE_EESV_SZ_S10_mS11_S14_bEUlT_E_NS1_11comp_targetILNS1_3genE8ELNS1_11target_archE1030ELNS1_3gpuE2ELNS1_3repE0EEENS1_30default_config_static_selectorELNS0_4arch9wavefront6targetE1EEEvSY_
; %bb.0:
	.section	.rodata,"a",@progbits
	.p2align	6, 0x0
	.amdhsa_kernel _ZN7rocprim17ROCPRIM_400000_NS6detail17trampoline_kernelINS0_14default_configENS1_29binary_search_config_selectorIjiEEZNS1_14transform_implILb0ES3_S5_N6thrust23THRUST_200600_302600_NS6detail15normal_iteratorINS8_7pointerIjNS8_11hip_rocprim5par_tENS8_11use_defaultESE_EEEENSA_INSB_IiSD_SE_SE_EEEEZNS1_13binary_searchIS3_S5_NSA_INS8_10device_ptrIjEEEESG_SI_NS1_16binary_search_opENS9_16wrapped_functionINS8_6system6detail7generic6detail18binary_search_lessEbEEEE10hipError_tPvRmT1_T2_T3_mmT4_T5_P12ihipStream_tbEUlRKjE_EESV_SZ_S10_mS11_S14_bEUlT_E_NS1_11comp_targetILNS1_3genE8ELNS1_11target_archE1030ELNS1_3gpuE2ELNS1_3repE0EEENS1_30default_config_static_selectorELNS0_4arch9wavefront6targetE1EEEvSY_
		.amdhsa_group_segment_fixed_size 0
		.amdhsa_private_segment_fixed_size 0
		.amdhsa_kernarg_size 56
		.amdhsa_user_sgpr_count 6
		.amdhsa_user_sgpr_private_segment_buffer 1
		.amdhsa_user_sgpr_dispatch_ptr 0
		.amdhsa_user_sgpr_queue_ptr 0
		.amdhsa_user_sgpr_kernarg_segment_ptr 1
		.amdhsa_user_sgpr_dispatch_id 0
		.amdhsa_user_sgpr_flat_scratch_init 0
		.amdhsa_user_sgpr_private_segment_size 0
		.amdhsa_uses_dynamic_stack 0
		.amdhsa_system_sgpr_private_segment_wavefront_offset 0
		.amdhsa_system_sgpr_workgroup_id_x 1
		.amdhsa_system_sgpr_workgroup_id_y 0
		.amdhsa_system_sgpr_workgroup_id_z 0
		.amdhsa_system_sgpr_workgroup_info 0
		.amdhsa_system_vgpr_workitem_id 0
		.amdhsa_next_free_vgpr 1
		.amdhsa_next_free_sgpr 0
		.amdhsa_reserve_vcc 0
		.amdhsa_reserve_flat_scratch 0
		.amdhsa_float_round_mode_32 0
		.amdhsa_float_round_mode_16_64 0
		.amdhsa_float_denorm_mode_32 3
		.amdhsa_float_denorm_mode_16_64 3
		.amdhsa_dx10_clamp 1
		.amdhsa_ieee_mode 1
		.amdhsa_fp16_overflow 0
		.amdhsa_exception_fp_ieee_invalid_op 0
		.amdhsa_exception_fp_denorm_src 0
		.amdhsa_exception_fp_ieee_div_zero 0
		.amdhsa_exception_fp_ieee_overflow 0
		.amdhsa_exception_fp_ieee_underflow 0
		.amdhsa_exception_fp_ieee_inexact 0
		.amdhsa_exception_int_div_zero 0
	.end_amdhsa_kernel
	.section	.text._ZN7rocprim17ROCPRIM_400000_NS6detail17trampoline_kernelINS0_14default_configENS1_29binary_search_config_selectorIjiEEZNS1_14transform_implILb0ES3_S5_N6thrust23THRUST_200600_302600_NS6detail15normal_iteratorINS8_7pointerIjNS8_11hip_rocprim5par_tENS8_11use_defaultESE_EEEENSA_INSB_IiSD_SE_SE_EEEEZNS1_13binary_searchIS3_S5_NSA_INS8_10device_ptrIjEEEESG_SI_NS1_16binary_search_opENS9_16wrapped_functionINS8_6system6detail7generic6detail18binary_search_lessEbEEEE10hipError_tPvRmT1_T2_T3_mmT4_T5_P12ihipStream_tbEUlRKjE_EESV_SZ_S10_mS11_S14_bEUlT_E_NS1_11comp_targetILNS1_3genE8ELNS1_11target_archE1030ELNS1_3gpuE2ELNS1_3repE0EEENS1_30default_config_static_selectorELNS0_4arch9wavefront6targetE1EEEvSY_,"axG",@progbits,_ZN7rocprim17ROCPRIM_400000_NS6detail17trampoline_kernelINS0_14default_configENS1_29binary_search_config_selectorIjiEEZNS1_14transform_implILb0ES3_S5_N6thrust23THRUST_200600_302600_NS6detail15normal_iteratorINS8_7pointerIjNS8_11hip_rocprim5par_tENS8_11use_defaultESE_EEEENSA_INSB_IiSD_SE_SE_EEEEZNS1_13binary_searchIS3_S5_NSA_INS8_10device_ptrIjEEEESG_SI_NS1_16binary_search_opENS9_16wrapped_functionINS8_6system6detail7generic6detail18binary_search_lessEbEEEE10hipError_tPvRmT1_T2_T3_mmT4_T5_P12ihipStream_tbEUlRKjE_EESV_SZ_S10_mS11_S14_bEUlT_E_NS1_11comp_targetILNS1_3genE8ELNS1_11target_archE1030ELNS1_3gpuE2ELNS1_3repE0EEENS1_30default_config_static_selectorELNS0_4arch9wavefront6targetE1EEEvSY_,comdat
.Lfunc_end679:
	.size	_ZN7rocprim17ROCPRIM_400000_NS6detail17trampoline_kernelINS0_14default_configENS1_29binary_search_config_selectorIjiEEZNS1_14transform_implILb0ES3_S5_N6thrust23THRUST_200600_302600_NS6detail15normal_iteratorINS8_7pointerIjNS8_11hip_rocprim5par_tENS8_11use_defaultESE_EEEENSA_INSB_IiSD_SE_SE_EEEEZNS1_13binary_searchIS3_S5_NSA_INS8_10device_ptrIjEEEESG_SI_NS1_16binary_search_opENS9_16wrapped_functionINS8_6system6detail7generic6detail18binary_search_lessEbEEEE10hipError_tPvRmT1_T2_T3_mmT4_T5_P12ihipStream_tbEUlRKjE_EESV_SZ_S10_mS11_S14_bEUlT_E_NS1_11comp_targetILNS1_3genE8ELNS1_11target_archE1030ELNS1_3gpuE2ELNS1_3repE0EEENS1_30default_config_static_selectorELNS0_4arch9wavefront6targetE1EEEvSY_, .Lfunc_end679-_ZN7rocprim17ROCPRIM_400000_NS6detail17trampoline_kernelINS0_14default_configENS1_29binary_search_config_selectorIjiEEZNS1_14transform_implILb0ES3_S5_N6thrust23THRUST_200600_302600_NS6detail15normal_iteratorINS8_7pointerIjNS8_11hip_rocprim5par_tENS8_11use_defaultESE_EEEENSA_INSB_IiSD_SE_SE_EEEEZNS1_13binary_searchIS3_S5_NSA_INS8_10device_ptrIjEEEESG_SI_NS1_16binary_search_opENS9_16wrapped_functionINS8_6system6detail7generic6detail18binary_search_lessEbEEEE10hipError_tPvRmT1_T2_T3_mmT4_T5_P12ihipStream_tbEUlRKjE_EESV_SZ_S10_mS11_S14_bEUlT_E_NS1_11comp_targetILNS1_3genE8ELNS1_11target_archE1030ELNS1_3gpuE2ELNS1_3repE0EEENS1_30default_config_static_selectorELNS0_4arch9wavefront6targetE1EEEvSY_
                                        ; -- End function
	.set _ZN7rocprim17ROCPRIM_400000_NS6detail17trampoline_kernelINS0_14default_configENS1_29binary_search_config_selectorIjiEEZNS1_14transform_implILb0ES3_S5_N6thrust23THRUST_200600_302600_NS6detail15normal_iteratorINS8_7pointerIjNS8_11hip_rocprim5par_tENS8_11use_defaultESE_EEEENSA_INSB_IiSD_SE_SE_EEEEZNS1_13binary_searchIS3_S5_NSA_INS8_10device_ptrIjEEEESG_SI_NS1_16binary_search_opENS9_16wrapped_functionINS8_6system6detail7generic6detail18binary_search_lessEbEEEE10hipError_tPvRmT1_T2_T3_mmT4_T5_P12ihipStream_tbEUlRKjE_EESV_SZ_S10_mS11_S14_bEUlT_E_NS1_11comp_targetILNS1_3genE8ELNS1_11target_archE1030ELNS1_3gpuE2ELNS1_3repE0EEENS1_30default_config_static_selectorELNS0_4arch9wavefront6targetE1EEEvSY_.num_vgpr, 0
	.set _ZN7rocprim17ROCPRIM_400000_NS6detail17trampoline_kernelINS0_14default_configENS1_29binary_search_config_selectorIjiEEZNS1_14transform_implILb0ES3_S5_N6thrust23THRUST_200600_302600_NS6detail15normal_iteratorINS8_7pointerIjNS8_11hip_rocprim5par_tENS8_11use_defaultESE_EEEENSA_INSB_IiSD_SE_SE_EEEEZNS1_13binary_searchIS3_S5_NSA_INS8_10device_ptrIjEEEESG_SI_NS1_16binary_search_opENS9_16wrapped_functionINS8_6system6detail7generic6detail18binary_search_lessEbEEEE10hipError_tPvRmT1_T2_T3_mmT4_T5_P12ihipStream_tbEUlRKjE_EESV_SZ_S10_mS11_S14_bEUlT_E_NS1_11comp_targetILNS1_3genE8ELNS1_11target_archE1030ELNS1_3gpuE2ELNS1_3repE0EEENS1_30default_config_static_selectorELNS0_4arch9wavefront6targetE1EEEvSY_.num_agpr, 0
	.set _ZN7rocprim17ROCPRIM_400000_NS6detail17trampoline_kernelINS0_14default_configENS1_29binary_search_config_selectorIjiEEZNS1_14transform_implILb0ES3_S5_N6thrust23THRUST_200600_302600_NS6detail15normal_iteratorINS8_7pointerIjNS8_11hip_rocprim5par_tENS8_11use_defaultESE_EEEENSA_INSB_IiSD_SE_SE_EEEEZNS1_13binary_searchIS3_S5_NSA_INS8_10device_ptrIjEEEESG_SI_NS1_16binary_search_opENS9_16wrapped_functionINS8_6system6detail7generic6detail18binary_search_lessEbEEEE10hipError_tPvRmT1_T2_T3_mmT4_T5_P12ihipStream_tbEUlRKjE_EESV_SZ_S10_mS11_S14_bEUlT_E_NS1_11comp_targetILNS1_3genE8ELNS1_11target_archE1030ELNS1_3gpuE2ELNS1_3repE0EEENS1_30default_config_static_selectorELNS0_4arch9wavefront6targetE1EEEvSY_.numbered_sgpr, 0
	.set _ZN7rocprim17ROCPRIM_400000_NS6detail17trampoline_kernelINS0_14default_configENS1_29binary_search_config_selectorIjiEEZNS1_14transform_implILb0ES3_S5_N6thrust23THRUST_200600_302600_NS6detail15normal_iteratorINS8_7pointerIjNS8_11hip_rocprim5par_tENS8_11use_defaultESE_EEEENSA_INSB_IiSD_SE_SE_EEEEZNS1_13binary_searchIS3_S5_NSA_INS8_10device_ptrIjEEEESG_SI_NS1_16binary_search_opENS9_16wrapped_functionINS8_6system6detail7generic6detail18binary_search_lessEbEEEE10hipError_tPvRmT1_T2_T3_mmT4_T5_P12ihipStream_tbEUlRKjE_EESV_SZ_S10_mS11_S14_bEUlT_E_NS1_11comp_targetILNS1_3genE8ELNS1_11target_archE1030ELNS1_3gpuE2ELNS1_3repE0EEENS1_30default_config_static_selectorELNS0_4arch9wavefront6targetE1EEEvSY_.num_named_barrier, 0
	.set _ZN7rocprim17ROCPRIM_400000_NS6detail17trampoline_kernelINS0_14default_configENS1_29binary_search_config_selectorIjiEEZNS1_14transform_implILb0ES3_S5_N6thrust23THRUST_200600_302600_NS6detail15normal_iteratorINS8_7pointerIjNS8_11hip_rocprim5par_tENS8_11use_defaultESE_EEEENSA_INSB_IiSD_SE_SE_EEEEZNS1_13binary_searchIS3_S5_NSA_INS8_10device_ptrIjEEEESG_SI_NS1_16binary_search_opENS9_16wrapped_functionINS8_6system6detail7generic6detail18binary_search_lessEbEEEE10hipError_tPvRmT1_T2_T3_mmT4_T5_P12ihipStream_tbEUlRKjE_EESV_SZ_S10_mS11_S14_bEUlT_E_NS1_11comp_targetILNS1_3genE8ELNS1_11target_archE1030ELNS1_3gpuE2ELNS1_3repE0EEENS1_30default_config_static_selectorELNS0_4arch9wavefront6targetE1EEEvSY_.private_seg_size, 0
	.set _ZN7rocprim17ROCPRIM_400000_NS6detail17trampoline_kernelINS0_14default_configENS1_29binary_search_config_selectorIjiEEZNS1_14transform_implILb0ES3_S5_N6thrust23THRUST_200600_302600_NS6detail15normal_iteratorINS8_7pointerIjNS8_11hip_rocprim5par_tENS8_11use_defaultESE_EEEENSA_INSB_IiSD_SE_SE_EEEEZNS1_13binary_searchIS3_S5_NSA_INS8_10device_ptrIjEEEESG_SI_NS1_16binary_search_opENS9_16wrapped_functionINS8_6system6detail7generic6detail18binary_search_lessEbEEEE10hipError_tPvRmT1_T2_T3_mmT4_T5_P12ihipStream_tbEUlRKjE_EESV_SZ_S10_mS11_S14_bEUlT_E_NS1_11comp_targetILNS1_3genE8ELNS1_11target_archE1030ELNS1_3gpuE2ELNS1_3repE0EEENS1_30default_config_static_selectorELNS0_4arch9wavefront6targetE1EEEvSY_.uses_vcc, 0
	.set _ZN7rocprim17ROCPRIM_400000_NS6detail17trampoline_kernelINS0_14default_configENS1_29binary_search_config_selectorIjiEEZNS1_14transform_implILb0ES3_S5_N6thrust23THRUST_200600_302600_NS6detail15normal_iteratorINS8_7pointerIjNS8_11hip_rocprim5par_tENS8_11use_defaultESE_EEEENSA_INSB_IiSD_SE_SE_EEEEZNS1_13binary_searchIS3_S5_NSA_INS8_10device_ptrIjEEEESG_SI_NS1_16binary_search_opENS9_16wrapped_functionINS8_6system6detail7generic6detail18binary_search_lessEbEEEE10hipError_tPvRmT1_T2_T3_mmT4_T5_P12ihipStream_tbEUlRKjE_EESV_SZ_S10_mS11_S14_bEUlT_E_NS1_11comp_targetILNS1_3genE8ELNS1_11target_archE1030ELNS1_3gpuE2ELNS1_3repE0EEENS1_30default_config_static_selectorELNS0_4arch9wavefront6targetE1EEEvSY_.uses_flat_scratch, 0
	.set _ZN7rocprim17ROCPRIM_400000_NS6detail17trampoline_kernelINS0_14default_configENS1_29binary_search_config_selectorIjiEEZNS1_14transform_implILb0ES3_S5_N6thrust23THRUST_200600_302600_NS6detail15normal_iteratorINS8_7pointerIjNS8_11hip_rocprim5par_tENS8_11use_defaultESE_EEEENSA_INSB_IiSD_SE_SE_EEEEZNS1_13binary_searchIS3_S5_NSA_INS8_10device_ptrIjEEEESG_SI_NS1_16binary_search_opENS9_16wrapped_functionINS8_6system6detail7generic6detail18binary_search_lessEbEEEE10hipError_tPvRmT1_T2_T3_mmT4_T5_P12ihipStream_tbEUlRKjE_EESV_SZ_S10_mS11_S14_bEUlT_E_NS1_11comp_targetILNS1_3genE8ELNS1_11target_archE1030ELNS1_3gpuE2ELNS1_3repE0EEENS1_30default_config_static_selectorELNS0_4arch9wavefront6targetE1EEEvSY_.has_dyn_sized_stack, 0
	.set _ZN7rocprim17ROCPRIM_400000_NS6detail17trampoline_kernelINS0_14default_configENS1_29binary_search_config_selectorIjiEEZNS1_14transform_implILb0ES3_S5_N6thrust23THRUST_200600_302600_NS6detail15normal_iteratorINS8_7pointerIjNS8_11hip_rocprim5par_tENS8_11use_defaultESE_EEEENSA_INSB_IiSD_SE_SE_EEEEZNS1_13binary_searchIS3_S5_NSA_INS8_10device_ptrIjEEEESG_SI_NS1_16binary_search_opENS9_16wrapped_functionINS8_6system6detail7generic6detail18binary_search_lessEbEEEE10hipError_tPvRmT1_T2_T3_mmT4_T5_P12ihipStream_tbEUlRKjE_EESV_SZ_S10_mS11_S14_bEUlT_E_NS1_11comp_targetILNS1_3genE8ELNS1_11target_archE1030ELNS1_3gpuE2ELNS1_3repE0EEENS1_30default_config_static_selectorELNS0_4arch9wavefront6targetE1EEEvSY_.has_recursion, 0
	.set _ZN7rocprim17ROCPRIM_400000_NS6detail17trampoline_kernelINS0_14default_configENS1_29binary_search_config_selectorIjiEEZNS1_14transform_implILb0ES3_S5_N6thrust23THRUST_200600_302600_NS6detail15normal_iteratorINS8_7pointerIjNS8_11hip_rocprim5par_tENS8_11use_defaultESE_EEEENSA_INSB_IiSD_SE_SE_EEEEZNS1_13binary_searchIS3_S5_NSA_INS8_10device_ptrIjEEEESG_SI_NS1_16binary_search_opENS9_16wrapped_functionINS8_6system6detail7generic6detail18binary_search_lessEbEEEE10hipError_tPvRmT1_T2_T3_mmT4_T5_P12ihipStream_tbEUlRKjE_EESV_SZ_S10_mS11_S14_bEUlT_E_NS1_11comp_targetILNS1_3genE8ELNS1_11target_archE1030ELNS1_3gpuE2ELNS1_3repE0EEENS1_30default_config_static_selectorELNS0_4arch9wavefront6targetE1EEEvSY_.has_indirect_call, 0
	.section	.AMDGPU.csdata,"",@progbits
; Kernel info:
; codeLenInByte = 0
; TotalNumSgprs: 4
; NumVgprs: 0
; ScratchSize: 0
; MemoryBound: 0
; FloatMode: 240
; IeeeMode: 1
; LDSByteSize: 0 bytes/workgroup (compile time only)
; SGPRBlocks: 0
; VGPRBlocks: 0
; NumSGPRsForWavesPerEU: 4
; NumVGPRsForWavesPerEU: 1
; Occupancy: 10
; WaveLimiterHint : 0
; COMPUTE_PGM_RSRC2:SCRATCH_EN: 0
; COMPUTE_PGM_RSRC2:USER_SGPR: 6
; COMPUTE_PGM_RSRC2:TRAP_HANDLER: 0
; COMPUTE_PGM_RSRC2:TGID_X_EN: 1
; COMPUTE_PGM_RSRC2:TGID_Y_EN: 0
; COMPUTE_PGM_RSRC2:TGID_Z_EN: 0
; COMPUTE_PGM_RSRC2:TIDIG_COMP_CNT: 0
	.section	.text._ZN7rocprim17ROCPRIM_400000_NS6detail17trampoline_kernelINS0_14default_configENS1_29binary_search_config_selectorItiEEZNS1_14transform_implILb0ES3_S5_N6thrust23THRUST_200600_302600_NS6detail15normal_iteratorINS8_7pointerItNS8_11hip_rocprim5par_tENS8_11use_defaultESE_EEEENSA_INSB_IiSD_SE_SE_EEEEZNS1_13binary_searchIS3_S5_NSA_INS8_10device_ptrItEEEESG_SI_NS1_16binary_search_opENS9_16wrapped_functionINS8_6system6detail7generic6detail18binary_search_lessEbEEEE10hipError_tPvRmT1_T2_T3_mmT4_T5_P12ihipStream_tbEUlRKtE_EESV_SZ_S10_mS11_S14_bEUlT_E_NS1_11comp_targetILNS1_3genE0ELNS1_11target_archE4294967295ELNS1_3gpuE0ELNS1_3repE0EEENS1_30default_config_static_selectorELNS0_4arch9wavefront6targetE1EEEvSY_,"axG",@progbits,_ZN7rocprim17ROCPRIM_400000_NS6detail17trampoline_kernelINS0_14default_configENS1_29binary_search_config_selectorItiEEZNS1_14transform_implILb0ES3_S5_N6thrust23THRUST_200600_302600_NS6detail15normal_iteratorINS8_7pointerItNS8_11hip_rocprim5par_tENS8_11use_defaultESE_EEEENSA_INSB_IiSD_SE_SE_EEEEZNS1_13binary_searchIS3_S5_NSA_INS8_10device_ptrItEEEESG_SI_NS1_16binary_search_opENS9_16wrapped_functionINS8_6system6detail7generic6detail18binary_search_lessEbEEEE10hipError_tPvRmT1_T2_T3_mmT4_T5_P12ihipStream_tbEUlRKtE_EESV_SZ_S10_mS11_S14_bEUlT_E_NS1_11comp_targetILNS1_3genE0ELNS1_11target_archE4294967295ELNS1_3gpuE0ELNS1_3repE0EEENS1_30default_config_static_selectorELNS0_4arch9wavefront6targetE1EEEvSY_,comdat
	.protected	_ZN7rocprim17ROCPRIM_400000_NS6detail17trampoline_kernelINS0_14default_configENS1_29binary_search_config_selectorItiEEZNS1_14transform_implILb0ES3_S5_N6thrust23THRUST_200600_302600_NS6detail15normal_iteratorINS8_7pointerItNS8_11hip_rocprim5par_tENS8_11use_defaultESE_EEEENSA_INSB_IiSD_SE_SE_EEEEZNS1_13binary_searchIS3_S5_NSA_INS8_10device_ptrItEEEESG_SI_NS1_16binary_search_opENS9_16wrapped_functionINS8_6system6detail7generic6detail18binary_search_lessEbEEEE10hipError_tPvRmT1_T2_T3_mmT4_T5_P12ihipStream_tbEUlRKtE_EESV_SZ_S10_mS11_S14_bEUlT_E_NS1_11comp_targetILNS1_3genE0ELNS1_11target_archE4294967295ELNS1_3gpuE0ELNS1_3repE0EEENS1_30default_config_static_selectorELNS0_4arch9wavefront6targetE1EEEvSY_ ; -- Begin function _ZN7rocprim17ROCPRIM_400000_NS6detail17trampoline_kernelINS0_14default_configENS1_29binary_search_config_selectorItiEEZNS1_14transform_implILb0ES3_S5_N6thrust23THRUST_200600_302600_NS6detail15normal_iteratorINS8_7pointerItNS8_11hip_rocprim5par_tENS8_11use_defaultESE_EEEENSA_INSB_IiSD_SE_SE_EEEEZNS1_13binary_searchIS3_S5_NSA_INS8_10device_ptrItEEEESG_SI_NS1_16binary_search_opENS9_16wrapped_functionINS8_6system6detail7generic6detail18binary_search_lessEbEEEE10hipError_tPvRmT1_T2_T3_mmT4_T5_P12ihipStream_tbEUlRKtE_EESV_SZ_S10_mS11_S14_bEUlT_E_NS1_11comp_targetILNS1_3genE0ELNS1_11target_archE4294967295ELNS1_3gpuE0ELNS1_3repE0EEENS1_30default_config_static_selectorELNS0_4arch9wavefront6targetE1EEEvSY_
	.globl	_ZN7rocprim17ROCPRIM_400000_NS6detail17trampoline_kernelINS0_14default_configENS1_29binary_search_config_selectorItiEEZNS1_14transform_implILb0ES3_S5_N6thrust23THRUST_200600_302600_NS6detail15normal_iteratorINS8_7pointerItNS8_11hip_rocprim5par_tENS8_11use_defaultESE_EEEENSA_INSB_IiSD_SE_SE_EEEEZNS1_13binary_searchIS3_S5_NSA_INS8_10device_ptrItEEEESG_SI_NS1_16binary_search_opENS9_16wrapped_functionINS8_6system6detail7generic6detail18binary_search_lessEbEEEE10hipError_tPvRmT1_T2_T3_mmT4_T5_P12ihipStream_tbEUlRKtE_EESV_SZ_S10_mS11_S14_bEUlT_E_NS1_11comp_targetILNS1_3genE0ELNS1_11target_archE4294967295ELNS1_3gpuE0ELNS1_3repE0EEENS1_30default_config_static_selectorELNS0_4arch9wavefront6targetE1EEEvSY_
	.p2align	8
	.type	_ZN7rocprim17ROCPRIM_400000_NS6detail17trampoline_kernelINS0_14default_configENS1_29binary_search_config_selectorItiEEZNS1_14transform_implILb0ES3_S5_N6thrust23THRUST_200600_302600_NS6detail15normal_iteratorINS8_7pointerItNS8_11hip_rocprim5par_tENS8_11use_defaultESE_EEEENSA_INSB_IiSD_SE_SE_EEEEZNS1_13binary_searchIS3_S5_NSA_INS8_10device_ptrItEEEESG_SI_NS1_16binary_search_opENS9_16wrapped_functionINS8_6system6detail7generic6detail18binary_search_lessEbEEEE10hipError_tPvRmT1_T2_T3_mmT4_T5_P12ihipStream_tbEUlRKtE_EESV_SZ_S10_mS11_S14_bEUlT_E_NS1_11comp_targetILNS1_3genE0ELNS1_11target_archE4294967295ELNS1_3gpuE0ELNS1_3repE0EEENS1_30default_config_static_selectorELNS0_4arch9wavefront6targetE1EEEvSY_,@function
_ZN7rocprim17ROCPRIM_400000_NS6detail17trampoline_kernelINS0_14default_configENS1_29binary_search_config_selectorItiEEZNS1_14transform_implILb0ES3_S5_N6thrust23THRUST_200600_302600_NS6detail15normal_iteratorINS8_7pointerItNS8_11hip_rocprim5par_tENS8_11use_defaultESE_EEEENSA_INSB_IiSD_SE_SE_EEEEZNS1_13binary_searchIS3_S5_NSA_INS8_10device_ptrItEEEESG_SI_NS1_16binary_search_opENS9_16wrapped_functionINS8_6system6detail7generic6detail18binary_search_lessEbEEEE10hipError_tPvRmT1_T2_T3_mmT4_T5_P12ihipStream_tbEUlRKtE_EESV_SZ_S10_mS11_S14_bEUlT_E_NS1_11comp_targetILNS1_3genE0ELNS1_11target_archE4294967295ELNS1_3gpuE0ELNS1_3repE0EEENS1_30default_config_static_selectorELNS0_4arch9wavefront6targetE1EEEvSY_: ; @_ZN7rocprim17ROCPRIM_400000_NS6detail17trampoline_kernelINS0_14default_configENS1_29binary_search_config_selectorItiEEZNS1_14transform_implILb0ES3_S5_N6thrust23THRUST_200600_302600_NS6detail15normal_iteratorINS8_7pointerItNS8_11hip_rocprim5par_tENS8_11use_defaultESE_EEEENSA_INSB_IiSD_SE_SE_EEEEZNS1_13binary_searchIS3_S5_NSA_INS8_10device_ptrItEEEESG_SI_NS1_16binary_search_opENS9_16wrapped_functionINS8_6system6detail7generic6detail18binary_search_lessEbEEEE10hipError_tPvRmT1_T2_T3_mmT4_T5_P12ihipStream_tbEUlRKtE_EESV_SZ_S10_mS11_S14_bEUlT_E_NS1_11comp_targetILNS1_3genE0ELNS1_11target_archE4294967295ELNS1_3gpuE0ELNS1_3repE0EEENS1_30default_config_static_selectorELNS0_4arch9wavefront6targetE1EEEvSY_
; %bb.0:
	.section	.rodata,"a",@progbits
	.p2align	6, 0x0
	.amdhsa_kernel _ZN7rocprim17ROCPRIM_400000_NS6detail17trampoline_kernelINS0_14default_configENS1_29binary_search_config_selectorItiEEZNS1_14transform_implILb0ES3_S5_N6thrust23THRUST_200600_302600_NS6detail15normal_iteratorINS8_7pointerItNS8_11hip_rocprim5par_tENS8_11use_defaultESE_EEEENSA_INSB_IiSD_SE_SE_EEEEZNS1_13binary_searchIS3_S5_NSA_INS8_10device_ptrItEEEESG_SI_NS1_16binary_search_opENS9_16wrapped_functionINS8_6system6detail7generic6detail18binary_search_lessEbEEEE10hipError_tPvRmT1_T2_T3_mmT4_T5_P12ihipStream_tbEUlRKtE_EESV_SZ_S10_mS11_S14_bEUlT_E_NS1_11comp_targetILNS1_3genE0ELNS1_11target_archE4294967295ELNS1_3gpuE0ELNS1_3repE0EEENS1_30default_config_static_selectorELNS0_4arch9wavefront6targetE1EEEvSY_
		.amdhsa_group_segment_fixed_size 0
		.amdhsa_private_segment_fixed_size 0
		.amdhsa_kernarg_size 56
		.amdhsa_user_sgpr_count 6
		.amdhsa_user_sgpr_private_segment_buffer 1
		.amdhsa_user_sgpr_dispatch_ptr 0
		.amdhsa_user_sgpr_queue_ptr 0
		.amdhsa_user_sgpr_kernarg_segment_ptr 1
		.amdhsa_user_sgpr_dispatch_id 0
		.amdhsa_user_sgpr_flat_scratch_init 0
		.amdhsa_user_sgpr_private_segment_size 0
		.amdhsa_uses_dynamic_stack 0
		.amdhsa_system_sgpr_private_segment_wavefront_offset 0
		.amdhsa_system_sgpr_workgroup_id_x 1
		.amdhsa_system_sgpr_workgroup_id_y 0
		.amdhsa_system_sgpr_workgroup_id_z 0
		.amdhsa_system_sgpr_workgroup_info 0
		.amdhsa_system_vgpr_workitem_id 0
		.amdhsa_next_free_vgpr 1
		.amdhsa_next_free_sgpr 0
		.amdhsa_reserve_vcc 0
		.amdhsa_reserve_flat_scratch 0
		.amdhsa_float_round_mode_32 0
		.amdhsa_float_round_mode_16_64 0
		.amdhsa_float_denorm_mode_32 3
		.amdhsa_float_denorm_mode_16_64 3
		.amdhsa_dx10_clamp 1
		.amdhsa_ieee_mode 1
		.amdhsa_fp16_overflow 0
		.amdhsa_exception_fp_ieee_invalid_op 0
		.amdhsa_exception_fp_denorm_src 0
		.amdhsa_exception_fp_ieee_div_zero 0
		.amdhsa_exception_fp_ieee_overflow 0
		.amdhsa_exception_fp_ieee_underflow 0
		.amdhsa_exception_fp_ieee_inexact 0
		.amdhsa_exception_int_div_zero 0
	.end_amdhsa_kernel
	.section	.text._ZN7rocprim17ROCPRIM_400000_NS6detail17trampoline_kernelINS0_14default_configENS1_29binary_search_config_selectorItiEEZNS1_14transform_implILb0ES3_S5_N6thrust23THRUST_200600_302600_NS6detail15normal_iteratorINS8_7pointerItNS8_11hip_rocprim5par_tENS8_11use_defaultESE_EEEENSA_INSB_IiSD_SE_SE_EEEEZNS1_13binary_searchIS3_S5_NSA_INS8_10device_ptrItEEEESG_SI_NS1_16binary_search_opENS9_16wrapped_functionINS8_6system6detail7generic6detail18binary_search_lessEbEEEE10hipError_tPvRmT1_T2_T3_mmT4_T5_P12ihipStream_tbEUlRKtE_EESV_SZ_S10_mS11_S14_bEUlT_E_NS1_11comp_targetILNS1_3genE0ELNS1_11target_archE4294967295ELNS1_3gpuE0ELNS1_3repE0EEENS1_30default_config_static_selectorELNS0_4arch9wavefront6targetE1EEEvSY_,"axG",@progbits,_ZN7rocprim17ROCPRIM_400000_NS6detail17trampoline_kernelINS0_14default_configENS1_29binary_search_config_selectorItiEEZNS1_14transform_implILb0ES3_S5_N6thrust23THRUST_200600_302600_NS6detail15normal_iteratorINS8_7pointerItNS8_11hip_rocprim5par_tENS8_11use_defaultESE_EEEENSA_INSB_IiSD_SE_SE_EEEEZNS1_13binary_searchIS3_S5_NSA_INS8_10device_ptrItEEEESG_SI_NS1_16binary_search_opENS9_16wrapped_functionINS8_6system6detail7generic6detail18binary_search_lessEbEEEE10hipError_tPvRmT1_T2_T3_mmT4_T5_P12ihipStream_tbEUlRKtE_EESV_SZ_S10_mS11_S14_bEUlT_E_NS1_11comp_targetILNS1_3genE0ELNS1_11target_archE4294967295ELNS1_3gpuE0ELNS1_3repE0EEENS1_30default_config_static_selectorELNS0_4arch9wavefront6targetE1EEEvSY_,comdat
.Lfunc_end680:
	.size	_ZN7rocprim17ROCPRIM_400000_NS6detail17trampoline_kernelINS0_14default_configENS1_29binary_search_config_selectorItiEEZNS1_14transform_implILb0ES3_S5_N6thrust23THRUST_200600_302600_NS6detail15normal_iteratorINS8_7pointerItNS8_11hip_rocprim5par_tENS8_11use_defaultESE_EEEENSA_INSB_IiSD_SE_SE_EEEEZNS1_13binary_searchIS3_S5_NSA_INS8_10device_ptrItEEEESG_SI_NS1_16binary_search_opENS9_16wrapped_functionINS8_6system6detail7generic6detail18binary_search_lessEbEEEE10hipError_tPvRmT1_T2_T3_mmT4_T5_P12ihipStream_tbEUlRKtE_EESV_SZ_S10_mS11_S14_bEUlT_E_NS1_11comp_targetILNS1_3genE0ELNS1_11target_archE4294967295ELNS1_3gpuE0ELNS1_3repE0EEENS1_30default_config_static_selectorELNS0_4arch9wavefront6targetE1EEEvSY_, .Lfunc_end680-_ZN7rocprim17ROCPRIM_400000_NS6detail17trampoline_kernelINS0_14default_configENS1_29binary_search_config_selectorItiEEZNS1_14transform_implILb0ES3_S5_N6thrust23THRUST_200600_302600_NS6detail15normal_iteratorINS8_7pointerItNS8_11hip_rocprim5par_tENS8_11use_defaultESE_EEEENSA_INSB_IiSD_SE_SE_EEEEZNS1_13binary_searchIS3_S5_NSA_INS8_10device_ptrItEEEESG_SI_NS1_16binary_search_opENS9_16wrapped_functionINS8_6system6detail7generic6detail18binary_search_lessEbEEEE10hipError_tPvRmT1_T2_T3_mmT4_T5_P12ihipStream_tbEUlRKtE_EESV_SZ_S10_mS11_S14_bEUlT_E_NS1_11comp_targetILNS1_3genE0ELNS1_11target_archE4294967295ELNS1_3gpuE0ELNS1_3repE0EEENS1_30default_config_static_selectorELNS0_4arch9wavefront6targetE1EEEvSY_
                                        ; -- End function
	.set _ZN7rocprim17ROCPRIM_400000_NS6detail17trampoline_kernelINS0_14default_configENS1_29binary_search_config_selectorItiEEZNS1_14transform_implILb0ES3_S5_N6thrust23THRUST_200600_302600_NS6detail15normal_iteratorINS8_7pointerItNS8_11hip_rocprim5par_tENS8_11use_defaultESE_EEEENSA_INSB_IiSD_SE_SE_EEEEZNS1_13binary_searchIS3_S5_NSA_INS8_10device_ptrItEEEESG_SI_NS1_16binary_search_opENS9_16wrapped_functionINS8_6system6detail7generic6detail18binary_search_lessEbEEEE10hipError_tPvRmT1_T2_T3_mmT4_T5_P12ihipStream_tbEUlRKtE_EESV_SZ_S10_mS11_S14_bEUlT_E_NS1_11comp_targetILNS1_3genE0ELNS1_11target_archE4294967295ELNS1_3gpuE0ELNS1_3repE0EEENS1_30default_config_static_selectorELNS0_4arch9wavefront6targetE1EEEvSY_.num_vgpr, 0
	.set _ZN7rocprim17ROCPRIM_400000_NS6detail17trampoline_kernelINS0_14default_configENS1_29binary_search_config_selectorItiEEZNS1_14transform_implILb0ES3_S5_N6thrust23THRUST_200600_302600_NS6detail15normal_iteratorINS8_7pointerItNS8_11hip_rocprim5par_tENS8_11use_defaultESE_EEEENSA_INSB_IiSD_SE_SE_EEEEZNS1_13binary_searchIS3_S5_NSA_INS8_10device_ptrItEEEESG_SI_NS1_16binary_search_opENS9_16wrapped_functionINS8_6system6detail7generic6detail18binary_search_lessEbEEEE10hipError_tPvRmT1_T2_T3_mmT4_T5_P12ihipStream_tbEUlRKtE_EESV_SZ_S10_mS11_S14_bEUlT_E_NS1_11comp_targetILNS1_3genE0ELNS1_11target_archE4294967295ELNS1_3gpuE0ELNS1_3repE0EEENS1_30default_config_static_selectorELNS0_4arch9wavefront6targetE1EEEvSY_.num_agpr, 0
	.set _ZN7rocprim17ROCPRIM_400000_NS6detail17trampoline_kernelINS0_14default_configENS1_29binary_search_config_selectorItiEEZNS1_14transform_implILb0ES3_S5_N6thrust23THRUST_200600_302600_NS6detail15normal_iteratorINS8_7pointerItNS8_11hip_rocprim5par_tENS8_11use_defaultESE_EEEENSA_INSB_IiSD_SE_SE_EEEEZNS1_13binary_searchIS3_S5_NSA_INS8_10device_ptrItEEEESG_SI_NS1_16binary_search_opENS9_16wrapped_functionINS8_6system6detail7generic6detail18binary_search_lessEbEEEE10hipError_tPvRmT1_T2_T3_mmT4_T5_P12ihipStream_tbEUlRKtE_EESV_SZ_S10_mS11_S14_bEUlT_E_NS1_11comp_targetILNS1_3genE0ELNS1_11target_archE4294967295ELNS1_3gpuE0ELNS1_3repE0EEENS1_30default_config_static_selectorELNS0_4arch9wavefront6targetE1EEEvSY_.numbered_sgpr, 0
	.set _ZN7rocprim17ROCPRIM_400000_NS6detail17trampoline_kernelINS0_14default_configENS1_29binary_search_config_selectorItiEEZNS1_14transform_implILb0ES3_S5_N6thrust23THRUST_200600_302600_NS6detail15normal_iteratorINS8_7pointerItNS8_11hip_rocprim5par_tENS8_11use_defaultESE_EEEENSA_INSB_IiSD_SE_SE_EEEEZNS1_13binary_searchIS3_S5_NSA_INS8_10device_ptrItEEEESG_SI_NS1_16binary_search_opENS9_16wrapped_functionINS8_6system6detail7generic6detail18binary_search_lessEbEEEE10hipError_tPvRmT1_T2_T3_mmT4_T5_P12ihipStream_tbEUlRKtE_EESV_SZ_S10_mS11_S14_bEUlT_E_NS1_11comp_targetILNS1_3genE0ELNS1_11target_archE4294967295ELNS1_3gpuE0ELNS1_3repE0EEENS1_30default_config_static_selectorELNS0_4arch9wavefront6targetE1EEEvSY_.num_named_barrier, 0
	.set _ZN7rocprim17ROCPRIM_400000_NS6detail17trampoline_kernelINS0_14default_configENS1_29binary_search_config_selectorItiEEZNS1_14transform_implILb0ES3_S5_N6thrust23THRUST_200600_302600_NS6detail15normal_iteratorINS8_7pointerItNS8_11hip_rocprim5par_tENS8_11use_defaultESE_EEEENSA_INSB_IiSD_SE_SE_EEEEZNS1_13binary_searchIS3_S5_NSA_INS8_10device_ptrItEEEESG_SI_NS1_16binary_search_opENS9_16wrapped_functionINS8_6system6detail7generic6detail18binary_search_lessEbEEEE10hipError_tPvRmT1_T2_T3_mmT4_T5_P12ihipStream_tbEUlRKtE_EESV_SZ_S10_mS11_S14_bEUlT_E_NS1_11comp_targetILNS1_3genE0ELNS1_11target_archE4294967295ELNS1_3gpuE0ELNS1_3repE0EEENS1_30default_config_static_selectorELNS0_4arch9wavefront6targetE1EEEvSY_.private_seg_size, 0
	.set _ZN7rocprim17ROCPRIM_400000_NS6detail17trampoline_kernelINS0_14default_configENS1_29binary_search_config_selectorItiEEZNS1_14transform_implILb0ES3_S5_N6thrust23THRUST_200600_302600_NS6detail15normal_iteratorINS8_7pointerItNS8_11hip_rocprim5par_tENS8_11use_defaultESE_EEEENSA_INSB_IiSD_SE_SE_EEEEZNS1_13binary_searchIS3_S5_NSA_INS8_10device_ptrItEEEESG_SI_NS1_16binary_search_opENS9_16wrapped_functionINS8_6system6detail7generic6detail18binary_search_lessEbEEEE10hipError_tPvRmT1_T2_T3_mmT4_T5_P12ihipStream_tbEUlRKtE_EESV_SZ_S10_mS11_S14_bEUlT_E_NS1_11comp_targetILNS1_3genE0ELNS1_11target_archE4294967295ELNS1_3gpuE0ELNS1_3repE0EEENS1_30default_config_static_selectorELNS0_4arch9wavefront6targetE1EEEvSY_.uses_vcc, 0
	.set _ZN7rocprim17ROCPRIM_400000_NS6detail17trampoline_kernelINS0_14default_configENS1_29binary_search_config_selectorItiEEZNS1_14transform_implILb0ES3_S5_N6thrust23THRUST_200600_302600_NS6detail15normal_iteratorINS8_7pointerItNS8_11hip_rocprim5par_tENS8_11use_defaultESE_EEEENSA_INSB_IiSD_SE_SE_EEEEZNS1_13binary_searchIS3_S5_NSA_INS8_10device_ptrItEEEESG_SI_NS1_16binary_search_opENS9_16wrapped_functionINS8_6system6detail7generic6detail18binary_search_lessEbEEEE10hipError_tPvRmT1_T2_T3_mmT4_T5_P12ihipStream_tbEUlRKtE_EESV_SZ_S10_mS11_S14_bEUlT_E_NS1_11comp_targetILNS1_3genE0ELNS1_11target_archE4294967295ELNS1_3gpuE0ELNS1_3repE0EEENS1_30default_config_static_selectorELNS0_4arch9wavefront6targetE1EEEvSY_.uses_flat_scratch, 0
	.set _ZN7rocprim17ROCPRIM_400000_NS6detail17trampoline_kernelINS0_14default_configENS1_29binary_search_config_selectorItiEEZNS1_14transform_implILb0ES3_S5_N6thrust23THRUST_200600_302600_NS6detail15normal_iteratorINS8_7pointerItNS8_11hip_rocprim5par_tENS8_11use_defaultESE_EEEENSA_INSB_IiSD_SE_SE_EEEEZNS1_13binary_searchIS3_S5_NSA_INS8_10device_ptrItEEEESG_SI_NS1_16binary_search_opENS9_16wrapped_functionINS8_6system6detail7generic6detail18binary_search_lessEbEEEE10hipError_tPvRmT1_T2_T3_mmT4_T5_P12ihipStream_tbEUlRKtE_EESV_SZ_S10_mS11_S14_bEUlT_E_NS1_11comp_targetILNS1_3genE0ELNS1_11target_archE4294967295ELNS1_3gpuE0ELNS1_3repE0EEENS1_30default_config_static_selectorELNS0_4arch9wavefront6targetE1EEEvSY_.has_dyn_sized_stack, 0
	.set _ZN7rocprim17ROCPRIM_400000_NS6detail17trampoline_kernelINS0_14default_configENS1_29binary_search_config_selectorItiEEZNS1_14transform_implILb0ES3_S5_N6thrust23THRUST_200600_302600_NS6detail15normal_iteratorINS8_7pointerItNS8_11hip_rocprim5par_tENS8_11use_defaultESE_EEEENSA_INSB_IiSD_SE_SE_EEEEZNS1_13binary_searchIS3_S5_NSA_INS8_10device_ptrItEEEESG_SI_NS1_16binary_search_opENS9_16wrapped_functionINS8_6system6detail7generic6detail18binary_search_lessEbEEEE10hipError_tPvRmT1_T2_T3_mmT4_T5_P12ihipStream_tbEUlRKtE_EESV_SZ_S10_mS11_S14_bEUlT_E_NS1_11comp_targetILNS1_3genE0ELNS1_11target_archE4294967295ELNS1_3gpuE0ELNS1_3repE0EEENS1_30default_config_static_selectorELNS0_4arch9wavefront6targetE1EEEvSY_.has_recursion, 0
	.set _ZN7rocprim17ROCPRIM_400000_NS6detail17trampoline_kernelINS0_14default_configENS1_29binary_search_config_selectorItiEEZNS1_14transform_implILb0ES3_S5_N6thrust23THRUST_200600_302600_NS6detail15normal_iteratorINS8_7pointerItNS8_11hip_rocprim5par_tENS8_11use_defaultESE_EEEENSA_INSB_IiSD_SE_SE_EEEEZNS1_13binary_searchIS3_S5_NSA_INS8_10device_ptrItEEEESG_SI_NS1_16binary_search_opENS9_16wrapped_functionINS8_6system6detail7generic6detail18binary_search_lessEbEEEE10hipError_tPvRmT1_T2_T3_mmT4_T5_P12ihipStream_tbEUlRKtE_EESV_SZ_S10_mS11_S14_bEUlT_E_NS1_11comp_targetILNS1_3genE0ELNS1_11target_archE4294967295ELNS1_3gpuE0ELNS1_3repE0EEENS1_30default_config_static_selectorELNS0_4arch9wavefront6targetE1EEEvSY_.has_indirect_call, 0
	.section	.AMDGPU.csdata,"",@progbits
; Kernel info:
; codeLenInByte = 0
; TotalNumSgprs: 4
; NumVgprs: 0
; ScratchSize: 0
; MemoryBound: 0
; FloatMode: 240
; IeeeMode: 1
; LDSByteSize: 0 bytes/workgroup (compile time only)
; SGPRBlocks: 0
; VGPRBlocks: 0
; NumSGPRsForWavesPerEU: 4
; NumVGPRsForWavesPerEU: 1
; Occupancy: 10
; WaveLimiterHint : 0
; COMPUTE_PGM_RSRC2:SCRATCH_EN: 0
; COMPUTE_PGM_RSRC2:USER_SGPR: 6
; COMPUTE_PGM_RSRC2:TRAP_HANDLER: 0
; COMPUTE_PGM_RSRC2:TGID_X_EN: 1
; COMPUTE_PGM_RSRC2:TGID_Y_EN: 0
; COMPUTE_PGM_RSRC2:TGID_Z_EN: 0
; COMPUTE_PGM_RSRC2:TIDIG_COMP_CNT: 0
	.section	.text._ZN7rocprim17ROCPRIM_400000_NS6detail17trampoline_kernelINS0_14default_configENS1_29binary_search_config_selectorItiEEZNS1_14transform_implILb0ES3_S5_N6thrust23THRUST_200600_302600_NS6detail15normal_iteratorINS8_7pointerItNS8_11hip_rocprim5par_tENS8_11use_defaultESE_EEEENSA_INSB_IiSD_SE_SE_EEEEZNS1_13binary_searchIS3_S5_NSA_INS8_10device_ptrItEEEESG_SI_NS1_16binary_search_opENS9_16wrapped_functionINS8_6system6detail7generic6detail18binary_search_lessEbEEEE10hipError_tPvRmT1_T2_T3_mmT4_T5_P12ihipStream_tbEUlRKtE_EESV_SZ_S10_mS11_S14_bEUlT_E_NS1_11comp_targetILNS1_3genE5ELNS1_11target_archE942ELNS1_3gpuE9ELNS1_3repE0EEENS1_30default_config_static_selectorELNS0_4arch9wavefront6targetE1EEEvSY_,"axG",@progbits,_ZN7rocprim17ROCPRIM_400000_NS6detail17trampoline_kernelINS0_14default_configENS1_29binary_search_config_selectorItiEEZNS1_14transform_implILb0ES3_S5_N6thrust23THRUST_200600_302600_NS6detail15normal_iteratorINS8_7pointerItNS8_11hip_rocprim5par_tENS8_11use_defaultESE_EEEENSA_INSB_IiSD_SE_SE_EEEEZNS1_13binary_searchIS3_S5_NSA_INS8_10device_ptrItEEEESG_SI_NS1_16binary_search_opENS9_16wrapped_functionINS8_6system6detail7generic6detail18binary_search_lessEbEEEE10hipError_tPvRmT1_T2_T3_mmT4_T5_P12ihipStream_tbEUlRKtE_EESV_SZ_S10_mS11_S14_bEUlT_E_NS1_11comp_targetILNS1_3genE5ELNS1_11target_archE942ELNS1_3gpuE9ELNS1_3repE0EEENS1_30default_config_static_selectorELNS0_4arch9wavefront6targetE1EEEvSY_,comdat
	.protected	_ZN7rocprim17ROCPRIM_400000_NS6detail17trampoline_kernelINS0_14default_configENS1_29binary_search_config_selectorItiEEZNS1_14transform_implILb0ES3_S5_N6thrust23THRUST_200600_302600_NS6detail15normal_iteratorINS8_7pointerItNS8_11hip_rocprim5par_tENS8_11use_defaultESE_EEEENSA_INSB_IiSD_SE_SE_EEEEZNS1_13binary_searchIS3_S5_NSA_INS8_10device_ptrItEEEESG_SI_NS1_16binary_search_opENS9_16wrapped_functionINS8_6system6detail7generic6detail18binary_search_lessEbEEEE10hipError_tPvRmT1_T2_T3_mmT4_T5_P12ihipStream_tbEUlRKtE_EESV_SZ_S10_mS11_S14_bEUlT_E_NS1_11comp_targetILNS1_3genE5ELNS1_11target_archE942ELNS1_3gpuE9ELNS1_3repE0EEENS1_30default_config_static_selectorELNS0_4arch9wavefront6targetE1EEEvSY_ ; -- Begin function _ZN7rocprim17ROCPRIM_400000_NS6detail17trampoline_kernelINS0_14default_configENS1_29binary_search_config_selectorItiEEZNS1_14transform_implILb0ES3_S5_N6thrust23THRUST_200600_302600_NS6detail15normal_iteratorINS8_7pointerItNS8_11hip_rocprim5par_tENS8_11use_defaultESE_EEEENSA_INSB_IiSD_SE_SE_EEEEZNS1_13binary_searchIS3_S5_NSA_INS8_10device_ptrItEEEESG_SI_NS1_16binary_search_opENS9_16wrapped_functionINS8_6system6detail7generic6detail18binary_search_lessEbEEEE10hipError_tPvRmT1_T2_T3_mmT4_T5_P12ihipStream_tbEUlRKtE_EESV_SZ_S10_mS11_S14_bEUlT_E_NS1_11comp_targetILNS1_3genE5ELNS1_11target_archE942ELNS1_3gpuE9ELNS1_3repE0EEENS1_30default_config_static_selectorELNS0_4arch9wavefront6targetE1EEEvSY_
	.globl	_ZN7rocprim17ROCPRIM_400000_NS6detail17trampoline_kernelINS0_14default_configENS1_29binary_search_config_selectorItiEEZNS1_14transform_implILb0ES3_S5_N6thrust23THRUST_200600_302600_NS6detail15normal_iteratorINS8_7pointerItNS8_11hip_rocprim5par_tENS8_11use_defaultESE_EEEENSA_INSB_IiSD_SE_SE_EEEEZNS1_13binary_searchIS3_S5_NSA_INS8_10device_ptrItEEEESG_SI_NS1_16binary_search_opENS9_16wrapped_functionINS8_6system6detail7generic6detail18binary_search_lessEbEEEE10hipError_tPvRmT1_T2_T3_mmT4_T5_P12ihipStream_tbEUlRKtE_EESV_SZ_S10_mS11_S14_bEUlT_E_NS1_11comp_targetILNS1_3genE5ELNS1_11target_archE942ELNS1_3gpuE9ELNS1_3repE0EEENS1_30default_config_static_selectorELNS0_4arch9wavefront6targetE1EEEvSY_
	.p2align	8
	.type	_ZN7rocprim17ROCPRIM_400000_NS6detail17trampoline_kernelINS0_14default_configENS1_29binary_search_config_selectorItiEEZNS1_14transform_implILb0ES3_S5_N6thrust23THRUST_200600_302600_NS6detail15normal_iteratorINS8_7pointerItNS8_11hip_rocprim5par_tENS8_11use_defaultESE_EEEENSA_INSB_IiSD_SE_SE_EEEEZNS1_13binary_searchIS3_S5_NSA_INS8_10device_ptrItEEEESG_SI_NS1_16binary_search_opENS9_16wrapped_functionINS8_6system6detail7generic6detail18binary_search_lessEbEEEE10hipError_tPvRmT1_T2_T3_mmT4_T5_P12ihipStream_tbEUlRKtE_EESV_SZ_S10_mS11_S14_bEUlT_E_NS1_11comp_targetILNS1_3genE5ELNS1_11target_archE942ELNS1_3gpuE9ELNS1_3repE0EEENS1_30default_config_static_selectorELNS0_4arch9wavefront6targetE1EEEvSY_,@function
_ZN7rocprim17ROCPRIM_400000_NS6detail17trampoline_kernelINS0_14default_configENS1_29binary_search_config_selectorItiEEZNS1_14transform_implILb0ES3_S5_N6thrust23THRUST_200600_302600_NS6detail15normal_iteratorINS8_7pointerItNS8_11hip_rocprim5par_tENS8_11use_defaultESE_EEEENSA_INSB_IiSD_SE_SE_EEEEZNS1_13binary_searchIS3_S5_NSA_INS8_10device_ptrItEEEESG_SI_NS1_16binary_search_opENS9_16wrapped_functionINS8_6system6detail7generic6detail18binary_search_lessEbEEEE10hipError_tPvRmT1_T2_T3_mmT4_T5_P12ihipStream_tbEUlRKtE_EESV_SZ_S10_mS11_S14_bEUlT_E_NS1_11comp_targetILNS1_3genE5ELNS1_11target_archE942ELNS1_3gpuE9ELNS1_3repE0EEENS1_30default_config_static_selectorELNS0_4arch9wavefront6targetE1EEEvSY_: ; @_ZN7rocprim17ROCPRIM_400000_NS6detail17trampoline_kernelINS0_14default_configENS1_29binary_search_config_selectorItiEEZNS1_14transform_implILb0ES3_S5_N6thrust23THRUST_200600_302600_NS6detail15normal_iteratorINS8_7pointerItNS8_11hip_rocprim5par_tENS8_11use_defaultESE_EEEENSA_INSB_IiSD_SE_SE_EEEEZNS1_13binary_searchIS3_S5_NSA_INS8_10device_ptrItEEEESG_SI_NS1_16binary_search_opENS9_16wrapped_functionINS8_6system6detail7generic6detail18binary_search_lessEbEEEE10hipError_tPvRmT1_T2_T3_mmT4_T5_P12ihipStream_tbEUlRKtE_EESV_SZ_S10_mS11_S14_bEUlT_E_NS1_11comp_targetILNS1_3genE5ELNS1_11target_archE942ELNS1_3gpuE9ELNS1_3repE0EEENS1_30default_config_static_selectorELNS0_4arch9wavefront6targetE1EEEvSY_
; %bb.0:
	.section	.rodata,"a",@progbits
	.p2align	6, 0x0
	.amdhsa_kernel _ZN7rocprim17ROCPRIM_400000_NS6detail17trampoline_kernelINS0_14default_configENS1_29binary_search_config_selectorItiEEZNS1_14transform_implILb0ES3_S5_N6thrust23THRUST_200600_302600_NS6detail15normal_iteratorINS8_7pointerItNS8_11hip_rocprim5par_tENS8_11use_defaultESE_EEEENSA_INSB_IiSD_SE_SE_EEEEZNS1_13binary_searchIS3_S5_NSA_INS8_10device_ptrItEEEESG_SI_NS1_16binary_search_opENS9_16wrapped_functionINS8_6system6detail7generic6detail18binary_search_lessEbEEEE10hipError_tPvRmT1_T2_T3_mmT4_T5_P12ihipStream_tbEUlRKtE_EESV_SZ_S10_mS11_S14_bEUlT_E_NS1_11comp_targetILNS1_3genE5ELNS1_11target_archE942ELNS1_3gpuE9ELNS1_3repE0EEENS1_30default_config_static_selectorELNS0_4arch9wavefront6targetE1EEEvSY_
		.amdhsa_group_segment_fixed_size 0
		.amdhsa_private_segment_fixed_size 0
		.amdhsa_kernarg_size 56
		.amdhsa_user_sgpr_count 6
		.amdhsa_user_sgpr_private_segment_buffer 1
		.amdhsa_user_sgpr_dispatch_ptr 0
		.amdhsa_user_sgpr_queue_ptr 0
		.amdhsa_user_sgpr_kernarg_segment_ptr 1
		.amdhsa_user_sgpr_dispatch_id 0
		.amdhsa_user_sgpr_flat_scratch_init 0
		.amdhsa_user_sgpr_private_segment_size 0
		.amdhsa_uses_dynamic_stack 0
		.amdhsa_system_sgpr_private_segment_wavefront_offset 0
		.amdhsa_system_sgpr_workgroup_id_x 1
		.amdhsa_system_sgpr_workgroup_id_y 0
		.amdhsa_system_sgpr_workgroup_id_z 0
		.amdhsa_system_sgpr_workgroup_info 0
		.amdhsa_system_vgpr_workitem_id 0
		.amdhsa_next_free_vgpr 1
		.amdhsa_next_free_sgpr 0
		.amdhsa_reserve_vcc 0
		.amdhsa_reserve_flat_scratch 0
		.amdhsa_float_round_mode_32 0
		.amdhsa_float_round_mode_16_64 0
		.amdhsa_float_denorm_mode_32 3
		.amdhsa_float_denorm_mode_16_64 3
		.amdhsa_dx10_clamp 1
		.amdhsa_ieee_mode 1
		.amdhsa_fp16_overflow 0
		.amdhsa_exception_fp_ieee_invalid_op 0
		.amdhsa_exception_fp_denorm_src 0
		.amdhsa_exception_fp_ieee_div_zero 0
		.amdhsa_exception_fp_ieee_overflow 0
		.amdhsa_exception_fp_ieee_underflow 0
		.amdhsa_exception_fp_ieee_inexact 0
		.amdhsa_exception_int_div_zero 0
	.end_amdhsa_kernel
	.section	.text._ZN7rocprim17ROCPRIM_400000_NS6detail17trampoline_kernelINS0_14default_configENS1_29binary_search_config_selectorItiEEZNS1_14transform_implILb0ES3_S5_N6thrust23THRUST_200600_302600_NS6detail15normal_iteratorINS8_7pointerItNS8_11hip_rocprim5par_tENS8_11use_defaultESE_EEEENSA_INSB_IiSD_SE_SE_EEEEZNS1_13binary_searchIS3_S5_NSA_INS8_10device_ptrItEEEESG_SI_NS1_16binary_search_opENS9_16wrapped_functionINS8_6system6detail7generic6detail18binary_search_lessEbEEEE10hipError_tPvRmT1_T2_T3_mmT4_T5_P12ihipStream_tbEUlRKtE_EESV_SZ_S10_mS11_S14_bEUlT_E_NS1_11comp_targetILNS1_3genE5ELNS1_11target_archE942ELNS1_3gpuE9ELNS1_3repE0EEENS1_30default_config_static_selectorELNS0_4arch9wavefront6targetE1EEEvSY_,"axG",@progbits,_ZN7rocprim17ROCPRIM_400000_NS6detail17trampoline_kernelINS0_14default_configENS1_29binary_search_config_selectorItiEEZNS1_14transform_implILb0ES3_S5_N6thrust23THRUST_200600_302600_NS6detail15normal_iteratorINS8_7pointerItNS8_11hip_rocprim5par_tENS8_11use_defaultESE_EEEENSA_INSB_IiSD_SE_SE_EEEEZNS1_13binary_searchIS3_S5_NSA_INS8_10device_ptrItEEEESG_SI_NS1_16binary_search_opENS9_16wrapped_functionINS8_6system6detail7generic6detail18binary_search_lessEbEEEE10hipError_tPvRmT1_T2_T3_mmT4_T5_P12ihipStream_tbEUlRKtE_EESV_SZ_S10_mS11_S14_bEUlT_E_NS1_11comp_targetILNS1_3genE5ELNS1_11target_archE942ELNS1_3gpuE9ELNS1_3repE0EEENS1_30default_config_static_selectorELNS0_4arch9wavefront6targetE1EEEvSY_,comdat
.Lfunc_end681:
	.size	_ZN7rocprim17ROCPRIM_400000_NS6detail17trampoline_kernelINS0_14default_configENS1_29binary_search_config_selectorItiEEZNS1_14transform_implILb0ES3_S5_N6thrust23THRUST_200600_302600_NS6detail15normal_iteratorINS8_7pointerItNS8_11hip_rocprim5par_tENS8_11use_defaultESE_EEEENSA_INSB_IiSD_SE_SE_EEEEZNS1_13binary_searchIS3_S5_NSA_INS8_10device_ptrItEEEESG_SI_NS1_16binary_search_opENS9_16wrapped_functionINS8_6system6detail7generic6detail18binary_search_lessEbEEEE10hipError_tPvRmT1_T2_T3_mmT4_T5_P12ihipStream_tbEUlRKtE_EESV_SZ_S10_mS11_S14_bEUlT_E_NS1_11comp_targetILNS1_3genE5ELNS1_11target_archE942ELNS1_3gpuE9ELNS1_3repE0EEENS1_30default_config_static_selectorELNS0_4arch9wavefront6targetE1EEEvSY_, .Lfunc_end681-_ZN7rocprim17ROCPRIM_400000_NS6detail17trampoline_kernelINS0_14default_configENS1_29binary_search_config_selectorItiEEZNS1_14transform_implILb0ES3_S5_N6thrust23THRUST_200600_302600_NS6detail15normal_iteratorINS8_7pointerItNS8_11hip_rocprim5par_tENS8_11use_defaultESE_EEEENSA_INSB_IiSD_SE_SE_EEEEZNS1_13binary_searchIS3_S5_NSA_INS8_10device_ptrItEEEESG_SI_NS1_16binary_search_opENS9_16wrapped_functionINS8_6system6detail7generic6detail18binary_search_lessEbEEEE10hipError_tPvRmT1_T2_T3_mmT4_T5_P12ihipStream_tbEUlRKtE_EESV_SZ_S10_mS11_S14_bEUlT_E_NS1_11comp_targetILNS1_3genE5ELNS1_11target_archE942ELNS1_3gpuE9ELNS1_3repE0EEENS1_30default_config_static_selectorELNS0_4arch9wavefront6targetE1EEEvSY_
                                        ; -- End function
	.set _ZN7rocprim17ROCPRIM_400000_NS6detail17trampoline_kernelINS0_14default_configENS1_29binary_search_config_selectorItiEEZNS1_14transform_implILb0ES3_S5_N6thrust23THRUST_200600_302600_NS6detail15normal_iteratorINS8_7pointerItNS8_11hip_rocprim5par_tENS8_11use_defaultESE_EEEENSA_INSB_IiSD_SE_SE_EEEEZNS1_13binary_searchIS3_S5_NSA_INS8_10device_ptrItEEEESG_SI_NS1_16binary_search_opENS9_16wrapped_functionINS8_6system6detail7generic6detail18binary_search_lessEbEEEE10hipError_tPvRmT1_T2_T3_mmT4_T5_P12ihipStream_tbEUlRKtE_EESV_SZ_S10_mS11_S14_bEUlT_E_NS1_11comp_targetILNS1_3genE5ELNS1_11target_archE942ELNS1_3gpuE9ELNS1_3repE0EEENS1_30default_config_static_selectorELNS0_4arch9wavefront6targetE1EEEvSY_.num_vgpr, 0
	.set _ZN7rocprim17ROCPRIM_400000_NS6detail17trampoline_kernelINS0_14default_configENS1_29binary_search_config_selectorItiEEZNS1_14transform_implILb0ES3_S5_N6thrust23THRUST_200600_302600_NS6detail15normal_iteratorINS8_7pointerItNS8_11hip_rocprim5par_tENS8_11use_defaultESE_EEEENSA_INSB_IiSD_SE_SE_EEEEZNS1_13binary_searchIS3_S5_NSA_INS8_10device_ptrItEEEESG_SI_NS1_16binary_search_opENS9_16wrapped_functionINS8_6system6detail7generic6detail18binary_search_lessEbEEEE10hipError_tPvRmT1_T2_T3_mmT4_T5_P12ihipStream_tbEUlRKtE_EESV_SZ_S10_mS11_S14_bEUlT_E_NS1_11comp_targetILNS1_3genE5ELNS1_11target_archE942ELNS1_3gpuE9ELNS1_3repE0EEENS1_30default_config_static_selectorELNS0_4arch9wavefront6targetE1EEEvSY_.num_agpr, 0
	.set _ZN7rocprim17ROCPRIM_400000_NS6detail17trampoline_kernelINS0_14default_configENS1_29binary_search_config_selectorItiEEZNS1_14transform_implILb0ES3_S5_N6thrust23THRUST_200600_302600_NS6detail15normal_iteratorINS8_7pointerItNS8_11hip_rocprim5par_tENS8_11use_defaultESE_EEEENSA_INSB_IiSD_SE_SE_EEEEZNS1_13binary_searchIS3_S5_NSA_INS8_10device_ptrItEEEESG_SI_NS1_16binary_search_opENS9_16wrapped_functionINS8_6system6detail7generic6detail18binary_search_lessEbEEEE10hipError_tPvRmT1_T2_T3_mmT4_T5_P12ihipStream_tbEUlRKtE_EESV_SZ_S10_mS11_S14_bEUlT_E_NS1_11comp_targetILNS1_3genE5ELNS1_11target_archE942ELNS1_3gpuE9ELNS1_3repE0EEENS1_30default_config_static_selectorELNS0_4arch9wavefront6targetE1EEEvSY_.numbered_sgpr, 0
	.set _ZN7rocprim17ROCPRIM_400000_NS6detail17trampoline_kernelINS0_14default_configENS1_29binary_search_config_selectorItiEEZNS1_14transform_implILb0ES3_S5_N6thrust23THRUST_200600_302600_NS6detail15normal_iteratorINS8_7pointerItNS8_11hip_rocprim5par_tENS8_11use_defaultESE_EEEENSA_INSB_IiSD_SE_SE_EEEEZNS1_13binary_searchIS3_S5_NSA_INS8_10device_ptrItEEEESG_SI_NS1_16binary_search_opENS9_16wrapped_functionINS8_6system6detail7generic6detail18binary_search_lessEbEEEE10hipError_tPvRmT1_T2_T3_mmT4_T5_P12ihipStream_tbEUlRKtE_EESV_SZ_S10_mS11_S14_bEUlT_E_NS1_11comp_targetILNS1_3genE5ELNS1_11target_archE942ELNS1_3gpuE9ELNS1_3repE0EEENS1_30default_config_static_selectorELNS0_4arch9wavefront6targetE1EEEvSY_.num_named_barrier, 0
	.set _ZN7rocprim17ROCPRIM_400000_NS6detail17trampoline_kernelINS0_14default_configENS1_29binary_search_config_selectorItiEEZNS1_14transform_implILb0ES3_S5_N6thrust23THRUST_200600_302600_NS6detail15normal_iteratorINS8_7pointerItNS8_11hip_rocprim5par_tENS8_11use_defaultESE_EEEENSA_INSB_IiSD_SE_SE_EEEEZNS1_13binary_searchIS3_S5_NSA_INS8_10device_ptrItEEEESG_SI_NS1_16binary_search_opENS9_16wrapped_functionINS8_6system6detail7generic6detail18binary_search_lessEbEEEE10hipError_tPvRmT1_T2_T3_mmT4_T5_P12ihipStream_tbEUlRKtE_EESV_SZ_S10_mS11_S14_bEUlT_E_NS1_11comp_targetILNS1_3genE5ELNS1_11target_archE942ELNS1_3gpuE9ELNS1_3repE0EEENS1_30default_config_static_selectorELNS0_4arch9wavefront6targetE1EEEvSY_.private_seg_size, 0
	.set _ZN7rocprim17ROCPRIM_400000_NS6detail17trampoline_kernelINS0_14default_configENS1_29binary_search_config_selectorItiEEZNS1_14transform_implILb0ES3_S5_N6thrust23THRUST_200600_302600_NS6detail15normal_iteratorINS8_7pointerItNS8_11hip_rocprim5par_tENS8_11use_defaultESE_EEEENSA_INSB_IiSD_SE_SE_EEEEZNS1_13binary_searchIS3_S5_NSA_INS8_10device_ptrItEEEESG_SI_NS1_16binary_search_opENS9_16wrapped_functionINS8_6system6detail7generic6detail18binary_search_lessEbEEEE10hipError_tPvRmT1_T2_T3_mmT4_T5_P12ihipStream_tbEUlRKtE_EESV_SZ_S10_mS11_S14_bEUlT_E_NS1_11comp_targetILNS1_3genE5ELNS1_11target_archE942ELNS1_3gpuE9ELNS1_3repE0EEENS1_30default_config_static_selectorELNS0_4arch9wavefront6targetE1EEEvSY_.uses_vcc, 0
	.set _ZN7rocprim17ROCPRIM_400000_NS6detail17trampoline_kernelINS0_14default_configENS1_29binary_search_config_selectorItiEEZNS1_14transform_implILb0ES3_S5_N6thrust23THRUST_200600_302600_NS6detail15normal_iteratorINS8_7pointerItNS8_11hip_rocprim5par_tENS8_11use_defaultESE_EEEENSA_INSB_IiSD_SE_SE_EEEEZNS1_13binary_searchIS3_S5_NSA_INS8_10device_ptrItEEEESG_SI_NS1_16binary_search_opENS9_16wrapped_functionINS8_6system6detail7generic6detail18binary_search_lessEbEEEE10hipError_tPvRmT1_T2_T3_mmT4_T5_P12ihipStream_tbEUlRKtE_EESV_SZ_S10_mS11_S14_bEUlT_E_NS1_11comp_targetILNS1_3genE5ELNS1_11target_archE942ELNS1_3gpuE9ELNS1_3repE0EEENS1_30default_config_static_selectorELNS0_4arch9wavefront6targetE1EEEvSY_.uses_flat_scratch, 0
	.set _ZN7rocprim17ROCPRIM_400000_NS6detail17trampoline_kernelINS0_14default_configENS1_29binary_search_config_selectorItiEEZNS1_14transform_implILb0ES3_S5_N6thrust23THRUST_200600_302600_NS6detail15normal_iteratorINS8_7pointerItNS8_11hip_rocprim5par_tENS8_11use_defaultESE_EEEENSA_INSB_IiSD_SE_SE_EEEEZNS1_13binary_searchIS3_S5_NSA_INS8_10device_ptrItEEEESG_SI_NS1_16binary_search_opENS9_16wrapped_functionINS8_6system6detail7generic6detail18binary_search_lessEbEEEE10hipError_tPvRmT1_T2_T3_mmT4_T5_P12ihipStream_tbEUlRKtE_EESV_SZ_S10_mS11_S14_bEUlT_E_NS1_11comp_targetILNS1_3genE5ELNS1_11target_archE942ELNS1_3gpuE9ELNS1_3repE0EEENS1_30default_config_static_selectorELNS0_4arch9wavefront6targetE1EEEvSY_.has_dyn_sized_stack, 0
	.set _ZN7rocprim17ROCPRIM_400000_NS6detail17trampoline_kernelINS0_14default_configENS1_29binary_search_config_selectorItiEEZNS1_14transform_implILb0ES3_S5_N6thrust23THRUST_200600_302600_NS6detail15normal_iteratorINS8_7pointerItNS8_11hip_rocprim5par_tENS8_11use_defaultESE_EEEENSA_INSB_IiSD_SE_SE_EEEEZNS1_13binary_searchIS3_S5_NSA_INS8_10device_ptrItEEEESG_SI_NS1_16binary_search_opENS9_16wrapped_functionINS8_6system6detail7generic6detail18binary_search_lessEbEEEE10hipError_tPvRmT1_T2_T3_mmT4_T5_P12ihipStream_tbEUlRKtE_EESV_SZ_S10_mS11_S14_bEUlT_E_NS1_11comp_targetILNS1_3genE5ELNS1_11target_archE942ELNS1_3gpuE9ELNS1_3repE0EEENS1_30default_config_static_selectorELNS0_4arch9wavefront6targetE1EEEvSY_.has_recursion, 0
	.set _ZN7rocprim17ROCPRIM_400000_NS6detail17trampoline_kernelINS0_14default_configENS1_29binary_search_config_selectorItiEEZNS1_14transform_implILb0ES3_S5_N6thrust23THRUST_200600_302600_NS6detail15normal_iteratorINS8_7pointerItNS8_11hip_rocprim5par_tENS8_11use_defaultESE_EEEENSA_INSB_IiSD_SE_SE_EEEEZNS1_13binary_searchIS3_S5_NSA_INS8_10device_ptrItEEEESG_SI_NS1_16binary_search_opENS9_16wrapped_functionINS8_6system6detail7generic6detail18binary_search_lessEbEEEE10hipError_tPvRmT1_T2_T3_mmT4_T5_P12ihipStream_tbEUlRKtE_EESV_SZ_S10_mS11_S14_bEUlT_E_NS1_11comp_targetILNS1_3genE5ELNS1_11target_archE942ELNS1_3gpuE9ELNS1_3repE0EEENS1_30default_config_static_selectorELNS0_4arch9wavefront6targetE1EEEvSY_.has_indirect_call, 0
	.section	.AMDGPU.csdata,"",@progbits
; Kernel info:
; codeLenInByte = 0
; TotalNumSgprs: 4
; NumVgprs: 0
; ScratchSize: 0
; MemoryBound: 0
; FloatMode: 240
; IeeeMode: 1
; LDSByteSize: 0 bytes/workgroup (compile time only)
; SGPRBlocks: 0
; VGPRBlocks: 0
; NumSGPRsForWavesPerEU: 4
; NumVGPRsForWavesPerEU: 1
; Occupancy: 10
; WaveLimiterHint : 0
; COMPUTE_PGM_RSRC2:SCRATCH_EN: 0
; COMPUTE_PGM_RSRC2:USER_SGPR: 6
; COMPUTE_PGM_RSRC2:TRAP_HANDLER: 0
; COMPUTE_PGM_RSRC2:TGID_X_EN: 1
; COMPUTE_PGM_RSRC2:TGID_Y_EN: 0
; COMPUTE_PGM_RSRC2:TGID_Z_EN: 0
; COMPUTE_PGM_RSRC2:TIDIG_COMP_CNT: 0
	.section	.text._ZN7rocprim17ROCPRIM_400000_NS6detail17trampoline_kernelINS0_14default_configENS1_29binary_search_config_selectorItiEEZNS1_14transform_implILb0ES3_S5_N6thrust23THRUST_200600_302600_NS6detail15normal_iteratorINS8_7pointerItNS8_11hip_rocprim5par_tENS8_11use_defaultESE_EEEENSA_INSB_IiSD_SE_SE_EEEEZNS1_13binary_searchIS3_S5_NSA_INS8_10device_ptrItEEEESG_SI_NS1_16binary_search_opENS9_16wrapped_functionINS8_6system6detail7generic6detail18binary_search_lessEbEEEE10hipError_tPvRmT1_T2_T3_mmT4_T5_P12ihipStream_tbEUlRKtE_EESV_SZ_S10_mS11_S14_bEUlT_E_NS1_11comp_targetILNS1_3genE4ELNS1_11target_archE910ELNS1_3gpuE8ELNS1_3repE0EEENS1_30default_config_static_selectorELNS0_4arch9wavefront6targetE1EEEvSY_,"axG",@progbits,_ZN7rocprim17ROCPRIM_400000_NS6detail17trampoline_kernelINS0_14default_configENS1_29binary_search_config_selectorItiEEZNS1_14transform_implILb0ES3_S5_N6thrust23THRUST_200600_302600_NS6detail15normal_iteratorINS8_7pointerItNS8_11hip_rocprim5par_tENS8_11use_defaultESE_EEEENSA_INSB_IiSD_SE_SE_EEEEZNS1_13binary_searchIS3_S5_NSA_INS8_10device_ptrItEEEESG_SI_NS1_16binary_search_opENS9_16wrapped_functionINS8_6system6detail7generic6detail18binary_search_lessEbEEEE10hipError_tPvRmT1_T2_T3_mmT4_T5_P12ihipStream_tbEUlRKtE_EESV_SZ_S10_mS11_S14_bEUlT_E_NS1_11comp_targetILNS1_3genE4ELNS1_11target_archE910ELNS1_3gpuE8ELNS1_3repE0EEENS1_30default_config_static_selectorELNS0_4arch9wavefront6targetE1EEEvSY_,comdat
	.protected	_ZN7rocprim17ROCPRIM_400000_NS6detail17trampoline_kernelINS0_14default_configENS1_29binary_search_config_selectorItiEEZNS1_14transform_implILb0ES3_S5_N6thrust23THRUST_200600_302600_NS6detail15normal_iteratorINS8_7pointerItNS8_11hip_rocprim5par_tENS8_11use_defaultESE_EEEENSA_INSB_IiSD_SE_SE_EEEEZNS1_13binary_searchIS3_S5_NSA_INS8_10device_ptrItEEEESG_SI_NS1_16binary_search_opENS9_16wrapped_functionINS8_6system6detail7generic6detail18binary_search_lessEbEEEE10hipError_tPvRmT1_T2_T3_mmT4_T5_P12ihipStream_tbEUlRKtE_EESV_SZ_S10_mS11_S14_bEUlT_E_NS1_11comp_targetILNS1_3genE4ELNS1_11target_archE910ELNS1_3gpuE8ELNS1_3repE0EEENS1_30default_config_static_selectorELNS0_4arch9wavefront6targetE1EEEvSY_ ; -- Begin function _ZN7rocprim17ROCPRIM_400000_NS6detail17trampoline_kernelINS0_14default_configENS1_29binary_search_config_selectorItiEEZNS1_14transform_implILb0ES3_S5_N6thrust23THRUST_200600_302600_NS6detail15normal_iteratorINS8_7pointerItNS8_11hip_rocprim5par_tENS8_11use_defaultESE_EEEENSA_INSB_IiSD_SE_SE_EEEEZNS1_13binary_searchIS3_S5_NSA_INS8_10device_ptrItEEEESG_SI_NS1_16binary_search_opENS9_16wrapped_functionINS8_6system6detail7generic6detail18binary_search_lessEbEEEE10hipError_tPvRmT1_T2_T3_mmT4_T5_P12ihipStream_tbEUlRKtE_EESV_SZ_S10_mS11_S14_bEUlT_E_NS1_11comp_targetILNS1_3genE4ELNS1_11target_archE910ELNS1_3gpuE8ELNS1_3repE0EEENS1_30default_config_static_selectorELNS0_4arch9wavefront6targetE1EEEvSY_
	.globl	_ZN7rocprim17ROCPRIM_400000_NS6detail17trampoline_kernelINS0_14default_configENS1_29binary_search_config_selectorItiEEZNS1_14transform_implILb0ES3_S5_N6thrust23THRUST_200600_302600_NS6detail15normal_iteratorINS8_7pointerItNS8_11hip_rocprim5par_tENS8_11use_defaultESE_EEEENSA_INSB_IiSD_SE_SE_EEEEZNS1_13binary_searchIS3_S5_NSA_INS8_10device_ptrItEEEESG_SI_NS1_16binary_search_opENS9_16wrapped_functionINS8_6system6detail7generic6detail18binary_search_lessEbEEEE10hipError_tPvRmT1_T2_T3_mmT4_T5_P12ihipStream_tbEUlRKtE_EESV_SZ_S10_mS11_S14_bEUlT_E_NS1_11comp_targetILNS1_3genE4ELNS1_11target_archE910ELNS1_3gpuE8ELNS1_3repE0EEENS1_30default_config_static_selectorELNS0_4arch9wavefront6targetE1EEEvSY_
	.p2align	8
	.type	_ZN7rocprim17ROCPRIM_400000_NS6detail17trampoline_kernelINS0_14default_configENS1_29binary_search_config_selectorItiEEZNS1_14transform_implILb0ES3_S5_N6thrust23THRUST_200600_302600_NS6detail15normal_iteratorINS8_7pointerItNS8_11hip_rocprim5par_tENS8_11use_defaultESE_EEEENSA_INSB_IiSD_SE_SE_EEEEZNS1_13binary_searchIS3_S5_NSA_INS8_10device_ptrItEEEESG_SI_NS1_16binary_search_opENS9_16wrapped_functionINS8_6system6detail7generic6detail18binary_search_lessEbEEEE10hipError_tPvRmT1_T2_T3_mmT4_T5_P12ihipStream_tbEUlRKtE_EESV_SZ_S10_mS11_S14_bEUlT_E_NS1_11comp_targetILNS1_3genE4ELNS1_11target_archE910ELNS1_3gpuE8ELNS1_3repE0EEENS1_30default_config_static_selectorELNS0_4arch9wavefront6targetE1EEEvSY_,@function
_ZN7rocprim17ROCPRIM_400000_NS6detail17trampoline_kernelINS0_14default_configENS1_29binary_search_config_selectorItiEEZNS1_14transform_implILb0ES3_S5_N6thrust23THRUST_200600_302600_NS6detail15normal_iteratorINS8_7pointerItNS8_11hip_rocprim5par_tENS8_11use_defaultESE_EEEENSA_INSB_IiSD_SE_SE_EEEEZNS1_13binary_searchIS3_S5_NSA_INS8_10device_ptrItEEEESG_SI_NS1_16binary_search_opENS9_16wrapped_functionINS8_6system6detail7generic6detail18binary_search_lessEbEEEE10hipError_tPvRmT1_T2_T3_mmT4_T5_P12ihipStream_tbEUlRKtE_EESV_SZ_S10_mS11_S14_bEUlT_E_NS1_11comp_targetILNS1_3genE4ELNS1_11target_archE910ELNS1_3gpuE8ELNS1_3repE0EEENS1_30default_config_static_selectorELNS0_4arch9wavefront6targetE1EEEvSY_: ; @_ZN7rocprim17ROCPRIM_400000_NS6detail17trampoline_kernelINS0_14default_configENS1_29binary_search_config_selectorItiEEZNS1_14transform_implILb0ES3_S5_N6thrust23THRUST_200600_302600_NS6detail15normal_iteratorINS8_7pointerItNS8_11hip_rocprim5par_tENS8_11use_defaultESE_EEEENSA_INSB_IiSD_SE_SE_EEEEZNS1_13binary_searchIS3_S5_NSA_INS8_10device_ptrItEEEESG_SI_NS1_16binary_search_opENS9_16wrapped_functionINS8_6system6detail7generic6detail18binary_search_lessEbEEEE10hipError_tPvRmT1_T2_T3_mmT4_T5_P12ihipStream_tbEUlRKtE_EESV_SZ_S10_mS11_S14_bEUlT_E_NS1_11comp_targetILNS1_3genE4ELNS1_11target_archE910ELNS1_3gpuE8ELNS1_3repE0EEENS1_30default_config_static_selectorELNS0_4arch9wavefront6targetE1EEEvSY_
; %bb.0:
	.section	.rodata,"a",@progbits
	.p2align	6, 0x0
	.amdhsa_kernel _ZN7rocprim17ROCPRIM_400000_NS6detail17trampoline_kernelINS0_14default_configENS1_29binary_search_config_selectorItiEEZNS1_14transform_implILb0ES3_S5_N6thrust23THRUST_200600_302600_NS6detail15normal_iteratorINS8_7pointerItNS8_11hip_rocprim5par_tENS8_11use_defaultESE_EEEENSA_INSB_IiSD_SE_SE_EEEEZNS1_13binary_searchIS3_S5_NSA_INS8_10device_ptrItEEEESG_SI_NS1_16binary_search_opENS9_16wrapped_functionINS8_6system6detail7generic6detail18binary_search_lessEbEEEE10hipError_tPvRmT1_T2_T3_mmT4_T5_P12ihipStream_tbEUlRKtE_EESV_SZ_S10_mS11_S14_bEUlT_E_NS1_11comp_targetILNS1_3genE4ELNS1_11target_archE910ELNS1_3gpuE8ELNS1_3repE0EEENS1_30default_config_static_selectorELNS0_4arch9wavefront6targetE1EEEvSY_
		.amdhsa_group_segment_fixed_size 0
		.amdhsa_private_segment_fixed_size 0
		.amdhsa_kernarg_size 56
		.amdhsa_user_sgpr_count 6
		.amdhsa_user_sgpr_private_segment_buffer 1
		.amdhsa_user_sgpr_dispatch_ptr 0
		.amdhsa_user_sgpr_queue_ptr 0
		.amdhsa_user_sgpr_kernarg_segment_ptr 1
		.amdhsa_user_sgpr_dispatch_id 0
		.amdhsa_user_sgpr_flat_scratch_init 0
		.amdhsa_user_sgpr_private_segment_size 0
		.amdhsa_uses_dynamic_stack 0
		.amdhsa_system_sgpr_private_segment_wavefront_offset 0
		.amdhsa_system_sgpr_workgroup_id_x 1
		.amdhsa_system_sgpr_workgroup_id_y 0
		.amdhsa_system_sgpr_workgroup_id_z 0
		.amdhsa_system_sgpr_workgroup_info 0
		.amdhsa_system_vgpr_workitem_id 0
		.amdhsa_next_free_vgpr 1
		.amdhsa_next_free_sgpr 0
		.amdhsa_reserve_vcc 0
		.amdhsa_reserve_flat_scratch 0
		.amdhsa_float_round_mode_32 0
		.amdhsa_float_round_mode_16_64 0
		.amdhsa_float_denorm_mode_32 3
		.amdhsa_float_denorm_mode_16_64 3
		.amdhsa_dx10_clamp 1
		.amdhsa_ieee_mode 1
		.amdhsa_fp16_overflow 0
		.amdhsa_exception_fp_ieee_invalid_op 0
		.amdhsa_exception_fp_denorm_src 0
		.amdhsa_exception_fp_ieee_div_zero 0
		.amdhsa_exception_fp_ieee_overflow 0
		.amdhsa_exception_fp_ieee_underflow 0
		.amdhsa_exception_fp_ieee_inexact 0
		.amdhsa_exception_int_div_zero 0
	.end_amdhsa_kernel
	.section	.text._ZN7rocprim17ROCPRIM_400000_NS6detail17trampoline_kernelINS0_14default_configENS1_29binary_search_config_selectorItiEEZNS1_14transform_implILb0ES3_S5_N6thrust23THRUST_200600_302600_NS6detail15normal_iteratorINS8_7pointerItNS8_11hip_rocprim5par_tENS8_11use_defaultESE_EEEENSA_INSB_IiSD_SE_SE_EEEEZNS1_13binary_searchIS3_S5_NSA_INS8_10device_ptrItEEEESG_SI_NS1_16binary_search_opENS9_16wrapped_functionINS8_6system6detail7generic6detail18binary_search_lessEbEEEE10hipError_tPvRmT1_T2_T3_mmT4_T5_P12ihipStream_tbEUlRKtE_EESV_SZ_S10_mS11_S14_bEUlT_E_NS1_11comp_targetILNS1_3genE4ELNS1_11target_archE910ELNS1_3gpuE8ELNS1_3repE0EEENS1_30default_config_static_selectorELNS0_4arch9wavefront6targetE1EEEvSY_,"axG",@progbits,_ZN7rocprim17ROCPRIM_400000_NS6detail17trampoline_kernelINS0_14default_configENS1_29binary_search_config_selectorItiEEZNS1_14transform_implILb0ES3_S5_N6thrust23THRUST_200600_302600_NS6detail15normal_iteratorINS8_7pointerItNS8_11hip_rocprim5par_tENS8_11use_defaultESE_EEEENSA_INSB_IiSD_SE_SE_EEEEZNS1_13binary_searchIS3_S5_NSA_INS8_10device_ptrItEEEESG_SI_NS1_16binary_search_opENS9_16wrapped_functionINS8_6system6detail7generic6detail18binary_search_lessEbEEEE10hipError_tPvRmT1_T2_T3_mmT4_T5_P12ihipStream_tbEUlRKtE_EESV_SZ_S10_mS11_S14_bEUlT_E_NS1_11comp_targetILNS1_3genE4ELNS1_11target_archE910ELNS1_3gpuE8ELNS1_3repE0EEENS1_30default_config_static_selectorELNS0_4arch9wavefront6targetE1EEEvSY_,comdat
.Lfunc_end682:
	.size	_ZN7rocprim17ROCPRIM_400000_NS6detail17trampoline_kernelINS0_14default_configENS1_29binary_search_config_selectorItiEEZNS1_14transform_implILb0ES3_S5_N6thrust23THRUST_200600_302600_NS6detail15normal_iteratorINS8_7pointerItNS8_11hip_rocprim5par_tENS8_11use_defaultESE_EEEENSA_INSB_IiSD_SE_SE_EEEEZNS1_13binary_searchIS3_S5_NSA_INS8_10device_ptrItEEEESG_SI_NS1_16binary_search_opENS9_16wrapped_functionINS8_6system6detail7generic6detail18binary_search_lessEbEEEE10hipError_tPvRmT1_T2_T3_mmT4_T5_P12ihipStream_tbEUlRKtE_EESV_SZ_S10_mS11_S14_bEUlT_E_NS1_11comp_targetILNS1_3genE4ELNS1_11target_archE910ELNS1_3gpuE8ELNS1_3repE0EEENS1_30default_config_static_selectorELNS0_4arch9wavefront6targetE1EEEvSY_, .Lfunc_end682-_ZN7rocprim17ROCPRIM_400000_NS6detail17trampoline_kernelINS0_14default_configENS1_29binary_search_config_selectorItiEEZNS1_14transform_implILb0ES3_S5_N6thrust23THRUST_200600_302600_NS6detail15normal_iteratorINS8_7pointerItNS8_11hip_rocprim5par_tENS8_11use_defaultESE_EEEENSA_INSB_IiSD_SE_SE_EEEEZNS1_13binary_searchIS3_S5_NSA_INS8_10device_ptrItEEEESG_SI_NS1_16binary_search_opENS9_16wrapped_functionINS8_6system6detail7generic6detail18binary_search_lessEbEEEE10hipError_tPvRmT1_T2_T3_mmT4_T5_P12ihipStream_tbEUlRKtE_EESV_SZ_S10_mS11_S14_bEUlT_E_NS1_11comp_targetILNS1_3genE4ELNS1_11target_archE910ELNS1_3gpuE8ELNS1_3repE0EEENS1_30default_config_static_selectorELNS0_4arch9wavefront6targetE1EEEvSY_
                                        ; -- End function
	.set _ZN7rocprim17ROCPRIM_400000_NS6detail17trampoline_kernelINS0_14default_configENS1_29binary_search_config_selectorItiEEZNS1_14transform_implILb0ES3_S5_N6thrust23THRUST_200600_302600_NS6detail15normal_iteratorINS8_7pointerItNS8_11hip_rocprim5par_tENS8_11use_defaultESE_EEEENSA_INSB_IiSD_SE_SE_EEEEZNS1_13binary_searchIS3_S5_NSA_INS8_10device_ptrItEEEESG_SI_NS1_16binary_search_opENS9_16wrapped_functionINS8_6system6detail7generic6detail18binary_search_lessEbEEEE10hipError_tPvRmT1_T2_T3_mmT4_T5_P12ihipStream_tbEUlRKtE_EESV_SZ_S10_mS11_S14_bEUlT_E_NS1_11comp_targetILNS1_3genE4ELNS1_11target_archE910ELNS1_3gpuE8ELNS1_3repE0EEENS1_30default_config_static_selectorELNS0_4arch9wavefront6targetE1EEEvSY_.num_vgpr, 0
	.set _ZN7rocprim17ROCPRIM_400000_NS6detail17trampoline_kernelINS0_14default_configENS1_29binary_search_config_selectorItiEEZNS1_14transform_implILb0ES3_S5_N6thrust23THRUST_200600_302600_NS6detail15normal_iteratorINS8_7pointerItNS8_11hip_rocprim5par_tENS8_11use_defaultESE_EEEENSA_INSB_IiSD_SE_SE_EEEEZNS1_13binary_searchIS3_S5_NSA_INS8_10device_ptrItEEEESG_SI_NS1_16binary_search_opENS9_16wrapped_functionINS8_6system6detail7generic6detail18binary_search_lessEbEEEE10hipError_tPvRmT1_T2_T3_mmT4_T5_P12ihipStream_tbEUlRKtE_EESV_SZ_S10_mS11_S14_bEUlT_E_NS1_11comp_targetILNS1_3genE4ELNS1_11target_archE910ELNS1_3gpuE8ELNS1_3repE0EEENS1_30default_config_static_selectorELNS0_4arch9wavefront6targetE1EEEvSY_.num_agpr, 0
	.set _ZN7rocprim17ROCPRIM_400000_NS6detail17trampoline_kernelINS0_14default_configENS1_29binary_search_config_selectorItiEEZNS1_14transform_implILb0ES3_S5_N6thrust23THRUST_200600_302600_NS6detail15normal_iteratorINS8_7pointerItNS8_11hip_rocprim5par_tENS8_11use_defaultESE_EEEENSA_INSB_IiSD_SE_SE_EEEEZNS1_13binary_searchIS3_S5_NSA_INS8_10device_ptrItEEEESG_SI_NS1_16binary_search_opENS9_16wrapped_functionINS8_6system6detail7generic6detail18binary_search_lessEbEEEE10hipError_tPvRmT1_T2_T3_mmT4_T5_P12ihipStream_tbEUlRKtE_EESV_SZ_S10_mS11_S14_bEUlT_E_NS1_11comp_targetILNS1_3genE4ELNS1_11target_archE910ELNS1_3gpuE8ELNS1_3repE0EEENS1_30default_config_static_selectorELNS0_4arch9wavefront6targetE1EEEvSY_.numbered_sgpr, 0
	.set _ZN7rocprim17ROCPRIM_400000_NS6detail17trampoline_kernelINS0_14default_configENS1_29binary_search_config_selectorItiEEZNS1_14transform_implILb0ES3_S5_N6thrust23THRUST_200600_302600_NS6detail15normal_iteratorINS8_7pointerItNS8_11hip_rocprim5par_tENS8_11use_defaultESE_EEEENSA_INSB_IiSD_SE_SE_EEEEZNS1_13binary_searchIS3_S5_NSA_INS8_10device_ptrItEEEESG_SI_NS1_16binary_search_opENS9_16wrapped_functionINS8_6system6detail7generic6detail18binary_search_lessEbEEEE10hipError_tPvRmT1_T2_T3_mmT4_T5_P12ihipStream_tbEUlRKtE_EESV_SZ_S10_mS11_S14_bEUlT_E_NS1_11comp_targetILNS1_3genE4ELNS1_11target_archE910ELNS1_3gpuE8ELNS1_3repE0EEENS1_30default_config_static_selectorELNS0_4arch9wavefront6targetE1EEEvSY_.num_named_barrier, 0
	.set _ZN7rocprim17ROCPRIM_400000_NS6detail17trampoline_kernelINS0_14default_configENS1_29binary_search_config_selectorItiEEZNS1_14transform_implILb0ES3_S5_N6thrust23THRUST_200600_302600_NS6detail15normal_iteratorINS8_7pointerItNS8_11hip_rocprim5par_tENS8_11use_defaultESE_EEEENSA_INSB_IiSD_SE_SE_EEEEZNS1_13binary_searchIS3_S5_NSA_INS8_10device_ptrItEEEESG_SI_NS1_16binary_search_opENS9_16wrapped_functionINS8_6system6detail7generic6detail18binary_search_lessEbEEEE10hipError_tPvRmT1_T2_T3_mmT4_T5_P12ihipStream_tbEUlRKtE_EESV_SZ_S10_mS11_S14_bEUlT_E_NS1_11comp_targetILNS1_3genE4ELNS1_11target_archE910ELNS1_3gpuE8ELNS1_3repE0EEENS1_30default_config_static_selectorELNS0_4arch9wavefront6targetE1EEEvSY_.private_seg_size, 0
	.set _ZN7rocprim17ROCPRIM_400000_NS6detail17trampoline_kernelINS0_14default_configENS1_29binary_search_config_selectorItiEEZNS1_14transform_implILb0ES3_S5_N6thrust23THRUST_200600_302600_NS6detail15normal_iteratorINS8_7pointerItNS8_11hip_rocprim5par_tENS8_11use_defaultESE_EEEENSA_INSB_IiSD_SE_SE_EEEEZNS1_13binary_searchIS3_S5_NSA_INS8_10device_ptrItEEEESG_SI_NS1_16binary_search_opENS9_16wrapped_functionINS8_6system6detail7generic6detail18binary_search_lessEbEEEE10hipError_tPvRmT1_T2_T3_mmT4_T5_P12ihipStream_tbEUlRKtE_EESV_SZ_S10_mS11_S14_bEUlT_E_NS1_11comp_targetILNS1_3genE4ELNS1_11target_archE910ELNS1_3gpuE8ELNS1_3repE0EEENS1_30default_config_static_selectorELNS0_4arch9wavefront6targetE1EEEvSY_.uses_vcc, 0
	.set _ZN7rocprim17ROCPRIM_400000_NS6detail17trampoline_kernelINS0_14default_configENS1_29binary_search_config_selectorItiEEZNS1_14transform_implILb0ES3_S5_N6thrust23THRUST_200600_302600_NS6detail15normal_iteratorINS8_7pointerItNS8_11hip_rocprim5par_tENS8_11use_defaultESE_EEEENSA_INSB_IiSD_SE_SE_EEEEZNS1_13binary_searchIS3_S5_NSA_INS8_10device_ptrItEEEESG_SI_NS1_16binary_search_opENS9_16wrapped_functionINS8_6system6detail7generic6detail18binary_search_lessEbEEEE10hipError_tPvRmT1_T2_T3_mmT4_T5_P12ihipStream_tbEUlRKtE_EESV_SZ_S10_mS11_S14_bEUlT_E_NS1_11comp_targetILNS1_3genE4ELNS1_11target_archE910ELNS1_3gpuE8ELNS1_3repE0EEENS1_30default_config_static_selectorELNS0_4arch9wavefront6targetE1EEEvSY_.uses_flat_scratch, 0
	.set _ZN7rocprim17ROCPRIM_400000_NS6detail17trampoline_kernelINS0_14default_configENS1_29binary_search_config_selectorItiEEZNS1_14transform_implILb0ES3_S5_N6thrust23THRUST_200600_302600_NS6detail15normal_iteratorINS8_7pointerItNS8_11hip_rocprim5par_tENS8_11use_defaultESE_EEEENSA_INSB_IiSD_SE_SE_EEEEZNS1_13binary_searchIS3_S5_NSA_INS8_10device_ptrItEEEESG_SI_NS1_16binary_search_opENS9_16wrapped_functionINS8_6system6detail7generic6detail18binary_search_lessEbEEEE10hipError_tPvRmT1_T2_T3_mmT4_T5_P12ihipStream_tbEUlRKtE_EESV_SZ_S10_mS11_S14_bEUlT_E_NS1_11comp_targetILNS1_3genE4ELNS1_11target_archE910ELNS1_3gpuE8ELNS1_3repE0EEENS1_30default_config_static_selectorELNS0_4arch9wavefront6targetE1EEEvSY_.has_dyn_sized_stack, 0
	.set _ZN7rocprim17ROCPRIM_400000_NS6detail17trampoline_kernelINS0_14default_configENS1_29binary_search_config_selectorItiEEZNS1_14transform_implILb0ES3_S5_N6thrust23THRUST_200600_302600_NS6detail15normal_iteratorINS8_7pointerItNS8_11hip_rocprim5par_tENS8_11use_defaultESE_EEEENSA_INSB_IiSD_SE_SE_EEEEZNS1_13binary_searchIS3_S5_NSA_INS8_10device_ptrItEEEESG_SI_NS1_16binary_search_opENS9_16wrapped_functionINS8_6system6detail7generic6detail18binary_search_lessEbEEEE10hipError_tPvRmT1_T2_T3_mmT4_T5_P12ihipStream_tbEUlRKtE_EESV_SZ_S10_mS11_S14_bEUlT_E_NS1_11comp_targetILNS1_3genE4ELNS1_11target_archE910ELNS1_3gpuE8ELNS1_3repE0EEENS1_30default_config_static_selectorELNS0_4arch9wavefront6targetE1EEEvSY_.has_recursion, 0
	.set _ZN7rocprim17ROCPRIM_400000_NS6detail17trampoline_kernelINS0_14default_configENS1_29binary_search_config_selectorItiEEZNS1_14transform_implILb0ES3_S5_N6thrust23THRUST_200600_302600_NS6detail15normal_iteratorINS8_7pointerItNS8_11hip_rocprim5par_tENS8_11use_defaultESE_EEEENSA_INSB_IiSD_SE_SE_EEEEZNS1_13binary_searchIS3_S5_NSA_INS8_10device_ptrItEEEESG_SI_NS1_16binary_search_opENS9_16wrapped_functionINS8_6system6detail7generic6detail18binary_search_lessEbEEEE10hipError_tPvRmT1_T2_T3_mmT4_T5_P12ihipStream_tbEUlRKtE_EESV_SZ_S10_mS11_S14_bEUlT_E_NS1_11comp_targetILNS1_3genE4ELNS1_11target_archE910ELNS1_3gpuE8ELNS1_3repE0EEENS1_30default_config_static_selectorELNS0_4arch9wavefront6targetE1EEEvSY_.has_indirect_call, 0
	.section	.AMDGPU.csdata,"",@progbits
; Kernel info:
; codeLenInByte = 0
; TotalNumSgprs: 4
; NumVgprs: 0
; ScratchSize: 0
; MemoryBound: 0
; FloatMode: 240
; IeeeMode: 1
; LDSByteSize: 0 bytes/workgroup (compile time only)
; SGPRBlocks: 0
; VGPRBlocks: 0
; NumSGPRsForWavesPerEU: 4
; NumVGPRsForWavesPerEU: 1
; Occupancy: 10
; WaveLimiterHint : 0
; COMPUTE_PGM_RSRC2:SCRATCH_EN: 0
; COMPUTE_PGM_RSRC2:USER_SGPR: 6
; COMPUTE_PGM_RSRC2:TRAP_HANDLER: 0
; COMPUTE_PGM_RSRC2:TGID_X_EN: 1
; COMPUTE_PGM_RSRC2:TGID_Y_EN: 0
; COMPUTE_PGM_RSRC2:TGID_Z_EN: 0
; COMPUTE_PGM_RSRC2:TIDIG_COMP_CNT: 0
	.section	.text._ZN7rocprim17ROCPRIM_400000_NS6detail17trampoline_kernelINS0_14default_configENS1_29binary_search_config_selectorItiEEZNS1_14transform_implILb0ES3_S5_N6thrust23THRUST_200600_302600_NS6detail15normal_iteratorINS8_7pointerItNS8_11hip_rocprim5par_tENS8_11use_defaultESE_EEEENSA_INSB_IiSD_SE_SE_EEEEZNS1_13binary_searchIS3_S5_NSA_INS8_10device_ptrItEEEESG_SI_NS1_16binary_search_opENS9_16wrapped_functionINS8_6system6detail7generic6detail18binary_search_lessEbEEEE10hipError_tPvRmT1_T2_T3_mmT4_T5_P12ihipStream_tbEUlRKtE_EESV_SZ_S10_mS11_S14_bEUlT_E_NS1_11comp_targetILNS1_3genE3ELNS1_11target_archE908ELNS1_3gpuE7ELNS1_3repE0EEENS1_30default_config_static_selectorELNS0_4arch9wavefront6targetE1EEEvSY_,"axG",@progbits,_ZN7rocprim17ROCPRIM_400000_NS6detail17trampoline_kernelINS0_14default_configENS1_29binary_search_config_selectorItiEEZNS1_14transform_implILb0ES3_S5_N6thrust23THRUST_200600_302600_NS6detail15normal_iteratorINS8_7pointerItNS8_11hip_rocprim5par_tENS8_11use_defaultESE_EEEENSA_INSB_IiSD_SE_SE_EEEEZNS1_13binary_searchIS3_S5_NSA_INS8_10device_ptrItEEEESG_SI_NS1_16binary_search_opENS9_16wrapped_functionINS8_6system6detail7generic6detail18binary_search_lessEbEEEE10hipError_tPvRmT1_T2_T3_mmT4_T5_P12ihipStream_tbEUlRKtE_EESV_SZ_S10_mS11_S14_bEUlT_E_NS1_11comp_targetILNS1_3genE3ELNS1_11target_archE908ELNS1_3gpuE7ELNS1_3repE0EEENS1_30default_config_static_selectorELNS0_4arch9wavefront6targetE1EEEvSY_,comdat
	.protected	_ZN7rocprim17ROCPRIM_400000_NS6detail17trampoline_kernelINS0_14default_configENS1_29binary_search_config_selectorItiEEZNS1_14transform_implILb0ES3_S5_N6thrust23THRUST_200600_302600_NS6detail15normal_iteratorINS8_7pointerItNS8_11hip_rocprim5par_tENS8_11use_defaultESE_EEEENSA_INSB_IiSD_SE_SE_EEEEZNS1_13binary_searchIS3_S5_NSA_INS8_10device_ptrItEEEESG_SI_NS1_16binary_search_opENS9_16wrapped_functionINS8_6system6detail7generic6detail18binary_search_lessEbEEEE10hipError_tPvRmT1_T2_T3_mmT4_T5_P12ihipStream_tbEUlRKtE_EESV_SZ_S10_mS11_S14_bEUlT_E_NS1_11comp_targetILNS1_3genE3ELNS1_11target_archE908ELNS1_3gpuE7ELNS1_3repE0EEENS1_30default_config_static_selectorELNS0_4arch9wavefront6targetE1EEEvSY_ ; -- Begin function _ZN7rocprim17ROCPRIM_400000_NS6detail17trampoline_kernelINS0_14default_configENS1_29binary_search_config_selectorItiEEZNS1_14transform_implILb0ES3_S5_N6thrust23THRUST_200600_302600_NS6detail15normal_iteratorINS8_7pointerItNS8_11hip_rocprim5par_tENS8_11use_defaultESE_EEEENSA_INSB_IiSD_SE_SE_EEEEZNS1_13binary_searchIS3_S5_NSA_INS8_10device_ptrItEEEESG_SI_NS1_16binary_search_opENS9_16wrapped_functionINS8_6system6detail7generic6detail18binary_search_lessEbEEEE10hipError_tPvRmT1_T2_T3_mmT4_T5_P12ihipStream_tbEUlRKtE_EESV_SZ_S10_mS11_S14_bEUlT_E_NS1_11comp_targetILNS1_3genE3ELNS1_11target_archE908ELNS1_3gpuE7ELNS1_3repE0EEENS1_30default_config_static_selectorELNS0_4arch9wavefront6targetE1EEEvSY_
	.globl	_ZN7rocprim17ROCPRIM_400000_NS6detail17trampoline_kernelINS0_14default_configENS1_29binary_search_config_selectorItiEEZNS1_14transform_implILb0ES3_S5_N6thrust23THRUST_200600_302600_NS6detail15normal_iteratorINS8_7pointerItNS8_11hip_rocprim5par_tENS8_11use_defaultESE_EEEENSA_INSB_IiSD_SE_SE_EEEEZNS1_13binary_searchIS3_S5_NSA_INS8_10device_ptrItEEEESG_SI_NS1_16binary_search_opENS9_16wrapped_functionINS8_6system6detail7generic6detail18binary_search_lessEbEEEE10hipError_tPvRmT1_T2_T3_mmT4_T5_P12ihipStream_tbEUlRKtE_EESV_SZ_S10_mS11_S14_bEUlT_E_NS1_11comp_targetILNS1_3genE3ELNS1_11target_archE908ELNS1_3gpuE7ELNS1_3repE0EEENS1_30default_config_static_selectorELNS0_4arch9wavefront6targetE1EEEvSY_
	.p2align	8
	.type	_ZN7rocprim17ROCPRIM_400000_NS6detail17trampoline_kernelINS0_14default_configENS1_29binary_search_config_selectorItiEEZNS1_14transform_implILb0ES3_S5_N6thrust23THRUST_200600_302600_NS6detail15normal_iteratorINS8_7pointerItNS8_11hip_rocprim5par_tENS8_11use_defaultESE_EEEENSA_INSB_IiSD_SE_SE_EEEEZNS1_13binary_searchIS3_S5_NSA_INS8_10device_ptrItEEEESG_SI_NS1_16binary_search_opENS9_16wrapped_functionINS8_6system6detail7generic6detail18binary_search_lessEbEEEE10hipError_tPvRmT1_T2_T3_mmT4_T5_P12ihipStream_tbEUlRKtE_EESV_SZ_S10_mS11_S14_bEUlT_E_NS1_11comp_targetILNS1_3genE3ELNS1_11target_archE908ELNS1_3gpuE7ELNS1_3repE0EEENS1_30default_config_static_selectorELNS0_4arch9wavefront6targetE1EEEvSY_,@function
_ZN7rocprim17ROCPRIM_400000_NS6detail17trampoline_kernelINS0_14default_configENS1_29binary_search_config_selectorItiEEZNS1_14transform_implILb0ES3_S5_N6thrust23THRUST_200600_302600_NS6detail15normal_iteratorINS8_7pointerItNS8_11hip_rocprim5par_tENS8_11use_defaultESE_EEEENSA_INSB_IiSD_SE_SE_EEEEZNS1_13binary_searchIS3_S5_NSA_INS8_10device_ptrItEEEESG_SI_NS1_16binary_search_opENS9_16wrapped_functionINS8_6system6detail7generic6detail18binary_search_lessEbEEEE10hipError_tPvRmT1_T2_T3_mmT4_T5_P12ihipStream_tbEUlRKtE_EESV_SZ_S10_mS11_S14_bEUlT_E_NS1_11comp_targetILNS1_3genE3ELNS1_11target_archE908ELNS1_3gpuE7ELNS1_3repE0EEENS1_30default_config_static_selectorELNS0_4arch9wavefront6targetE1EEEvSY_: ; @_ZN7rocprim17ROCPRIM_400000_NS6detail17trampoline_kernelINS0_14default_configENS1_29binary_search_config_selectorItiEEZNS1_14transform_implILb0ES3_S5_N6thrust23THRUST_200600_302600_NS6detail15normal_iteratorINS8_7pointerItNS8_11hip_rocprim5par_tENS8_11use_defaultESE_EEEENSA_INSB_IiSD_SE_SE_EEEEZNS1_13binary_searchIS3_S5_NSA_INS8_10device_ptrItEEEESG_SI_NS1_16binary_search_opENS9_16wrapped_functionINS8_6system6detail7generic6detail18binary_search_lessEbEEEE10hipError_tPvRmT1_T2_T3_mmT4_T5_P12ihipStream_tbEUlRKtE_EESV_SZ_S10_mS11_S14_bEUlT_E_NS1_11comp_targetILNS1_3genE3ELNS1_11target_archE908ELNS1_3gpuE7ELNS1_3repE0EEENS1_30default_config_static_selectorELNS0_4arch9wavefront6targetE1EEEvSY_
; %bb.0:
	.section	.rodata,"a",@progbits
	.p2align	6, 0x0
	.amdhsa_kernel _ZN7rocprim17ROCPRIM_400000_NS6detail17trampoline_kernelINS0_14default_configENS1_29binary_search_config_selectorItiEEZNS1_14transform_implILb0ES3_S5_N6thrust23THRUST_200600_302600_NS6detail15normal_iteratorINS8_7pointerItNS8_11hip_rocprim5par_tENS8_11use_defaultESE_EEEENSA_INSB_IiSD_SE_SE_EEEEZNS1_13binary_searchIS3_S5_NSA_INS8_10device_ptrItEEEESG_SI_NS1_16binary_search_opENS9_16wrapped_functionINS8_6system6detail7generic6detail18binary_search_lessEbEEEE10hipError_tPvRmT1_T2_T3_mmT4_T5_P12ihipStream_tbEUlRKtE_EESV_SZ_S10_mS11_S14_bEUlT_E_NS1_11comp_targetILNS1_3genE3ELNS1_11target_archE908ELNS1_3gpuE7ELNS1_3repE0EEENS1_30default_config_static_selectorELNS0_4arch9wavefront6targetE1EEEvSY_
		.amdhsa_group_segment_fixed_size 0
		.amdhsa_private_segment_fixed_size 0
		.amdhsa_kernarg_size 56
		.amdhsa_user_sgpr_count 6
		.amdhsa_user_sgpr_private_segment_buffer 1
		.amdhsa_user_sgpr_dispatch_ptr 0
		.amdhsa_user_sgpr_queue_ptr 0
		.amdhsa_user_sgpr_kernarg_segment_ptr 1
		.amdhsa_user_sgpr_dispatch_id 0
		.amdhsa_user_sgpr_flat_scratch_init 0
		.amdhsa_user_sgpr_private_segment_size 0
		.amdhsa_uses_dynamic_stack 0
		.amdhsa_system_sgpr_private_segment_wavefront_offset 0
		.amdhsa_system_sgpr_workgroup_id_x 1
		.amdhsa_system_sgpr_workgroup_id_y 0
		.amdhsa_system_sgpr_workgroup_id_z 0
		.amdhsa_system_sgpr_workgroup_info 0
		.amdhsa_system_vgpr_workitem_id 0
		.amdhsa_next_free_vgpr 1
		.amdhsa_next_free_sgpr 0
		.amdhsa_reserve_vcc 0
		.amdhsa_reserve_flat_scratch 0
		.amdhsa_float_round_mode_32 0
		.amdhsa_float_round_mode_16_64 0
		.amdhsa_float_denorm_mode_32 3
		.amdhsa_float_denorm_mode_16_64 3
		.amdhsa_dx10_clamp 1
		.amdhsa_ieee_mode 1
		.amdhsa_fp16_overflow 0
		.amdhsa_exception_fp_ieee_invalid_op 0
		.amdhsa_exception_fp_denorm_src 0
		.amdhsa_exception_fp_ieee_div_zero 0
		.amdhsa_exception_fp_ieee_overflow 0
		.amdhsa_exception_fp_ieee_underflow 0
		.amdhsa_exception_fp_ieee_inexact 0
		.amdhsa_exception_int_div_zero 0
	.end_amdhsa_kernel
	.section	.text._ZN7rocprim17ROCPRIM_400000_NS6detail17trampoline_kernelINS0_14default_configENS1_29binary_search_config_selectorItiEEZNS1_14transform_implILb0ES3_S5_N6thrust23THRUST_200600_302600_NS6detail15normal_iteratorINS8_7pointerItNS8_11hip_rocprim5par_tENS8_11use_defaultESE_EEEENSA_INSB_IiSD_SE_SE_EEEEZNS1_13binary_searchIS3_S5_NSA_INS8_10device_ptrItEEEESG_SI_NS1_16binary_search_opENS9_16wrapped_functionINS8_6system6detail7generic6detail18binary_search_lessEbEEEE10hipError_tPvRmT1_T2_T3_mmT4_T5_P12ihipStream_tbEUlRKtE_EESV_SZ_S10_mS11_S14_bEUlT_E_NS1_11comp_targetILNS1_3genE3ELNS1_11target_archE908ELNS1_3gpuE7ELNS1_3repE0EEENS1_30default_config_static_selectorELNS0_4arch9wavefront6targetE1EEEvSY_,"axG",@progbits,_ZN7rocprim17ROCPRIM_400000_NS6detail17trampoline_kernelINS0_14default_configENS1_29binary_search_config_selectorItiEEZNS1_14transform_implILb0ES3_S5_N6thrust23THRUST_200600_302600_NS6detail15normal_iteratorINS8_7pointerItNS8_11hip_rocprim5par_tENS8_11use_defaultESE_EEEENSA_INSB_IiSD_SE_SE_EEEEZNS1_13binary_searchIS3_S5_NSA_INS8_10device_ptrItEEEESG_SI_NS1_16binary_search_opENS9_16wrapped_functionINS8_6system6detail7generic6detail18binary_search_lessEbEEEE10hipError_tPvRmT1_T2_T3_mmT4_T5_P12ihipStream_tbEUlRKtE_EESV_SZ_S10_mS11_S14_bEUlT_E_NS1_11comp_targetILNS1_3genE3ELNS1_11target_archE908ELNS1_3gpuE7ELNS1_3repE0EEENS1_30default_config_static_selectorELNS0_4arch9wavefront6targetE1EEEvSY_,comdat
.Lfunc_end683:
	.size	_ZN7rocprim17ROCPRIM_400000_NS6detail17trampoline_kernelINS0_14default_configENS1_29binary_search_config_selectorItiEEZNS1_14transform_implILb0ES3_S5_N6thrust23THRUST_200600_302600_NS6detail15normal_iteratorINS8_7pointerItNS8_11hip_rocprim5par_tENS8_11use_defaultESE_EEEENSA_INSB_IiSD_SE_SE_EEEEZNS1_13binary_searchIS3_S5_NSA_INS8_10device_ptrItEEEESG_SI_NS1_16binary_search_opENS9_16wrapped_functionINS8_6system6detail7generic6detail18binary_search_lessEbEEEE10hipError_tPvRmT1_T2_T3_mmT4_T5_P12ihipStream_tbEUlRKtE_EESV_SZ_S10_mS11_S14_bEUlT_E_NS1_11comp_targetILNS1_3genE3ELNS1_11target_archE908ELNS1_3gpuE7ELNS1_3repE0EEENS1_30default_config_static_selectorELNS0_4arch9wavefront6targetE1EEEvSY_, .Lfunc_end683-_ZN7rocprim17ROCPRIM_400000_NS6detail17trampoline_kernelINS0_14default_configENS1_29binary_search_config_selectorItiEEZNS1_14transform_implILb0ES3_S5_N6thrust23THRUST_200600_302600_NS6detail15normal_iteratorINS8_7pointerItNS8_11hip_rocprim5par_tENS8_11use_defaultESE_EEEENSA_INSB_IiSD_SE_SE_EEEEZNS1_13binary_searchIS3_S5_NSA_INS8_10device_ptrItEEEESG_SI_NS1_16binary_search_opENS9_16wrapped_functionINS8_6system6detail7generic6detail18binary_search_lessEbEEEE10hipError_tPvRmT1_T2_T3_mmT4_T5_P12ihipStream_tbEUlRKtE_EESV_SZ_S10_mS11_S14_bEUlT_E_NS1_11comp_targetILNS1_3genE3ELNS1_11target_archE908ELNS1_3gpuE7ELNS1_3repE0EEENS1_30default_config_static_selectorELNS0_4arch9wavefront6targetE1EEEvSY_
                                        ; -- End function
	.set _ZN7rocprim17ROCPRIM_400000_NS6detail17trampoline_kernelINS0_14default_configENS1_29binary_search_config_selectorItiEEZNS1_14transform_implILb0ES3_S5_N6thrust23THRUST_200600_302600_NS6detail15normal_iteratorINS8_7pointerItNS8_11hip_rocprim5par_tENS8_11use_defaultESE_EEEENSA_INSB_IiSD_SE_SE_EEEEZNS1_13binary_searchIS3_S5_NSA_INS8_10device_ptrItEEEESG_SI_NS1_16binary_search_opENS9_16wrapped_functionINS8_6system6detail7generic6detail18binary_search_lessEbEEEE10hipError_tPvRmT1_T2_T3_mmT4_T5_P12ihipStream_tbEUlRKtE_EESV_SZ_S10_mS11_S14_bEUlT_E_NS1_11comp_targetILNS1_3genE3ELNS1_11target_archE908ELNS1_3gpuE7ELNS1_3repE0EEENS1_30default_config_static_selectorELNS0_4arch9wavefront6targetE1EEEvSY_.num_vgpr, 0
	.set _ZN7rocprim17ROCPRIM_400000_NS6detail17trampoline_kernelINS0_14default_configENS1_29binary_search_config_selectorItiEEZNS1_14transform_implILb0ES3_S5_N6thrust23THRUST_200600_302600_NS6detail15normal_iteratorINS8_7pointerItNS8_11hip_rocprim5par_tENS8_11use_defaultESE_EEEENSA_INSB_IiSD_SE_SE_EEEEZNS1_13binary_searchIS3_S5_NSA_INS8_10device_ptrItEEEESG_SI_NS1_16binary_search_opENS9_16wrapped_functionINS8_6system6detail7generic6detail18binary_search_lessEbEEEE10hipError_tPvRmT1_T2_T3_mmT4_T5_P12ihipStream_tbEUlRKtE_EESV_SZ_S10_mS11_S14_bEUlT_E_NS1_11comp_targetILNS1_3genE3ELNS1_11target_archE908ELNS1_3gpuE7ELNS1_3repE0EEENS1_30default_config_static_selectorELNS0_4arch9wavefront6targetE1EEEvSY_.num_agpr, 0
	.set _ZN7rocprim17ROCPRIM_400000_NS6detail17trampoline_kernelINS0_14default_configENS1_29binary_search_config_selectorItiEEZNS1_14transform_implILb0ES3_S5_N6thrust23THRUST_200600_302600_NS6detail15normal_iteratorINS8_7pointerItNS8_11hip_rocprim5par_tENS8_11use_defaultESE_EEEENSA_INSB_IiSD_SE_SE_EEEEZNS1_13binary_searchIS3_S5_NSA_INS8_10device_ptrItEEEESG_SI_NS1_16binary_search_opENS9_16wrapped_functionINS8_6system6detail7generic6detail18binary_search_lessEbEEEE10hipError_tPvRmT1_T2_T3_mmT4_T5_P12ihipStream_tbEUlRKtE_EESV_SZ_S10_mS11_S14_bEUlT_E_NS1_11comp_targetILNS1_3genE3ELNS1_11target_archE908ELNS1_3gpuE7ELNS1_3repE0EEENS1_30default_config_static_selectorELNS0_4arch9wavefront6targetE1EEEvSY_.numbered_sgpr, 0
	.set _ZN7rocprim17ROCPRIM_400000_NS6detail17trampoline_kernelINS0_14default_configENS1_29binary_search_config_selectorItiEEZNS1_14transform_implILb0ES3_S5_N6thrust23THRUST_200600_302600_NS6detail15normal_iteratorINS8_7pointerItNS8_11hip_rocprim5par_tENS8_11use_defaultESE_EEEENSA_INSB_IiSD_SE_SE_EEEEZNS1_13binary_searchIS3_S5_NSA_INS8_10device_ptrItEEEESG_SI_NS1_16binary_search_opENS9_16wrapped_functionINS8_6system6detail7generic6detail18binary_search_lessEbEEEE10hipError_tPvRmT1_T2_T3_mmT4_T5_P12ihipStream_tbEUlRKtE_EESV_SZ_S10_mS11_S14_bEUlT_E_NS1_11comp_targetILNS1_3genE3ELNS1_11target_archE908ELNS1_3gpuE7ELNS1_3repE0EEENS1_30default_config_static_selectorELNS0_4arch9wavefront6targetE1EEEvSY_.num_named_barrier, 0
	.set _ZN7rocprim17ROCPRIM_400000_NS6detail17trampoline_kernelINS0_14default_configENS1_29binary_search_config_selectorItiEEZNS1_14transform_implILb0ES3_S5_N6thrust23THRUST_200600_302600_NS6detail15normal_iteratorINS8_7pointerItNS8_11hip_rocprim5par_tENS8_11use_defaultESE_EEEENSA_INSB_IiSD_SE_SE_EEEEZNS1_13binary_searchIS3_S5_NSA_INS8_10device_ptrItEEEESG_SI_NS1_16binary_search_opENS9_16wrapped_functionINS8_6system6detail7generic6detail18binary_search_lessEbEEEE10hipError_tPvRmT1_T2_T3_mmT4_T5_P12ihipStream_tbEUlRKtE_EESV_SZ_S10_mS11_S14_bEUlT_E_NS1_11comp_targetILNS1_3genE3ELNS1_11target_archE908ELNS1_3gpuE7ELNS1_3repE0EEENS1_30default_config_static_selectorELNS0_4arch9wavefront6targetE1EEEvSY_.private_seg_size, 0
	.set _ZN7rocprim17ROCPRIM_400000_NS6detail17trampoline_kernelINS0_14default_configENS1_29binary_search_config_selectorItiEEZNS1_14transform_implILb0ES3_S5_N6thrust23THRUST_200600_302600_NS6detail15normal_iteratorINS8_7pointerItNS8_11hip_rocprim5par_tENS8_11use_defaultESE_EEEENSA_INSB_IiSD_SE_SE_EEEEZNS1_13binary_searchIS3_S5_NSA_INS8_10device_ptrItEEEESG_SI_NS1_16binary_search_opENS9_16wrapped_functionINS8_6system6detail7generic6detail18binary_search_lessEbEEEE10hipError_tPvRmT1_T2_T3_mmT4_T5_P12ihipStream_tbEUlRKtE_EESV_SZ_S10_mS11_S14_bEUlT_E_NS1_11comp_targetILNS1_3genE3ELNS1_11target_archE908ELNS1_3gpuE7ELNS1_3repE0EEENS1_30default_config_static_selectorELNS0_4arch9wavefront6targetE1EEEvSY_.uses_vcc, 0
	.set _ZN7rocprim17ROCPRIM_400000_NS6detail17trampoline_kernelINS0_14default_configENS1_29binary_search_config_selectorItiEEZNS1_14transform_implILb0ES3_S5_N6thrust23THRUST_200600_302600_NS6detail15normal_iteratorINS8_7pointerItNS8_11hip_rocprim5par_tENS8_11use_defaultESE_EEEENSA_INSB_IiSD_SE_SE_EEEEZNS1_13binary_searchIS3_S5_NSA_INS8_10device_ptrItEEEESG_SI_NS1_16binary_search_opENS9_16wrapped_functionINS8_6system6detail7generic6detail18binary_search_lessEbEEEE10hipError_tPvRmT1_T2_T3_mmT4_T5_P12ihipStream_tbEUlRKtE_EESV_SZ_S10_mS11_S14_bEUlT_E_NS1_11comp_targetILNS1_3genE3ELNS1_11target_archE908ELNS1_3gpuE7ELNS1_3repE0EEENS1_30default_config_static_selectorELNS0_4arch9wavefront6targetE1EEEvSY_.uses_flat_scratch, 0
	.set _ZN7rocprim17ROCPRIM_400000_NS6detail17trampoline_kernelINS0_14default_configENS1_29binary_search_config_selectorItiEEZNS1_14transform_implILb0ES3_S5_N6thrust23THRUST_200600_302600_NS6detail15normal_iteratorINS8_7pointerItNS8_11hip_rocprim5par_tENS8_11use_defaultESE_EEEENSA_INSB_IiSD_SE_SE_EEEEZNS1_13binary_searchIS3_S5_NSA_INS8_10device_ptrItEEEESG_SI_NS1_16binary_search_opENS9_16wrapped_functionINS8_6system6detail7generic6detail18binary_search_lessEbEEEE10hipError_tPvRmT1_T2_T3_mmT4_T5_P12ihipStream_tbEUlRKtE_EESV_SZ_S10_mS11_S14_bEUlT_E_NS1_11comp_targetILNS1_3genE3ELNS1_11target_archE908ELNS1_3gpuE7ELNS1_3repE0EEENS1_30default_config_static_selectorELNS0_4arch9wavefront6targetE1EEEvSY_.has_dyn_sized_stack, 0
	.set _ZN7rocprim17ROCPRIM_400000_NS6detail17trampoline_kernelINS0_14default_configENS1_29binary_search_config_selectorItiEEZNS1_14transform_implILb0ES3_S5_N6thrust23THRUST_200600_302600_NS6detail15normal_iteratorINS8_7pointerItNS8_11hip_rocprim5par_tENS8_11use_defaultESE_EEEENSA_INSB_IiSD_SE_SE_EEEEZNS1_13binary_searchIS3_S5_NSA_INS8_10device_ptrItEEEESG_SI_NS1_16binary_search_opENS9_16wrapped_functionINS8_6system6detail7generic6detail18binary_search_lessEbEEEE10hipError_tPvRmT1_T2_T3_mmT4_T5_P12ihipStream_tbEUlRKtE_EESV_SZ_S10_mS11_S14_bEUlT_E_NS1_11comp_targetILNS1_3genE3ELNS1_11target_archE908ELNS1_3gpuE7ELNS1_3repE0EEENS1_30default_config_static_selectorELNS0_4arch9wavefront6targetE1EEEvSY_.has_recursion, 0
	.set _ZN7rocprim17ROCPRIM_400000_NS6detail17trampoline_kernelINS0_14default_configENS1_29binary_search_config_selectorItiEEZNS1_14transform_implILb0ES3_S5_N6thrust23THRUST_200600_302600_NS6detail15normal_iteratorINS8_7pointerItNS8_11hip_rocprim5par_tENS8_11use_defaultESE_EEEENSA_INSB_IiSD_SE_SE_EEEEZNS1_13binary_searchIS3_S5_NSA_INS8_10device_ptrItEEEESG_SI_NS1_16binary_search_opENS9_16wrapped_functionINS8_6system6detail7generic6detail18binary_search_lessEbEEEE10hipError_tPvRmT1_T2_T3_mmT4_T5_P12ihipStream_tbEUlRKtE_EESV_SZ_S10_mS11_S14_bEUlT_E_NS1_11comp_targetILNS1_3genE3ELNS1_11target_archE908ELNS1_3gpuE7ELNS1_3repE0EEENS1_30default_config_static_selectorELNS0_4arch9wavefront6targetE1EEEvSY_.has_indirect_call, 0
	.section	.AMDGPU.csdata,"",@progbits
; Kernel info:
; codeLenInByte = 0
; TotalNumSgprs: 4
; NumVgprs: 0
; ScratchSize: 0
; MemoryBound: 0
; FloatMode: 240
; IeeeMode: 1
; LDSByteSize: 0 bytes/workgroup (compile time only)
; SGPRBlocks: 0
; VGPRBlocks: 0
; NumSGPRsForWavesPerEU: 4
; NumVGPRsForWavesPerEU: 1
; Occupancy: 10
; WaveLimiterHint : 0
; COMPUTE_PGM_RSRC2:SCRATCH_EN: 0
; COMPUTE_PGM_RSRC2:USER_SGPR: 6
; COMPUTE_PGM_RSRC2:TRAP_HANDLER: 0
; COMPUTE_PGM_RSRC2:TGID_X_EN: 1
; COMPUTE_PGM_RSRC2:TGID_Y_EN: 0
; COMPUTE_PGM_RSRC2:TGID_Z_EN: 0
; COMPUTE_PGM_RSRC2:TIDIG_COMP_CNT: 0
	.section	.text._ZN7rocprim17ROCPRIM_400000_NS6detail17trampoline_kernelINS0_14default_configENS1_29binary_search_config_selectorItiEEZNS1_14transform_implILb0ES3_S5_N6thrust23THRUST_200600_302600_NS6detail15normal_iteratorINS8_7pointerItNS8_11hip_rocprim5par_tENS8_11use_defaultESE_EEEENSA_INSB_IiSD_SE_SE_EEEEZNS1_13binary_searchIS3_S5_NSA_INS8_10device_ptrItEEEESG_SI_NS1_16binary_search_opENS9_16wrapped_functionINS8_6system6detail7generic6detail18binary_search_lessEbEEEE10hipError_tPvRmT1_T2_T3_mmT4_T5_P12ihipStream_tbEUlRKtE_EESV_SZ_S10_mS11_S14_bEUlT_E_NS1_11comp_targetILNS1_3genE2ELNS1_11target_archE906ELNS1_3gpuE6ELNS1_3repE0EEENS1_30default_config_static_selectorELNS0_4arch9wavefront6targetE1EEEvSY_,"axG",@progbits,_ZN7rocprim17ROCPRIM_400000_NS6detail17trampoline_kernelINS0_14default_configENS1_29binary_search_config_selectorItiEEZNS1_14transform_implILb0ES3_S5_N6thrust23THRUST_200600_302600_NS6detail15normal_iteratorINS8_7pointerItNS8_11hip_rocprim5par_tENS8_11use_defaultESE_EEEENSA_INSB_IiSD_SE_SE_EEEEZNS1_13binary_searchIS3_S5_NSA_INS8_10device_ptrItEEEESG_SI_NS1_16binary_search_opENS9_16wrapped_functionINS8_6system6detail7generic6detail18binary_search_lessEbEEEE10hipError_tPvRmT1_T2_T3_mmT4_T5_P12ihipStream_tbEUlRKtE_EESV_SZ_S10_mS11_S14_bEUlT_E_NS1_11comp_targetILNS1_3genE2ELNS1_11target_archE906ELNS1_3gpuE6ELNS1_3repE0EEENS1_30default_config_static_selectorELNS0_4arch9wavefront6targetE1EEEvSY_,comdat
	.protected	_ZN7rocprim17ROCPRIM_400000_NS6detail17trampoline_kernelINS0_14default_configENS1_29binary_search_config_selectorItiEEZNS1_14transform_implILb0ES3_S5_N6thrust23THRUST_200600_302600_NS6detail15normal_iteratorINS8_7pointerItNS8_11hip_rocprim5par_tENS8_11use_defaultESE_EEEENSA_INSB_IiSD_SE_SE_EEEEZNS1_13binary_searchIS3_S5_NSA_INS8_10device_ptrItEEEESG_SI_NS1_16binary_search_opENS9_16wrapped_functionINS8_6system6detail7generic6detail18binary_search_lessEbEEEE10hipError_tPvRmT1_T2_T3_mmT4_T5_P12ihipStream_tbEUlRKtE_EESV_SZ_S10_mS11_S14_bEUlT_E_NS1_11comp_targetILNS1_3genE2ELNS1_11target_archE906ELNS1_3gpuE6ELNS1_3repE0EEENS1_30default_config_static_selectorELNS0_4arch9wavefront6targetE1EEEvSY_ ; -- Begin function _ZN7rocprim17ROCPRIM_400000_NS6detail17trampoline_kernelINS0_14default_configENS1_29binary_search_config_selectorItiEEZNS1_14transform_implILb0ES3_S5_N6thrust23THRUST_200600_302600_NS6detail15normal_iteratorINS8_7pointerItNS8_11hip_rocprim5par_tENS8_11use_defaultESE_EEEENSA_INSB_IiSD_SE_SE_EEEEZNS1_13binary_searchIS3_S5_NSA_INS8_10device_ptrItEEEESG_SI_NS1_16binary_search_opENS9_16wrapped_functionINS8_6system6detail7generic6detail18binary_search_lessEbEEEE10hipError_tPvRmT1_T2_T3_mmT4_T5_P12ihipStream_tbEUlRKtE_EESV_SZ_S10_mS11_S14_bEUlT_E_NS1_11comp_targetILNS1_3genE2ELNS1_11target_archE906ELNS1_3gpuE6ELNS1_3repE0EEENS1_30default_config_static_selectorELNS0_4arch9wavefront6targetE1EEEvSY_
	.globl	_ZN7rocprim17ROCPRIM_400000_NS6detail17trampoline_kernelINS0_14default_configENS1_29binary_search_config_selectorItiEEZNS1_14transform_implILb0ES3_S5_N6thrust23THRUST_200600_302600_NS6detail15normal_iteratorINS8_7pointerItNS8_11hip_rocprim5par_tENS8_11use_defaultESE_EEEENSA_INSB_IiSD_SE_SE_EEEEZNS1_13binary_searchIS3_S5_NSA_INS8_10device_ptrItEEEESG_SI_NS1_16binary_search_opENS9_16wrapped_functionINS8_6system6detail7generic6detail18binary_search_lessEbEEEE10hipError_tPvRmT1_T2_T3_mmT4_T5_P12ihipStream_tbEUlRKtE_EESV_SZ_S10_mS11_S14_bEUlT_E_NS1_11comp_targetILNS1_3genE2ELNS1_11target_archE906ELNS1_3gpuE6ELNS1_3repE0EEENS1_30default_config_static_selectorELNS0_4arch9wavefront6targetE1EEEvSY_
	.p2align	8
	.type	_ZN7rocprim17ROCPRIM_400000_NS6detail17trampoline_kernelINS0_14default_configENS1_29binary_search_config_selectorItiEEZNS1_14transform_implILb0ES3_S5_N6thrust23THRUST_200600_302600_NS6detail15normal_iteratorINS8_7pointerItNS8_11hip_rocprim5par_tENS8_11use_defaultESE_EEEENSA_INSB_IiSD_SE_SE_EEEEZNS1_13binary_searchIS3_S5_NSA_INS8_10device_ptrItEEEESG_SI_NS1_16binary_search_opENS9_16wrapped_functionINS8_6system6detail7generic6detail18binary_search_lessEbEEEE10hipError_tPvRmT1_T2_T3_mmT4_T5_P12ihipStream_tbEUlRKtE_EESV_SZ_S10_mS11_S14_bEUlT_E_NS1_11comp_targetILNS1_3genE2ELNS1_11target_archE906ELNS1_3gpuE6ELNS1_3repE0EEENS1_30default_config_static_selectorELNS0_4arch9wavefront6targetE1EEEvSY_,@function
_ZN7rocprim17ROCPRIM_400000_NS6detail17trampoline_kernelINS0_14default_configENS1_29binary_search_config_selectorItiEEZNS1_14transform_implILb0ES3_S5_N6thrust23THRUST_200600_302600_NS6detail15normal_iteratorINS8_7pointerItNS8_11hip_rocprim5par_tENS8_11use_defaultESE_EEEENSA_INSB_IiSD_SE_SE_EEEEZNS1_13binary_searchIS3_S5_NSA_INS8_10device_ptrItEEEESG_SI_NS1_16binary_search_opENS9_16wrapped_functionINS8_6system6detail7generic6detail18binary_search_lessEbEEEE10hipError_tPvRmT1_T2_T3_mmT4_T5_P12ihipStream_tbEUlRKtE_EESV_SZ_S10_mS11_S14_bEUlT_E_NS1_11comp_targetILNS1_3genE2ELNS1_11target_archE906ELNS1_3gpuE6ELNS1_3repE0EEENS1_30default_config_static_selectorELNS0_4arch9wavefront6targetE1EEEvSY_: ; @_ZN7rocprim17ROCPRIM_400000_NS6detail17trampoline_kernelINS0_14default_configENS1_29binary_search_config_selectorItiEEZNS1_14transform_implILb0ES3_S5_N6thrust23THRUST_200600_302600_NS6detail15normal_iteratorINS8_7pointerItNS8_11hip_rocprim5par_tENS8_11use_defaultESE_EEEENSA_INSB_IiSD_SE_SE_EEEEZNS1_13binary_searchIS3_S5_NSA_INS8_10device_ptrItEEEESG_SI_NS1_16binary_search_opENS9_16wrapped_functionINS8_6system6detail7generic6detail18binary_search_lessEbEEEE10hipError_tPvRmT1_T2_T3_mmT4_T5_P12ihipStream_tbEUlRKtE_EESV_SZ_S10_mS11_S14_bEUlT_E_NS1_11comp_targetILNS1_3genE2ELNS1_11target_archE906ELNS1_3gpuE6ELNS1_3repE0EEENS1_30default_config_static_selectorELNS0_4arch9wavefront6targetE1EEEvSY_
; %bb.0:
	s_load_dwordx8 s[8:15], s[4:5], 0x0
	s_load_dwordx4 s[16:19], s[4:5], 0x20
	s_load_dword s2, s[4:5], 0x38
	s_waitcnt lgkmcnt(0)
	s_lshl_b64 s[0:1], s[10:11], 1
	s_add_u32 s3, s8, s0
	s_addc_u32 s4, s9, s1
	s_lshl_b64 s[0:1], s[10:11], 2
	s_add_u32 s22, s14, s0
	s_addc_u32 s23, s15, s1
	s_lshl_b32 s8, s6, 10
	s_mov_b32 s9, 0
	s_add_i32 s2, s2, -1
	s_lshl_b64 s[0:1], s[8:9], 1
	s_add_u32 s14, s3, s0
	s_addc_u32 s15, s4, s1
	s_cmp_lg_u32 s6, s2
	s_cbranch_scc0 .LBB684_23
; %bb.1:
	v_lshlrev_b32_e32 v1, 1, v0
	v_mov_b32_e32 v2, s15
	v_add_co_u32_e32 v1, vcc, s14, v1
	v_addc_co_u32_e32 v2, vcc, 0, v2, vcc
	flat_load_ushort v8, v[1:2]
	flat_load_ushort v9, v[1:2] offset:512
	flat_load_ushort v7, v[1:2] offset:1024
	;; [unrolled: 1-line block ×3, first 2 shown]
	s_cmp_lg_u64 s[18:19], 0
	v_mov_b32_e32 v1, 0
	s_cselect_b64 s[2:3], -1, 0
	s_cmp_eq_u64 s[18:19], 0
	s_mov_b64 s[0:1], 0
	v_mov_b32_e32 v2, 0
	s_cbranch_scc1 .LBB684_5
; %bb.2:
	v_mov_b32_e32 v3, s18
	v_mov_b32_e32 v4, s19
	;; [unrolled: 1-line block ×3, first 2 shown]
.LBB684_3:                              ; =>This Inner Loop Header: Depth=1
	v_sub_co_u32_e32 v10, vcc, v3, v1
	v_subb_co_u32_e32 v11, vcc, v4, v2, vcc
	v_lshrrev_b64 v[12:13], 1, v[10:11]
	v_lshrrev_b64 v[10:11], 6, v[10:11]
	v_add_co_u32_e32 v12, vcc, v12, v1
	v_addc_co_u32_e32 v13, vcc, v13, v2, vcc
	v_add_co_u32_e32 v10, vcc, v12, v10
	v_addc_co_u32_e32 v11, vcc, v13, v11, vcc
	v_lshlrev_b64 v[12:13], 1, v[10:11]
	v_add_co_u32_e32 v12, vcc, s16, v12
	v_addc_co_u32_e32 v13, vcc, v6, v13, vcc
	global_load_ushort v12, v[12:13], off
	v_add_co_u32_e32 v13, vcc, 1, v10
	v_addc_co_u32_e32 v14, vcc, 0, v11, vcc
	s_waitcnt vmcnt(0) lgkmcnt(0)
	v_cmp_lt_u16_e32 vcc, v12, v8
	v_cndmask_b32_e32 v4, v11, v4, vcc
	v_cndmask_b32_e32 v3, v10, v3, vcc
	;; [unrolled: 1-line block ×4, first 2 shown]
	v_cmp_ge_u64_e32 vcc, v[1:2], v[3:4]
	s_or_b64 s[0:1], vcc, s[0:1]
	s_andn2_b64 exec, exec, s[0:1]
	s_cbranch_execnz .LBB684_3
; %bb.4:
	s_or_b64 exec, exec, s[0:1]
.LBB684_5:
	v_cmp_ne_u64_e32 vcc, s[18:19], v[1:2]
	v_mov_b32_e32 v6, 0
	s_and_saveexec_b64 s[0:1], vcc
	s_cbranch_execz .LBB684_7
; %bb.6:
	v_lshlrev_b64 v[1:2], 1, v[1:2]
	v_mov_b32_e32 v3, s17
	v_add_co_u32_e32 v1, vcc, s16, v1
	v_addc_co_u32_e32 v2, vcc, v3, v2, vcc
	global_load_ushort v1, v[1:2], off
	s_waitcnt vmcnt(0) lgkmcnt(0)
	v_cmp_ge_u16_e32 vcc, v8, v1
	v_cndmask_b32_e64 v6, 0, 1, vcc
.LBB684_7:
	s_or_b64 exec, exec, s[0:1]
	v_cndmask_b32_e64 v1, 0, 1, s[2:3]
	v_cmp_ne_u32_e64 s[0:1], 1, v1
	s_andn2_b64 vcc, exec, s[2:3]
	s_cbranch_vccnz .LBB684_40
; %bb.8:
	v_mov_b32_e32 v1, 0
	v_mov_b32_e32 v3, s18
	s_mov_b64 s[2:3], 0
	v_mov_b32_e32 v2, 0
	v_mov_b32_e32 v4, s19
	s_waitcnt vmcnt(0) lgkmcnt(0)
	v_mov_b32_e32 v8, s17
.LBB684_9:                              ; =>This Inner Loop Header: Depth=1
	v_sub_co_u32_e32 v10, vcc, v3, v1
	v_subb_co_u32_e32 v11, vcc, v4, v2, vcc
	v_lshrrev_b64 v[12:13], 1, v[10:11]
	v_lshrrev_b64 v[10:11], 6, v[10:11]
	v_add_co_u32_e32 v12, vcc, v12, v1
	v_addc_co_u32_e32 v13, vcc, v13, v2, vcc
	v_add_co_u32_e32 v10, vcc, v12, v10
	v_addc_co_u32_e32 v11, vcc, v13, v11, vcc
	v_lshlrev_b64 v[12:13], 1, v[10:11]
	v_add_co_u32_e32 v12, vcc, s16, v12
	v_addc_co_u32_e32 v13, vcc, v8, v13, vcc
	global_load_ushort v12, v[12:13], off
	v_add_co_u32_e32 v13, vcc, 1, v10
	v_addc_co_u32_e32 v14, vcc, 0, v11, vcc
	s_waitcnt vmcnt(0)
	v_cmp_lt_u16_e32 vcc, v12, v9
	v_cndmask_b32_e32 v4, v11, v4, vcc
	v_cndmask_b32_e32 v3, v10, v3, vcc
	;; [unrolled: 1-line block ×4, first 2 shown]
	v_cmp_ge_u64_e32 vcc, v[1:2], v[3:4]
	s_or_b64 s[2:3], vcc, s[2:3]
	s_andn2_b64 exec, exec, s[2:3]
	s_cbranch_execnz .LBB684_9
; %bb.10:
	s_or_b64 exec, exec, s[2:3]
	v_cmp_ne_u64_e32 vcc, s[18:19], v[1:2]
	v_mov_b32_e32 v8, 0
	s_and_saveexec_b64 s[2:3], vcc
	s_cbranch_execz .LBB684_12
.LBB684_11:
	v_lshlrev_b64 v[1:2], 1, v[1:2]
	v_mov_b32_e32 v3, s17
	v_add_co_u32_e32 v1, vcc, s16, v1
	v_addc_co_u32_e32 v2, vcc, v3, v2, vcc
	global_load_ushort v1, v[1:2], off
	s_waitcnt vmcnt(0)
	v_cmp_ge_u16_e32 vcc, v9, v1
	v_cndmask_b32_e64 v8, 0, 1, vcc
.LBB684_12:
	s_or_b64 exec, exec, s[2:3]
	s_and_b64 vcc, exec, s[0:1]
	s_cbranch_vccnz .LBB684_41
; %bb.13:
	v_mov_b32_e32 v1, 0
	v_mov_b32_e32 v3, s18
	s_mov_b64 s[2:3], 0
	v_mov_b32_e32 v2, 0
	v_mov_b32_e32 v4, s19
	;; [unrolled: 1-line block ×3, first 2 shown]
.LBB684_14:                             ; =>This Inner Loop Header: Depth=1
	v_sub_co_u32_e32 v10, vcc, v3, v1
	v_subb_co_u32_e32 v11, vcc, v4, v2, vcc
	v_lshrrev_b64 v[12:13], 1, v[10:11]
	v_lshrrev_b64 v[10:11], 6, v[10:11]
	v_add_co_u32_e32 v12, vcc, v12, v1
	v_addc_co_u32_e32 v13, vcc, v13, v2, vcc
	v_add_co_u32_e32 v10, vcc, v12, v10
	v_addc_co_u32_e32 v11, vcc, v13, v11, vcc
	v_lshlrev_b64 v[12:13], 1, v[10:11]
	v_add_co_u32_e32 v12, vcc, s16, v12
	v_addc_co_u32_e32 v13, vcc, v9, v13, vcc
	global_load_ushort v12, v[12:13], off
	v_add_co_u32_e32 v13, vcc, 1, v10
	v_addc_co_u32_e32 v14, vcc, 0, v11, vcc
	s_waitcnt vmcnt(0)
	v_cmp_lt_u16_e32 vcc, v12, v7
	v_cndmask_b32_e32 v4, v11, v4, vcc
	v_cndmask_b32_e32 v3, v10, v3, vcc
	;; [unrolled: 1-line block ×4, first 2 shown]
	v_cmp_ge_u64_e32 vcc, v[1:2], v[3:4]
	s_or_b64 s[2:3], vcc, s[2:3]
	s_andn2_b64 exec, exec, s[2:3]
	s_cbranch_execnz .LBB684_14
; %bb.15:
	s_or_b64 exec, exec, s[2:3]
	v_cmp_ne_u64_e32 vcc, s[18:19], v[1:2]
	v_mov_b32_e32 v9, 0
	s_and_saveexec_b64 s[2:3], vcc
	s_cbranch_execz .LBB684_17
.LBB684_16:
	v_lshlrev_b64 v[1:2], 1, v[1:2]
	v_mov_b32_e32 v3, s17
	v_add_co_u32_e32 v1, vcc, s16, v1
	v_addc_co_u32_e32 v2, vcc, v3, v2, vcc
	global_load_ushort v1, v[1:2], off
	s_waitcnt vmcnt(0)
	v_cmp_ge_u16_e32 vcc, v7, v1
	v_cndmask_b32_e64 v9, 0, 1, vcc
.LBB684_17:
	s_or_b64 exec, exec, s[2:3]
	s_and_b64 vcc, exec, s[0:1]
	s_cbranch_vccnz .LBB684_42
; %bb.18:
	v_mov_b32_e32 v1, 0
	v_mov_b32_e32 v3, s18
	s_mov_b64 s[0:1], 0
	v_mov_b32_e32 v2, 0
	v_mov_b32_e32 v4, s19
	v_mov_b32_e32 v7, s17
.LBB684_19:                             ; =>This Inner Loop Header: Depth=1
	v_sub_co_u32_e32 v10, vcc, v3, v1
	v_subb_co_u32_e32 v11, vcc, v4, v2, vcc
	v_lshrrev_b64 v[12:13], 1, v[10:11]
	v_lshrrev_b64 v[10:11], 6, v[10:11]
	v_add_co_u32_e32 v12, vcc, v12, v1
	v_addc_co_u32_e32 v13, vcc, v13, v2, vcc
	v_add_co_u32_e32 v10, vcc, v12, v10
	v_addc_co_u32_e32 v11, vcc, v13, v11, vcc
	v_lshlrev_b64 v[12:13], 1, v[10:11]
	v_add_co_u32_e32 v12, vcc, s16, v12
	v_addc_co_u32_e32 v13, vcc, v7, v13, vcc
	global_load_ushort v12, v[12:13], off
	v_add_co_u32_e32 v13, vcc, 1, v10
	v_addc_co_u32_e32 v14, vcc, 0, v11, vcc
	s_waitcnt vmcnt(0)
	v_cmp_lt_u16_e32 vcc, v12, v5
	v_cndmask_b32_e32 v4, v11, v4, vcc
	v_cndmask_b32_e32 v3, v10, v3, vcc
	;; [unrolled: 1-line block ×4, first 2 shown]
	v_cmp_ge_u64_e32 vcc, v[1:2], v[3:4]
	s_or_b64 s[0:1], vcc, s[0:1]
	s_andn2_b64 exec, exec, s[0:1]
	s_cbranch_execnz .LBB684_19
; %bb.20:
	s_or_b64 exec, exec, s[0:1]
	v_cmp_ne_u64_e32 vcc, s[18:19], v[1:2]
	v_mov_b32_e32 v7, 0
	s_and_saveexec_b64 s[0:1], vcc
	s_cbranch_execz .LBB684_22
.LBB684_21:
	v_lshlrev_b64 v[1:2], 1, v[1:2]
	v_mov_b32_e32 v3, s17
	v_add_co_u32_e32 v1, vcc, s16, v1
	v_addc_co_u32_e32 v2, vcc, v3, v2, vcc
	global_load_ushort v1, v[1:2], off
	s_waitcnt vmcnt(0)
	v_cmp_ge_u16_e32 vcc, v5, v1
	v_cndmask_b32_e64 v7, 0, 1, vcc
.LBB684_22:
	s_or_b64 exec, exec, s[0:1]
	s_lshl_b64 s[0:1], s[8:9], 2
	s_add_u32 s0, s22, s0
	s_addc_u32 s1, s23, s1
	v_lshlrev_b32_e32 v1, 2, v0
	v_mov_b32_e32 v2, s1
	v_add_co_u32_e32 v1, vcc, s0, v1
	v_addc_co_u32_e32 v2, vcc, 0, v2, vcc
	flat_store_dword v[1:2], v6
	flat_store_dword v[1:2], v8 offset:1024
	flat_store_dword v[1:2], v9 offset:2048
	s_mov_b64 s[10:11], -1
	s_branch .LBB684_72
.LBB684_23:
	s_mov_b64 s[10:11], 0
                                        ; implicit-def: $vgpr7
                                        ; implicit-def: $vgpr1_vgpr2
	s_cbranch_execz .LBB684_72
; %bb.24:
	s_sub_i32 s12, s12, s8
	v_mov_b32_e32 v1, 0
	v_cmp_gt_u32_e64 s[0:1], s12, v0
	v_mov_b32_e32 v2, v1
	s_and_saveexec_b64 s[2:3], s[0:1]
	s_cbranch_execz .LBB684_26
; %bb.25:
	v_lshlrev_b32_e32 v2, 1, v0
	v_mov_b32_e32 v3, s15
	v_add_co_u32_e32 v2, vcc, s14, v2
	v_addc_co_u32_e32 v3, vcc, 0, v3, vcc
	flat_load_ushort v2, v[2:3]
	v_mov_b32_e32 v3, v1
	s_waitcnt vmcnt(0) lgkmcnt(0)
	v_and_b32_e32 v2, 0xffff, v2
	v_mov_b32_e32 v1, v2
	v_mov_b32_e32 v2, v3
.LBB684_26:
	s_or_b64 exec, exec, s[2:3]
	v_or_b32_e32 v3, 0x100, v0
	v_cmp_gt_u32_e64 s[2:3], s12, v3
	s_and_saveexec_b64 s[4:5], s[2:3]
	s_cbranch_execz .LBB684_28
; %bb.27:
	v_lshlrev_b32_e32 v3, 1, v0
	v_mov_b32_e32 v4, s15
	v_add_co_u32_e32 v3, vcc, s14, v3
	v_addc_co_u32_e32 v4, vcc, 0, v4, vcc
	flat_load_ushort v3, v[3:4] offset:512
	s_mov_b32 s6, 0x5040100
	s_waitcnt vmcnt(0) lgkmcnt(0)
	v_perm_b32 v1, v3, v1, s6
.LBB684_28:
	s_or_b64 exec, exec, s[4:5]
	v_or_b32_e32 v3, 0x200, v0
	v_cmp_gt_u32_e64 s[4:5], s12, v3
	s_and_saveexec_b64 s[6:7], s[4:5]
	s_cbranch_execz .LBB684_30
; %bb.29:
	v_lshlrev_b32_e32 v3, 1, v0
	v_mov_b32_e32 v4, s15
	v_add_co_u32_e32 v3, vcc, s14, v3
	v_addc_co_u32_e32 v4, vcc, 0, v4, vcc
	flat_load_ushort v3, v[3:4] offset:1024
	s_mov_b32 s13, 0xffff
	s_waitcnt vmcnt(0) lgkmcnt(0)
	v_bfi_b32 v2, s13, v3, v2
.LBB684_30:
	s_or_b64 exec, exec, s[6:7]
	v_or_b32_e32 v3, 0x300, v0
	v_cmp_gt_u32_e64 s[6:7], s12, v3
	s_and_saveexec_b64 s[12:13], s[6:7]
	s_cbranch_execz .LBB684_32
; %bb.31:
	v_lshlrev_b32_e32 v3, 1, v0
	v_mov_b32_e32 v4, s15
	v_add_co_u32_e32 v3, vcc, s14, v3
	v_addc_co_u32_e32 v4, vcc, 0, v4, vcc
	flat_load_ushort v3, v[3:4] offset:1536
	s_mov_b32 s14, 0x5040100
	s_waitcnt vmcnt(0) lgkmcnt(0)
	v_perm_b32 v2, v3, v2, s14
.LBB684_32:
	s_or_b64 exec, exec, s[12:13]
	s_cmp_lg_u64 s[18:19], 0
	v_mov_b32_e32 v8, 0
	s_cselect_b64 s[12:13], -1, 0
	v_mov_b32_e32 v9, v8
	v_mov_b32_e32 v10, v8
	v_mov_b32_e32 v7, v8
	s_and_saveexec_b64 s[14:15], s[0:1]
	s_cbranch_execnz .LBB684_36
; %bb.33:
	s_or_b64 exec, exec, s[14:15]
	s_and_saveexec_b64 s[14:15], s[2:3]
	s_cbranch_execnz .LBB684_47
.LBB684_34:
	s_or_b64 exec, exec, s[14:15]
	s_and_saveexec_b64 s[14:15], s[4:5]
	s_cbranch_execnz .LBB684_53
.LBB684_35:
	s_or_b64 exec, exec, s[14:15]
	s_and_saveexec_b64 s[14:15], s[6:7]
	s_cbranch_execnz .LBB684_59
	s_branch .LBB684_65
.LBB684_36:
	s_andn2_b64 vcc, exec, s[12:13]
	s_cbranch_vccnz .LBB684_43
; %bb.37:
	v_mov_b32_e32 v3, 0
	v_mov_b32_e32 v5, s18
	s_mov_b64 s[20:21], 0
	v_mov_b32_e32 v4, 0
	v_mov_b32_e32 v6, s19
	;; [unrolled: 1-line block ×3, first 2 shown]
.LBB684_38:                             ; =>This Inner Loop Header: Depth=1
	v_sub_co_u32_e32 v8, vcc, v5, v3
	v_subb_co_u32_e32 v9, vcc, v6, v4, vcc
	v_lshrrev_b64 v[10:11], 1, v[8:9]
	v_lshrrev_b64 v[8:9], 6, v[8:9]
	v_add_co_u32_e32 v10, vcc, v10, v3
	v_addc_co_u32_e32 v11, vcc, v11, v4, vcc
	v_add_co_u32_e32 v8, vcc, v10, v8
	v_addc_co_u32_e32 v9, vcc, v11, v9, vcc
	v_lshlrev_b64 v[10:11], 1, v[8:9]
	v_add_co_u32_e32 v10, vcc, s16, v10
	v_addc_co_u32_e32 v11, vcc, v7, v11, vcc
	global_load_ushort v10, v[10:11], off
	v_add_co_u32_e32 v11, vcc, 1, v8
	v_addc_co_u32_e32 v12, vcc, 0, v9, vcc
	s_waitcnt vmcnt(0)
	v_cmp_lt_u16_e32 vcc, v10, v1
	v_cndmask_b32_e32 v6, v9, v6, vcc
	v_cndmask_b32_e32 v5, v8, v5, vcc
	;; [unrolled: 1-line block ×4, first 2 shown]
	v_cmp_ge_u64_e32 vcc, v[3:4], v[5:6]
	s_or_b64 s[20:21], vcc, s[20:21]
	s_andn2_b64 exec, exec, s[20:21]
	s_cbranch_execnz .LBB684_38
; %bb.39:
	s_or_b64 exec, exec, s[20:21]
	s_branch .LBB684_44
.LBB684_40:
	v_mov_b32_e32 v1, 0
	v_mov_b32_e32 v2, 0
	v_cmp_ne_u64_e32 vcc, s[18:19], v[1:2]
	s_waitcnt vmcnt(0) lgkmcnt(0)
	v_mov_b32_e32 v8, 0
	s_and_saveexec_b64 s[2:3], vcc
	s_cbranch_execnz .LBB684_11
	s_branch .LBB684_12
.LBB684_41:
	v_mov_b32_e32 v1, 0
	v_mov_b32_e32 v2, 0
	v_cmp_ne_u64_e32 vcc, s[18:19], v[1:2]
	v_mov_b32_e32 v9, 0
	s_and_saveexec_b64 s[2:3], vcc
	s_cbranch_execnz .LBB684_16
	s_branch .LBB684_17
.LBB684_42:
	v_mov_b32_e32 v1, 0
	v_mov_b32_e32 v2, 0
	v_cmp_ne_u64_e32 vcc, s[18:19], v[1:2]
	v_mov_b32_e32 v7, 0
	s_and_saveexec_b64 s[0:1], vcc
	s_cbranch_execnz .LBB684_21
	s_branch .LBB684_22
.LBB684_43:
	v_mov_b32_e32 v3, 0
	v_mov_b32_e32 v4, 0
.LBB684_44:
	v_cmp_ne_u64_e32 vcc, s[18:19], v[3:4]
	v_mov_b32_e32 v9, 0
	v_mov_b32_e32 v8, 0
	s_and_saveexec_b64 s[20:21], vcc
	s_cbranch_execz .LBB684_46
; %bb.45:
	v_lshlrev_b64 v[3:4], 1, v[3:4]
	v_mov_b32_e32 v5, s17
	v_add_co_u32_e32 v3, vcc, s16, v3
	v_addc_co_u32_e32 v4, vcc, v5, v4, vcc
	global_load_ushort v3, v[3:4], off
	s_waitcnt vmcnt(0)
	v_cmp_ge_u16_e32 vcc, v1, v3
	v_cndmask_b32_e64 v8, 0, 1, vcc
.LBB684_46:
	s_or_b64 exec, exec, s[20:21]
	v_mov_b32_e32 v10, v9
	v_mov_b32_e32 v7, v9
	s_or_b64 exec, exec, s[14:15]
	s_and_saveexec_b64 s[14:15], s[2:3]
	s_cbranch_execz .LBB684_34
.LBB684_47:
	s_andn2_b64 vcc, exec, s[12:13]
	s_cbranch_vccnz .LBB684_77
; %bb.48:
	v_mov_b32_e32 v3, 0
	v_mov_b32_e32 v5, s18
	s_mov_b64 s[20:21], 0
	v_mov_b32_e32 v4, 0
	v_mov_b32_e32 v6, s19
	;; [unrolled: 1-line block ×3, first 2 shown]
.LBB684_49:                             ; =>This Inner Loop Header: Depth=1
	v_sub_co_u32_e32 v11, vcc, v5, v3
	v_subb_co_u32_e32 v12, vcc, v6, v4, vcc
	v_lshrrev_b64 v[13:14], 1, v[11:12]
	v_lshrrev_b64 v[11:12], 6, v[11:12]
	v_add_co_u32_e32 v13, vcc, v13, v3
	v_addc_co_u32_e32 v14, vcc, v14, v4, vcc
	v_add_co_u32_e32 v11, vcc, v13, v11
	v_addc_co_u32_e32 v12, vcc, v14, v12, vcc
	v_lshlrev_b64 v[13:14], 1, v[11:12]
	v_add_co_u32_e32 v13, vcc, s16, v13
	v_addc_co_u32_e32 v14, vcc, v9, v14, vcc
	global_load_ushort v13, v[13:14], off
	v_add_co_u32_e32 v14, vcc, 1, v11
	v_addc_co_u32_e32 v15, vcc, 0, v12, vcc
	s_waitcnt vmcnt(0)
	v_cmp_lt_u16_sdwa vcc, v13, v1 src0_sel:DWORD src1_sel:WORD_1
	v_cndmask_b32_e32 v6, v12, v6, vcc
	v_cndmask_b32_e32 v5, v11, v5, vcc
	;; [unrolled: 1-line block ×4, first 2 shown]
	v_cmp_ge_u64_e32 vcc, v[3:4], v[5:6]
	s_or_b64 s[20:21], vcc, s[20:21]
	s_andn2_b64 exec, exec, s[20:21]
	s_cbranch_execnz .LBB684_49
; %bb.50:
	s_or_b64 exec, exec, s[20:21]
	v_cmp_ne_u64_e32 vcc, s[18:19], v[3:4]
	v_mov_b32_e32 v9, 0
	s_and_saveexec_b64 s[20:21], vcc
	s_cbranch_execz .LBB684_52
.LBB684_51:
	v_lshlrev_b64 v[3:4], 1, v[3:4]
	v_mov_b32_e32 v5, s17
	v_add_co_u32_e32 v3, vcc, s16, v3
	v_addc_co_u32_e32 v4, vcc, v5, v4, vcc
	global_load_ushort v3, v[3:4], off
	s_waitcnt vmcnt(0)
	v_cmp_ge_u16_sdwa s[24:25], v1, v3 src0_sel:WORD_1 src1_sel:DWORD
	v_cndmask_b32_e64 v9, 0, 1, s[24:25]
.LBB684_52:
	s_or_b64 exec, exec, s[20:21]
	s_or_b64 exec, exec, s[14:15]
	s_and_saveexec_b64 s[14:15], s[4:5]
	s_cbranch_execz .LBB684_35
.LBB684_53:
	s_andn2_b64 vcc, exec, s[12:13]
	s_cbranch_vccnz .LBB684_78
; %bb.54:
	v_mov_b32_e32 v3, 0
	v_mov_b32_e32 v5, s18
	s_mov_b64 s[20:21], 0
	v_mov_b32_e32 v4, 0
	v_mov_b32_e32 v6, s19
	;; [unrolled: 1-line block ×3, first 2 shown]
.LBB684_55:                             ; =>This Inner Loop Header: Depth=1
	v_sub_co_u32_e32 v10, vcc, v5, v3
	v_subb_co_u32_e32 v11, vcc, v6, v4, vcc
	v_lshrrev_b64 v[12:13], 1, v[10:11]
	v_lshrrev_b64 v[10:11], 6, v[10:11]
	v_add_co_u32_e32 v12, vcc, v12, v3
	v_addc_co_u32_e32 v13, vcc, v13, v4, vcc
	v_add_co_u32_e32 v10, vcc, v12, v10
	v_addc_co_u32_e32 v11, vcc, v13, v11, vcc
	v_lshlrev_b64 v[12:13], 1, v[10:11]
	v_add_co_u32_e32 v12, vcc, s16, v12
	v_addc_co_u32_e32 v13, vcc, v1, v13, vcc
	global_load_ushort v12, v[12:13], off
	v_add_co_u32_e32 v13, vcc, 1, v10
	v_addc_co_u32_e32 v14, vcc, 0, v11, vcc
	s_waitcnt vmcnt(0)
	v_cmp_lt_u16_e32 vcc, v12, v2
	v_cndmask_b32_e32 v6, v11, v6, vcc
	v_cndmask_b32_e32 v5, v10, v5, vcc
	;; [unrolled: 1-line block ×4, first 2 shown]
	v_cmp_ge_u64_e32 vcc, v[3:4], v[5:6]
	s_or_b64 s[20:21], vcc, s[20:21]
	s_andn2_b64 exec, exec, s[20:21]
	s_cbranch_execnz .LBB684_55
; %bb.56:
	s_or_b64 exec, exec, s[20:21]
	v_cmp_ne_u64_e32 vcc, s[18:19], v[3:4]
	v_mov_b32_e32 v10, 0
	s_and_saveexec_b64 s[20:21], vcc
	s_cbranch_execz .LBB684_58
.LBB684_57:
	v_lshlrev_b64 v[3:4], 1, v[3:4]
	v_mov_b32_e32 v1, s17
	v_add_co_u32_e32 v3, vcc, s16, v3
	v_addc_co_u32_e32 v4, vcc, v1, v4, vcc
	global_load_ushort v1, v[3:4], off
	s_waitcnt vmcnt(0)
	v_cmp_ge_u16_e32 vcc, v2, v1
	v_cndmask_b32_e64 v10, 0, 1, vcc
.LBB684_58:
	s_or_b64 exec, exec, s[20:21]
	s_or_b64 exec, exec, s[14:15]
	s_and_saveexec_b64 s[14:15], s[6:7]
	s_cbranch_execz .LBB684_65
.LBB684_59:
	s_andn2_b64 vcc, exec, s[12:13]
	s_cbranch_vccnz .LBB684_79
; %bb.60:
	v_mov_b32_e32 v3, 0
	v_mov_b32_e32 v5, s18
	s_mov_b64 s[12:13], 0
	v_mov_b32_e32 v4, 0
	v_mov_b32_e32 v6, s19
	;; [unrolled: 1-line block ×3, first 2 shown]
.LBB684_61:                             ; =>This Inner Loop Header: Depth=1
	v_sub_co_u32_e32 v11, vcc, v5, v3
	v_subb_co_u32_e32 v12, vcc, v6, v4, vcc
	v_lshrrev_b64 v[13:14], 1, v[11:12]
	v_lshrrev_b64 v[11:12], 6, v[11:12]
	v_add_co_u32_e32 v7, vcc, v13, v3
	v_addc_co_u32_e32 v13, vcc, v14, v4, vcc
	v_add_co_u32_e32 v11, vcc, v7, v11
	v_addc_co_u32_e32 v12, vcc, v13, v12, vcc
	v_lshlrev_b64 v[13:14], 1, v[11:12]
	v_add_co_u32_e32 v13, vcc, s16, v13
	v_addc_co_u32_e32 v14, vcc, v1, v14, vcc
	global_load_ushort v7, v[13:14], off
	v_add_co_u32_e32 v13, vcc, 1, v11
	v_addc_co_u32_e32 v14, vcc, 0, v12, vcc
	s_waitcnt vmcnt(0)
	v_cmp_lt_u16_sdwa vcc, v7, v2 src0_sel:DWORD src1_sel:WORD_1
	v_cndmask_b32_e32 v6, v12, v6, vcc
	v_cndmask_b32_e32 v5, v11, v5, vcc
	;; [unrolled: 1-line block ×4, first 2 shown]
	v_cmp_ge_u64_e32 vcc, v[3:4], v[5:6]
	s_or_b64 s[12:13], vcc, s[12:13]
	s_andn2_b64 exec, exec, s[12:13]
	s_cbranch_execnz .LBB684_61
; %bb.62:
	s_or_b64 exec, exec, s[12:13]
	v_cmp_ne_u64_e32 vcc, s[18:19], v[3:4]
	v_mov_b32_e32 v7, 0
	s_and_saveexec_b64 s[12:13], vcc
	s_cbranch_execz .LBB684_64
.LBB684_63:
	v_lshlrev_b64 v[3:4], 1, v[3:4]
	v_mov_b32_e32 v1, s17
	v_add_co_u32_e32 v3, vcc, s16, v3
	v_addc_co_u32_e32 v4, vcc, v1, v4, vcc
	global_load_ushort v1, v[3:4], off
	s_waitcnt vmcnt(0)
	v_cmp_ge_u16_sdwa s[16:17], v2, v1 src0_sel:WORD_1 src1_sel:DWORD
	v_cndmask_b32_e64 v7, 0, 1, s[16:17]
.LBB684_64:
	s_or_b64 exec, exec, s[12:13]
.LBB684_65:
	s_or_b64 exec, exec, s[14:15]
	s_lshl_b64 s[8:9], s[8:9], 2
	s_add_u32 s8, s22, s8
	s_addc_u32 s9, s23, s9
	v_lshlrev_b32_e32 v0, 2, v0
	v_mov_b32_e32 v2, s9
	v_add_co_u32_e32 v1, vcc, s8, v0
	v_addc_co_u32_e32 v2, vcc, 0, v2, vcc
	s_and_saveexec_b64 s[8:9], s[0:1]
	s_xor_b64 s[0:1], exec, s[8:9]
	s_cbranch_execz .LBB684_67
; %bb.66:
	flat_store_dword v[1:2], v8
.LBB684_67:
	s_or_b64 exec, exec, s[0:1]
	s_and_saveexec_b64 s[0:1], s[2:3]
	s_cbranch_execnz .LBB684_75
; %bb.68:
	s_or_b64 exec, exec, s[0:1]
	s_and_saveexec_b64 s[0:1], s[4:5]
	s_cbranch_execnz .LBB684_76
.LBB684_69:
	s_or_b64 exec, exec, s[0:1]
	s_and_saveexec_b64 s[0:1], s[6:7]
.LBB684_70:
	s_or_b64 s[10:11], s[10:11], exec
.LBB684_71:
	s_or_b64 exec, exec, s[0:1]
.LBB684_72:
	s_and_saveexec_b64 s[0:1], s[10:11]
	s_cbranch_execnz .LBB684_74
; %bb.73:
	s_endpgm
.LBB684_74:
	flat_store_dword v[1:2], v7 offset:3072
	s_endpgm
.LBB684_75:
	flat_store_dword v[1:2], v9 offset:1024
	s_or_b64 exec, exec, s[0:1]
	s_and_saveexec_b64 s[0:1], s[4:5]
	s_cbranch_execz .LBB684_69
.LBB684_76:
	flat_store_dword v[1:2], v10 offset:2048
	s_or_b64 exec, exec, s[0:1]
	s_and_saveexec_b64 s[0:1], s[6:7]
	s_cbranch_execnz .LBB684_70
	s_branch .LBB684_71
.LBB684_77:
	v_mov_b32_e32 v3, 0
	v_mov_b32_e32 v4, 0
	v_cmp_ne_u64_e32 vcc, s[18:19], v[3:4]
	v_mov_b32_e32 v9, 0
	s_and_saveexec_b64 s[20:21], vcc
	s_cbranch_execnz .LBB684_51
	s_branch .LBB684_52
.LBB684_78:
	v_mov_b32_e32 v3, 0
	v_mov_b32_e32 v4, 0
	v_cmp_ne_u64_e32 vcc, s[18:19], v[3:4]
	v_mov_b32_e32 v10, 0
	s_and_saveexec_b64 s[20:21], vcc
	s_cbranch_execnz .LBB684_57
	s_branch .LBB684_58
.LBB684_79:
	v_mov_b32_e32 v3, 0
	v_mov_b32_e32 v4, 0
	v_cmp_ne_u64_e32 vcc, s[18:19], v[3:4]
	v_mov_b32_e32 v7, 0
	s_and_saveexec_b64 s[12:13], vcc
	s_cbranch_execnz .LBB684_63
	s_branch .LBB684_64
	.section	.rodata,"a",@progbits
	.p2align	6, 0x0
	.amdhsa_kernel _ZN7rocprim17ROCPRIM_400000_NS6detail17trampoline_kernelINS0_14default_configENS1_29binary_search_config_selectorItiEEZNS1_14transform_implILb0ES3_S5_N6thrust23THRUST_200600_302600_NS6detail15normal_iteratorINS8_7pointerItNS8_11hip_rocprim5par_tENS8_11use_defaultESE_EEEENSA_INSB_IiSD_SE_SE_EEEEZNS1_13binary_searchIS3_S5_NSA_INS8_10device_ptrItEEEESG_SI_NS1_16binary_search_opENS9_16wrapped_functionINS8_6system6detail7generic6detail18binary_search_lessEbEEEE10hipError_tPvRmT1_T2_T3_mmT4_T5_P12ihipStream_tbEUlRKtE_EESV_SZ_S10_mS11_S14_bEUlT_E_NS1_11comp_targetILNS1_3genE2ELNS1_11target_archE906ELNS1_3gpuE6ELNS1_3repE0EEENS1_30default_config_static_selectorELNS0_4arch9wavefront6targetE1EEEvSY_
		.amdhsa_group_segment_fixed_size 0
		.amdhsa_private_segment_fixed_size 0
		.amdhsa_kernarg_size 312
		.amdhsa_user_sgpr_count 6
		.amdhsa_user_sgpr_private_segment_buffer 1
		.amdhsa_user_sgpr_dispatch_ptr 0
		.amdhsa_user_sgpr_queue_ptr 0
		.amdhsa_user_sgpr_kernarg_segment_ptr 1
		.amdhsa_user_sgpr_dispatch_id 0
		.amdhsa_user_sgpr_flat_scratch_init 0
		.amdhsa_user_sgpr_private_segment_size 0
		.amdhsa_uses_dynamic_stack 0
		.amdhsa_system_sgpr_private_segment_wavefront_offset 0
		.amdhsa_system_sgpr_workgroup_id_x 1
		.amdhsa_system_sgpr_workgroup_id_y 0
		.amdhsa_system_sgpr_workgroup_id_z 0
		.amdhsa_system_sgpr_workgroup_info 0
		.amdhsa_system_vgpr_workitem_id 0
		.amdhsa_next_free_vgpr 16
		.amdhsa_next_free_sgpr 26
		.amdhsa_reserve_vcc 1
		.amdhsa_reserve_flat_scratch 0
		.amdhsa_float_round_mode_32 0
		.amdhsa_float_round_mode_16_64 0
		.amdhsa_float_denorm_mode_32 3
		.amdhsa_float_denorm_mode_16_64 3
		.amdhsa_dx10_clamp 1
		.amdhsa_ieee_mode 1
		.amdhsa_fp16_overflow 0
		.amdhsa_exception_fp_ieee_invalid_op 0
		.amdhsa_exception_fp_denorm_src 0
		.amdhsa_exception_fp_ieee_div_zero 0
		.amdhsa_exception_fp_ieee_overflow 0
		.amdhsa_exception_fp_ieee_underflow 0
		.amdhsa_exception_fp_ieee_inexact 0
		.amdhsa_exception_int_div_zero 0
	.end_amdhsa_kernel
	.section	.text._ZN7rocprim17ROCPRIM_400000_NS6detail17trampoline_kernelINS0_14default_configENS1_29binary_search_config_selectorItiEEZNS1_14transform_implILb0ES3_S5_N6thrust23THRUST_200600_302600_NS6detail15normal_iteratorINS8_7pointerItNS8_11hip_rocprim5par_tENS8_11use_defaultESE_EEEENSA_INSB_IiSD_SE_SE_EEEEZNS1_13binary_searchIS3_S5_NSA_INS8_10device_ptrItEEEESG_SI_NS1_16binary_search_opENS9_16wrapped_functionINS8_6system6detail7generic6detail18binary_search_lessEbEEEE10hipError_tPvRmT1_T2_T3_mmT4_T5_P12ihipStream_tbEUlRKtE_EESV_SZ_S10_mS11_S14_bEUlT_E_NS1_11comp_targetILNS1_3genE2ELNS1_11target_archE906ELNS1_3gpuE6ELNS1_3repE0EEENS1_30default_config_static_selectorELNS0_4arch9wavefront6targetE1EEEvSY_,"axG",@progbits,_ZN7rocprim17ROCPRIM_400000_NS6detail17trampoline_kernelINS0_14default_configENS1_29binary_search_config_selectorItiEEZNS1_14transform_implILb0ES3_S5_N6thrust23THRUST_200600_302600_NS6detail15normal_iteratorINS8_7pointerItNS8_11hip_rocprim5par_tENS8_11use_defaultESE_EEEENSA_INSB_IiSD_SE_SE_EEEEZNS1_13binary_searchIS3_S5_NSA_INS8_10device_ptrItEEEESG_SI_NS1_16binary_search_opENS9_16wrapped_functionINS8_6system6detail7generic6detail18binary_search_lessEbEEEE10hipError_tPvRmT1_T2_T3_mmT4_T5_P12ihipStream_tbEUlRKtE_EESV_SZ_S10_mS11_S14_bEUlT_E_NS1_11comp_targetILNS1_3genE2ELNS1_11target_archE906ELNS1_3gpuE6ELNS1_3repE0EEENS1_30default_config_static_selectorELNS0_4arch9wavefront6targetE1EEEvSY_,comdat
.Lfunc_end684:
	.size	_ZN7rocprim17ROCPRIM_400000_NS6detail17trampoline_kernelINS0_14default_configENS1_29binary_search_config_selectorItiEEZNS1_14transform_implILb0ES3_S5_N6thrust23THRUST_200600_302600_NS6detail15normal_iteratorINS8_7pointerItNS8_11hip_rocprim5par_tENS8_11use_defaultESE_EEEENSA_INSB_IiSD_SE_SE_EEEEZNS1_13binary_searchIS3_S5_NSA_INS8_10device_ptrItEEEESG_SI_NS1_16binary_search_opENS9_16wrapped_functionINS8_6system6detail7generic6detail18binary_search_lessEbEEEE10hipError_tPvRmT1_T2_T3_mmT4_T5_P12ihipStream_tbEUlRKtE_EESV_SZ_S10_mS11_S14_bEUlT_E_NS1_11comp_targetILNS1_3genE2ELNS1_11target_archE906ELNS1_3gpuE6ELNS1_3repE0EEENS1_30default_config_static_selectorELNS0_4arch9wavefront6targetE1EEEvSY_, .Lfunc_end684-_ZN7rocprim17ROCPRIM_400000_NS6detail17trampoline_kernelINS0_14default_configENS1_29binary_search_config_selectorItiEEZNS1_14transform_implILb0ES3_S5_N6thrust23THRUST_200600_302600_NS6detail15normal_iteratorINS8_7pointerItNS8_11hip_rocprim5par_tENS8_11use_defaultESE_EEEENSA_INSB_IiSD_SE_SE_EEEEZNS1_13binary_searchIS3_S5_NSA_INS8_10device_ptrItEEEESG_SI_NS1_16binary_search_opENS9_16wrapped_functionINS8_6system6detail7generic6detail18binary_search_lessEbEEEE10hipError_tPvRmT1_T2_T3_mmT4_T5_P12ihipStream_tbEUlRKtE_EESV_SZ_S10_mS11_S14_bEUlT_E_NS1_11comp_targetILNS1_3genE2ELNS1_11target_archE906ELNS1_3gpuE6ELNS1_3repE0EEENS1_30default_config_static_selectorELNS0_4arch9wavefront6targetE1EEEvSY_
                                        ; -- End function
	.set _ZN7rocprim17ROCPRIM_400000_NS6detail17trampoline_kernelINS0_14default_configENS1_29binary_search_config_selectorItiEEZNS1_14transform_implILb0ES3_S5_N6thrust23THRUST_200600_302600_NS6detail15normal_iteratorINS8_7pointerItNS8_11hip_rocprim5par_tENS8_11use_defaultESE_EEEENSA_INSB_IiSD_SE_SE_EEEEZNS1_13binary_searchIS3_S5_NSA_INS8_10device_ptrItEEEESG_SI_NS1_16binary_search_opENS9_16wrapped_functionINS8_6system6detail7generic6detail18binary_search_lessEbEEEE10hipError_tPvRmT1_T2_T3_mmT4_T5_P12ihipStream_tbEUlRKtE_EESV_SZ_S10_mS11_S14_bEUlT_E_NS1_11comp_targetILNS1_3genE2ELNS1_11target_archE906ELNS1_3gpuE6ELNS1_3repE0EEENS1_30default_config_static_selectorELNS0_4arch9wavefront6targetE1EEEvSY_.num_vgpr, 16
	.set _ZN7rocprim17ROCPRIM_400000_NS6detail17trampoline_kernelINS0_14default_configENS1_29binary_search_config_selectorItiEEZNS1_14transform_implILb0ES3_S5_N6thrust23THRUST_200600_302600_NS6detail15normal_iteratorINS8_7pointerItNS8_11hip_rocprim5par_tENS8_11use_defaultESE_EEEENSA_INSB_IiSD_SE_SE_EEEEZNS1_13binary_searchIS3_S5_NSA_INS8_10device_ptrItEEEESG_SI_NS1_16binary_search_opENS9_16wrapped_functionINS8_6system6detail7generic6detail18binary_search_lessEbEEEE10hipError_tPvRmT1_T2_T3_mmT4_T5_P12ihipStream_tbEUlRKtE_EESV_SZ_S10_mS11_S14_bEUlT_E_NS1_11comp_targetILNS1_3genE2ELNS1_11target_archE906ELNS1_3gpuE6ELNS1_3repE0EEENS1_30default_config_static_selectorELNS0_4arch9wavefront6targetE1EEEvSY_.num_agpr, 0
	.set _ZN7rocprim17ROCPRIM_400000_NS6detail17trampoline_kernelINS0_14default_configENS1_29binary_search_config_selectorItiEEZNS1_14transform_implILb0ES3_S5_N6thrust23THRUST_200600_302600_NS6detail15normal_iteratorINS8_7pointerItNS8_11hip_rocprim5par_tENS8_11use_defaultESE_EEEENSA_INSB_IiSD_SE_SE_EEEEZNS1_13binary_searchIS3_S5_NSA_INS8_10device_ptrItEEEESG_SI_NS1_16binary_search_opENS9_16wrapped_functionINS8_6system6detail7generic6detail18binary_search_lessEbEEEE10hipError_tPvRmT1_T2_T3_mmT4_T5_P12ihipStream_tbEUlRKtE_EESV_SZ_S10_mS11_S14_bEUlT_E_NS1_11comp_targetILNS1_3genE2ELNS1_11target_archE906ELNS1_3gpuE6ELNS1_3repE0EEENS1_30default_config_static_selectorELNS0_4arch9wavefront6targetE1EEEvSY_.numbered_sgpr, 26
	.set _ZN7rocprim17ROCPRIM_400000_NS6detail17trampoline_kernelINS0_14default_configENS1_29binary_search_config_selectorItiEEZNS1_14transform_implILb0ES3_S5_N6thrust23THRUST_200600_302600_NS6detail15normal_iteratorINS8_7pointerItNS8_11hip_rocprim5par_tENS8_11use_defaultESE_EEEENSA_INSB_IiSD_SE_SE_EEEEZNS1_13binary_searchIS3_S5_NSA_INS8_10device_ptrItEEEESG_SI_NS1_16binary_search_opENS9_16wrapped_functionINS8_6system6detail7generic6detail18binary_search_lessEbEEEE10hipError_tPvRmT1_T2_T3_mmT4_T5_P12ihipStream_tbEUlRKtE_EESV_SZ_S10_mS11_S14_bEUlT_E_NS1_11comp_targetILNS1_3genE2ELNS1_11target_archE906ELNS1_3gpuE6ELNS1_3repE0EEENS1_30default_config_static_selectorELNS0_4arch9wavefront6targetE1EEEvSY_.num_named_barrier, 0
	.set _ZN7rocprim17ROCPRIM_400000_NS6detail17trampoline_kernelINS0_14default_configENS1_29binary_search_config_selectorItiEEZNS1_14transform_implILb0ES3_S5_N6thrust23THRUST_200600_302600_NS6detail15normal_iteratorINS8_7pointerItNS8_11hip_rocprim5par_tENS8_11use_defaultESE_EEEENSA_INSB_IiSD_SE_SE_EEEEZNS1_13binary_searchIS3_S5_NSA_INS8_10device_ptrItEEEESG_SI_NS1_16binary_search_opENS9_16wrapped_functionINS8_6system6detail7generic6detail18binary_search_lessEbEEEE10hipError_tPvRmT1_T2_T3_mmT4_T5_P12ihipStream_tbEUlRKtE_EESV_SZ_S10_mS11_S14_bEUlT_E_NS1_11comp_targetILNS1_3genE2ELNS1_11target_archE906ELNS1_3gpuE6ELNS1_3repE0EEENS1_30default_config_static_selectorELNS0_4arch9wavefront6targetE1EEEvSY_.private_seg_size, 0
	.set _ZN7rocprim17ROCPRIM_400000_NS6detail17trampoline_kernelINS0_14default_configENS1_29binary_search_config_selectorItiEEZNS1_14transform_implILb0ES3_S5_N6thrust23THRUST_200600_302600_NS6detail15normal_iteratorINS8_7pointerItNS8_11hip_rocprim5par_tENS8_11use_defaultESE_EEEENSA_INSB_IiSD_SE_SE_EEEEZNS1_13binary_searchIS3_S5_NSA_INS8_10device_ptrItEEEESG_SI_NS1_16binary_search_opENS9_16wrapped_functionINS8_6system6detail7generic6detail18binary_search_lessEbEEEE10hipError_tPvRmT1_T2_T3_mmT4_T5_P12ihipStream_tbEUlRKtE_EESV_SZ_S10_mS11_S14_bEUlT_E_NS1_11comp_targetILNS1_3genE2ELNS1_11target_archE906ELNS1_3gpuE6ELNS1_3repE0EEENS1_30default_config_static_selectorELNS0_4arch9wavefront6targetE1EEEvSY_.uses_vcc, 1
	.set _ZN7rocprim17ROCPRIM_400000_NS6detail17trampoline_kernelINS0_14default_configENS1_29binary_search_config_selectorItiEEZNS1_14transform_implILb0ES3_S5_N6thrust23THRUST_200600_302600_NS6detail15normal_iteratorINS8_7pointerItNS8_11hip_rocprim5par_tENS8_11use_defaultESE_EEEENSA_INSB_IiSD_SE_SE_EEEEZNS1_13binary_searchIS3_S5_NSA_INS8_10device_ptrItEEEESG_SI_NS1_16binary_search_opENS9_16wrapped_functionINS8_6system6detail7generic6detail18binary_search_lessEbEEEE10hipError_tPvRmT1_T2_T3_mmT4_T5_P12ihipStream_tbEUlRKtE_EESV_SZ_S10_mS11_S14_bEUlT_E_NS1_11comp_targetILNS1_3genE2ELNS1_11target_archE906ELNS1_3gpuE6ELNS1_3repE0EEENS1_30default_config_static_selectorELNS0_4arch9wavefront6targetE1EEEvSY_.uses_flat_scratch, 0
	.set _ZN7rocprim17ROCPRIM_400000_NS6detail17trampoline_kernelINS0_14default_configENS1_29binary_search_config_selectorItiEEZNS1_14transform_implILb0ES3_S5_N6thrust23THRUST_200600_302600_NS6detail15normal_iteratorINS8_7pointerItNS8_11hip_rocprim5par_tENS8_11use_defaultESE_EEEENSA_INSB_IiSD_SE_SE_EEEEZNS1_13binary_searchIS3_S5_NSA_INS8_10device_ptrItEEEESG_SI_NS1_16binary_search_opENS9_16wrapped_functionINS8_6system6detail7generic6detail18binary_search_lessEbEEEE10hipError_tPvRmT1_T2_T3_mmT4_T5_P12ihipStream_tbEUlRKtE_EESV_SZ_S10_mS11_S14_bEUlT_E_NS1_11comp_targetILNS1_3genE2ELNS1_11target_archE906ELNS1_3gpuE6ELNS1_3repE0EEENS1_30default_config_static_selectorELNS0_4arch9wavefront6targetE1EEEvSY_.has_dyn_sized_stack, 0
	.set _ZN7rocprim17ROCPRIM_400000_NS6detail17trampoline_kernelINS0_14default_configENS1_29binary_search_config_selectorItiEEZNS1_14transform_implILb0ES3_S5_N6thrust23THRUST_200600_302600_NS6detail15normal_iteratorINS8_7pointerItNS8_11hip_rocprim5par_tENS8_11use_defaultESE_EEEENSA_INSB_IiSD_SE_SE_EEEEZNS1_13binary_searchIS3_S5_NSA_INS8_10device_ptrItEEEESG_SI_NS1_16binary_search_opENS9_16wrapped_functionINS8_6system6detail7generic6detail18binary_search_lessEbEEEE10hipError_tPvRmT1_T2_T3_mmT4_T5_P12ihipStream_tbEUlRKtE_EESV_SZ_S10_mS11_S14_bEUlT_E_NS1_11comp_targetILNS1_3genE2ELNS1_11target_archE906ELNS1_3gpuE6ELNS1_3repE0EEENS1_30default_config_static_selectorELNS0_4arch9wavefront6targetE1EEEvSY_.has_recursion, 0
	.set _ZN7rocprim17ROCPRIM_400000_NS6detail17trampoline_kernelINS0_14default_configENS1_29binary_search_config_selectorItiEEZNS1_14transform_implILb0ES3_S5_N6thrust23THRUST_200600_302600_NS6detail15normal_iteratorINS8_7pointerItNS8_11hip_rocprim5par_tENS8_11use_defaultESE_EEEENSA_INSB_IiSD_SE_SE_EEEEZNS1_13binary_searchIS3_S5_NSA_INS8_10device_ptrItEEEESG_SI_NS1_16binary_search_opENS9_16wrapped_functionINS8_6system6detail7generic6detail18binary_search_lessEbEEEE10hipError_tPvRmT1_T2_T3_mmT4_T5_P12ihipStream_tbEUlRKtE_EESV_SZ_S10_mS11_S14_bEUlT_E_NS1_11comp_targetILNS1_3genE2ELNS1_11target_archE906ELNS1_3gpuE6ELNS1_3repE0EEENS1_30default_config_static_selectorELNS0_4arch9wavefront6targetE1EEEvSY_.has_indirect_call, 0
	.section	.AMDGPU.csdata,"",@progbits
; Kernel info:
; codeLenInByte = 2700
; TotalNumSgprs: 30
; NumVgprs: 16
; ScratchSize: 0
; MemoryBound: 0
; FloatMode: 240
; IeeeMode: 1
; LDSByteSize: 0 bytes/workgroup (compile time only)
; SGPRBlocks: 3
; VGPRBlocks: 3
; NumSGPRsForWavesPerEU: 30
; NumVGPRsForWavesPerEU: 16
; Occupancy: 10
; WaveLimiterHint : 1
; COMPUTE_PGM_RSRC2:SCRATCH_EN: 0
; COMPUTE_PGM_RSRC2:USER_SGPR: 6
; COMPUTE_PGM_RSRC2:TRAP_HANDLER: 0
; COMPUTE_PGM_RSRC2:TGID_X_EN: 1
; COMPUTE_PGM_RSRC2:TGID_Y_EN: 0
; COMPUTE_PGM_RSRC2:TGID_Z_EN: 0
; COMPUTE_PGM_RSRC2:TIDIG_COMP_CNT: 0
	.section	.text._ZN7rocprim17ROCPRIM_400000_NS6detail17trampoline_kernelINS0_14default_configENS1_29binary_search_config_selectorItiEEZNS1_14transform_implILb0ES3_S5_N6thrust23THRUST_200600_302600_NS6detail15normal_iteratorINS8_7pointerItNS8_11hip_rocprim5par_tENS8_11use_defaultESE_EEEENSA_INSB_IiSD_SE_SE_EEEEZNS1_13binary_searchIS3_S5_NSA_INS8_10device_ptrItEEEESG_SI_NS1_16binary_search_opENS9_16wrapped_functionINS8_6system6detail7generic6detail18binary_search_lessEbEEEE10hipError_tPvRmT1_T2_T3_mmT4_T5_P12ihipStream_tbEUlRKtE_EESV_SZ_S10_mS11_S14_bEUlT_E_NS1_11comp_targetILNS1_3genE10ELNS1_11target_archE1201ELNS1_3gpuE5ELNS1_3repE0EEENS1_30default_config_static_selectorELNS0_4arch9wavefront6targetE1EEEvSY_,"axG",@progbits,_ZN7rocprim17ROCPRIM_400000_NS6detail17trampoline_kernelINS0_14default_configENS1_29binary_search_config_selectorItiEEZNS1_14transform_implILb0ES3_S5_N6thrust23THRUST_200600_302600_NS6detail15normal_iteratorINS8_7pointerItNS8_11hip_rocprim5par_tENS8_11use_defaultESE_EEEENSA_INSB_IiSD_SE_SE_EEEEZNS1_13binary_searchIS3_S5_NSA_INS8_10device_ptrItEEEESG_SI_NS1_16binary_search_opENS9_16wrapped_functionINS8_6system6detail7generic6detail18binary_search_lessEbEEEE10hipError_tPvRmT1_T2_T3_mmT4_T5_P12ihipStream_tbEUlRKtE_EESV_SZ_S10_mS11_S14_bEUlT_E_NS1_11comp_targetILNS1_3genE10ELNS1_11target_archE1201ELNS1_3gpuE5ELNS1_3repE0EEENS1_30default_config_static_selectorELNS0_4arch9wavefront6targetE1EEEvSY_,comdat
	.protected	_ZN7rocprim17ROCPRIM_400000_NS6detail17trampoline_kernelINS0_14default_configENS1_29binary_search_config_selectorItiEEZNS1_14transform_implILb0ES3_S5_N6thrust23THRUST_200600_302600_NS6detail15normal_iteratorINS8_7pointerItNS8_11hip_rocprim5par_tENS8_11use_defaultESE_EEEENSA_INSB_IiSD_SE_SE_EEEEZNS1_13binary_searchIS3_S5_NSA_INS8_10device_ptrItEEEESG_SI_NS1_16binary_search_opENS9_16wrapped_functionINS8_6system6detail7generic6detail18binary_search_lessEbEEEE10hipError_tPvRmT1_T2_T3_mmT4_T5_P12ihipStream_tbEUlRKtE_EESV_SZ_S10_mS11_S14_bEUlT_E_NS1_11comp_targetILNS1_3genE10ELNS1_11target_archE1201ELNS1_3gpuE5ELNS1_3repE0EEENS1_30default_config_static_selectorELNS0_4arch9wavefront6targetE1EEEvSY_ ; -- Begin function _ZN7rocprim17ROCPRIM_400000_NS6detail17trampoline_kernelINS0_14default_configENS1_29binary_search_config_selectorItiEEZNS1_14transform_implILb0ES3_S5_N6thrust23THRUST_200600_302600_NS6detail15normal_iteratorINS8_7pointerItNS8_11hip_rocprim5par_tENS8_11use_defaultESE_EEEENSA_INSB_IiSD_SE_SE_EEEEZNS1_13binary_searchIS3_S5_NSA_INS8_10device_ptrItEEEESG_SI_NS1_16binary_search_opENS9_16wrapped_functionINS8_6system6detail7generic6detail18binary_search_lessEbEEEE10hipError_tPvRmT1_T2_T3_mmT4_T5_P12ihipStream_tbEUlRKtE_EESV_SZ_S10_mS11_S14_bEUlT_E_NS1_11comp_targetILNS1_3genE10ELNS1_11target_archE1201ELNS1_3gpuE5ELNS1_3repE0EEENS1_30default_config_static_selectorELNS0_4arch9wavefront6targetE1EEEvSY_
	.globl	_ZN7rocprim17ROCPRIM_400000_NS6detail17trampoline_kernelINS0_14default_configENS1_29binary_search_config_selectorItiEEZNS1_14transform_implILb0ES3_S5_N6thrust23THRUST_200600_302600_NS6detail15normal_iteratorINS8_7pointerItNS8_11hip_rocprim5par_tENS8_11use_defaultESE_EEEENSA_INSB_IiSD_SE_SE_EEEEZNS1_13binary_searchIS3_S5_NSA_INS8_10device_ptrItEEEESG_SI_NS1_16binary_search_opENS9_16wrapped_functionINS8_6system6detail7generic6detail18binary_search_lessEbEEEE10hipError_tPvRmT1_T2_T3_mmT4_T5_P12ihipStream_tbEUlRKtE_EESV_SZ_S10_mS11_S14_bEUlT_E_NS1_11comp_targetILNS1_3genE10ELNS1_11target_archE1201ELNS1_3gpuE5ELNS1_3repE0EEENS1_30default_config_static_selectorELNS0_4arch9wavefront6targetE1EEEvSY_
	.p2align	8
	.type	_ZN7rocprim17ROCPRIM_400000_NS6detail17trampoline_kernelINS0_14default_configENS1_29binary_search_config_selectorItiEEZNS1_14transform_implILb0ES3_S5_N6thrust23THRUST_200600_302600_NS6detail15normal_iteratorINS8_7pointerItNS8_11hip_rocprim5par_tENS8_11use_defaultESE_EEEENSA_INSB_IiSD_SE_SE_EEEEZNS1_13binary_searchIS3_S5_NSA_INS8_10device_ptrItEEEESG_SI_NS1_16binary_search_opENS9_16wrapped_functionINS8_6system6detail7generic6detail18binary_search_lessEbEEEE10hipError_tPvRmT1_T2_T3_mmT4_T5_P12ihipStream_tbEUlRKtE_EESV_SZ_S10_mS11_S14_bEUlT_E_NS1_11comp_targetILNS1_3genE10ELNS1_11target_archE1201ELNS1_3gpuE5ELNS1_3repE0EEENS1_30default_config_static_selectorELNS0_4arch9wavefront6targetE1EEEvSY_,@function
_ZN7rocprim17ROCPRIM_400000_NS6detail17trampoline_kernelINS0_14default_configENS1_29binary_search_config_selectorItiEEZNS1_14transform_implILb0ES3_S5_N6thrust23THRUST_200600_302600_NS6detail15normal_iteratorINS8_7pointerItNS8_11hip_rocprim5par_tENS8_11use_defaultESE_EEEENSA_INSB_IiSD_SE_SE_EEEEZNS1_13binary_searchIS3_S5_NSA_INS8_10device_ptrItEEEESG_SI_NS1_16binary_search_opENS9_16wrapped_functionINS8_6system6detail7generic6detail18binary_search_lessEbEEEE10hipError_tPvRmT1_T2_T3_mmT4_T5_P12ihipStream_tbEUlRKtE_EESV_SZ_S10_mS11_S14_bEUlT_E_NS1_11comp_targetILNS1_3genE10ELNS1_11target_archE1201ELNS1_3gpuE5ELNS1_3repE0EEENS1_30default_config_static_selectorELNS0_4arch9wavefront6targetE1EEEvSY_: ; @_ZN7rocprim17ROCPRIM_400000_NS6detail17trampoline_kernelINS0_14default_configENS1_29binary_search_config_selectorItiEEZNS1_14transform_implILb0ES3_S5_N6thrust23THRUST_200600_302600_NS6detail15normal_iteratorINS8_7pointerItNS8_11hip_rocprim5par_tENS8_11use_defaultESE_EEEENSA_INSB_IiSD_SE_SE_EEEEZNS1_13binary_searchIS3_S5_NSA_INS8_10device_ptrItEEEESG_SI_NS1_16binary_search_opENS9_16wrapped_functionINS8_6system6detail7generic6detail18binary_search_lessEbEEEE10hipError_tPvRmT1_T2_T3_mmT4_T5_P12ihipStream_tbEUlRKtE_EESV_SZ_S10_mS11_S14_bEUlT_E_NS1_11comp_targetILNS1_3genE10ELNS1_11target_archE1201ELNS1_3gpuE5ELNS1_3repE0EEENS1_30default_config_static_selectorELNS0_4arch9wavefront6targetE1EEEvSY_
; %bb.0:
	.section	.rodata,"a",@progbits
	.p2align	6, 0x0
	.amdhsa_kernel _ZN7rocprim17ROCPRIM_400000_NS6detail17trampoline_kernelINS0_14default_configENS1_29binary_search_config_selectorItiEEZNS1_14transform_implILb0ES3_S5_N6thrust23THRUST_200600_302600_NS6detail15normal_iteratorINS8_7pointerItNS8_11hip_rocprim5par_tENS8_11use_defaultESE_EEEENSA_INSB_IiSD_SE_SE_EEEEZNS1_13binary_searchIS3_S5_NSA_INS8_10device_ptrItEEEESG_SI_NS1_16binary_search_opENS9_16wrapped_functionINS8_6system6detail7generic6detail18binary_search_lessEbEEEE10hipError_tPvRmT1_T2_T3_mmT4_T5_P12ihipStream_tbEUlRKtE_EESV_SZ_S10_mS11_S14_bEUlT_E_NS1_11comp_targetILNS1_3genE10ELNS1_11target_archE1201ELNS1_3gpuE5ELNS1_3repE0EEENS1_30default_config_static_selectorELNS0_4arch9wavefront6targetE1EEEvSY_
		.amdhsa_group_segment_fixed_size 0
		.amdhsa_private_segment_fixed_size 0
		.amdhsa_kernarg_size 56
		.amdhsa_user_sgpr_count 6
		.amdhsa_user_sgpr_private_segment_buffer 1
		.amdhsa_user_sgpr_dispatch_ptr 0
		.amdhsa_user_sgpr_queue_ptr 0
		.amdhsa_user_sgpr_kernarg_segment_ptr 1
		.amdhsa_user_sgpr_dispatch_id 0
		.amdhsa_user_sgpr_flat_scratch_init 0
		.amdhsa_user_sgpr_private_segment_size 0
		.amdhsa_uses_dynamic_stack 0
		.amdhsa_system_sgpr_private_segment_wavefront_offset 0
		.amdhsa_system_sgpr_workgroup_id_x 1
		.amdhsa_system_sgpr_workgroup_id_y 0
		.amdhsa_system_sgpr_workgroup_id_z 0
		.amdhsa_system_sgpr_workgroup_info 0
		.amdhsa_system_vgpr_workitem_id 0
		.amdhsa_next_free_vgpr 1
		.amdhsa_next_free_sgpr 0
		.amdhsa_reserve_vcc 0
		.amdhsa_reserve_flat_scratch 0
		.amdhsa_float_round_mode_32 0
		.amdhsa_float_round_mode_16_64 0
		.amdhsa_float_denorm_mode_32 3
		.amdhsa_float_denorm_mode_16_64 3
		.amdhsa_dx10_clamp 1
		.amdhsa_ieee_mode 1
		.amdhsa_fp16_overflow 0
		.amdhsa_exception_fp_ieee_invalid_op 0
		.amdhsa_exception_fp_denorm_src 0
		.amdhsa_exception_fp_ieee_div_zero 0
		.amdhsa_exception_fp_ieee_overflow 0
		.amdhsa_exception_fp_ieee_underflow 0
		.amdhsa_exception_fp_ieee_inexact 0
		.amdhsa_exception_int_div_zero 0
	.end_amdhsa_kernel
	.section	.text._ZN7rocprim17ROCPRIM_400000_NS6detail17trampoline_kernelINS0_14default_configENS1_29binary_search_config_selectorItiEEZNS1_14transform_implILb0ES3_S5_N6thrust23THRUST_200600_302600_NS6detail15normal_iteratorINS8_7pointerItNS8_11hip_rocprim5par_tENS8_11use_defaultESE_EEEENSA_INSB_IiSD_SE_SE_EEEEZNS1_13binary_searchIS3_S5_NSA_INS8_10device_ptrItEEEESG_SI_NS1_16binary_search_opENS9_16wrapped_functionINS8_6system6detail7generic6detail18binary_search_lessEbEEEE10hipError_tPvRmT1_T2_T3_mmT4_T5_P12ihipStream_tbEUlRKtE_EESV_SZ_S10_mS11_S14_bEUlT_E_NS1_11comp_targetILNS1_3genE10ELNS1_11target_archE1201ELNS1_3gpuE5ELNS1_3repE0EEENS1_30default_config_static_selectorELNS0_4arch9wavefront6targetE1EEEvSY_,"axG",@progbits,_ZN7rocprim17ROCPRIM_400000_NS6detail17trampoline_kernelINS0_14default_configENS1_29binary_search_config_selectorItiEEZNS1_14transform_implILb0ES3_S5_N6thrust23THRUST_200600_302600_NS6detail15normal_iteratorINS8_7pointerItNS8_11hip_rocprim5par_tENS8_11use_defaultESE_EEEENSA_INSB_IiSD_SE_SE_EEEEZNS1_13binary_searchIS3_S5_NSA_INS8_10device_ptrItEEEESG_SI_NS1_16binary_search_opENS9_16wrapped_functionINS8_6system6detail7generic6detail18binary_search_lessEbEEEE10hipError_tPvRmT1_T2_T3_mmT4_T5_P12ihipStream_tbEUlRKtE_EESV_SZ_S10_mS11_S14_bEUlT_E_NS1_11comp_targetILNS1_3genE10ELNS1_11target_archE1201ELNS1_3gpuE5ELNS1_3repE0EEENS1_30default_config_static_selectorELNS0_4arch9wavefront6targetE1EEEvSY_,comdat
.Lfunc_end685:
	.size	_ZN7rocprim17ROCPRIM_400000_NS6detail17trampoline_kernelINS0_14default_configENS1_29binary_search_config_selectorItiEEZNS1_14transform_implILb0ES3_S5_N6thrust23THRUST_200600_302600_NS6detail15normal_iteratorINS8_7pointerItNS8_11hip_rocprim5par_tENS8_11use_defaultESE_EEEENSA_INSB_IiSD_SE_SE_EEEEZNS1_13binary_searchIS3_S5_NSA_INS8_10device_ptrItEEEESG_SI_NS1_16binary_search_opENS9_16wrapped_functionINS8_6system6detail7generic6detail18binary_search_lessEbEEEE10hipError_tPvRmT1_T2_T3_mmT4_T5_P12ihipStream_tbEUlRKtE_EESV_SZ_S10_mS11_S14_bEUlT_E_NS1_11comp_targetILNS1_3genE10ELNS1_11target_archE1201ELNS1_3gpuE5ELNS1_3repE0EEENS1_30default_config_static_selectorELNS0_4arch9wavefront6targetE1EEEvSY_, .Lfunc_end685-_ZN7rocprim17ROCPRIM_400000_NS6detail17trampoline_kernelINS0_14default_configENS1_29binary_search_config_selectorItiEEZNS1_14transform_implILb0ES3_S5_N6thrust23THRUST_200600_302600_NS6detail15normal_iteratorINS8_7pointerItNS8_11hip_rocprim5par_tENS8_11use_defaultESE_EEEENSA_INSB_IiSD_SE_SE_EEEEZNS1_13binary_searchIS3_S5_NSA_INS8_10device_ptrItEEEESG_SI_NS1_16binary_search_opENS9_16wrapped_functionINS8_6system6detail7generic6detail18binary_search_lessEbEEEE10hipError_tPvRmT1_T2_T3_mmT4_T5_P12ihipStream_tbEUlRKtE_EESV_SZ_S10_mS11_S14_bEUlT_E_NS1_11comp_targetILNS1_3genE10ELNS1_11target_archE1201ELNS1_3gpuE5ELNS1_3repE0EEENS1_30default_config_static_selectorELNS0_4arch9wavefront6targetE1EEEvSY_
                                        ; -- End function
	.set _ZN7rocprim17ROCPRIM_400000_NS6detail17trampoline_kernelINS0_14default_configENS1_29binary_search_config_selectorItiEEZNS1_14transform_implILb0ES3_S5_N6thrust23THRUST_200600_302600_NS6detail15normal_iteratorINS8_7pointerItNS8_11hip_rocprim5par_tENS8_11use_defaultESE_EEEENSA_INSB_IiSD_SE_SE_EEEEZNS1_13binary_searchIS3_S5_NSA_INS8_10device_ptrItEEEESG_SI_NS1_16binary_search_opENS9_16wrapped_functionINS8_6system6detail7generic6detail18binary_search_lessEbEEEE10hipError_tPvRmT1_T2_T3_mmT4_T5_P12ihipStream_tbEUlRKtE_EESV_SZ_S10_mS11_S14_bEUlT_E_NS1_11comp_targetILNS1_3genE10ELNS1_11target_archE1201ELNS1_3gpuE5ELNS1_3repE0EEENS1_30default_config_static_selectorELNS0_4arch9wavefront6targetE1EEEvSY_.num_vgpr, 0
	.set _ZN7rocprim17ROCPRIM_400000_NS6detail17trampoline_kernelINS0_14default_configENS1_29binary_search_config_selectorItiEEZNS1_14transform_implILb0ES3_S5_N6thrust23THRUST_200600_302600_NS6detail15normal_iteratorINS8_7pointerItNS8_11hip_rocprim5par_tENS8_11use_defaultESE_EEEENSA_INSB_IiSD_SE_SE_EEEEZNS1_13binary_searchIS3_S5_NSA_INS8_10device_ptrItEEEESG_SI_NS1_16binary_search_opENS9_16wrapped_functionINS8_6system6detail7generic6detail18binary_search_lessEbEEEE10hipError_tPvRmT1_T2_T3_mmT4_T5_P12ihipStream_tbEUlRKtE_EESV_SZ_S10_mS11_S14_bEUlT_E_NS1_11comp_targetILNS1_3genE10ELNS1_11target_archE1201ELNS1_3gpuE5ELNS1_3repE0EEENS1_30default_config_static_selectorELNS0_4arch9wavefront6targetE1EEEvSY_.num_agpr, 0
	.set _ZN7rocprim17ROCPRIM_400000_NS6detail17trampoline_kernelINS0_14default_configENS1_29binary_search_config_selectorItiEEZNS1_14transform_implILb0ES3_S5_N6thrust23THRUST_200600_302600_NS6detail15normal_iteratorINS8_7pointerItNS8_11hip_rocprim5par_tENS8_11use_defaultESE_EEEENSA_INSB_IiSD_SE_SE_EEEEZNS1_13binary_searchIS3_S5_NSA_INS8_10device_ptrItEEEESG_SI_NS1_16binary_search_opENS9_16wrapped_functionINS8_6system6detail7generic6detail18binary_search_lessEbEEEE10hipError_tPvRmT1_T2_T3_mmT4_T5_P12ihipStream_tbEUlRKtE_EESV_SZ_S10_mS11_S14_bEUlT_E_NS1_11comp_targetILNS1_3genE10ELNS1_11target_archE1201ELNS1_3gpuE5ELNS1_3repE0EEENS1_30default_config_static_selectorELNS0_4arch9wavefront6targetE1EEEvSY_.numbered_sgpr, 0
	.set _ZN7rocprim17ROCPRIM_400000_NS6detail17trampoline_kernelINS0_14default_configENS1_29binary_search_config_selectorItiEEZNS1_14transform_implILb0ES3_S5_N6thrust23THRUST_200600_302600_NS6detail15normal_iteratorINS8_7pointerItNS8_11hip_rocprim5par_tENS8_11use_defaultESE_EEEENSA_INSB_IiSD_SE_SE_EEEEZNS1_13binary_searchIS3_S5_NSA_INS8_10device_ptrItEEEESG_SI_NS1_16binary_search_opENS9_16wrapped_functionINS8_6system6detail7generic6detail18binary_search_lessEbEEEE10hipError_tPvRmT1_T2_T3_mmT4_T5_P12ihipStream_tbEUlRKtE_EESV_SZ_S10_mS11_S14_bEUlT_E_NS1_11comp_targetILNS1_3genE10ELNS1_11target_archE1201ELNS1_3gpuE5ELNS1_3repE0EEENS1_30default_config_static_selectorELNS0_4arch9wavefront6targetE1EEEvSY_.num_named_barrier, 0
	.set _ZN7rocprim17ROCPRIM_400000_NS6detail17trampoline_kernelINS0_14default_configENS1_29binary_search_config_selectorItiEEZNS1_14transform_implILb0ES3_S5_N6thrust23THRUST_200600_302600_NS6detail15normal_iteratorINS8_7pointerItNS8_11hip_rocprim5par_tENS8_11use_defaultESE_EEEENSA_INSB_IiSD_SE_SE_EEEEZNS1_13binary_searchIS3_S5_NSA_INS8_10device_ptrItEEEESG_SI_NS1_16binary_search_opENS9_16wrapped_functionINS8_6system6detail7generic6detail18binary_search_lessEbEEEE10hipError_tPvRmT1_T2_T3_mmT4_T5_P12ihipStream_tbEUlRKtE_EESV_SZ_S10_mS11_S14_bEUlT_E_NS1_11comp_targetILNS1_3genE10ELNS1_11target_archE1201ELNS1_3gpuE5ELNS1_3repE0EEENS1_30default_config_static_selectorELNS0_4arch9wavefront6targetE1EEEvSY_.private_seg_size, 0
	.set _ZN7rocprim17ROCPRIM_400000_NS6detail17trampoline_kernelINS0_14default_configENS1_29binary_search_config_selectorItiEEZNS1_14transform_implILb0ES3_S5_N6thrust23THRUST_200600_302600_NS6detail15normal_iteratorINS8_7pointerItNS8_11hip_rocprim5par_tENS8_11use_defaultESE_EEEENSA_INSB_IiSD_SE_SE_EEEEZNS1_13binary_searchIS3_S5_NSA_INS8_10device_ptrItEEEESG_SI_NS1_16binary_search_opENS9_16wrapped_functionINS8_6system6detail7generic6detail18binary_search_lessEbEEEE10hipError_tPvRmT1_T2_T3_mmT4_T5_P12ihipStream_tbEUlRKtE_EESV_SZ_S10_mS11_S14_bEUlT_E_NS1_11comp_targetILNS1_3genE10ELNS1_11target_archE1201ELNS1_3gpuE5ELNS1_3repE0EEENS1_30default_config_static_selectorELNS0_4arch9wavefront6targetE1EEEvSY_.uses_vcc, 0
	.set _ZN7rocprim17ROCPRIM_400000_NS6detail17trampoline_kernelINS0_14default_configENS1_29binary_search_config_selectorItiEEZNS1_14transform_implILb0ES3_S5_N6thrust23THRUST_200600_302600_NS6detail15normal_iteratorINS8_7pointerItNS8_11hip_rocprim5par_tENS8_11use_defaultESE_EEEENSA_INSB_IiSD_SE_SE_EEEEZNS1_13binary_searchIS3_S5_NSA_INS8_10device_ptrItEEEESG_SI_NS1_16binary_search_opENS9_16wrapped_functionINS8_6system6detail7generic6detail18binary_search_lessEbEEEE10hipError_tPvRmT1_T2_T3_mmT4_T5_P12ihipStream_tbEUlRKtE_EESV_SZ_S10_mS11_S14_bEUlT_E_NS1_11comp_targetILNS1_3genE10ELNS1_11target_archE1201ELNS1_3gpuE5ELNS1_3repE0EEENS1_30default_config_static_selectorELNS0_4arch9wavefront6targetE1EEEvSY_.uses_flat_scratch, 0
	.set _ZN7rocprim17ROCPRIM_400000_NS6detail17trampoline_kernelINS0_14default_configENS1_29binary_search_config_selectorItiEEZNS1_14transform_implILb0ES3_S5_N6thrust23THRUST_200600_302600_NS6detail15normal_iteratorINS8_7pointerItNS8_11hip_rocprim5par_tENS8_11use_defaultESE_EEEENSA_INSB_IiSD_SE_SE_EEEEZNS1_13binary_searchIS3_S5_NSA_INS8_10device_ptrItEEEESG_SI_NS1_16binary_search_opENS9_16wrapped_functionINS8_6system6detail7generic6detail18binary_search_lessEbEEEE10hipError_tPvRmT1_T2_T3_mmT4_T5_P12ihipStream_tbEUlRKtE_EESV_SZ_S10_mS11_S14_bEUlT_E_NS1_11comp_targetILNS1_3genE10ELNS1_11target_archE1201ELNS1_3gpuE5ELNS1_3repE0EEENS1_30default_config_static_selectorELNS0_4arch9wavefront6targetE1EEEvSY_.has_dyn_sized_stack, 0
	.set _ZN7rocprim17ROCPRIM_400000_NS6detail17trampoline_kernelINS0_14default_configENS1_29binary_search_config_selectorItiEEZNS1_14transform_implILb0ES3_S5_N6thrust23THRUST_200600_302600_NS6detail15normal_iteratorINS8_7pointerItNS8_11hip_rocprim5par_tENS8_11use_defaultESE_EEEENSA_INSB_IiSD_SE_SE_EEEEZNS1_13binary_searchIS3_S5_NSA_INS8_10device_ptrItEEEESG_SI_NS1_16binary_search_opENS9_16wrapped_functionINS8_6system6detail7generic6detail18binary_search_lessEbEEEE10hipError_tPvRmT1_T2_T3_mmT4_T5_P12ihipStream_tbEUlRKtE_EESV_SZ_S10_mS11_S14_bEUlT_E_NS1_11comp_targetILNS1_3genE10ELNS1_11target_archE1201ELNS1_3gpuE5ELNS1_3repE0EEENS1_30default_config_static_selectorELNS0_4arch9wavefront6targetE1EEEvSY_.has_recursion, 0
	.set _ZN7rocprim17ROCPRIM_400000_NS6detail17trampoline_kernelINS0_14default_configENS1_29binary_search_config_selectorItiEEZNS1_14transform_implILb0ES3_S5_N6thrust23THRUST_200600_302600_NS6detail15normal_iteratorINS8_7pointerItNS8_11hip_rocprim5par_tENS8_11use_defaultESE_EEEENSA_INSB_IiSD_SE_SE_EEEEZNS1_13binary_searchIS3_S5_NSA_INS8_10device_ptrItEEEESG_SI_NS1_16binary_search_opENS9_16wrapped_functionINS8_6system6detail7generic6detail18binary_search_lessEbEEEE10hipError_tPvRmT1_T2_T3_mmT4_T5_P12ihipStream_tbEUlRKtE_EESV_SZ_S10_mS11_S14_bEUlT_E_NS1_11comp_targetILNS1_3genE10ELNS1_11target_archE1201ELNS1_3gpuE5ELNS1_3repE0EEENS1_30default_config_static_selectorELNS0_4arch9wavefront6targetE1EEEvSY_.has_indirect_call, 0
	.section	.AMDGPU.csdata,"",@progbits
; Kernel info:
; codeLenInByte = 0
; TotalNumSgprs: 4
; NumVgprs: 0
; ScratchSize: 0
; MemoryBound: 0
; FloatMode: 240
; IeeeMode: 1
; LDSByteSize: 0 bytes/workgroup (compile time only)
; SGPRBlocks: 0
; VGPRBlocks: 0
; NumSGPRsForWavesPerEU: 4
; NumVGPRsForWavesPerEU: 1
; Occupancy: 10
; WaveLimiterHint : 0
; COMPUTE_PGM_RSRC2:SCRATCH_EN: 0
; COMPUTE_PGM_RSRC2:USER_SGPR: 6
; COMPUTE_PGM_RSRC2:TRAP_HANDLER: 0
; COMPUTE_PGM_RSRC2:TGID_X_EN: 1
; COMPUTE_PGM_RSRC2:TGID_Y_EN: 0
; COMPUTE_PGM_RSRC2:TGID_Z_EN: 0
; COMPUTE_PGM_RSRC2:TIDIG_COMP_CNT: 0
	.section	.text._ZN7rocprim17ROCPRIM_400000_NS6detail17trampoline_kernelINS0_14default_configENS1_29binary_search_config_selectorItiEEZNS1_14transform_implILb0ES3_S5_N6thrust23THRUST_200600_302600_NS6detail15normal_iteratorINS8_7pointerItNS8_11hip_rocprim5par_tENS8_11use_defaultESE_EEEENSA_INSB_IiSD_SE_SE_EEEEZNS1_13binary_searchIS3_S5_NSA_INS8_10device_ptrItEEEESG_SI_NS1_16binary_search_opENS9_16wrapped_functionINS8_6system6detail7generic6detail18binary_search_lessEbEEEE10hipError_tPvRmT1_T2_T3_mmT4_T5_P12ihipStream_tbEUlRKtE_EESV_SZ_S10_mS11_S14_bEUlT_E_NS1_11comp_targetILNS1_3genE10ELNS1_11target_archE1200ELNS1_3gpuE4ELNS1_3repE0EEENS1_30default_config_static_selectorELNS0_4arch9wavefront6targetE1EEEvSY_,"axG",@progbits,_ZN7rocprim17ROCPRIM_400000_NS6detail17trampoline_kernelINS0_14default_configENS1_29binary_search_config_selectorItiEEZNS1_14transform_implILb0ES3_S5_N6thrust23THRUST_200600_302600_NS6detail15normal_iteratorINS8_7pointerItNS8_11hip_rocprim5par_tENS8_11use_defaultESE_EEEENSA_INSB_IiSD_SE_SE_EEEEZNS1_13binary_searchIS3_S5_NSA_INS8_10device_ptrItEEEESG_SI_NS1_16binary_search_opENS9_16wrapped_functionINS8_6system6detail7generic6detail18binary_search_lessEbEEEE10hipError_tPvRmT1_T2_T3_mmT4_T5_P12ihipStream_tbEUlRKtE_EESV_SZ_S10_mS11_S14_bEUlT_E_NS1_11comp_targetILNS1_3genE10ELNS1_11target_archE1200ELNS1_3gpuE4ELNS1_3repE0EEENS1_30default_config_static_selectorELNS0_4arch9wavefront6targetE1EEEvSY_,comdat
	.protected	_ZN7rocprim17ROCPRIM_400000_NS6detail17trampoline_kernelINS0_14default_configENS1_29binary_search_config_selectorItiEEZNS1_14transform_implILb0ES3_S5_N6thrust23THRUST_200600_302600_NS6detail15normal_iteratorINS8_7pointerItNS8_11hip_rocprim5par_tENS8_11use_defaultESE_EEEENSA_INSB_IiSD_SE_SE_EEEEZNS1_13binary_searchIS3_S5_NSA_INS8_10device_ptrItEEEESG_SI_NS1_16binary_search_opENS9_16wrapped_functionINS8_6system6detail7generic6detail18binary_search_lessEbEEEE10hipError_tPvRmT1_T2_T3_mmT4_T5_P12ihipStream_tbEUlRKtE_EESV_SZ_S10_mS11_S14_bEUlT_E_NS1_11comp_targetILNS1_3genE10ELNS1_11target_archE1200ELNS1_3gpuE4ELNS1_3repE0EEENS1_30default_config_static_selectorELNS0_4arch9wavefront6targetE1EEEvSY_ ; -- Begin function _ZN7rocprim17ROCPRIM_400000_NS6detail17trampoline_kernelINS0_14default_configENS1_29binary_search_config_selectorItiEEZNS1_14transform_implILb0ES3_S5_N6thrust23THRUST_200600_302600_NS6detail15normal_iteratorINS8_7pointerItNS8_11hip_rocprim5par_tENS8_11use_defaultESE_EEEENSA_INSB_IiSD_SE_SE_EEEEZNS1_13binary_searchIS3_S5_NSA_INS8_10device_ptrItEEEESG_SI_NS1_16binary_search_opENS9_16wrapped_functionINS8_6system6detail7generic6detail18binary_search_lessEbEEEE10hipError_tPvRmT1_T2_T3_mmT4_T5_P12ihipStream_tbEUlRKtE_EESV_SZ_S10_mS11_S14_bEUlT_E_NS1_11comp_targetILNS1_3genE10ELNS1_11target_archE1200ELNS1_3gpuE4ELNS1_3repE0EEENS1_30default_config_static_selectorELNS0_4arch9wavefront6targetE1EEEvSY_
	.globl	_ZN7rocprim17ROCPRIM_400000_NS6detail17trampoline_kernelINS0_14default_configENS1_29binary_search_config_selectorItiEEZNS1_14transform_implILb0ES3_S5_N6thrust23THRUST_200600_302600_NS6detail15normal_iteratorINS8_7pointerItNS8_11hip_rocprim5par_tENS8_11use_defaultESE_EEEENSA_INSB_IiSD_SE_SE_EEEEZNS1_13binary_searchIS3_S5_NSA_INS8_10device_ptrItEEEESG_SI_NS1_16binary_search_opENS9_16wrapped_functionINS8_6system6detail7generic6detail18binary_search_lessEbEEEE10hipError_tPvRmT1_T2_T3_mmT4_T5_P12ihipStream_tbEUlRKtE_EESV_SZ_S10_mS11_S14_bEUlT_E_NS1_11comp_targetILNS1_3genE10ELNS1_11target_archE1200ELNS1_3gpuE4ELNS1_3repE0EEENS1_30default_config_static_selectorELNS0_4arch9wavefront6targetE1EEEvSY_
	.p2align	8
	.type	_ZN7rocprim17ROCPRIM_400000_NS6detail17trampoline_kernelINS0_14default_configENS1_29binary_search_config_selectorItiEEZNS1_14transform_implILb0ES3_S5_N6thrust23THRUST_200600_302600_NS6detail15normal_iteratorINS8_7pointerItNS8_11hip_rocprim5par_tENS8_11use_defaultESE_EEEENSA_INSB_IiSD_SE_SE_EEEEZNS1_13binary_searchIS3_S5_NSA_INS8_10device_ptrItEEEESG_SI_NS1_16binary_search_opENS9_16wrapped_functionINS8_6system6detail7generic6detail18binary_search_lessEbEEEE10hipError_tPvRmT1_T2_T3_mmT4_T5_P12ihipStream_tbEUlRKtE_EESV_SZ_S10_mS11_S14_bEUlT_E_NS1_11comp_targetILNS1_3genE10ELNS1_11target_archE1200ELNS1_3gpuE4ELNS1_3repE0EEENS1_30default_config_static_selectorELNS0_4arch9wavefront6targetE1EEEvSY_,@function
_ZN7rocprim17ROCPRIM_400000_NS6detail17trampoline_kernelINS0_14default_configENS1_29binary_search_config_selectorItiEEZNS1_14transform_implILb0ES3_S5_N6thrust23THRUST_200600_302600_NS6detail15normal_iteratorINS8_7pointerItNS8_11hip_rocprim5par_tENS8_11use_defaultESE_EEEENSA_INSB_IiSD_SE_SE_EEEEZNS1_13binary_searchIS3_S5_NSA_INS8_10device_ptrItEEEESG_SI_NS1_16binary_search_opENS9_16wrapped_functionINS8_6system6detail7generic6detail18binary_search_lessEbEEEE10hipError_tPvRmT1_T2_T3_mmT4_T5_P12ihipStream_tbEUlRKtE_EESV_SZ_S10_mS11_S14_bEUlT_E_NS1_11comp_targetILNS1_3genE10ELNS1_11target_archE1200ELNS1_3gpuE4ELNS1_3repE0EEENS1_30default_config_static_selectorELNS0_4arch9wavefront6targetE1EEEvSY_: ; @_ZN7rocprim17ROCPRIM_400000_NS6detail17trampoline_kernelINS0_14default_configENS1_29binary_search_config_selectorItiEEZNS1_14transform_implILb0ES3_S5_N6thrust23THRUST_200600_302600_NS6detail15normal_iteratorINS8_7pointerItNS8_11hip_rocprim5par_tENS8_11use_defaultESE_EEEENSA_INSB_IiSD_SE_SE_EEEEZNS1_13binary_searchIS3_S5_NSA_INS8_10device_ptrItEEEESG_SI_NS1_16binary_search_opENS9_16wrapped_functionINS8_6system6detail7generic6detail18binary_search_lessEbEEEE10hipError_tPvRmT1_T2_T3_mmT4_T5_P12ihipStream_tbEUlRKtE_EESV_SZ_S10_mS11_S14_bEUlT_E_NS1_11comp_targetILNS1_3genE10ELNS1_11target_archE1200ELNS1_3gpuE4ELNS1_3repE0EEENS1_30default_config_static_selectorELNS0_4arch9wavefront6targetE1EEEvSY_
; %bb.0:
	.section	.rodata,"a",@progbits
	.p2align	6, 0x0
	.amdhsa_kernel _ZN7rocprim17ROCPRIM_400000_NS6detail17trampoline_kernelINS0_14default_configENS1_29binary_search_config_selectorItiEEZNS1_14transform_implILb0ES3_S5_N6thrust23THRUST_200600_302600_NS6detail15normal_iteratorINS8_7pointerItNS8_11hip_rocprim5par_tENS8_11use_defaultESE_EEEENSA_INSB_IiSD_SE_SE_EEEEZNS1_13binary_searchIS3_S5_NSA_INS8_10device_ptrItEEEESG_SI_NS1_16binary_search_opENS9_16wrapped_functionINS8_6system6detail7generic6detail18binary_search_lessEbEEEE10hipError_tPvRmT1_T2_T3_mmT4_T5_P12ihipStream_tbEUlRKtE_EESV_SZ_S10_mS11_S14_bEUlT_E_NS1_11comp_targetILNS1_3genE10ELNS1_11target_archE1200ELNS1_3gpuE4ELNS1_3repE0EEENS1_30default_config_static_selectorELNS0_4arch9wavefront6targetE1EEEvSY_
		.amdhsa_group_segment_fixed_size 0
		.amdhsa_private_segment_fixed_size 0
		.amdhsa_kernarg_size 56
		.amdhsa_user_sgpr_count 6
		.amdhsa_user_sgpr_private_segment_buffer 1
		.amdhsa_user_sgpr_dispatch_ptr 0
		.amdhsa_user_sgpr_queue_ptr 0
		.amdhsa_user_sgpr_kernarg_segment_ptr 1
		.amdhsa_user_sgpr_dispatch_id 0
		.amdhsa_user_sgpr_flat_scratch_init 0
		.amdhsa_user_sgpr_private_segment_size 0
		.amdhsa_uses_dynamic_stack 0
		.amdhsa_system_sgpr_private_segment_wavefront_offset 0
		.amdhsa_system_sgpr_workgroup_id_x 1
		.amdhsa_system_sgpr_workgroup_id_y 0
		.amdhsa_system_sgpr_workgroup_id_z 0
		.amdhsa_system_sgpr_workgroup_info 0
		.amdhsa_system_vgpr_workitem_id 0
		.amdhsa_next_free_vgpr 1
		.amdhsa_next_free_sgpr 0
		.amdhsa_reserve_vcc 0
		.amdhsa_reserve_flat_scratch 0
		.amdhsa_float_round_mode_32 0
		.amdhsa_float_round_mode_16_64 0
		.amdhsa_float_denorm_mode_32 3
		.amdhsa_float_denorm_mode_16_64 3
		.amdhsa_dx10_clamp 1
		.amdhsa_ieee_mode 1
		.amdhsa_fp16_overflow 0
		.amdhsa_exception_fp_ieee_invalid_op 0
		.amdhsa_exception_fp_denorm_src 0
		.amdhsa_exception_fp_ieee_div_zero 0
		.amdhsa_exception_fp_ieee_overflow 0
		.amdhsa_exception_fp_ieee_underflow 0
		.amdhsa_exception_fp_ieee_inexact 0
		.amdhsa_exception_int_div_zero 0
	.end_amdhsa_kernel
	.section	.text._ZN7rocprim17ROCPRIM_400000_NS6detail17trampoline_kernelINS0_14default_configENS1_29binary_search_config_selectorItiEEZNS1_14transform_implILb0ES3_S5_N6thrust23THRUST_200600_302600_NS6detail15normal_iteratorINS8_7pointerItNS8_11hip_rocprim5par_tENS8_11use_defaultESE_EEEENSA_INSB_IiSD_SE_SE_EEEEZNS1_13binary_searchIS3_S5_NSA_INS8_10device_ptrItEEEESG_SI_NS1_16binary_search_opENS9_16wrapped_functionINS8_6system6detail7generic6detail18binary_search_lessEbEEEE10hipError_tPvRmT1_T2_T3_mmT4_T5_P12ihipStream_tbEUlRKtE_EESV_SZ_S10_mS11_S14_bEUlT_E_NS1_11comp_targetILNS1_3genE10ELNS1_11target_archE1200ELNS1_3gpuE4ELNS1_3repE0EEENS1_30default_config_static_selectorELNS0_4arch9wavefront6targetE1EEEvSY_,"axG",@progbits,_ZN7rocprim17ROCPRIM_400000_NS6detail17trampoline_kernelINS0_14default_configENS1_29binary_search_config_selectorItiEEZNS1_14transform_implILb0ES3_S5_N6thrust23THRUST_200600_302600_NS6detail15normal_iteratorINS8_7pointerItNS8_11hip_rocprim5par_tENS8_11use_defaultESE_EEEENSA_INSB_IiSD_SE_SE_EEEEZNS1_13binary_searchIS3_S5_NSA_INS8_10device_ptrItEEEESG_SI_NS1_16binary_search_opENS9_16wrapped_functionINS8_6system6detail7generic6detail18binary_search_lessEbEEEE10hipError_tPvRmT1_T2_T3_mmT4_T5_P12ihipStream_tbEUlRKtE_EESV_SZ_S10_mS11_S14_bEUlT_E_NS1_11comp_targetILNS1_3genE10ELNS1_11target_archE1200ELNS1_3gpuE4ELNS1_3repE0EEENS1_30default_config_static_selectorELNS0_4arch9wavefront6targetE1EEEvSY_,comdat
.Lfunc_end686:
	.size	_ZN7rocprim17ROCPRIM_400000_NS6detail17trampoline_kernelINS0_14default_configENS1_29binary_search_config_selectorItiEEZNS1_14transform_implILb0ES3_S5_N6thrust23THRUST_200600_302600_NS6detail15normal_iteratorINS8_7pointerItNS8_11hip_rocprim5par_tENS8_11use_defaultESE_EEEENSA_INSB_IiSD_SE_SE_EEEEZNS1_13binary_searchIS3_S5_NSA_INS8_10device_ptrItEEEESG_SI_NS1_16binary_search_opENS9_16wrapped_functionINS8_6system6detail7generic6detail18binary_search_lessEbEEEE10hipError_tPvRmT1_T2_T3_mmT4_T5_P12ihipStream_tbEUlRKtE_EESV_SZ_S10_mS11_S14_bEUlT_E_NS1_11comp_targetILNS1_3genE10ELNS1_11target_archE1200ELNS1_3gpuE4ELNS1_3repE0EEENS1_30default_config_static_selectorELNS0_4arch9wavefront6targetE1EEEvSY_, .Lfunc_end686-_ZN7rocprim17ROCPRIM_400000_NS6detail17trampoline_kernelINS0_14default_configENS1_29binary_search_config_selectorItiEEZNS1_14transform_implILb0ES3_S5_N6thrust23THRUST_200600_302600_NS6detail15normal_iteratorINS8_7pointerItNS8_11hip_rocprim5par_tENS8_11use_defaultESE_EEEENSA_INSB_IiSD_SE_SE_EEEEZNS1_13binary_searchIS3_S5_NSA_INS8_10device_ptrItEEEESG_SI_NS1_16binary_search_opENS9_16wrapped_functionINS8_6system6detail7generic6detail18binary_search_lessEbEEEE10hipError_tPvRmT1_T2_T3_mmT4_T5_P12ihipStream_tbEUlRKtE_EESV_SZ_S10_mS11_S14_bEUlT_E_NS1_11comp_targetILNS1_3genE10ELNS1_11target_archE1200ELNS1_3gpuE4ELNS1_3repE0EEENS1_30default_config_static_selectorELNS0_4arch9wavefront6targetE1EEEvSY_
                                        ; -- End function
	.set _ZN7rocprim17ROCPRIM_400000_NS6detail17trampoline_kernelINS0_14default_configENS1_29binary_search_config_selectorItiEEZNS1_14transform_implILb0ES3_S5_N6thrust23THRUST_200600_302600_NS6detail15normal_iteratorINS8_7pointerItNS8_11hip_rocprim5par_tENS8_11use_defaultESE_EEEENSA_INSB_IiSD_SE_SE_EEEEZNS1_13binary_searchIS3_S5_NSA_INS8_10device_ptrItEEEESG_SI_NS1_16binary_search_opENS9_16wrapped_functionINS8_6system6detail7generic6detail18binary_search_lessEbEEEE10hipError_tPvRmT1_T2_T3_mmT4_T5_P12ihipStream_tbEUlRKtE_EESV_SZ_S10_mS11_S14_bEUlT_E_NS1_11comp_targetILNS1_3genE10ELNS1_11target_archE1200ELNS1_3gpuE4ELNS1_3repE0EEENS1_30default_config_static_selectorELNS0_4arch9wavefront6targetE1EEEvSY_.num_vgpr, 0
	.set _ZN7rocprim17ROCPRIM_400000_NS6detail17trampoline_kernelINS0_14default_configENS1_29binary_search_config_selectorItiEEZNS1_14transform_implILb0ES3_S5_N6thrust23THRUST_200600_302600_NS6detail15normal_iteratorINS8_7pointerItNS8_11hip_rocprim5par_tENS8_11use_defaultESE_EEEENSA_INSB_IiSD_SE_SE_EEEEZNS1_13binary_searchIS3_S5_NSA_INS8_10device_ptrItEEEESG_SI_NS1_16binary_search_opENS9_16wrapped_functionINS8_6system6detail7generic6detail18binary_search_lessEbEEEE10hipError_tPvRmT1_T2_T3_mmT4_T5_P12ihipStream_tbEUlRKtE_EESV_SZ_S10_mS11_S14_bEUlT_E_NS1_11comp_targetILNS1_3genE10ELNS1_11target_archE1200ELNS1_3gpuE4ELNS1_3repE0EEENS1_30default_config_static_selectorELNS0_4arch9wavefront6targetE1EEEvSY_.num_agpr, 0
	.set _ZN7rocprim17ROCPRIM_400000_NS6detail17trampoline_kernelINS0_14default_configENS1_29binary_search_config_selectorItiEEZNS1_14transform_implILb0ES3_S5_N6thrust23THRUST_200600_302600_NS6detail15normal_iteratorINS8_7pointerItNS8_11hip_rocprim5par_tENS8_11use_defaultESE_EEEENSA_INSB_IiSD_SE_SE_EEEEZNS1_13binary_searchIS3_S5_NSA_INS8_10device_ptrItEEEESG_SI_NS1_16binary_search_opENS9_16wrapped_functionINS8_6system6detail7generic6detail18binary_search_lessEbEEEE10hipError_tPvRmT1_T2_T3_mmT4_T5_P12ihipStream_tbEUlRKtE_EESV_SZ_S10_mS11_S14_bEUlT_E_NS1_11comp_targetILNS1_3genE10ELNS1_11target_archE1200ELNS1_3gpuE4ELNS1_3repE0EEENS1_30default_config_static_selectorELNS0_4arch9wavefront6targetE1EEEvSY_.numbered_sgpr, 0
	.set _ZN7rocprim17ROCPRIM_400000_NS6detail17trampoline_kernelINS0_14default_configENS1_29binary_search_config_selectorItiEEZNS1_14transform_implILb0ES3_S5_N6thrust23THRUST_200600_302600_NS6detail15normal_iteratorINS8_7pointerItNS8_11hip_rocprim5par_tENS8_11use_defaultESE_EEEENSA_INSB_IiSD_SE_SE_EEEEZNS1_13binary_searchIS3_S5_NSA_INS8_10device_ptrItEEEESG_SI_NS1_16binary_search_opENS9_16wrapped_functionINS8_6system6detail7generic6detail18binary_search_lessEbEEEE10hipError_tPvRmT1_T2_T3_mmT4_T5_P12ihipStream_tbEUlRKtE_EESV_SZ_S10_mS11_S14_bEUlT_E_NS1_11comp_targetILNS1_3genE10ELNS1_11target_archE1200ELNS1_3gpuE4ELNS1_3repE0EEENS1_30default_config_static_selectorELNS0_4arch9wavefront6targetE1EEEvSY_.num_named_barrier, 0
	.set _ZN7rocprim17ROCPRIM_400000_NS6detail17trampoline_kernelINS0_14default_configENS1_29binary_search_config_selectorItiEEZNS1_14transform_implILb0ES3_S5_N6thrust23THRUST_200600_302600_NS6detail15normal_iteratorINS8_7pointerItNS8_11hip_rocprim5par_tENS8_11use_defaultESE_EEEENSA_INSB_IiSD_SE_SE_EEEEZNS1_13binary_searchIS3_S5_NSA_INS8_10device_ptrItEEEESG_SI_NS1_16binary_search_opENS9_16wrapped_functionINS8_6system6detail7generic6detail18binary_search_lessEbEEEE10hipError_tPvRmT1_T2_T3_mmT4_T5_P12ihipStream_tbEUlRKtE_EESV_SZ_S10_mS11_S14_bEUlT_E_NS1_11comp_targetILNS1_3genE10ELNS1_11target_archE1200ELNS1_3gpuE4ELNS1_3repE0EEENS1_30default_config_static_selectorELNS0_4arch9wavefront6targetE1EEEvSY_.private_seg_size, 0
	.set _ZN7rocprim17ROCPRIM_400000_NS6detail17trampoline_kernelINS0_14default_configENS1_29binary_search_config_selectorItiEEZNS1_14transform_implILb0ES3_S5_N6thrust23THRUST_200600_302600_NS6detail15normal_iteratorINS8_7pointerItNS8_11hip_rocprim5par_tENS8_11use_defaultESE_EEEENSA_INSB_IiSD_SE_SE_EEEEZNS1_13binary_searchIS3_S5_NSA_INS8_10device_ptrItEEEESG_SI_NS1_16binary_search_opENS9_16wrapped_functionINS8_6system6detail7generic6detail18binary_search_lessEbEEEE10hipError_tPvRmT1_T2_T3_mmT4_T5_P12ihipStream_tbEUlRKtE_EESV_SZ_S10_mS11_S14_bEUlT_E_NS1_11comp_targetILNS1_3genE10ELNS1_11target_archE1200ELNS1_3gpuE4ELNS1_3repE0EEENS1_30default_config_static_selectorELNS0_4arch9wavefront6targetE1EEEvSY_.uses_vcc, 0
	.set _ZN7rocprim17ROCPRIM_400000_NS6detail17trampoline_kernelINS0_14default_configENS1_29binary_search_config_selectorItiEEZNS1_14transform_implILb0ES3_S5_N6thrust23THRUST_200600_302600_NS6detail15normal_iteratorINS8_7pointerItNS8_11hip_rocprim5par_tENS8_11use_defaultESE_EEEENSA_INSB_IiSD_SE_SE_EEEEZNS1_13binary_searchIS3_S5_NSA_INS8_10device_ptrItEEEESG_SI_NS1_16binary_search_opENS9_16wrapped_functionINS8_6system6detail7generic6detail18binary_search_lessEbEEEE10hipError_tPvRmT1_T2_T3_mmT4_T5_P12ihipStream_tbEUlRKtE_EESV_SZ_S10_mS11_S14_bEUlT_E_NS1_11comp_targetILNS1_3genE10ELNS1_11target_archE1200ELNS1_3gpuE4ELNS1_3repE0EEENS1_30default_config_static_selectorELNS0_4arch9wavefront6targetE1EEEvSY_.uses_flat_scratch, 0
	.set _ZN7rocprim17ROCPRIM_400000_NS6detail17trampoline_kernelINS0_14default_configENS1_29binary_search_config_selectorItiEEZNS1_14transform_implILb0ES3_S5_N6thrust23THRUST_200600_302600_NS6detail15normal_iteratorINS8_7pointerItNS8_11hip_rocprim5par_tENS8_11use_defaultESE_EEEENSA_INSB_IiSD_SE_SE_EEEEZNS1_13binary_searchIS3_S5_NSA_INS8_10device_ptrItEEEESG_SI_NS1_16binary_search_opENS9_16wrapped_functionINS8_6system6detail7generic6detail18binary_search_lessEbEEEE10hipError_tPvRmT1_T2_T3_mmT4_T5_P12ihipStream_tbEUlRKtE_EESV_SZ_S10_mS11_S14_bEUlT_E_NS1_11comp_targetILNS1_3genE10ELNS1_11target_archE1200ELNS1_3gpuE4ELNS1_3repE0EEENS1_30default_config_static_selectorELNS0_4arch9wavefront6targetE1EEEvSY_.has_dyn_sized_stack, 0
	.set _ZN7rocprim17ROCPRIM_400000_NS6detail17trampoline_kernelINS0_14default_configENS1_29binary_search_config_selectorItiEEZNS1_14transform_implILb0ES3_S5_N6thrust23THRUST_200600_302600_NS6detail15normal_iteratorINS8_7pointerItNS8_11hip_rocprim5par_tENS8_11use_defaultESE_EEEENSA_INSB_IiSD_SE_SE_EEEEZNS1_13binary_searchIS3_S5_NSA_INS8_10device_ptrItEEEESG_SI_NS1_16binary_search_opENS9_16wrapped_functionINS8_6system6detail7generic6detail18binary_search_lessEbEEEE10hipError_tPvRmT1_T2_T3_mmT4_T5_P12ihipStream_tbEUlRKtE_EESV_SZ_S10_mS11_S14_bEUlT_E_NS1_11comp_targetILNS1_3genE10ELNS1_11target_archE1200ELNS1_3gpuE4ELNS1_3repE0EEENS1_30default_config_static_selectorELNS0_4arch9wavefront6targetE1EEEvSY_.has_recursion, 0
	.set _ZN7rocprim17ROCPRIM_400000_NS6detail17trampoline_kernelINS0_14default_configENS1_29binary_search_config_selectorItiEEZNS1_14transform_implILb0ES3_S5_N6thrust23THRUST_200600_302600_NS6detail15normal_iteratorINS8_7pointerItNS8_11hip_rocprim5par_tENS8_11use_defaultESE_EEEENSA_INSB_IiSD_SE_SE_EEEEZNS1_13binary_searchIS3_S5_NSA_INS8_10device_ptrItEEEESG_SI_NS1_16binary_search_opENS9_16wrapped_functionINS8_6system6detail7generic6detail18binary_search_lessEbEEEE10hipError_tPvRmT1_T2_T3_mmT4_T5_P12ihipStream_tbEUlRKtE_EESV_SZ_S10_mS11_S14_bEUlT_E_NS1_11comp_targetILNS1_3genE10ELNS1_11target_archE1200ELNS1_3gpuE4ELNS1_3repE0EEENS1_30default_config_static_selectorELNS0_4arch9wavefront6targetE1EEEvSY_.has_indirect_call, 0
	.section	.AMDGPU.csdata,"",@progbits
; Kernel info:
; codeLenInByte = 0
; TotalNumSgprs: 4
; NumVgprs: 0
; ScratchSize: 0
; MemoryBound: 0
; FloatMode: 240
; IeeeMode: 1
; LDSByteSize: 0 bytes/workgroup (compile time only)
; SGPRBlocks: 0
; VGPRBlocks: 0
; NumSGPRsForWavesPerEU: 4
; NumVGPRsForWavesPerEU: 1
; Occupancy: 10
; WaveLimiterHint : 0
; COMPUTE_PGM_RSRC2:SCRATCH_EN: 0
; COMPUTE_PGM_RSRC2:USER_SGPR: 6
; COMPUTE_PGM_RSRC2:TRAP_HANDLER: 0
; COMPUTE_PGM_RSRC2:TGID_X_EN: 1
; COMPUTE_PGM_RSRC2:TGID_Y_EN: 0
; COMPUTE_PGM_RSRC2:TGID_Z_EN: 0
; COMPUTE_PGM_RSRC2:TIDIG_COMP_CNT: 0
	.section	.text._ZN7rocprim17ROCPRIM_400000_NS6detail17trampoline_kernelINS0_14default_configENS1_29binary_search_config_selectorItiEEZNS1_14transform_implILb0ES3_S5_N6thrust23THRUST_200600_302600_NS6detail15normal_iteratorINS8_7pointerItNS8_11hip_rocprim5par_tENS8_11use_defaultESE_EEEENSA_INSB_IiSD_SE_SE_EEEEZNS1_13binary_searchIS3_S5_NSA_INS8_10device_ptrItEEEESG_SI_NS1_16binary_search_opENS9_16wrapped_functionINS8_6system6detail7generic6detail18binary_search_lessEbEEEE10hipError_tPvRmT1_T2_T3_mmT4_T5_P12ihipStream_tbEUlRKtE_EESV_SZ_S10_mS11_S14_bEUlT_E_NS1_11comp_targetILNS1_3genE9ELNS1_11target_archE1100ELNS1_3gpuE3ELNS1_3repE0EEENS1_30default_config_static_selectorELNS0_4arch9wavefront6targetE1EEEvSY_,"axG",@progbits,_ZN7rocprim17ROCPRIM_400000_NS6detail17trampoline_kernelINS0_14default_configENS1_29binary_search_config_selectorItiEEZNS1_14transform_implILb0ES3_S5_N6thrust23THRUST_200600_302600_NS6detail15normal_iteratorINS8_7pointerItNS8_11hip_rocprim5par_tENS8_11use_defaultESE_EEEENSA_INSB_IiSD_SE_SE_EEEEZNS1_13binary_searchIS3_S5_NSA_INS8_10device_ptrItEEEESG_SI_NS1_16binary_search_opENS9_16wrapped_functionINS8_6system6detail7generic6detail18binary_search_lessEbEEEE10hipError_tPvRmT1_T2_T3_mmT4_T5_P12ihipStream_tbEUlRKtE_EESV_SZ_S10_mS11_S14_bEUlT_E_NS1_11comp_targetILNS1_3genE9ELNS1_11target_archE1100ELNS1_3gpuE3ELNS1_3repE0EEENS1_30default_config_static_selectorELNS0_4arch9wavefront6targetE1EEEvSY_,comdat
	.protected	_ZN7rocprim17ROCPRIM_400000_NS6detail17trampoline_kernelINS0_14default_configENS1_29binary_search_config_selectorItiEEZNS1_14transform_implILb0ES3_S5_N6thrust23THRUST_200600_302600_NS6detail15normal_iteratorINS8_7pointerItNS8_11hip_rocprim5par_tENS8_11use_defaultESE_EEEENSA_INSB_IiSD_SE_SE_EEEEZNS1_13binary_searchIS3_S5_NSA_INS8_10device_ptrItEEEESG_SI_NS1_16binary_search_opENS9_16wrapped_functionINS8_6system6detail7generic6detail18binary_search_lessEbEEEE10hipError_tPvRmT1_T2_T3_mmT4_T5_P12ihipStream_tbEUlRKtE_EESV_SZ_S10_mS11_S14_bEUlT_E_NS1_11comp_targetILNS1_3genE9ELNS1_11target_archE1100ELNS1_3gpuE3ELNS1_3repE0EEENS1_30default_config_static_selectorELNS0_4arch9wavefront6targetE1EEEvSY_ ; -- Begin function _ZN7rocprim17ROCPRIM_400000_NS6detail17trampoline_kernelINS0_14default_configENS1_29binary_search_config_selectorItiEEZNS1_14transform_implILb0ES3_S5_N6thrust23THRUST_200600_302600_NS6detail15normal_iteratorINS8_7pointerItNS8_11hip_rocprim5par_tENS8_11use_defaultESE_EEEENSA_INSB_IiSD_SE_SE_EEEEZNS1_13binary_searchIS3_S5_NSA_INS8_10device_ptrItEEEESG_SI_NS1_16binary_search_opENS9_16wrapped_functionINS8_6system6detail7generic6detail18binary_search_lessEbEEEE10hipError_tPvRmT1_T2_T3_mmT4_T5_P12ihipStream_tbEUlRKtE_EESV_SZ_S10_mS11_S14_bEUlT_E_NS1_11comp_targetILNS1_3genE9ELNS1_11target_archE1100ELNS1_3gpuE3ELNS1_3repE0EEENS1_30default_config_static_selectorELNS0_4arch9wavefront6targetE1EEEvSY_
	.globl	_ZN7rocprim17ROCPRIM_400000_NS6detail17trampoline_kernelINS0_14default_configENS1_29binary_search_config_selectorItiEEZNS1_14transform_implILb0ES3_S5_N6thrust23THRUST_200600_302600_NS6detail15normal_iteratorINS8_7pointerItNS8_11hip_rocprim5par_tENS8_11use_defaultESE_EEEENSA_INSB_IiSD_SE_SE_EEEEZNS1_13binary_searchIS3_S5_NSA_INS8_10device_ptrItEEEESG_SI_NS1_16binary_search_opENS9_16wrapped_functionINS8_6system6detail7generic6detail18binary_search_lessEbEEEE10hipError_tPvRmT1_T2_T3_mmT4_T5_P12ihipStream_tbEUlRKtE_EESV_SZ_S10_mS11_S14_bEUlT_E_NS1_11comp_targetILNS1_3genE9ELNS1_11target_archE1100ELNS1_3gpuE3ELNS1_3repE0EEENS1_30default_config_static_selectorELNS0_4arch9wavefront6targetE1EEEvSY_
	.p2align	8
	.type	_ZN7rocprim17ROCPRIM_400000_NS6detail17trampoline_kernelINS0_14default_configENS1_29binary_search_config_selectorItiEEZNS1_14transform_implILb0ES3_S5_N6thrust23THRUST_200600_302600_NS6detail15normal_iteratorINS8_7pointerItNS8_11hip_rocprim5par_tENS8_11use_defaultESE_EEEENSA_INSB_IiSD_SE_SE_EEEEZNS1_13binary_searchIS3_S5_NSA_INS8_10device_ptrItEEEESG_SI_NS1_16binary_search_opENS9_16wrapped_functionINS8_6system6detail7generic6detail18binary_search_lessEbEEEE10hipError_tPvRmT1_T2_T3_mmT4_T5_P12ihipStream_tbEUlRKtE_EESV_SZ_S10_mS11_S14_bEUlT_E_NS1_11comp_targetILNS1_3genE9ELNS1_11target_archE1100ELNS1_3gpuE3ELNS1_3repE0EEENS1_30default_config_static_selectorELNS0_4arch9wavefront6targetE1EEEvSY_,@function
_ZN7rocprim17ROCPRIM_400000_NS6detail17trampoline_kernelINS0_14default_configENS1_29binary_search_config_selectorItiEEZNS1_14transform_implILb0ES3_S5_N6thrust23THRUST_200600_302600_NS6detail15normal_iteratorINS8_7pointerItNS8_11hip_rocprim5par_tENS8_11use_defaultESE_EEEENSA_INSB_IiSD_SE_SE_EEEEZNS1_13binary_searchIS3_S5_NSA_INS8_10device_ptrItEEEESG_SI_NS1_16binary_search_opENS9_16wrapped_functionINS8_6system6detail7generic6detail18binary_search_lessEbEEEE10hipError_tPvRmT1_T2_T3_mmT4_T5_P12ihipStream_tbEUlRKtE_EESV_SZ_S10_mS11_S14_bEUlT_E_NS1_11comp_targetILNS1_3genE9ELNS1_11target_archE1100ELNS1_3gpuE3ELNS1_3repE0EEENS1_30default_config_static_selectorELNS0_4arch9wavefront6targetE1EEEvSY_: ; @_ZN7rocprim17ROCPRIM_400000_NS6detail17trampoline_kernelINS0_14default_configENS1_29binary_search_config_selectorItiEEZNS1_14transform_implILb0ES3_S5_N6thrust23THRUST_200600_302600_NS6detail15normal_iteratorINS8_7pointerItNS8_11hip_rocprim5par_tENS8_11use_defaultESE_EEEENSA_INSB_IiSD_SE_SE_EEEEZNS1_13binary_searchIS3_S5_NSA_INS8_10device_ptrItEEEESG_SI_NS1_16binary_search_opENS9_16wrapped_functionINS8_6system6detail7generic6detail18binary_search_lessEbEEEE10hipError_tPvRmT1_T2_T3_mmT4_T5_P12ihipStream_tbEUlRKtE_EESV_SZ_S10_mS11_S14_bEUlT_E_NS1_11comp_targetILNS1_3genE9ELNS1_11target_archE1100ELNS1_3gpuE3ELNS1_3repE0EEENS1_30default_config_static_selectorELNS0_4arch9wavefront6targetE1EEEvSY_
; %bb.0:
	.section	.rodata,"a",@progbits
	.p2align	6, 0x0
	.amdhsa_kernel _ZN7rocprim17ROCPRIM_400000_NS6detail17trampoline_kernelINS0_14default_configENS1_29binary_search_config_selectorItiEEZNS1_14transform_implILb0ES3_S5_N6thrust23THRUST_200600_302600_NS6detail15normal_iteratorINS8_7pointerItNS8_11hip_rocprim5par_tENS8_11use_defaultESE_EEEENSA_INSB_IiSD_SE_SE_EEEEZNS1_13binary_searchIS3_S5_NSA_INS8_10device_ptrItEEEESG_SI_NS1_16binary_search_opENS9_16wrapped_functionINS8_6system6detail7generic6detail18binary_search_lessEbEEEE10hipError_tPvRmT1_T2_T3_mmT4_T5_P12ihipStream_tbEUlRKtE_EESV_SZ_S10_mS11_S14_bEUlT_E_NS1_11comp_targetILNS1_3genE9ELNS1_11target_archE1100ELNS1_3gpuE3ELNS1_3repE0EEENS1_30default_config_static_selectorELNS0_4arch9wavefront6targetE1EEEvSY_
		.amdhsa_group_segment_fixed_size 0
		.amdhsa_private_segment_fixed_size 0
		.amdhsa_kernarg_size 56
		.amdhsa_user_sgpr_count 6
		.amdhsa_user_sgpr_private_segment_buffer 1
		.amdhsa_user_sgpr_dispatch_ptr 0
		.amdhsa_user_sgpr_queue_ptr 0
		.amdhsa_user_sgpr_kernarg_segment_ptr 1
		.amdhsa_user_sgpr_dispatch_id 0
		.amdhsa_user_sgpr_flat_scratch_init 0
		.amdhsa_user_sgpr_private_segment_size 0
		.amdhsa_uses_dynamic_stack 0
		.amdhsa_system_sgpr_private_segment_wavefront_offset 0
		.amdhsa_system_sgpr_workgroup_id_x 1
		.amdhsa_system_sgpr_workgroup_id_y 0
		.amdhsa_system_sgpr_workgroup_id_z 0
		.amdhsa_system_sgpr_workgroup_info 0
		.amdhsa_system_vgpr_workitem_id 0
		.amdhsa_next_free_vgpr 1
		.amdhsa_next_free_sgpr 0
		.amdhsa_reserve_vcc 0
		.amdhsa_reserve_flat_scratch 0
		.amdhsa_float_round_mode_32 0
		.amdhsa_float_round_mode_16_64 0
		.amdhsa_float_denorm_mode_32 3
		.amdhsa_float_denorm_mode_16_64 3
		.amdhsa_dx10_clamp 1
		.amdhsa_ieee_mode 1
		.amdhsa_fp16_overflow 0
		.amdhsa_exception_fp_ieee_invalid_op 0
		.amdhsa_exception_fp_denorm_src 0
		.amdhsa_exception_fp_ieee_div_zero 0
		.amdhsa_exception_fp_ieee_overflow 0
		.amdhsa_exception_fp_ieee_underflow 0
		.amdhsa_exception_fp_ieee_inexact 0
		.amdhsa_exception_int_div_zero 0
	.end_amdhsa_kernel
	.section	.text._ZN7rocprim17ROCPRIM_400000_NS6detail17trampoline_kernelINS0_14default_configENS1_29binary_search_config_selectorItiEEZNS1_14transform_implILb0ES3_S5_N6thrust23THRUST_200600_302600_NS6detail15normal_iteratorINS8_7pointerItNS8_11hip_rocprim5par_tENS8_11use_defaultESE_EEEENSA_INSB_IiSD_SE_SE_EEEEZNS1_13binary_searchIS3_S5_NSA_INS8_10device_ptrItEEEESG_SI_NS1_16binary_search_opENS9_16wrapped_functionINS8_6system6detail7generic6detail18binary_search_lessEbEEEE10hipError_tPvRmT1_T2_T3_mmT4_T5_P12ihipStream_tbEUlRKtE_EESV_SZ_S10_mS11_S14_bEUlT_E_NS1_11comp_targetILNS1_3genE9ELNS1_11target_archE1100ELNS1_3gpuE3ELNS1_3repE0EEENS1_30default_config_static_selectorELNS0_4arch9wavefront6targetE1EEEvSY_,"axG",@progbits,_ZN7rocprim17ROCPRIM_400000_NS6detail17trampoline_kernelINS0_14default_configENS1_29binary_search_config_selectorItiEEZNS1_14transform_implILb0ES3_S5_N6thrust23THRUST_200600_302600_NS6detail15normal_iteratorINS8_7pointerItNS8_11hip_rocprim5par_tENS8_11use_defaultESE_EEEENSA_INSB_IiSD_SE_SE_EEEEZNS1_13binary_searchIS3_S5_NSA_INS8_10device_ptrItEEEESG_SI_NS1_16binary_search_opENS9_16wrapped_functionINS8_6system6detail7generic6detail18binary_search_lessEbEEEE10hipError_tPvRmT1_T2_T3_mmT4_T5_P12ihipStream_tbEUlRKtE_EESV_SZ_S10_mS11_S14_bEUlT_E_NS1_11comp_targetILNS1_3genE9ELNS1_11target_archE1100ELNS1_3gpuE3ELNS1_3repE0EEENS1_30default_config_static_selectorELNS0_4arch9wavefront6targetE1EEEvSY_,comdat
.Lfunc_end687:
	.size	_ZN7rocprim17ROCPRIM_400000_NS6detail17trampoline_kernelINS0_14default_configENS1_29binary_search_config_selectorItiEEZNS1_14transform_implILb0ES3_S5_N6thrust23THRUST_200600_302600_NS6detail15normal_iteratorINS8_7pointerItNS8_11hip_rocprim5par_tENS8_11use_defaultESE_EEEENSA_INSB_IiSD_SE_SE_EEEEZNS1_13binary_searchIS3_S5_NSA_INS8_10device_ptrItEEEESG_SI_NS1_16binary_search_opENS9_16wrapped_functionINS8_6system6detail7generic6detail18binary_search_lessEbEEEE10hipError_tPvRmT1_T2_T3_mmT4_T5_P12ihipStream_tbEUlRKtE_EESV_SZ_S10_mS11_S14_bEUlT_E_NS1_11comp_targetILNS1_3genE9ELNS1_11target_archE1100ELNS1_3gpuE3ELNS1_3repE0EEENS1_30default_config_static_selectorELNS0_4arch9wavefront6targetE1EEEvSY_, .Lfunc_end687-_ZN7rocprim17ROCPRIM_400000_NS6detail17trampoline_kernelINS0_14default_configENS1_29binary_search_config_selectorItiEEZNS1_14transform_implILb0ES3_S5_N6thrust23THRUST_200600_302600_NS6detail15normal_iteratorINS8_7pointerItNS8_11hip_rocprim5par_tENS8_11use_defaultESE_EEEENSA_INSB_IiSD_SE_SE_EEEEZNS1_13binary_searchIS3_S5_NSA_INS8_10device_ptrItEEEESG_SI_NS1_16binary_search_opENS9_16wrapped_functionINS8_6system6detail7generic6detail18binary_search_lessEbEEEE10hipError_tPvRmT1_T2_T3_mmT4_T5_P12ihipStream_tbEUlRKtE_EESV_SZ_S10_mS11_S14_bEUlT_E_NS1_11comp_targetILNS1_3genE9ELNS1_11target_archE1100ELNS1_3gpuE3ELNS1_3repE0EEENS1_30default_config_static_selectorELNS0_4arch9wavefront6targetE1EEEvSY_
                                        ; -- End function
	.set _ZN7rocprim17ROCPRIM_400000_NS6detail17trampoline_kernelINS0_14default_configENS1_29binary_search_config_selectorItiEEZNS1_14transform_implILb0ES3_S5_N6thrust23THRUST_200600_302600_NS6detail15normal_iteratorINS8_7pointerItNS8_11hip_rocprim5par_tENS8_11use_defaultESE_EEEENSA_INSB_IiSD_SE_SE_EEEEZNS1_13binary_searchIS3_S5_NSA_INS8_10device_ptrItEEEESG_SI_NS1_16binary_search_opENS9_16wrapped_functionINS8_6system6detail7generic6detail18binary_search_lessEbEEEE10hipError_tPvRmT1_T2_T3_mmT4_T5_P12ihipStream_tbEUlRKtE_EESV_SZ_S10_mS11_S14_bEUlT_E_NS1_11comp_targetILNS1_3genE9ELNS1_11target_archE1100ELNS1_3gpuE3ELNS1_3repE0EEENS1_30default_config_static_selectorELNS0_4arch9wavefront6targetE1EEEvSY_.num_vgpr, 0
	.set _ZN7rocprim17ROCPRIM_400000_NS6detail17trampoline_kernelINS0_14default_configENS1_29binary_search_config_selectorItiEEZNS1_14transform_implILb0ES3_S5_N6thrust23THRUST_200600_302600_NS6detail15normal_iteratorINS8_7pointerItNS8_11hip_rocprim5par_tENS8_11use_defaultESE_EEEENSA_INSB_IiSD_SE_SE_EEEEZNS1_13binary_searchIS3_S5_NSA_INS8_10device_ptrItEEEESG_SI_NS1_16binary_search_opENS9_16wrapped_functionINS8_6system6detail7generic6detail18binary_search_lessEbEEEE10hipError_tPvRmT1_T2_T3_mmT4_T5_P12ihipStream_tbEUlRKtE_EESV_SZ_S10_mS11_S14_bEUlT_E_NS1_11comp_targetILNS1_3genE9ELNS1_11target_archE1100ELNS1_3gpuE3ELNS1_3repE0EEENS1_30default_config_static_selectorELNS0_4arch9wavefront6targetE1EEEvSY_.num_agpr, 0
	.set _ZN7rocprim17ROCPRIM_400000_NS6detail17trampoline_kernelINS0_14default_configENS1_29binary_search_config_selectorItiEEZNS1_14transform_implILb0ES3_S5_N6thrust23THRUST_200600_302600_NS6detail15normal_iteratorINS8_7pointerItNS8_11hip_rocprim5par_tENS8_11use_defaultESE_EEEENSA_INSB_IiSD_SE_SE_EEEEZNS1_13binary_searchIS3_S5_NSA_INS8_10device_ptrItEEEESG_SI_NS1_16binary_search_opENS9_16wrapped_functionINS8_6system6detail7generic6detail18binary_search_lessEbEEEE10hipError_tPvRmT1_T2_T3_mmT4_T5_P12ihipStream_tbEUlRKtE_EESV_SZ_S10_mS11_S14_bEUlT_E_NS1_11comp_targetILNS1_3genE9ELNS1_11target_archE1100ELNS1_3gpuE3ELNS1_3repE0EEENS1_30default_config_static_selectorELNS0_4arch9wavefront6targetE1EEEvSY_.numbered_sgpr, 0
	.set _ZN7rocprim17ROCPRIM_400000_NS6detail17trampoline_kernelINS0_14default_configENS1_29binary_search_config_selectorItiEEZNS1_14transform_implILb0ES3_S5_N6thrust23THRUST_200600_302600_NS6detail15normal_iteratorINS8_7pointerItNS8_11hip_rocprim5par_tENS8_11use_defaultESE_EEEENSA_INSB_IiSD_SE_SE_EEEEZNS1_13binary_searchIS3_S5_NSA_INS8_10device_ptrItEEEESG_SI_NS1_16binary_search_opENS9_16wrapped_functionINS8_6system6detail7generic6detail18binary_search_lessEbEEEE10hipError_tPvRmT1_T2_T3_mmT4_T5_P12ihipStream_tbEUlRKtE_EESV_SZ_S10_mS11_S14_bEUlT_E_NS1_11comp_targetILNS1_3genE9ELNS1_11target_archE1100ELNS1_3gpuE3ELNS1_3repE0EEENS1_30default_config_static_selectorELNS0_4arch9wavefront6targetE1EEEvSY_.num_named_barrier, 0
	.set _ZN7rocprim17ROCPRIM_400000_NS6detail17trampoline_kernelINS0_14default_configENS1_29binary_search_config_selectorItiEEZNS1_14transform_implILb0ES3_S5_N6thrust23THRUST_200600_302600_NS6detail15normal_iteratorINS8_7pointerItNS8_11hip_rocprim5par_tENS8_11use_defaultESE_EEEENSA_INSB_IiSD_SE_SE_EEEEZNS1_13binary_searchIS3_S5_NSA_INS8_10device_ptrItEEEESG_SI_NS1_16binary_search_opENS9_16wrapped_functionINS8_6system6detail7generic6detail18binary_search_lessEbEEEE10hipError_tPvRmT1_T2_T3_mmT4_T5_P12ihipStream_tbEUlRKtE_EESV_SZ_S10_mS11_S14_bEUlT_E_NS1_11comp_targetILNS1_3genE9ELNS1_11target_archE1100ELNS1_3gpuE3ELNS1_3repE0EEENS1_30default_config_static_selectorELNS0_4arch9wavefront6targetE1EEEvSY_.private_seg_size, 0
	.set _ZN7rocprim17ROCPRIM_400000_NS6detail17trampoline_kernelINS0_14default_configENS1_29binary_search_config_selectorItiEEZNS1_14transform_implILb0ES3_S5_N6thrust23THRUST_200600_302600_NS6detail15normal_iteratorINS8_7pointerItNS8_11hip_rocprim5par_tENS8_11use_defaultESE_EEEENSA_INSB_IiSD_SE_SE_EEEEZNS1_13binary_searchIS3_S5_NSA_INS8_10device_ptrItEEEESG_SI_NS1_16binary_search_opENS9_16wrapped_functionINS8_6system6detail7generic6detail18binary_search_lessEbEEEE10hipError_tPvRmT1_T2_T3_mmT4_T5_P12ihipStream_tbEUlRKtE_EESV_SZ_S10_mS11_S14_bEUlT_E_NS1_11comp_targetILNS1_3genE9ELNS1_11target_archE1100ELNS1_3gpuE3ELNS1_3repE0EEENS1_30default_config_static_selectorELNS0_4arch9wavefront6targetE1EEEvSY_.uses_vcc, 0
	.set _ZN7rocprim17ROCPRIM_400000_NS6detail17trampoline_kernelINS0_14default_configENS1_29binary_search_config_selectorItiEEZNS1_14transform_implILb0ES3_S5_N6thrust23THRUST_200600_302600_NS6detail15normal_iteratorINS8_7pointerItNS8_11hip_rocprim5par_tENS8_11use_defaultESE_EEEENSA_INSB_IiSD_SE_SE_EEEEZNS1_13binary_searchIS3_S5_NSA_INS8_10device_ptrItEEEESG_SI_NS1_16binary_search_opENS9_16wrapped_functionINS8_6system6detail7generic6detail18binary_search_lessEbEEEE10hipError_tPvRmT1_T2_T3_mmT4_T5_P12ihipStream_tbEUlRKtE_EESV_SZ_S10_mS11_S14_bEUlT_E_NS1_11comp_targetILNS1_3genE9ELNS1_11target_archE1100ELNS1_3gpuE3ELNS1_3repE0EEENS1_30default_config_static_selectorELNS0_4arch9wavefront6targetE1EEEvSY_.uses_flat_scratch, 0
	.set _ZN7rocprim17ROCPRIM_400000_NS6detail17trampoline_kernelINS0_14default_configENS1_29binary_search_config_selectorItiEEZNS1_14transform_implILb0ES3_S5_N6thrust23THRUST_200600_302600_NS6detail15normal_iteratorINS8_7pointerItNS8_11hip_rocprim5par_tENS8_11use_defaultESE_EEEENSA_INSB_IiSD_SE_SE_EEEEZNS1_13binary_searchIS3_S5_NSA_INS8_10device_ptrItEEEESG_SI_NS1_16binary_search_opENS9_16wrapped_functionINS8_6system6detail7generic6detail18binary_search_lessEbEEEE10hipError_tPvRmT1_T2_T3_mmT4_T5_P12ihipStream_tbEUlRKtE_EESV_SZ_S10_mS11_S14_bEUlT_E_NS1_11comp_targetILNS1_3genE9ELNS1_11target_archE1100ELNS1_3gpuE3ELNS1_3repE0EEENS1_30default_config_static_selectorELNS0_4arch9wavefront6targetE1EEEvSY_.has_dyn_sized_stack, 0
	.set _ZN7rocprim17ROCPRIM_400000_NS6detail17trampoline_kernelINS0_14default_configENS1_29binary_search_config_selectorItiEEZNS1_14transform_implILb0ES3_S5_N6thrust23THRUST_200600_302600_NS6detail15normal_iteratorINS8_7pointerItNS8_11hip_rocprim5par_tENS8_11use_defaultESE_EEEENSA_INSB_IiSD_SE_SE_EEEEZNS1_13binary_searchIS3_S5_NSA_INS8_10device_ptrItEEEESG_SI_NS1_16binary_search_opENS9_16wrapped_functionINS8_6system6detail7generic6detail18binary_search_lessEbEEEE10hipError_tPvRmT1_T2_T3_mmT4_T5_P12ihipStream_tbEUlRKtE_EESV_SZ_S10_mS11_S14_bEUlT_E_NS1_11comp_targetILNS1_3genE9ELNS1_11target_archE1100ELNS1_3gpuE3ELNS1_3repE0EEENS1_30default_config_static_selectorELNS0_4arch9wavefront6targetE1EEEvSY_.has_recursion, 0
	.set _ZN7rocprim17ROCPRIM_400000_NS6detail17trampoline_kernelINS0_14default_configENS1_29binary_search_config_selectorItiEEZNS1_14transform_implILb0ES3_S5_N6thrust23THRUST_200600_302600_NS6detail15normal_iteratorINS8_7pointerItNS8_11hip_rocprim5par_tENS8_11use_defaultESE_EEEENSA_INSB_IiSD_SE_SE_EEEEZNS1_13binary_searchIS3_S5_NSA_INS8_10device_ptrItEEEESG_SI_NS1_16binary_search_opENS9_16wrapped_functionINS8_6system6detail7generic6detail18binary_search_lessEbEEEE10hipError_tPvRmT1_T2_T3_mmT4_T5_P12ihipStream_tbEUlRKtE_EESV_SZ_S10_mS11_S14_bEUlT_E_NS1_11comp_targetILNS1_3genE9ELNS1_11target_archE1100ELNS1_3gpuE3ELNS1_3repE0EEENS1_30default_config_static_selectorELNS0_4arch9wavefront6targetE1EEEvSY_.has_indirect_call, 0
	.section	.AMDGPU.csdata,"",@progbits
; Kernel info:
; codeLenInByte = 0
; TotalNumSgprs: 4
; NumVgprs: 0
; ScratchSize: 0
; MemoryBound: 0
; FloatMode: 240
; IeeeMode: 1
; LDSByteSize: 0 bytes/workgroup (compile time only)
; SGPRBlocks: 0
; VGPRBlocks: 0
; NumSGPRsForWavesPerEU: 4
; NumVGPRsForWavesPerEU: 1
; Occupancy: 10
; WaveLimiterHint : 0
; COMPUTE_PGM_RSRC2:SCRATCH_EN: 0
; COMPUTE_PGM_RSRC2:USER_SGPR: 6
; COMPUTE_PGM_RSRC2:TRAP_HANDLER: 0
; COMPUTE_PGM_RSRC2:TGID_X_EN: 1
; COMPUTE_PGM_RSRC2:TGID_Y_EN: 0
; COMPUTE_PGM_RSRC2:TGID_Z_EN: 0
; COMPUTE_PGM_RSRC2:TIDIG_COMP_CNT: 0
	.section	.text._ZN7rocprim17ROCPRIM_400000_NS6detail17trampoline_kernelINS0_14default_configENS1_29binary_search_config_selectorItiEEZNS1_14transform_implILb0ES3_S5_N6thrust23THRUST_200600_302600_NS6detail15normal_iteratorINS8_7pointerItNS8_11hip_rocprim5par_tENS8_11use_defaultESE_EEEENSA_INSB_IiSD_SE_SE_EEEEZNS1_13binary_searchIS3_S5_NSA_INS8_10device_ptrItEEEESG_SI_NS1_16binary_search_opENS9_16wrapped_functionINS8_6system6detail7generic6detail18binary_search_lessEbEEEE10hipError_tPvRmT1_T2_T3_mmT4_T5_P12ihipStream_tbEUlRKtE_EESV_SZ_S10_mS11_S14_bEUlT_E_NS1_11comp_targetILNS1_3genE8ELNS1_11target_archE1030ELNS1_3gpuE2ELNS1_3repE0EEENS1_30default_config_static_selectorELNS0_4arch9wavefront6targetE1EEEvSY_,"axG",@progbits,_ZN7rocprim17ROCPRIM_400000_NS6detail17trampoline_kernelINS0_14default_configENS1_29binary_search_config_selectorItiEEZNS1_14transform_implILb0ES3_S5_N6thrust23THRUST_200600_302600_NS6detail15normal_iteratorINS8_7pointerItNS8_11hip_rocprim5par_tENS8_11use_defaultESE_EEEENSA_INSB_IiSD_SE_SE_EEEEZNS1_13binary_searchIS3_S5_NSA_INS8_10device_ptrItEEEESG_SI_NS1_16binary_search_opENS9_16wrapped_functionINS8_6system6detail7generic6detail18binary_search_lessEbEEEE10hipError_tPvRmT1_T2_T3_mmT4_T5_P12ihipStream_tbEUlRKtE_EESV_SZ_S10_mS11_S14_bEUlT_E_NS1_11comp_targetILNS1_3genE8ELNS1_11target_archE1030ELNS1_3gpuE2ELNS1_3repE0EEENS1_30default_config_static_selectorELNS0_4arch9wavefront6targetE1EEEvSY_,comdat
	.protected	_ZN7rocprim17ROCPRIM_400000_NS6detail17trampoline_kernelINS0_14default_configENS1_29binary_search_config_selectorItiEEZNS1_14transform_implILb0ES3_S5_N6thrust23THRUST_200600_302600_NS6detail15normal_iteratorINS8_7pointerItNS8_11hip_rocprim5par_tENS8_11use_defaultESE_EEEENSA_INSB_IiSD_SE_SE_EEEEZNS1_13binary_searchIS3_S5_NSA_INS8_10device_ptrItEEEESG_SI_NS1_16binary_search_opENS9_16wrapped_functionINS8_6system6detail7generic6detail18binary_search_lessEbEEEE10hipError_tPvRmT1_T2_T3_mmT4_T5_P12ihipStream_tbEUlRKtE_EESV_SZ_S10_mS11_S14_bEUlT_E_NS1_11comp_targetILNS1_3genE8ELNS1_11target_archE1030ELNS1_3gpuE2ELNS1_3repE0EEENS1_30default_config_static_selectorELNS0_4arch9wavefront6targetE1EEEvSY_ ; -- Begin function _ZN7rocprim17ROCPRIM_400000_NS6detail17trampoline_kernelINS0_14default_configENS1_29binary_search_config_selectorItiEEZNS1_14transform_implILb0ES3_S5_N6thrust23THRUST_200600_302600_NS6detail15normal_iteratorINS8_7pointerItNS8_11hip_rocprim5par_tENS8_11use_defaultESE_EEEENSA_INSB_IiSD_SE_SE_EEEEZNS1_13binary_searchIS3_S5_NSA_INS8_10device_ptrItEEEESG_SI_NS1_16binary_search_opENS9_16wrapped_functionINS8_6system6detail7generic6detail18binary_search_lessEbEEEE10hipError_tPvRmT1_T2_T3_mmT4_T5_P12ihipStream_tbEUlRKtE_EESV_SZ_S10_mS11_S14_bEUlT_E_NS1_11comp_targetILNS1_3genE8ELNS1_11target_archE1030ELNS1_3gpuE2ELNS1_3repE0EEENS1_30default_config_static_selectorELNS0_4arch9wavefront6targetE1EEEvSY_
	.globl	_ZN7rocprim17ROCPRIM_400000_NS6detail17trampoline_kernelINS0_14default_configENS1_29binary_search_config_selectorItiEEZNS1_14transform_implILb0ES3_S5_N6thrust23THRUST_200600_302600_NS6detail15normal_iteratorINS8_7pointerItNS8_11hip_rocprim5par_tENS8_11use_defaultESE_EEEENSA_INSB_IiSD_SE_SE_EEEEZNS1_13binary_searchIS3_S5_NSA_INS8_10device_ptrItEEEESG_SI_NS1_16binary_search_opENS9_16wrapped_functionINS8_6system6detail7generic6detail18binary_search_lessEbEEEE10hipError_tPvRmT1_T2_T3_mmT4_T5_P12ihipStream_tbEUlRKtE_EESV_SZ_S10_mS11_S14_bEUlT_E_NS1_11comp_targetILNS1_3genE8ELNS1_11target_archE1030ELNS1_3gpuE2ELNS1_3repE0EEENS1_30default_config_static_selectorELNS0_4arch9wavefront6targetE1EEEvSY_
	.p2align	8
	.type	_ZN7rocprim17ROCPRIM_400000_NS6detail17trampoline_kernelINS0_14default_configENS1_29binary_search_config_selectorItiEEZNS1_14transform_implILb0ES3_S5_N6thrust23THRUST_200600_302600_NS6detail15normal_iteratorINS8_7pointerItNS8_11hip_rocprim5par_tENS8_11use_defaultESE_EEEENSA_INSB_IiSD_SE_SE_EEEEZNS1_13binary_searchIS3_S5_NSA_INS8_10device_ptrItEEEESG_SI_NS1_16binary_search_opENS9_16wrapped_functionINS8_6system6detail7generic6detail18binary_search_lessEbEEEE10hipError_tPvRmT1_T2_T3_mmT4_T5_P12ihipStream_tbEUlRKtE_EESV_SZ_S10_mS11_S14_bEUlT_E_NS1_11comp_targetILNS1_3genE8ELNS1_11target_archE1030ELNS1_3gpuE2ELNS1_3repE0EEENS1_30default_config_static_selectorELNS0_4arch9wavefront6targetE1EEEvSY_,@function
_ZN7rocprim17ROCPRIM_400000_NS6detail17trampoline_kernelINS0_14default_configENS1_29binary_search_config_selectorItiEEZNS1_14transform_implILb0ES3_S5_N6thrust23THRUST_200600_302600_NS6detail15normal_iteratorINS8_7pointerItNS8_11hip_rocprim5par_tENS8_11use_defaultESE_EEEENSA_INSB_IiSD_SE_SE_EEEEZNS1_13binary_searchIS3_S5_NSA_INS8_10device_ptrItEEEESG_SI_NS1_16binary_search_opENS9_16wrapped_functionINS8_6system6detail7generic6detail18binary_search_lessEbEEEE10hipError_tPvRmT1_T2_T3_mmT4_T5_P12ihipStream_tbEUlRKtE_EESV_SZ_S10_mS11_S14_bEUlT_E_NS1_11comp_targetILNS1_3genE8ELNS1_11target_archE1030ELNS1_3gpuE2ELNS1_3repE0EEENS1_30default_config_static_selectorELNS0_4arch9wavefront6targetE1EEEvSY_: ; @_ZN7rocprim17ROCPRIM_400000_NS6detail17trampoline_kernelINS0_14default_configENS1_29binary_search_config_selectorItiEEZNS1_14transform_implILb0ES3_S5_N6thrust23THRUST_200600_302600_NS6detail15normal_iteratorINS8_7pointerItNS8_11hip_rocprim5par_tENS8_11use_defaultESE_EEEENSA_INSB_IiSD_SE_SE_EEEEZNS1_13binary_searchIS3_S5_NSA_INS8_10device_ptrItEEEESG_SI_NS1_16binary_search_opENS9_16wrapped_functionINS8_6system6detail7generic6detail18binary_search_lessEbEEEE10hipError_tPvRmT1_T2_T3_mmT4_T5_P12ihipStream_tbEUlRKtE_EESV_SZ_S10_mS11_S14_bEUlT_E_NS1_11comp_targetILNS1_3genE8ELNS1_11target_archE1030ELNS1_3gpuE2ELNS1_3repE0EEENS1_30default_config_static_selectorELNS0_4arch9wavefront6targetE1EEEvSY_
; %bb.0:
	.section	.rodata,"a",@progbits
	.p2align	6, 0x0
	.amdhsa_kernel _ZN7rocprim17ROCPRIM_400000_NS6detail17trampoline_kernelINS0_14default_configENS1_29binary_search_config_selectorItiEEZNS1_14transform_implILb0ES3_S5_N6thrust23THRUST_200600_302600_NS6detail15normal_iteratorINS8_7pointerItNS8_11hip_rocprim5par_tENS8_11use_defaultESE_EEEENSA_INSB_IiSD_SE_SE_EEEEZNS1_13binary_searchIS3_S5_NSA_INS8_10device_ptrItEEEESG_SI_NS1_16binary_search_opENS9_16wrapped_functionINS8_6system6detail7generic6detail18binary_search_lessEbEEEE10hipError_tPvRmT1_T2_T3_mmT4_T5_P12ihipStream_tbEUlRKtE_EESV_SZ_S10_mS11_S14_bEUlT_E_NS1_11comp_targetILNS1_3genE8ELNS1_11target_archE1030ELNS1_3gpuE2ELNS1_3repE0EEENS1_30default_config_static_selectorELNS0_4arch9wavefront6targetE1EEEvSY_
		.amdhsa_group_segment_fixed_size 0
		.amdhsa_private_segment_fixed_size 0
		.amdhsa_kernarg_size 56
		.amdhsa_user_sgpr_count 6
		.amdhsa_user_sgpr_private_segment_buffer 1
		.amdhsa_user_sgpr_dispatch_ptr 0
		.amdhsa_user_sgpr_queue_ptr 0
		.amdhsa_user_sgpr_kernarg_segment_ptr 1
		.amdhsa_user_sgpr_dispatch_id 0
		.amdhsa_user_sgpr_flat_scratch_init 0
		.amdhsa_user_sgpr_private_segment_size 0
		.amdhsa_uses_dynamic_stack 0
		.amdhsa_system_sgpr_private_segment_wavefront_offset 0
		.amdhsa_system_sgpr_workgroup_id_x 1
		.amdhsa_system_sgpr_workgroup_id_y 0
		.amdhsa_system_sgpr_workgroup_id_z 0
		.amdhsa_system_sgpr_workgroup_info 0
		.amdhsa_system_vgpr_workitem_id 0
		.amdhsa_next_free_vgpr 1
		.amdhsa_next_free_sgpr 0
		.amdhsa_reserve_vcc 0
		.amdhsa_reserve_flat_scratch 0
		.amdhsa_float_round_mode_32 0
		.amdhsa_float_round_mode_16_64 0
		.amdhsa_float_denorm_mode_32 3
		.amdhsa_float_denorm_mode_16_64 3
		.amdhsa_dx10_clamp 1
		.amdhsa_ieee_mode 1
		.amdhsa_fp16_overflow 0
		.amdhsa_exception_fp_ieee_invalid_op 0
		.amdhsa_exception_fp_denorm_src 0
		.amdhsa_exception_fp_ieee_div_zero 0
		.amdhsa_exception_fp_ieee_overflow 0
		.amdhsa_exception_fp_ieee_underflow 0
		.amdhsa_exception_fp_ieee_inexact 0
		.amdhsa_exception_int_div_zero 0
	.end_amdhsa_kernel
	.section	.text._ZN7rocprim17ROCPRIM_400000_NS6detail17trampoline_kernelINS0_14default_configENS1_29binary_search_config_selectorItiEEZNS1_14transform_implILb0ES3_S5_N6thrust23THRUST_200600_302600_NS6detail15normal_iteratorINS8_7pointerItNS8_11hip_rocprim5par_tENS8_11use_defaultESE_EEEENSA_INSB_IiSD_SE_SE_EEEEZNS1_13binary_searchIS3_S5_NSA_INS8_10device_ptrItEEEESG_SI_NS1_16binary_search_opENS9_16wrapped_functionINS8_6system6detail7generic6detail18binary_search_lessEbEEEE10hipError_tPvRmT1_T2_T3_mmT4_T5_P12ihipStream_tbEUlRKtE_EESV_SZ_S10_mS11_S14_bEUlT_E_NS1_11comp_targetILNS1_3genE8ELNS1_11target_archE1030ELNS1_3gpuE2ELNS1_3repE0EEENS1_30default_config_static_selectorELNS0_4arch9wavefront6targetE1EEEvSY_,"axG",@progbits,_ZN7rocprim17ROCPRIM_400000_NS6detail17trampoline_kernelINS0_14default_configENS1_29binary_search_config_selectorItiEEZNS1_14transform_implILb0ES3_S5_N6thrust23THRUST_200600_302600_NS6detail15normal_iteratorINS8_7pointerItNS8_11hip_rocprim5par_tENS8_11use_defaultESE_EEEENSA_INSB_IiSD_SE_SE_EEEEZNS1_13binary_searchIS3_S5_NSA_INS8_10device_ptrItEEEESG_SI_NS1_16binary_search_opENS9_16wrapped_functionINS8_6system6detail7generic6detail18binary_search_lessEbEEEE10hipError_tPvRmT1_T2_T3_mmT4_T5_P12ihipStream_tbEUlRKtE_EESV_SZ_S10_mS11_S14_bEUlT_E_NS1_11comp_targetILNS1_3genE8ELNS1_11target_archE1030ELNS1_3gpuE2ELNS1_3repE0EEENS1_30default_config_static_selectorELNS0_4arch9wavefront6targetE1EEEvSY_,comdat
.Lfunc_end688:
	.size	_ZN7rocprim17ROCPRIM_400000_NS6detail17trampoline_kernelINS0_14default_configENS1_29binary_search_config_selectorItiEEZNS1_14transform_implILb0ES3_S5_N6thrust23THRUST_200600_302600_NS6detail15normal_iteratorINS8_7pointerItNS8_11hip_rocprim5par_tENS8_11use_defaultESE_EEEENSA_INSB_IiSD_SE_SE_EEEEZNS1_13binary_searchIS3_S5_NSA_INS8_10device_ptrItEEEESG_SI_NS1_16binary_search_opENS9_16wrapped_functionINS8_6system6detail7generic6detail18binary_search_lessEbEEEE10hipError_tPvRmT1_T2_T3_mmT4_T5_P12ihipStream_tbEUlRKtE_EESV_SZ_S10_mS11_S14_bEUlT_E_NS1_11comp_targetILNS1_3genE8ELNS1_11target_archE1030ELNS1_3gpuE2ELNS1_3repE0EEENS1_30default_config_static_selectorELNS0_4arch9wavefront6targetE1EEEvSY_, .Lfunc_end688-_ZN7rocprim17ROCPRIM_400000_NS6detail17trampoline_kernelINS0_14default_configENS1_29binary_search_config_selectorItiEEZNS1_14transform_implILb0ES3_S5_N6thrust23THRUST_200600_302600_NS6detail15normal_iteratorINS8_7pointerItNS8_11hip_rocprim5par_tENS8_11use_defaultESE_EEEENSA_INSB_IiSD_SE_SE_EEEEZNS1_13binary_searchIS3_S5_NSA_INS8_10device_ptrItEEEESG_SI_NS1_16binary_search_opENS9_16wrapped_functionINS8_6system6detail7generic6detail18binary_search_lessEbEEEE10hipError_tPvRmT1_T2_T3_mmT4_T5_P12ihipStream_tbEUlRKtE_EESV_SZ_S10_mS11_S14_bEUlT_E_NS1_11comp_targetILNS1_3genE8ELNS1_11target_archE1030ELNS1_3gpuE2ELNS1_3repE0EEENS1_30default_config_static_selectorELNS0_4arch9wavefront6targetE1EEEvSY_
                                        ; -- End function
	.set _ZN7rocprim17ROCPRIM_400000_NS6detail17trampoline_kernelINS0_14default_configENS1_29binary_search_config_selectorItiEEZNS1_14transform_implILb0ES3_S5_N6thrust23THRUST_200600_302600_NS6detail15normal_iteratorINS8_7pointerItNS8_11hip_rocprim5par_tENS8_11use_defaultESE_EEEENSA_INSB_IiSD_SE_SE_EEEEZNS1_13binary_searchIS3_S5_NSA_INS8_10device_ptrItEEEESG_SI_NS1_16binary_search_opENS9_16wrapped_functionINS8_6system6detail7generic6detail18binary_search_lessEbEEEE10hipError_tPvRmT1_T2_T3_mmT4_T5_P12ihipStream_tbEUlRKtE_EESV_SZ_S10_mS11_S14_bEUlT_E_NS1_11comp_targetILNS1_3genE8ELNS1_11target_archE1030ELNS1_3gpuE2ELNS1_3repE0EEENS1_30default_config_static_selectorELNS0_4arch9wavefront6targetE1EEEvSY_.num_vgpr, 0
	.set _ZN7rocprim17ROCPRIM_400000_NS6detail17trampoline_kernelINS0_14default_configENS1_29binary_search_config_selectorItiEEZNS1_14transform_implILb0ES3_S5_N6thrust23THRUST_200600_302600_NS6detail15normal_iteratorINS8_7pointerItNS8_11hip_rocprim5par_tENS8_11use_defaultESE_EEEENSA_INSB_IiSD_SE_SE_EEEEZNS1_13binary_searchIS3_S5_NSA_INS8_10device_ptrItEEEESG_SI_NS1_16binary_search_opENS9_16wrapped_functionINS8_6system6detail7generic6detail18binary_search_lessEbEEEE10hipError_tPvRmT1_T2_T3_mmT4_T5_P12ihipStream_tbEUlRKtE_EESV_SZ_S10_mS11_S14_bEUlT_E_NS1_11comp_targetILNS1_3genE8ELNS1_11target_archE1030ELNS1_3gpuE2ELNS1_3repE0EEENS1_30default_config_static_selectorELNS0_4arch9wavefront6targetE1EEEvSY_.num_agpr, 0
	.set _ZN7rocprim17ROCPRIM_400000_NS6detail17trampoline_kernelINS0_14default_configENS1_29binary_search_config_selectorItiEEZNS1_14transform_implILb0ES3_S5_N6thrust23THRUST_200600_302600_NS6detail15normal_iteratorINS8_7pointerItNS8_11hip_rocprim5par_tENS8_11use_defaultESE_EEEENSA_INSB_IiSD_SE_SE_EEEEZNS1_13binary_searchIS3_S5_NSA_INS8_10device_ptrItEEEESG_SI_NS1_16binary_search_opENS9_16wrapped_functionINS8_6system6detail7generic6detail18binary_search_lessEbEEEE10hipError_tPvRmT1_T2_T3_mmT4_T5_P12ihipStream_tbEUlRKtE_EESV_SZ_S10_mS11_S14_bEUlT_E_NS1_11comp_targetILNS1_3genE8ELNS1_11target_archE1030ELNS1_3gpuE2ELNS1_3repE0EEENS1_30default_config_static_selectorELNS0_4arch9wavefront6targetE1EEEvSY_.numbered_sgpr, 0
	.set _ZN7rocprim17ROCPRIM_400000_NS6detail17trampoline_kernelINS0_14default_configENS1_29binary_search_config_selectorItiEEZNS1_14transform_implILb0ES3_S5_N6thrust23THRUST_200600_302600_NS6detail15normal_iteratorINS8_7pointerItNS8_11hip_rocprim5par_tENS8_11use_defaultESE_EEEENSA_INSB_IiSD_SE_SE_EEEEZNS1_13binary_searchIS3_S5_NSA_INS8_10device_ptrItEEEESG_SI_NS1_16binary_search_opENS9_16wrapped_functionINS8_6system6detail7generic6detail18binary_search_lessEbEEEE10hipError_tPvRmT1_T2_T3_mmT4_T5_P12ihipStream_tbEUlRKtE_EESV_SZ_S10_mS11_S14_bEUlT_E_NS1_11comp_targetILNS1_3genE8ELNS1_11target_archE1030ELNS1_3gpuE2ELNS1_3repE0EEENS1_30default_config_static_selectorELNS0_4arch9wavefront6targetE1EEEvSY_.num_named_barrier, 0
	.set _ZN7rocprim17ROCPRIM_400000_NS6detail17trampoline_kernelINS0_14default_configENS1_29binary_search_config_selectorItiEEZNS1_14transform_implILb0ES3_S5_N6thrust23THRUST_200600_302600_NS6detail15normal_iteratorINS8_7pointerItNS8_11hip_rocprim5par_tENS8_11use_defaultESE_EEEENSA_INSB_IiSD_SE_SE_EEEEZNS1_13binary_searchIS3_S5_NSA_INS8_10device_ptrItEEEESG_SI_NS1_16binary_search_opENS9_16wrapped_functionINS8_6system6detail7generic6detail18binary_search_lessEbEEEE10hipError_tPvRmT1_T2_T3_mmT4_T5_P12ihipStream_tbEUlRKtE_EESV_SZ_S10_mS11_S14_bEUlT_E_NS1_11comp_targetILNS1_3genE8ELNS1_11target_archE1030ELNS1_3gpuE2ELNS1_3repE0EEENS1_30default_config_static_selectorELNS0_4arch9wavefront6targetE1EEEvSY_.private_seg_size, 0
	.set _ZN7rocprim17ROCPRIM_400000_NS6detail17trampoline_kernelINS0_14default_configENS1_29binary_search_config_selectorItiEEZNS1_14transform_implILb0ES3_S5_N6thrust23THRUST_200600_302600_NS6detail15normal_iteratorINS8_7pointerItNS8_11hip_rocprim5par_tENS8_11use_defaultESE_EEEENSA_INSB_IiSD_SE_SE_EEEEZNS1_13binary_searchIS3_S5_NSA_INS8_10device_ptrItEEEESG_SI_NS1_16binary_search_opENS9_16wrapped_functionINS8_6system6detail7generic6detail18binary_search_lessEbEEEE10hipError_tPvRmT1_T2_T3_mmT4_T5_P12ihipStream_tbEUlRKtE_EESV_SZ_S10_mS11_S14_bEUlT_E_NS1_11comp_targetILNS1_3genE8ELNS1_11target_archE1030ELNS1_3gpuE2ELNS1_3repE0EEENS1_30default_config_static_selectorELNS0_4arch9wavefront6targetE1EEEvSY_.uses_vcc, 0
	.set _ZN7rocprim17ROCPRIM_400000_NS6detail17trampoline_kernelINS0_14default_configENS1_29binary_search_config_selectorItiEEZNS1_14transform_implILb0ES3_S5_N6thrust23THRUST_200600_302600_NS6detail15normal_iteratorINS8_7pointerItNS8_11hip_rocprim5par_tENS8_11use_defaultESE_EEEENSA_INSB_IiSD_SE_SE_EEEEZNS1_13binary_searchIS3_S5_NSA_INS8_10device_ptrItEEEESG_SI_NS1_16binary_search_opENS9_16wrapped_functionINS8_6system6detail7generic6detail18binary_search_lessEbEEEE10hipError_tPvRmT1_T2_T3_mmT4_T5_P12ihipStream_tbEUlRKtE_EESV_SZ_S10_mS11_S14_bEUlT_E_NS1_11comp_targetILNS1_3genE8ELNS1_11target_archE1030ELNS1_3gpuE2ELNS1_3repE0EEENS1_30default_config_static_selectorELNS0_4arch9wavefront6targetE1EEEvSY_.uses_flat_scratch, 0
	.set _ZN7rocprim17ROCPRIM_400000_NS6detail17trampoline_kernelINS0_14default_configENS1_29binary_search_config_selectorItiEEZNS1_14transform_implILb0ES3_S5_N6thrust23THRUST_200600_302600_NS6detail15normal_iteratorINS8_7pointerItNS8_11hip_rocprim5par_tENS8_11use_defaultESE_EEEENSA_INSB_IiSD_SE_SE_EEEEZNS1_13binary_searchIS3_S5_NSA_INS8_10device_ptrItEEEESG_SI_NS1_16binary_search_opENS9_16wrapped_functionINS8_6system6detail7generic6detail18binary_search_lessEbEEEE10hipError_tPvRmT1_T2_T3_mmT4_T5_P12ihipStream_tbEUlRKtE_EESV_SZ_S10_mS11_S14_bEUlT_E_NS1_11comp_targetILNS1_3genE8ELNS1_11target_archE1030ELNS1_3gpuE2ELNS1_3repE0EEENS1_30default_config_static_selectorELNS0_4arch9wavefront6targetE1EEEvSY_.has_dyn_sized_stack, 0
	.set _ZN7rocprim17ROCPRIM_400000_NS6detail17trampoline_kernelINS0_14default_configENS1_29binary_search_config_selectorItiEEZNS1_14transform_implILb0ES3_S5_N6thrust23THRUST_200600_302600_NS6detail15normal_iteratorINS8_7pointerItNS8_11hip_rocprim5par_tENS8_11use_defaultESE_EEEENSA_INSB_IiSD_SE_SE_EEEEZNS1_13binary_searchIS3_S5_NSA_INS8_10device_ptrItEEEESG_SI_NS1_16binary_search_opENS9_16wrapped_functionINS8_6system6detail7generic6detail18binary_search_lessEbEEEE10hipError_tPvRmT1_T2_T3_mmT4_T5_P12ihipStream_tbEUlRKtE_EESV_SZ_S10_mS11_S14_bEUlT_E_NS1_11comp_targetILNS1_3genE8ELNS1_11target_archE1030ELNS1_3gpuE2ELNS1_3repE0EEENS1_30default_config_static_selectorELNS0_4arch9wavefront6targetE1EEEvSY_.has_recursion, 0
	.set _ZN7rocprim17ROCPRIM_400000_NS6detail17trampoline_kernelINS0_14default_configENS1_29binary_search_config_selectorItiEEZNS1_14transform_implILb0ES3_S5_N6thrust23THRUST_200600_302600_NS6detail15normal_iteratorINS8_7pointerItNS8_11hip_rocprim5par_tENS8_11use_defaultESE_EEEENSA_INSB_IiSD_SE_SE_EEEEZNS1_13binary_searchIS3_S5_NSA_INS8_10device_ptrItEEEESG_SI_NS1_16binary_search_opENS9_16wrapped_functionINS8_6system6detail7generic6detail18binary_search_lessEbEEEE10hipError_tPvRmT1_T2_T3_mmT4_T5_P12ihipStream_tbEUlRKtE_EESV_SZ_S10_mS11_S14_bEUlT_E_NS1_11comp_targetILNS1_3genE8ELNS1_11target_archE1030ELNS1_3gpuE2ELNS1_3repE0EEENS1_30default_config_static_selectorELNS0_4arch9wavefront6targetE1EEEvSY_.has_indirect_call, 0
	.section	.AMDGPU.csdata,"",@progbits
; Kernel info:
; codeLenInByte = 0
; TotalNumSgprs: 4
; NumVgprs: 0
; ScratchSize: 0
; MemoryBound: 0
; FloatMode: 240
; IeeeMode: 1
; LDSByteSize: 0 bytes/workgroup (compile time only)
; SGPRBlocks: 0
; VGPRBlocks: 0
; NumSGPRsForWavesPerEU: 4
; NumVGPRsForWavesPerEU: 1
; Occupancy: 10
; WaveLimiterHint : 0
; COMPUTE_PGM_RSRC2:SCRATCH_EN: 0
; COMPUTE_PGM_RSRC2:USER_SGPR: 6
; COMPUTE_PGM_RSRC2:TRAP_HANDLER: 0
; COMPUTE_PGM_RSRC2:TGID_X_EN: 1
; COMPUTE_PGM_RSRC2:TGID_Y_EN: 0
; COMPUTE_PGM_RSRC2:TGID_Z_EN: 0
; COMPUTE_PGM_RSRC2:TIDIG_COMP_CNT: 0
	.section	.text._ZN7rocprim17ROCPRIM_400000_NS6detail17trampoline_kernelINS0_14default_configENS1_29binary_search_config_selectorIxiEEZNS1_14transform_implILb0ES3_S5_N6thrust23THRUST_200600_302600_NS6detail15normal_iteratorINS8_7pointerIxNS8_11hip_rocprim5par_tENS8_11use_defaultESE_EEEENSA_INSB_IiSD_SE_SE_EEEEZNS1_13binary_searchIS3_S5_NSA_INS8_10device_ptrIxEEEESG_SI_NS1_16binary_search_opENS9_16wrapped_functionINS8_6system6detail7generic6detail18binary_search_lessEbEEEE10hipError_tPvRmT1_T2_T3_mmT4_T5_P12ihipStream_tbEUlRKxE_EESV_SZ_S10_mS11_S14_bEUlT_E_NS1_11comp_targetILNS1_3genE0ELNS1_11target_archE4294967295ELNS1_3gpuE0ELNS1_3repE0EEENS1_30default_config_static_selectorELNS0_4arch9wavefront6targetE1EEEvSY_,"axG",@progbits,_ZN7rocprim17ROCPRIM_400000_NS6detail17trampoline_kernelINS0_14default_configENS1_29binary_search_config_selectorIxiEEZNS1_14transform_implILb0ES3_S5_N6thrust23THRUST_200600_302600_NS6detail15normal_iteratorINS8_7pointerIxNS8_11hip_rocprim5par_tENS8_11use_defaultESE_EEEENSA_INSB_IiSD_SE_SE_EEEEZNS1_13binary_searchIS3_S5_NSA_INS8_10device_ptrIxEEEESG_SI_NS1_16binary_search_opENS9_16wrapped_functionINS8_6system6detail7generic6detail18binary_search_lessEbEEEE10hipError_tPvRmT1_T2_T3_mmT4_T5_P12ihipStream_tbEUlRKxE_EESV_SZ_S10_mS11_S14_bEUlT_E_NS1_11comp_targetILNS1_3genE0ELNS1_11target_archE4294967295ELNS1_3gpuE0ELNS1_3repE0EEENS1_30default_config_static_selectorELNS0_4arch9wavefront6targetE1EEEvSY_,comdat
	.protected	_ZN7rocprim17ROCPRIM_400000_NS6detail17trampoline_kernelINS0_14default_configENS1_29binary_search_config_selectorIxiEEZNS1_14transform_implILb0ES3_S5_N6thrust23THRUST_200600_302600_NS6detail15normal_iteratorINS8_7pointerIxNS8_11hip_rocprim5par_tENS8_11use_defaultESE_EEEENSA_INSB_IiSD_SE_SE_EEEEZNS1_13binary_searchIS3_S5_NSA_INS8_10device_ptrIxEEEESG_SI_NS1_16binary_search_opENS9_16wrapped_functionINS8_6system6detail7generic6detail18binary_search_lessEbEEEE10hipError_tPvRmT1_T2_T3_mmT4_T5_P12ihipStream_tbEUlRKxE_EESV_SZ_S10_mS11_S14_bEUlT_E_NS1_11comp_targetILNS1_3genE0ELNS1_11target_archE4294967295ELNS1_3gpuE0ELNS1_3repE0EEENS1_30default_config_static_selectorELNS0_4arch9wavefront6targetE1EEEvSY_ ; -- Begin function _ZN7rocprim17ROCPRIM_400000_NS6detail17trampoline_kernelINS0_14default_configENS1_29binary_search_config_selectorIxiEEZNS1_14transform_implILb0ES3_S5_N6thrust23THRUST_200600_302600_NS6detail15normal_iteratorINS8_7pointerIxNS8_11hip_rocprim5par_tENS8_11use_defaultESE_EEEENSA_INSB_IiSD_SE_SE_EEEEZNS1_13binary_searchIS3_S5_NSA_INS8_10device_ptrIxEEEESG_SI_NS1_16binary_search_opENS9_16wrapped_functionINS8_6system6detail7generic6detail18binary_search_lessEbEEEE10hipError_tPvRmT1_T2_T3_mmT4_T5_P12ihipStream_tbEUlRKxE_EESV_SZ_S10_mS11_S14_bEUlT_E_NS1_11comp_targetILNS1_3genE0ELNS1_11target_archE4294967295ELNS1_3gpuE0ELNS1_3repE0EEENS1_30default_config_static_selectorELNS0_4arch9wavefront6targetE1EEEvSY_
	.globl	_ZN7rocprim17ROCPRIM_400000_NS6detail17trampoline_kernelINS0_14default_configENS1_29binary_search_config_selectorIxiEEZNS1_14transform_implILb0ES3_S5_N6thrust23THRUST_200600_302600_NS6detail15normal_iteratorINS8_7pointerIxNS8_11hip_rocprim5par_tENS8_11use_defaultESE_EEEENSA_INSB_IiSD_SE_SE_EEEEZNS1_13binary_searchIS3_S5_NSA_INS8_10device_ptrIxEEEESG_SI_NS1_16binary_search_opENS9_16wrapped_functionINS8_6system6detail7generic6detail18binary_search_lessEbEEEE10hipError_tPvRmT1_T2_T3_mmT4_T5_P12ihipStream_tbEUlRKxE_EESV_SZ_S10_mS11_S14_bEUlT_E_NS1_11comp_targetILNS1_3genE0ELNS1_11target_archE4294967295ELNS1_3gpuE0ELNS1_3repE0EEENS1_30default_config_static_selectorELNS0_4arch9wavefront6targetE1EEEvSY_
	.p2align	8
	.type	_ZN7rocprim17ROCPRIM_400000_NS6detail17trampoline_kernelINS0_14default_configENS1_29binary_search_config_selectorIxiEEZNS1_14transform_implILb0ES3_S5_N6thrust23THRUST_200600_302600_NS6detail15normal_iteratorINS8_7pointerIxNS8_11hip_rocprim5par_tENS8_11use_defaultESE_EEEENSA_INSB_IiSD_SE_SE_EEEEZNS1_13binary_searchIS3_S5_NSA_INS8_10device_ptrIxEEEESG_SI_NS1_16binary_search_opENS9_16wrapped_functionINS8_6system6detail7generic6detail18binary_search_lessEbEEEE10hipError_tPvRmT1_T2_T3_mmT4_T5_P12ihipStream_tbEUlRKxE_EESV_SZ_S10_mS11_S14_bEUlT_E_NS1_11comp_targetILNS1_3genE0ELNS1_11target_archE4294967295ELNS1_3gpuE0ELNS1_3repE0EEENS1_30default_config_static_selectorELNS0_4arch9wavefront6targetE1EEEvSY_,@function
_ZN7rocprim17ROCPRIM_400000_NS6detail17trampoline_kernelINS0_14default_configENS1_29binary_search_config_selectorIxiEEZNS1_14transform_implILb0ES3_S5_N6thrust23THRUST_200600_302600_NS6detail15normal_iteratorINS8_7pointerIxNS8_11hip_rocprim5par_tENS8_11use_defaultESE_EEEENSA_INSB_IiSD_SE_SE_EEEEZNS1_13binary_searchIS3_S5_NSA_INS8_10device_ptrIxEEEESG_SI_NS1_16binary_search_opENS9_16wrapped_functionINS8_6system6detail7generic6detail18binary_search_lessEbEEEE10hipError_tPvRmT1_T2_T3_mmT4_T5_P12ihipStream_tbEUlRKxE_EESV_SZ_S10_mS11_S14_bEUlT_E_NS1_11comp_targetILNS1_3genE0ELNS1_11target_archE4294967295ELNS1_3gpuE0ELNS1_3repE0EEENS1_30default_config_static_selectorELNS0_4arch9wavefront6targetE1EEEvSY_: ; @_ZN7rocprim17ROCPRIM_400000_NS6detail17trampoline_kernelINS0_14default_configENS1_29binary_search_config_selectorIxiEEZNS1_14transform_implILb0ES3_S5_N6thrust23THRUST_200600_302600_NS6detail15normal_iteratorINS8_7pointerIxNS8_11hip_rocprim5par_tENS8_11use_defaultESE_EEEENSA_INSB_IiSD_SE_SE_EEEEZNS1_13binary_searchIS3_S5_NSA_INS8_10device_ptrIxEEEESG_SI_NS1_16binary_search_opENS9_16wrapped_functionINS8_6system6detail7generic6detail18binary_search_lessEbEEEE10hipError_tPvRmT1_T2_T3_mmT4_T5_P12ihipStream_tbEUlRKxE_EESV_SZ_S10_mS11_S14_bEUlT_E_NS1_11comp_targetILNS1_3genE0ELNS1_11target_archE4294967295ELNS1_3gpuE0ELNS1_3repE0EEENS1_30default_config_static_selectorELNS0_4arch9wavefront6targetE1EEEvSY_
; %bb.0:
	.section	.rodata,"a",@progbits
	.p2align	6, 0x0
	.amdhsa_kernel _ZN7rocprim17ROCPRIM_400000_NS6detail17trampoline_kernelINS0_14default_configENS1_29binary_search_config_selectorIxiEEZNS1_14transform_implILb0ES3_S5_N6thrust23THRUST_200600_302600_NS6detail15normal_iteratorINS8_7pointerIxNS8_11hip_rocprim5par_tENS8_11use_defaultESE_EEEENSA_INSB_IiSD_SE_SE_EEEEZNS1_13binary_searchIS3_S5_NSA_INS8_10device_ptrIxEEEESG_SI_NS1_16binary_search_opENS9_16wrapped_functionINS8_6system6detail7generic6detail18binary_search_lessEbEEEE10hipError_tPvRmT1_T2_T3_mmT4_T5_P12ihipStream_tbEUlRKxE_EESV_SZ_S10_mS11_S14_bEUlT_E_NS1_11comp_targetILNS1_3genE0ELNS1_11target_archE4294967295ELNS1_3gpuE0ELNS1_3repE0EEENS1_30default_config_static_selectorELNS0_4arch9wavefront6targetE1EEEvSY_
		.amdhsa_group_segment_fixed_size 0
		.amdhsa_private_segment_fixed_size 0
		.amdhsa_kernarg_size 56
		.amdhsa_user_sgpr_count 6
		.amdhsa_user_sgpr_private_segment_buffer 1
		.amdhsa_user_sgpr_dispatch_ptr 0
		.amdhsa_user_sgpr_queue_ptr 0
		.amdhsa_user_sgpr_kernarg_segment_ptr 1
		.amdhsa_user_sgpr_dispatch_id 0
		.amdhsa_user_sgpr_flat_scratch_init 0
		.amdhsa_user_sgpr_private_segment_size 0
		.amdhsa_uses_dynamic_stack 0
		.amdhsa_system_sgpr_private_segment_wavefront_offset 0
		.amdhsa_system_sgpr_workgroup_id_x 1
		.amdhsa_system_sgpr_workgroup_id_y 0
		.amdhsa_system_sgpr_workgroup_id_z 0
		.amdhsa_system_sgpr_workgroup_info 0
		.amdhsa_system_vgpr_workitem_id 0
		.amdhsa_next_free_vgpr 1
		.amdhsa_next_free_sgpr 0
		.amdhsa_reserve_vcc 0
		.amdhsa_reserve_flat_scratch 0
		.amdhsa_float_round_mode_32 0
		.amdhsa_float_round_mode_16_64 0
		.amdhsa_float_denorm_mode_32 3
		.amdhsa_float_denorm_mode_16_64 3
		.amdhsa_dx10_clamp 1
		.amdhsa_ieee_mode 1
		.amdhsa_fp16_overflow 0
		.amdhsa_exception_fp_ieee_invalid_op 0
		.amdhsa_exception_fp_denorm_src 0
		.amdhsa_exception_fp_ieee_div_zero 0
		.amdhsa_exception_fp_ieee_overflow 0
		.amdhsa_exception_fp_ieee_underflow 0
		.amdhsa_exception_fp_ieee_inexact 0
		.amdhsa_exception_int_div_zero 0
	.end_amdhsa_kernel
	.section	.text._ZN7rocprim17ROCPRIM_400000_NS6detail17trampoline_kernelINS0_14default_configENS1_29binary_search_config_selectorIxiEEZNS1_14transform_implILb0ES3_S5_N6thrust23THRUST_200600_302600_NS6detail15normal_iteratorINS8_7pointerIxNS8_11hip_rocprim5par_tENS8_11use_defaultESE_EEEENSA_INSB_IiSD_SE_SE_EEEEZNS1_13binary_searchIS3_S5_NSA_INS8_10device_ptrIxEEEESG_SI_NS1_16binary_search_opENS9_16wrapped_functionINS8_6system6detail7generic6detail18binary_search_lessEbEEEE10hipError_tPvRmT1_T2_T3_mmT4_T5_P12ihipStream_tbEUlRKxE_EESV_SZ_S10_mS11_S14_bEUlT_E_NS1_11comp_targetILNS1_3genE0ELNS1_11target_archE4294967295ELNS1_3gpuE0ELNS1_3repE0EEENS1_30default_config_static_selectorELNS0_4arch9wavefront6targetE1EEEvSY_,"axG",@progbits,_ZN7rocprim17ROCPRIM_400000_NS6detail17trampoline_kernelINS0_14default_configENS1_29binary_search_config_selectorIxiEEZNS1_14transform_implILb0ES3_S5_N6thrust23THRUST_200600_302600_NS6detail15normal_iteratorINS8_7pointerIxNS8_11hip_rocprim5par_tENS8_11use_defaultESE_EEEENSA_INSB_IiSD_SE_SE_EEEEZNS1_13binary_searchIS3_S5_NSA_INS8_10device_ptrIxEEEESG_SI_NS1_16binary_search_opENS9_16wrapped_functionINS8_6system6detail7generic6detail18binary_search_lessEbEEEE10hipError_tPvRmT1_T2_T3_mmT4_T5_P12ihipStream_tbEUlRKxE_EESV_SZ_S10_mS11_S14_bEUlT_E_NS1_11comp_targetILNS1_3genE0ELNS1_11target_archE4294967295ELNS1_3gpuE0ELNS1_3repE0EEENS1_30default_config_static_selectorELNS0_4arch9wavefront6targetE1EEEvSY_,comdat
.Lfunc_end689:
	.size	_ZN7rocprim17ROCPRIM_400000_NS6detail17trampoline_kernelINS0_14default_configENS1_29binary_search_config_selectorIxiEEZNS1_14transform_implILb0ES3_S5_N6thrust23THRUST_200600_302600_NS6detail15normal_iteratorINS8_7pointerIxNS8_11hip_rocprim5par_tENS8_11use_defaultESE_EEEENSA_INSB_IiSD_SE_SE_EEEEZNS1_13binary_searchIS3_S5_NSA_INS8_10device_ptrIxEEEESG_SI_NS1_16binary_search_opENS9_16wrapped_functionINS8_6system6detail7generic6detail18binary_search_lessEbEEEE10hipError_tPvRmT1_T2_T3_mmT4_T5_P12ihipStream_tbEUlRKxE_EESV_SZ_S10_mS11_S14_bEUlT_E_NS1_11comp_targetILNS1_3genE0ELNS1_11target_archE4294967295ELNS1_3gpuE0ELNS1_3repE0EEENS1_30default_config_static_selectorELNS0_4arch9wavefront6targetE1EEEvSY_, .Lfunc_end689-_ZN7rocprim17ROCPRIM_400000_NS6detail17trampoline_kernelINS0_14default_configENS1_29binary_search_config_selectorIxiEEZNS1_14transform_implILb0ES3_S5_N6thrust23THRUST_200600_302600_NS6detail15normal_iteratorINS8_7pointerIxNS8_11hip_rocprim5par_tENS8_11use_defaultESE_EEEENSA_INSB_IiSD_SE_SE_EEEEZNS1_13binary_searchIS3_S5_NSA_INS8_10device_ptrIxEEEESG_SI_NS1_16binary_search_opENS9_16wrapped_functionINS8_6system6detail7generic6detail18binary_search_lessEbEEEE10hipError_tPvRmT1_T2_T3_mmT4_T5_P12ihipStream_tbEUlRKxE_EESV_SZ_S10_mS11_S14_bEUlT_E_NS1_11comp_targetILNS1_3genE0ELNS1_11target_archE4294967295ELNS1_3gpuE0ELNS1_3repE0EEENS1_30default_config_static_selectorELNS0_4arch9wavefront6targetE1EEEvSY_
                                        ; -- End function
	.set _ZN7rocprim17ROCPRIM_400000_NS6detail17trampoline_kernelINS0_14default_configENS1_29binary_search_config_selectorIxiEEZNS1_14transform_implILb0ES3_S5_N6thrust23THRUST_200600_302600_NS6detail15normal_iteratorINS8_7pointerIxNS8_11hip_rocprim5par_tENS8_11use_defaultESE_EEEENSA_INSB_IiSD_SE_SE_EEEEZNS1_13binary_searchIS3_S5_NSA_INS8_10device_ptrIxEEEESG_SI_NS1_16binary_search_opENS9_16wrapped_functionINS8_6system6detail7generic6detail18binary_search_lessEbEEEE10hipError_tPvRmT1_T2_T3_mmT4_T5_P12ihipStream_tbEUlRKxE_EESV_SZ_S10_mS11_S14_bEUlT_E_NS1_11comp_targetILNS1_3genE0ELNS1_11target_archE4294967295ELNS1_3gpuE0ELNS1_3repE0EEENS1_30default_config_static_selectorELNS0_4arch9wavefront6targetE1EEEvSY_.num_vgpr, 0
	.set _ZN7rocprim17ROCPRIM_400000_NS6detail17trampoline_kernelINS0_14default_configENS1_29binary_search_config_selectorIxiEEZNS1_14transform_implILb0ES3_S5_N6thrust23THRUST_200600_302600_NS6detail15normal_iteratorINS8_7pointerIxNS8_11hip_rocprim5par_tENS8_11use_defaultESE_EEEENSA_INSB_IiSD_SE_SE_EEEEZNS1_13binary_searchIS3_S5_NSA_INS8_10device_ptrIxEEEESG_SI_NS1_16binary_search_opENS9_16wrapped_functionINS8_6system6detail7generic6detail18binary_search_lessEbEEEE10hipError_tPvRmT1_T2_T3_mmT4_T5_P12ihipStream_tbEUlRKxE_EESV_SZ_S10_mS11_S14_bEUlT_E_NS1_11comp_targetILNS1_3genE0ELNS1_11target_archE4294967295ELNS1_3gpuE0ELNS1_3repE0EEENS1_30default_config_static_selectorELNS0_4arch9wavefront6targetE1EEEvSY_.num_agpr, 0
	.set _ZN7rocprim17ROCPRIM_400000_NS6detail17trampoline_kernelINS0_14default_configENS1_29binary_search_config_selectorIxiEEZNS1_14transform_implILb0ES3_S5_N6thrust23THRUST_200600_302600_NS6detail15normal_iteratorINS8_7pointerIxNS8_11hip_rocprim5par_tENS8_11use_defaultESE_EEEENSA_INSB_IiSD_SE_SE_EEEEZNS1_13binary_searchIS3_S5_NSA_INS8_10device_ptrIxEEEESG_SI_NS1_16binary_search_opENS9_16wrapped_functionINS8_6system6detail7generic6detail18binary_search_lessEbEEEE10hipError_tPvRmT1_T2_T3_mmT4_T5_P12ihipStream_tbEUlRKxE_EESV_SZ_S10_mS11_S14_bEUlT_E_NS1_11comp_targetILNS1_3genE0ELNS1_11target_archE4294967295ELNS1_3gpuE0ELNS1_3repE0EEENS1_30default_config_static_selectorELNS0_4arch9wavefront6targetE1EEEvSY_.numbered_sgpr, 0
	.set _ZN7rocprim17ROCPRIM_400000_NS6detail17trampoline_kernelINS0_14default_configENS1_29binary_search_config_selectorIxiEEZNS1_14transform_implILb0ES3_S5_N6thrust23THRUST_200600_302600_NS6detail15normal_iteratorINS8_7pointerIxNS8_11hip_rocprim5par_tENS8_11use_defaultESE_EEEENSA_INSB_IiSD_SE_SE_EEEEZNS1_13binary_searchIS3_S5_NSA_INS8_10device_ptrIxEEEESG_SI_NS1_16binary_search_opENS9_16wrapped_functionINS8_6system6detail7generic6detail18binary_search_lessEbEEEE10hipError_tPvRmT1_T2_T3_mmT4_T5_P12ihipStream_tbEUlRKxE_EESV_SZ_S10_mS11_S14_bEUlT_E_NS1_11comp_targetILNS1_3genE0ELNS1_11target_archE4294967295ELNS1_3gpuE0ELNS1_3repE0EEENS1_30default_config_static_selectorELNS0_4arch9wavefront6targetE1EEEvSY_.num_named_barrier, 0
	.set _ZN7rocprim17ROCPRIM_400000_NS6detail17trampoline_kernelINS0_14default_configENS1_29binary_search_config_selectorIxiEEZNS1_14transform_implILb0ES3_S5_N6thrust23THRUST_200600_302600_NS6detail15normal_iteratorINS8_7pointerIxNS8_11hip_rocprim5par_tENS8_11use_defaultESE_EEEENSA_INSB_IiSD_SE_SE_EEEEZNS1_13binary_searchIS3_S5_NSA_INS8_10device_ptrIxEEEESG_SI_NS1_16binary_search_opENS9_16wrapped_functionINS8_6system6detail7generic6detail18binary_search_lessEbEEEE10hipError_tPvRmT1_T2_T3_mmT4_T5_P12ihipStream_tbEUlRKxE_EESV_SZ_S10_mS11_S14_bEUlT_E_NS1_11comp_targetILNS1_3genE0ELNS1_11target_archE4294967295ELNS1_3gpuE0ELNS1_3repE0EEENS1_30default_config_static_selectorELNS0_4arch9wavefront6targetE1EEEvSY_.private_seg_size, 0
	.set _ZN7rocprim17ROCPRIM_400000_NS6detail17trampoline_kernelINS0_14default_configENS1_29binary_search_config_selectorIxiEEZNS1_14transform_implILb0ES3_S5_N6thrust23THRUST_200600_302600_NS6detail15normal_iteratorINS8_7pointerIxNS8_11hip_rocprim5par_tENS8_11use_defaultESE_EEEENSA_INSB_IiSD_SE_SE_EEEEZNS1_13binary_searchIS3_S5_NSA_INS8_10device_ptrIxEEEESG_SI_NS1_16binary_search_opENS9_16wrapped_functionINS8_6system6detail7generic6detail18binary_search_lessEbEEEE10hipError_tPvRmT1_T2_T3_mmT4_T5_P12ihipStream_tbEUlRKxE_EESV_SZ_S10_mS11_S14_bEUlT_E_NS1_11comp_targetILNS1_3genE0ELNS1_11target_archE4294967295ELNS1_3gpuE0ELNS1_3repE0EEENS1_30default_config_static_selectorELNS0_4arch9wavefront6targetE1EEEvSY_.uses_vcc, 0
	.set _ZN7rocprim17ROCPRIM_400000_NS6detail17trampoline_kernelINS0_14default_configENS1_29binary_search_config_selectorIxiEEZNS1_14transform_implILb0ES3_S5_N6thrust23THRUST_200600_302600_NS6detail15normal_iteratorINS8_7pointerIxNS8_11hip_rocprim5par_tENS8_11use_defaultESE_EEEENSA_INSB_IiSD_SE_SE_EEEEZNS1_13binary_searchIS3_S5_NSA_INS8_10device_ptrIxEEEESG_SI_NS1_16binary_search_opENS9_16wrapped_functionINS8_6system6detail7generic6detail18binary_search_lessEbEEEE10hipError_tPvRmT1_T2_T3_mmT4_T5_P12ihipStream_tbEUlRKxE_EESV_SZ_S10_mS11_S14_bEUlT_E_NS1_11comp_targetILNS1_3genE0ELNS1_11target_archE4294967295ELNS1_3gpuE0ELNS1_3repE0EEENS1_30default_config_static_selectorELNS0_4arch9wavefront6targetE1EEEvSY_.uses_flat_scratch, 0
	.set _ZN7rocprim17ROCPRIM_400000_NS6detail17trampoline_kernelINS0_14default_configENS1_29binary_search_config_selectorIxiEEZNS1_14transform_implILb0ES3_S5_N6thrust23THRUST_200600_302600_NS6detail15normal_iteratorINS8_7pointerIxNS8_11hip_rocprim5par_tENS8_11use_defaultESE_EEEENSA_INSB_IiSD_SE_SE_EEEEZNS1_13binary_searchIS3_S5_NSA_INS8_10device_ptrIxEEEESG_SI_NS1_16binary_search_opENS9_16wrapped_functionINS8_6system6detail7generic6detail18binary_search_lessEbEEEE10hipError_tPvRmT1_T2_T3_mmT4_T5_P12ihipStream_tbEUlRKxE_EESV_SZ_S10_mS11_S14_bEUlT_E_NS1_11comp_targetILNS1_3genE0ELNS1_11target_archE4294967295ELNS1_3gpuE0ELNS1_3repE0EEENS1_30default_config_static_selectorELNS0_4arch9wavefront6targetE1EEEvSY_.has_dyn_sized_stack, 0
	.set _ZN7rocprim17ROCPRIM_400000_NS6detail17trampoline_kernelINS0_14default_configENS1_29binary_search_config_selectorIxiEEZNS1_14transform_implILb0ES3_S5_N6thrust23THRUST_200600_302600_NS6detail15normal_iteratorINS8_7pointerIxNS8_11hip_rocprim5par_tENS8_11use_defaultESE_EEEENSA_INSB_IiSD_SE_SE_EEEEZNS1_13binary_searchIS3_S5_NSA_INS8_10device_ptrIxEEEESG_SI_NS1_16binary_search_opENS9_16wrapped_functionINS8_6system6detail7generic6detail18binary_search_lessEbEEEE10hipError_tPvRmT1_T2_T3_mmT4_T5_P12ihipStream_tbEUlRKxE_EESV_SZ_S10_mS11_S14_bEUlT_E_NS1_11comp_targetILNS1_3genE0ELNS1_11target_archE4294967295ELNS1_3gpuE0ELNS1_3repE0EEENS1_30default_config_static_selectorELNS0_4arch9wavefront6targetE1EEEvSY_.has_recursion, 0
	.set _ZN7rocprim17ROCPRIM_400000_NS6detail17trampoline_kernelINS0_14default_configENS1_29binary_search_config_selectorIxiEEZNS1_14transform_implILb0ES3_S5_N6thrust23THRUST_200600_302600_NS6detail15normal_iteratorINS8_7pointerIxNS8_11hip_rocprim5par_tENS8_11use_defaultESE_EEEENSA_INSB_IiSD_SE_SE_EEEEZNS1_13binary_searchIS3_S5_NSA_INS8_10device_ptrIxEEEESG_SI_NS1_16binary_search_opENS9_16wrapped_functionINS8_6system6detail7generic6detail18binary_search_lessEbEEEE10hipError_tPvRmT1_T2_T3_mmT4_T5_P12ihipStream_tbEUlRKxE_EESV_SZ_S10_mS11_S14_bEUlT_E_NS1_11comp_targetILNS1_3genE0ELNS1_11target_archE4294967295ELNS1_3gpuE0ELNS1_3repE0EEENS1_30default_config_static_selectorELNS0_4arch9wavefront6targetE1EEEvSY_.has_indirect_call, 0
	.section	.AMDGPU.csdata,"",@progbits
; Kernel info:
; codeLenInByte = 0
; TotalNumSgprs: 4
; NumVgprs: 0
; ScratchSize: 0
; MemoryBound: 0
; FloatMode: 240
; IeeeMode: 1
; LDSByteSize: 0 bytes/workgroup (compile time only)
; SGPRBlocks: 0
; VGPRBlocks: 0
; NumSGPRsForWavesPerEU: 4
; NumVGPRsForWavesPerEU: 1
; Occupancy: 10
; WaveLimiterHint : 0
; COMPUTE_PGM_RSRC2:SCRATCH_EN: 0
; COMPUTE_PGM_RSRC2:USER_SGPR: 6
; COMPUTE_PGM_RSRC2:TRAP_HANDLER: 0
; COMPUTE_PGM_RSRC2:TGID_X_EN: 1
; COMPUTE_PGM_RSRC2:TGID_Y_EN: 0
; COMPUTE_PGM_RSRC2:TGID_Z_EN: 0
; COMPUTE_PGM_RSRC2:TIDIG_COMP_CNT: 0
	.section	.text._ZN7rocprim17ROCPRIM_400000_NS6detail17trampoline_kernelINS0_14default_configENS1_29binary_search_config_selectorIxiEEZNS1_14transform_implILb0ES3_S5_N6thrust23THRUST_200600_302600_NS6detail15normal_iteratorINS8_7pointerIxNS8_11hip_rocprim5par_tENS8_11use_defaultESE_EEEENSA_INSB_IiSD_SE_SE_EEEEZNS1_13binary_searchIS3_S5_NSA_INS8_10device_ptrIxEEEESG_SI_NS1_16binary_search_opENS9_16wrapped_functionINS8_6system6detail7generic6detail18binary_search_lessEbEEEE10hipError_tPvRmT1_T2_T3_mmT4_T5_P12ihipStream_tbEUlRKxE_EESV_SZ_S10_mS11_S14_bEUlT_E_NS1_11comp_targetILNS1_3genE5ELNS1_11target_archE942ELNS1_3gpuE9ELNS1_3repE0EEENS1_30default_config_static_selectorELNS0_4arch9wavefront6targetE1EEEvSY_,"axG",@progbits,_ZN7rocprim17ROCPRIM_400000_NS6detail17trampoline_kernelINS0_14default_configENS1_29binary_search_config_selectorIxiEEZNS1_14transform_implILb0ES3_S5_N6thrust23THRUST_200600_302600_NS6detail15normal_iteratorINS8_7pointerIxNS8_11hip_rocprim5par_tENS8_11use_defaultESE_EEEENSA_INSB_IiSD_SE_SE_EEEEZNS1_13binary_searchIS3_S5_NSA_INS8_10device_ptrIxEEEESG_SI_NS1_16binary_search_opENS9_16wrapped_functionINS8_6system6detail7generic6detail18binary_search_lessEbEEEE10hipError_tPvRmT1_T2_T3_mmT4_T5_P12ihipStream_tbEUlRKxE_EESV_SZ_S10_mS11_S14_bEUlT_E_NS1_11comp_targetILNS1_3genE5ELNS1_11target_archE942ELNS1_3gpuE9ELNS1_3repE0EEENS1_30default_config_static_selectorELNS0_4arch9wavefront6targetE1EEEvSY_,comdat
	.protected	_ZN7rocprim17ROCPRIM_400000_NS6detail17trampoline_kernelINS0_14default_configENS1_29binary_search_config_selectorIxiEEZNS1_14transform_implILb0ES3_S5_N6thrust23THRUST_200600_302600_NS6detail15normal_iteratorINS8_7pointerIxNS8_11hip_rocprim5par_tENS8_11use_defaultESE_EEEENSA_INSB_IiSD_SE_SE_EEEEZNS1_13binary_searchIS3_S5_NSA_INS8_10device_ptrIxEEEESG_SI_NS1_16binary_search_opENS9_16wrapped_functionINS8_6system6detail7generic6detail18binary_search_lessEbEEEE10hipError_tPvRmT1_T2_T3_mmT4_T5_P12ihipStream_tbEUlRKxE_EESV_SZ_S10_mS11_S14_bEUlT_E_NS1_11comp_targetILNS1_3genE5ELNS1_11target_archE942ELNS1_3gpuE9ELNS1_3repE0EEENS1_30default_config_static_selectorELNS0_4arch9wavefront6targetE1EEEvSY_ ; -- Begin function _ZN7rocprim17ROCPRIM_400000_NS6detail17trampoline_kernelINS0_14default_configENS1_29binary_search_config_selectorIxiEEZNS1_14transform_implILb0ES3_S5_N6thrust23THRUST_200600_302600_NS6detail15normal_iteratorINS8_7pointerIxNS8_11hip_rocprim5par_tENS8_11use_defaultESE_EEEENSA_INSB_IiSD_SE_SE_EEEEZNS1_13binary_searchIS3_S5_NSA_INS8_10device_ptrIxEEEESG_SI_NS1_16binary_search_opENS9_16wrapped_functionINS8_6system6detail7generic6detail18binary_search_lessEbEEEE10hipError_tPvRmT1_T2_T3_mmT4_T5_P12ihipStream_tbEUlRKxE_EESV_SZ_S10_mS11_S14_bEUlT_E_NS1_11comp_targetILNS1_3genE5ELNS1_11target_archE942ELNS1_3gpuE9ELNS1_3repE0EEENS1_30default_config_static_selectorELNS0_4arch9wavefront6targetE1EEEvSY_
	.globl	_ZN7rocprim17ROCPRIM_400000_NS6detail17trampoline_kernelINS0_14default_configENS1_29binary_search_config_selectorIxiEEZNS1_14transform_implILb0ES3_S5_N6thrust23THRUST_200600_302600_NS6detail15normal_iteratorINS8_7pointerIxNS8_11hip_rocprim5par_tENS8_11use_defaultESE_EEEENSA_INSB_IiSD_SE_SE_EEEEZNS1_13binary_searchIS3_S5_NSA_INS8_10device_ptrIxEEEESG_SI_NS1_16binary_search_opENS9_16wrapped_functionINS8_6system6detail7generic6detail18binary_search_lessEbEEEE10hipError_tPvRmT1_T2_T3_mmT4_T5_P12ihipStream_tbEUlRKxE_EESV_SZ_S10_mS11_S14_bEUlT_E_NS1_11comp_targetILNS1_3genE5ELNS1_11target_archE942ELNS1_3gpuE9ELNS1_3repE0EEENS1_30default_config_static_selectorELNS0_4arch9wavefront6targetE1EEEvSY_
	.p2align	8
	.type	_ZN7rocprim17ROCPRIM_400000_NS6detail17trampoline_kernelINS0_14default_configENS1_29binary_search_config_selectorIxiEEZNS1_14transform_implILb0ES3_S5_N6thrust23THRUST_200600_302600_NS6detail15normal_iteratorINS8_7pointerIxNS8_11hip_rocprim5par_tENS8_11use_defaultESE_EEEENSA_INSB_IiSD_SE_SE_EEEEZNS1_13binary_searchIS3_S5_NSA_INS8_10device_ptrIxEEEESG_SI_NS1_16binary_search_opENS9_16wrapped_functionINS8_6system6detail7generic6detail18binary_search_lessEbEEEE10hipError_tPvRmT1_T2_T3_mmT4_T5_P12ihipStream_tbEUlRKxE_EESV_SZ_S10_mS11_S14_bEUlT_E_NS1_11comp_targetILNS1_3genE5ELNS1_11target_archE942ELNS1_3gpuE9ELNS1_3repE0EEENS1_30default_config_static_selectorELNS0_4arch9wavefront6targetE1EEEvSY_,@function
_ZN7rocprim17ROCPRIM_400000_NS6detail17trampoline_kernelINS0_14default_configENS1_29binary_search_config_selectorIxiEEZNS1_14transform_implILb0ES3_S5_N6thrust23THRUST_200600_302600_NS6detail15normal_iteratorINS8_7pointerIxNS8_11hip_rocprim5par_tENS8_11use_defaultESE_EEEENSA_INSB_IiSD_SE_SE_EEEEZNS1_13binary_searchIS3_S5_NSA_INS8_10device_ptrIxEEEESG_SI_NS1_16binary_search_opENS9_16wrapped_functionINS8_6system6detail7generic6detail18binary_search_lessEbEEEE10hipError_tPvRmT1_T2_T3_mmT4_T5_P12ihipStream_tbEUlRKxE_EESV_SZ_S10_mS11_S14_bEUlT_E_NS1_11comp_targetILNS1_3genE5ELNS1_11target_archE942ELNS1_3gpuE9ELNS1_3repE0EEENS1_30default_config_static_selectorELNS0_4arch9wavefront6targetE1EEEvSY_: ; @_ZN7rocprim17ROCPRIM_400000_NS6detail17trampoline_kernelINS0_14default_configENS1_29binary_search_config_selectorIxiEEZNS1_14transform_implILb0ES3_S5_N6thrust23THRUST_200600_302600_NS6detail15normal_iteratorINS8_7pointerIxNS8_11hip_rocprim5par_tENS8_11use_defaultESE_EEEENSA_INSB_IiSD_SE_SE_EEEEZNS1_13binary_searchIS3_S5_NSA_INS8_10device_ptrIxEEEESG_SI_NS1_16binary_search_opENS9_16wrapped_functionINS8_6system6detail7generic6detail18binary_search_lessEbEEEE10hipError_tPvRmT1_T2_T3_mmT4_T5_P12ihipStream_tbEUlRKxE_EESV_SZ_S10_mS11_S14_bEUlT_E_NS1_11comp_targetILNS1_3genE5ELNS1_11target_archE942ELNS1_3gpuE9ELNS1_3repE0EEENS1_30default_config_static_selectorELNS0_4arch9wavefront6targetE1EEEvSY_
; %bb.0:
	.section	.rodata,"a",@progbits
	.p2align	6, 0x0
	.amdhsa_kernel _ZN7rocprim17ROCPRIM_400000_NS6detail17trampoline_kernelINS0_14default_configENS1_29binary_search_config_selectorIxiEEZNS1_14transform_implILb0ES3_S5_N6thrust23THRUST_200600_302600_NS6detail15normal_iteratorINS8_7pointerIxNS8_11hip_rocprim5par_tENS8_11use_defaultESE_EEEENSA_INSB_IiSD_SE_SE_EEEEZNS1_13binary_searchIS3_S5_NSA_INS8_10device_ptrIxEEEESG_SI_NS1_16binary_search_opENS9_16wrapped_functionINS8_6system6detail7generic6detail18binary_search_lessEbEEEE10hipError_tPvRmT1_T2_T3_mmT4_T5_P12ihipStream_tbEUlRKxE_EESV_SZ_S10_mS11_S14_bEUlT_E_NS1_11comp_targetILNS1_3genE5ELNS1_11target_archE942ELNS1_3gpuE9ELNS1_3repE0EEENS1_30default_config_static_selectorELNS0_4arch9wavefront6targetE1EEEvSY_
		.amdhsa_group_segment_fixed_size 0
		.amdhsa_private_segment_fixed_size 0
		.amdhsa_kernarg_size 56
		.amdhsa_user_sgpr_count 6
		.amdhsa_user_sgpr_private_segment_buffer 1
		.amdhsa_user_sgpr_dispatch_ptr 0
		.amdhsa_user_sgpr_queue_ptr 0
		.amdhsa_user_sgpr_kernarg_segment_ptr 1
		.amdhsa_user_sgpr_dispatch_id 0
		.amdhsa_user_sgpr_flat_scratch_init 0
		.amdhsa_user_sgpr_private_segment_size 0
		.amdhsa_uses_dynamic_stack 0
		.amdhsa_system_sgpr_private_segment_wavefront_offset 0
		.amdhsa_system_sgpr_workgroup_id_x 1
		.amdhsa_system_sgpr_workgroup_id_y 0
		.amdhsa_system_sgpr_workgroup_id_z 0
		.amdhsa_system_sgpr_workgroup_info 0
		.amdhsa_system_vgpr_workitem_id 0
		.amdhsa_next_free_vgpr 1
		.amdhsa_next_free_sgpr 0
		.amdhsa_reserve_vcc 0
		.amdhsa_reserve_flat_scratch 0
		.amdhsa_float_round_mode_32 0
		.amdhsa_float_round_mode_16_64 0
		.amdhsa_float_denorm_mode_32 3
		.amdhsa_float_denorm_mode_16_64 3
		.amdhsa_dx10_clamp 1
		.amdhsa_ieee_mode 1
		.amdhsa_fp16_overflow 0
		.amdhsa_exception_fp_ieee_invalid_op 0
		.amdhsa_exception_fp_denorm_src 0
		.amdhsa_exception_fp_ieee_div_zero 0
		.amdhsa_exception_fp_ieee_overflow 0
		.amdhsa_exception_fp_ieee_underflow 0
		.amdhsa_exception_fp_ieee_inexact 0
		.amdhsa_exception_int_div_zero 0
	.end_amdhsa_kernel
	.section	.text._ZN7rocprim17ROCPRIM_400000_NS6detail17trampoline_kernelINS0_14default_configENS1_29binary_search_config_selectorIxiEEZNS1_14transform_implILb0ES3_S5_N6thrust23THRUST_200600_302600_NS6detail15normal_iteratorINS8_7pointerIxNS8_11hip_rocprim5par_tENS8_11use_defaultESE_EEEENSA_INSB_IiSD_SE_SE_EEEEZNS1_13binary_searchIS3_S5_NSA_INS8_10device_ptrIxEEEESG_SI_NS1_16binary_search_opENS9_16wrapped_functionINS8_6system6detail7generic6detail18binary_search_lessEbEEEE10hipError_tPvRmT1_T2_T3_mmT4_T5_P12ihipStream_tbEUlRKxE_EESV_SZ_S10_mS11_S14_bEUlT_E_NS1_11comp_targetILNS1_3genE5ELNS1_11target_archE942ELNS1_3gpuE9ELNS1_3repE0EEENS1_30default_config_static_selectorELNS0_4arch9wavefront6targetE1EEEvSY_,"axG",@progbits,_ZN7rocprim17ROCPRIM_400000_NS6detail17trampoline_kernelINS0_14default_configENS1_29binary_search_config_selectorIxiEEZNS1_14transform_implILb0ES3_S5_N6thrust23THRUST_200600_302600_NS6detail15normal_iteratorINS8_7pointerIxNS8_11hip_rocprim5par_tENS8_11use_defaultESE_EEEENSA_INSB_IiSD_SE_SE_EEEEZNS1_13binary_searchIS3_S5_NSA_INS8_10device_ptrIxEEEESG_SI_NS1_16binary_search_opENS9_16wrapped_functionINS8_6system6detail7generic6detail18binary_search_lessEbEEEE10hipError_tPvRmT1_T2_T3_mmT4_T5_P12ihipStream_tbEUlRKxE_EESV_SZ_S10_mS11_S14_bEUlT_E_NS1_11comp_targetILNS1_3genE5ELNS1_11target_archE942ELNS1_3gpuE9ELNS1_3repE0EEENS1_30default_config_static_selectorELNS0_4arch9wavefront6targetE1EEEvSY_,comdat
.Lfunc_end690:
	.size	_ZN7rocprim17ROCPRIM_400000_NS6detail17trampoline_kernelINS0_14default_configENS1_29binary_search_config_selectorIxiEEZNS1_14transform_implILb0ES3_S5_N6thrust23THRUST_200600_302600_NS6detail15normal_iteratorINS8_7pointerIxNS8_11hip_rocprim5par_tENS8_11use_defaultESE_EEEENSA_INSB_IiSD_SE_SE_EEEEZNS1_13binary_searchIS3_S5_NSA_INS8_10device_ptrIxEEEESG_SI_NS1_16binary_search_opENS9_16wrapped_functionINS8_6system6detail7generic6detail18binary_search_lessEbEEEE10hipError_tPvRmT1_T2_T3_mmT4_T5_P12ihipStream_tbEUlRKxE_EESV_SZ_S10_mS11_S14_bEUlT_E_NS1_11comp_targetILNS1_3genE5ELNS1_11target_archE942ELNS1_3gpuE9ELNS1_3repE0EEENS1_30default_config_static_selectorELNS0_4arch9wavefront6targetE1EEEvSY_, .Lfunc_end690-_ZN7rocprim17ROCPRIM_400000_NS6detail17trampoline_kernelINS0_14default_configENS1_29binary_search_config_selectorIxiEEZNS1_14transform_implILb0ES3_S5_N6thrust23THRUST_200600_302600_NS6detail15normal_iteratorINS8_7pointerIxNS8_11hip_rocprim5par_tENS8_11use_defaultESE_EEEENSA_INSB_IiSD_SE_SE_EEEEZNS1_13binary_searchIS3_S5_NSA_INS8_10device_ptrIxEEEESG_SI_NS1_16binary_search_opENS9_16wrapped_functionINS8_6system6detail7generic6detail18binary_search_lessEbEEEE10hipError_tPvRmT1_T2_T3_mmT4_T5_P12ihipStream_tbEUlRKxE_EESV_SZ_S10_mS11_S14_bEUlT_E_NS1_11comp_targetILNS1_3genE5ELNS1_11target_archE942ELNS1_3gpuE9ELNS1_3repE0EEENS1_30default_config_static_selectorELNS0_4arch9wavefront6targetE1EEEvSY_
                                        ; -- End function
	.set _ZN7rocprim17ROCPRIM_400000_NS6detail17trampoline_kernelINS0_14default_configENS1_29binary_search_config_selectorIxiEEZNS1_14transform_implILb0ES3_S5_N6thrust23THRUST_200600_302600_NS6detail15normal_iteratorINS8_7pointerIxNS8_11hip_rocprim5par_tENS8_11use_defaultESE_EEEENSA_INSB_IiSD_SE_SE_EEEEZNS1_13binary_searchIS3_S5_NSA_INS8_10device_ptrIxEEEESG_SI_NS1_16binary_search_opENS9_16wrapped_functionINS8_6system6detail7generic6detail18binary_search_lessEbEEEE10hipError_tPvRmT1_T2_T3_mmT4_T5_P12ihipStream_tbEUlRKxE_EESV_SZ_S10_mS11_S14_bEUlT_E_NS1_11comp_targetILNS1_3genE5ELNS1_11target_archE942ELNS1_3gpuE9ELNS1_3repE0EEENS1_30default_config_static_selectorELNS0_4arch9wavefront6targetE1EEEvSY_.num_vgpr, 0
	.set _ZN7rocprim17ROCPRIM_400000_NS6detail17trampoline_kernelINS0_14default_configENS1_29binary_search_config_selectorIxiEEZNS1_14transform_implILb0ES3_S5_N6thrust23THRUST_200600_302600_NS6detail15normal_iteratorINS8_7pointerIxNS8_11hip_rocprim5par_tENS8_11use_defaultESE_EEEENSA_INSB_IiSD_SE_SE_EEEEZNS1_13binary_searchIS3_S5_NSA_INS8_10device_ptrIxEEEESG_SI_NS1_16binary_search_opENS9_16wrapped_functionINS8_6system6detail7generic6detail18binary_search_lessEbEEEE10hipError_tPvRmT1_T2_T3_mmT4_T5_P12ihipStream_tbEUlRKxE_EESV_SZ_S10_mS11_S14_bEUlT_E_NS1_11comp_targetILNS1_3genE5ELNS1_11target_archE942ELNS1_3gpuE9ELNS1_3repE0EEENS1_30default_config_static_selectorELNS0_4arch9wavefront6targetE1EEEvSY_.num_agpr, 0
	.set _ZN7rocprim17ROCPRIM_400000_NS6detail17trampoline_kernelINS0_14default_configENS1_29binary_search_config_selectorIxiEEZNS1_14transform_implILb0ES3_S5_N6thrust23THRUST_200600_302600_NS6detail15normal_iteratorINS8_7pointerIxNS8_11hip_rocprim5par_tENS8_11use_defaultESE_EEEENSA_INSB_IiSD_SE_SE_EEEEZNS1_13binary_searchIS3_S5_NSA_INS8_10device_ptrIxEEEESG_SI_NS1_16binary_search_opENS9_16wrapped_functionINS8_6system6detail7generic6detail18binary_search_lessEbEEEE10hipError_tPvRmT1_T2_T3_mmT4_T5_P12ihipStream_tbEUlRKxE_EESV_SZ_S10_mS11_S14_bEUlT_E_NS1_11comp_targetILNS1_3genE5ELNS1_11target_archE942ELNS1_3gpuE9ELNS1_3repE0EEENS1_30default_config_static_selectorELNS0_4arch9wavefront6targetE1EEEvSY_.numbered_sgpr, 0
	.set _ZN7rocprim17ROCPRIM_400000_NS6detail17trampoline_kernelINS0_14default_configENS1_29binary_search_config_selectorIxiEEZNS1_14transform_implILb0ES3_S5_N6thrust23THRUST_200600_302600_NS6detail15normal_iteratorINS8_7pointerIxNS8_11hip_rocprim5par_tENS8_11use_defaultESE_EEEENSA_INSB_IiSD_SE_SE_EEEEZNS1_13binary_searchIS3_S5_NSA_INS8_10device_ptrIxEEEESG_SI_NS1_16binary_search_opENS9_16wrapped_functionINS8_6system6detail7generic6detail18binary_search_lessEbEEEE10hipError_tPvRmT1_T2_T3_mmT4_T5_P12ihipStream_tbEUlRKxE_EESV_SZ_S10_mS11_S14_bEUlT_E_NS1_11comp_targetILNS1_3genE5ELNS1_11target_archE942ELNS1_3gpuE9ELNS1_3repE0EEENS1_30default_config_static_selectorELNS0_4arch9wavefront6targetE1EEEvSY_.num_named_barrier, 0
	.set _ZN7rocprim17ROCPRIM_400000_NS6detail17trampoline_kernelINS0_14default_configENS1_29binary_search_config_selectorIxiEEZNS1_14transform_implILb0ES3_S5_N6thrust23THRUST_200600_302600_NS6detail15normal_iteratorINS8_7pointerIxNS8_11hip_rocprim5par_tENS8_11use_defaultESE_EEEENSA_INSB_IiSD_SE_SE_EEEEZNS1_13binary_searchIS3_S5_NSA_INS8_10device_ptrIxEEEESG_SI_NS1_16binary_search_opENS9_16wrapped_functionINS8_6system6detail7generic6detail18binary_search_lessEbEEEE10hipError_tPvRmT1_T2_T3_mmT4_T5_P12ihipStream_tbEUlRKxE_EESV_SZ_S10_mS11_S14_bEUlT_E_NS1_11comp_targetILNS1_3genE5ELNS1_11target_archE942ELNS1_3gpuE9ELNS1_3repE0EEENS1_30default_config_static_selectorELNS0_4arch9wavefront6targetE1EEEvSY_.private_seg_size, 0
	.set _ZN7rocprim17ROCPRIM_400000_NS6detail17trampoline_kernelINS0_14default_configENS1_29binary_search_config_selectorIxiEEZNS1_14transform_implILb0ES3_S5_N6thrust23THRUST_200600_302600_NS6detail15normal_iteratorINS8_7pointerIxNS8_11hip_rocprim5par_tENS8_11use_defaultESE_EEEENSA_INSB_IiSD_SE_SE_EEEEZNS1_13binary_searchIS3_S5_NSA_INS8_10device_ptrIxEEEESG_SI_NS1_16binary_search_opENS9_16wrapped_functionINS8_6system6detail7generic6detail18binary_search_lessEbEEEE10hipError_tPvRmT1_T2_T3_mmT4_T5_P12ihipStream_tbEUlRKxE_EESV_SZ_S10_mS11_S14_bEUlT_E_NS1_11comp_targetILNS1_3genE5ELNS1_11target_archE942ELNS1_3gpuE9ELNS1_3repE0EEENS1_30default_config_static_selectorELNS0_4arch9wavefront6targetE1EEEvSY_.uses_vcc, 0
	.set _ZN7rocprim17ROCPRIM_400000_NS6detail17trampoline_kernelINS0_14default_configENS1_29binary_search_config_selectorIxiEEZNS1_14transform_implILb0ES3_S5_N6thrust23THRUST_200600_302600_NS6detail15normal_iteratorINS8_7pointerIxNS8_11hip_rocprim5par_tENS8_11use_defaultESE_EEEENSA_INSB_IiSD_SE_SE_EEEEZNS1_13binary_searchIS3_S5_NSA_INS8_10device_ptrIxEEEESG_SI_NS1_16binary_search_opENS9_16wrapped_functionINS8_6system6detail7generic6detail18binary_search_lessEbEEEE10hipError_tPvRmT1_T2_T3_mmT4_T5_P12ihipStream_tbEUlRKxE_EESV_SZ_S10_mS11_S14_bEUlT_E_NS1_11comp_targetILNS1_3genE5ELNS1_11target_archE942ELNS1_3gpuE9ELNS1_3repE0EEENS1_30default_config_static_selectorELNS0_4arch9wavefront6targetE1EEEvSY_.uses_flat_scratch, 0
	.set _ZN7rocprim17ROCPRIM_400000_NS6detail17trampoline_kernelINS0_14default_configENS1_29binary_search_config_selectorIxiEEZNS1_14transform_implILb0ES3_S5_N6thrust23THRUST_200600_302600_NS6detail15normal_iteratorINS8_7pointerIxNS8_11hip_rocprim5par_tENS8_11use_defaultESE_EEEENSA_INSB_IiSD_SE_SE_EEEEZNS1_13binary_searchIS3_S5_NSA_INS8_10device_ptrIxEEEESG_SI_NS1_16binary_search_opENS9_16wrapped_functionINS8_6system6detail7generic6detail18binary_search_lessEbEEEE10hipError_tPvRmT1_T2_T3_mmT4_T5_P12ihipStream_tbEUlRKxE_EESV_SZ_S10_mS11_S14_bEUlT_E_NS1_11comp_targetILNS1_3genE5ELNS1_11target_archE942ELNS1_3gpuE9ELNS1_3repE0EEENS1_30default_config_static_selectorELNS0_4arch9wavefront6targetE1EEEvSY_.has_dyn_sized_stack, 0
	.set _ZN7rocprim17ROCPRIM_400000_NS6detail17trampoline_kernelINS0_14default_configENS1_29binary_search_config_selectorIxiEEZNS1_14transform_implILb0ES3_S5_N6thrust23THRUST_200600_302600_NS6detail15normal_iteratorINS8_7pointerIxNS8_11hip_rocprim5par_tENS8_11use_defaultESE_EEEENSA_INSB_IiSD_SE_SE_EEEEZNS1_13binary_searchIS3_S5_NSA_INS8_10device_ptrIxEEEESG_SI_NS1_16binary_search_opENS9_16wrapped_functionINS8_6system6detail7generic6detail18binary_search_lessEbEEEE10hipError_tPvRmT1_T2_T3_mmT4_T5_P12ihipStream_tbEUlRKxE_EESV_SZ_S10_mS11_S14_bEUlT_E_NS1_11comp_targetILNS1_3genE5ELNS1_11target_archE942ELNS1_3gpuE9ELNS1_3repE0EEENS1_30default_config_static_selectorELNS0_4arch9wavefront6targetE1EEEvSY_.has_recursion, 0
	.set _ZN7rocprim17ROCPRIM_400000_NS6detail17trampoline_kernelINS0_14default_configENS1_29binary_search_config_selectorIxiEEZNS1_14transform_implILb0ES3_S5_N6thrust23THRUST_200600_302600_NS6detail15normal_iteratorINS8_7pointerIxNS8_11hip_rocprim5par_tENS8_11use_defaultESE_EEEENSA_INSB_IiSD_SE_SE_EEEEZNS1_13binary_searchIS3_S5_NSA_INS8_10device_ptrIxEEEESG_SI_NS1_16binary_search_opENS9_16wrapped_functionINS8_6system6detail7generic6detail18binary_search_lessEbEEEE10hipError_tPvRmT1_T2_T3_mmT4_T5_P12ihipStream_tbEUlRKxE_EESV_SZ_S10_mS11_S14_bEUlT_E_NS1_11comp_targetILNS1_3genE5ELNS1_11target_archE942ELNS1_3gpuE9ELNS1_3repE0EEENS1_30default_config_static_selectorELNS0_4arch9wavefront6targetE1EEEvSY_.has_indirect_call, 0
	.section	.AMDGPU.csdata,"",@progbits
; Kernel info:
; codeLenInByte = 0
; TotalNumSgprs: 4
; NumVgprs: 0
; ScratchSize: 0
; MemoryBound: 0
; FloatMode: 240
; IeeeMode: 1
; LDSByteSize: 0 bytes/workgroup (compile time only)
; SGPRBlocks: 0
; VGPRBlocks: 0
; NumSGPRsForWavesPerEU: 4
; NumVGPRsForWavesPerEU: 1
; Occupancy: 10
; WaveLimiterHint : 0
; COMPUTE_PGM_RSRC2:SCRATCH_EN: 0
; COMPUTE_PGM_RSRC2:USER_SGPR: 6
; COMPUTE_PGM_RSRC2:TRAP_HANDLER: 0
; COMPUTE_PGM_RSRC2:TGID_X_EN: 1
; COMPUTE_PGM_RSRC2:TGID_Y_EN: 0
; COMPUTE_PGM_RSRC2:TGID_Z_EN: 0
; COMPUTE_PGM_RSRC2:TIDIG_COMP_CNT: 0
	.section	.text._ZN7rocprim17ROCPRIM_400000_NS6detail17trampoline_kernelINS0_14default_configENS1_29binary_search_config_selectorIxiEEZNS1_14transform_implILb0ES3_S5_N6thrust23THRUST_200600_302600_NS6detail15normal_iteratorINS8_7pointerIxNS8_11hip_rocprim5par_tENS8_11use_defaultESE_EEEENSA_INSB_IiSD_SE_SE_EEEEZNS1_13binary_searchIS3_S5_NSA_INS8_10device_ptrIxEEEESG_SI_NS1_16binary_search_opENS9_16wrapped_functionINS8_6system6detail7generic6detail18binary_search_lessEbEEEE10hipError_tPvRmT1_T2_T3_mmT4_T5_P12ihipStream_tbEUlRKxE_EESV_SZ_S10_mS11_S14_bEUlT_E_NS1_11comp_targetILNS1_3genE4ELNS1_11target_archE910ELNS1_3gpuE8ELNS1_3repE0EEENS1_30default_config_static_selectorELNS0_4arch9wavefront6targetE1EEEvSY_,"axG",@progbits,_ZN7rocprim17ROCPRIM_400000_NS6detail17trampoline_kernelINS0_14default_configENS1_29binary_search_config_selectorIxiEEZNS1_14transform_implILb0ES3_S5_N6thrust23THRUST_200600_302600_NS6detail15normal_iteratorINS8_7pointerIxNS8_11hip_rocprim5par_tENS8_11use_defaultESE_EEEENSA_INSB_IiSD_SE_SE_EEEEZNS1_13binary_searchIS3_S5_NSA_INS8_10device_ptrIxEEEESG_SI_NS1_16binary_search_opENS9_16wrapped_functionINS8_6system6detail7generic6detail18binary_search_lessEbEEEE10hipError_tPvRmT1_T2_T3_mmT4_T5_P12ihipStream_tbEUlRKxE_EESV_SZ_S10_mS11_S14_bEUlT_E_NS1_11comp_targetILNS1_3genE4ELNS1_11target_archE910ELNS1_3gpuE8ELNS1_3repE0EEENS1_30default_config_static_selectorELNS0_4arch9wavefront6targetE1EEEvSY_,comdat
	.protected	_ZN7rocprim17ROCPRIM_400000_NS6detail17trampoline_kernelINS0_14default_configENS1_29binary_search_config_selectorIxiEEZNS1_14transform_implILb0ES3_S5_N6thrust23THRUST_200600_302600_NS6detail15normal_iteratorINS8_7pointerIxNS8_11hip_rocprim5par_tENS8_11use_defaultESE_EEEENSA_INSB_IiSD_SE_SE_EEEEZNS1_13binary_searchIS3_S5_NSA_INS8_10device_ptrIxEEEESG_SI_NS1_16binary_search_opENS9_16wrapped_functionINS8_6system6detail7generic6detail18binary_search_lessEbEEEE10hipError_tPvRmT1_T2_T3_mmT4_T5_P12ihipStream_tbEUlRKxE_EESV_SZ_S10_mS11_S14_bEUlT_E_NS1_11comp_targetILNS1_3genE4ELNS1_11target_archE910ELNS1_3gpuE8ELNS1_3repE0EEENS1_30default_config_static_selectorELNS0_4arch9wavefront6targetE1EEEvSY_ ; -- Begin function _ZN7rocprim17ROCPRIM_400000_NS6detail17trampoline_kernelINS0_14default_configENS1_29binary_search_config_selectorIxiEEZNS1_14transform_implILb0ES3_S5_N6thrust23THRUST_200600_302600_NS6detail15normal_iteratorINS8_7pointerIxNS8_11hip_rocprim5par_tENS8_11use_defaultESE_EEEENSA_INSB_IiSD_SE_SE_EEEEZNS1_13binary_searchIS3_S5_NSA_INS8_10device_ptrIxEEEESG_SI_NS1_16binary_search_opENS9_16wrapped_functionINS8_6system6detail7generic6detail18binary_search_lessEbEEEE10hipError_tPvRmT1_T2_T3_mmT4_T5_P12ihipStream_tbEUlRKxE_EESV_SZ_S10_mS11_S14_bEUlT_E_NS1_11comp_targetILNS1_3genE4ELNS1_11target_archE910ELNS1_3gpuE8ELNS1_3repE0EEENS1_30default_config_static_selectorELNS0_4arch9wavefront6targetE1EEEvSY_
	.globl	_ZN7rocprim17ROCPRIM_400000_NS6detail17trampoline_kernelINS0_14default_configENS1_29binary_search_config_selectorIxiEEZNS1_14transform_implILb0ES3_S5_N6thrust23THRUST_200600_302600_NS6detail15normal_iteratorINS8_7pointerIxNS8_11hip_rocprim5par_tENS8_11use_defaultESE_EEEENSA_INSB_IiSD_SE_SE_EEEEZNS1_13binary_searchIS3_S5_NSA_INS8_10device_ptrIxEEEESG_SI_NS1_16binary_search_opENS9_16wrapped_functionINS8_6system6detail7generic6detail18binary_search_lessEbEEEE10hipError_tPvRmT1_T2_T3_mmT4_T5_P12ihipStream_tbEUlRKxE_EESV_SZ_S10_mS11_S14_bEUlT_E_NS1_11comp_targetILNS1_3genE4ELNS1_11target_archE910ELNS1_3gpuE8ELNS1_3repE0EEENS1_30default_config_static_selectorELNS0_4arch9wavefront6targetE1EEEvSY_
	.p2align	8
	.type	_ZN7rocprim17ROCPRIM_400000_NS6detail17trampoline_kernelINS0_14default_configENS1_29binary_search_config_selectorIxiEEZNS1_14transform_implILb0ES3_S5_N6thrust23THRUST_200600_302600_NS6detail15normal_iteratorINS8_7pointerIxNS8_11hip_rocprim5par_tENS8_11use_defaultESE_EEEENSA_INSB_IiSD_SE_SE_EEEEZNS1_13binary_searchIS3_S5_NSA_INS8_10device_ptrIxEEEESG_SI_NS1_16binary_search_opENS9_16wrapped_functionINS8_6system6detail7generic6detail18binary_search_lessEbEEEE10hipError_tPvRmT1_T2_T3_mmT4_T5_P12ihipStream_tbEUlRKxE_EESV_SZ_S10_mS11_S14_bEUlT_E_NS1_11comp_targetILNS1_3genE4ELNS1_11target_archE910ELNS1_3gpuE8ELNS1_3repE0EEENS1_30default_config_static_selectorELNS0_4arch9wavefront6targetE1EEEvSY_,@function
_ZN7rocprim17ROCPRIM_400000_NS6detail17trampoline_kernelINS0_14default_configENS1_29binary_search_config_selectorIxiEEZNS1_14transform_implILb0ES3_S5_N6thrust23THRUST_200600_302600_NS6detail15normal_iteratorINS8_7pointerIxNS8_11hip_rocprim5par_tENS8_11use_defaultESE_EEEENSA_INSB_IiSD_SE_SE_EEEEZNS1_13binary_searchIS3_S5_NSA_INS8_10device_ptrIxEEEESG_SI_NS1_16binary_search_opENS9_16wrapped_functionINS8_6system6detail7generic6detail18binary_search_lessEbEEEE10hipError_tPvRmT1_T2_T3_mmT4_T5_P12ihipStream_tbEUlRKxE_EESV_SZ_S10_mS11_S14_bEUlT_E_NS1_11comp_targetILNS1_3genE4ELNS1_11target_archE910ELNS1_3gpuE8ELNS1_3repE0EEENS1_30default_config_static_selectorELNS0_4arch9wavefront6targetE1EEEvSY_: ; @_ZN7rocprim17ROCPRIM_400000_NS6detail17trampoline_kernelINS0_14default_configENS1_29binary_search_config_selectorIxiEEZNS1_14transform_implILb0ES3_S5_N6thrust23THRUST_200600_302600_NS6detail15normal_iteratorINS8_7pointerIxNS8_11hip_rocprim5par_tENS8_11use_defaultESE_EEEENSA_INSB_IiSD_SE_SE_EEEEZNS1_13binary_searchIS3_S5_NSA_INS8_10device_ptrIxEEEESG_SI_NS1_16binary_search_opENS9_16wrapped_functionINS8_6system6detail7generic6detail18binary_search_lessEbEEEE10hipError_tPvRmT1_T2_T3_mmT4_T5_P12ihipStream_tbEUlRKxE_EESV_SZ_S10_mS11_S14_bEUlT_E_NS1_11comp_targetILNS1_3genE4ELNS1_11target_archE910ELNS1_3gpuE8ELNS1_3repE0EEENS1_30default_config_static_selectorELNS0_4arch9wavefront6targetE1EEEvSY_
; %bb.0:
	.section	.rodata,"a",@progbits
	.p2align	6, 0x0
	.amdhsa_kernel _ZN7rocprim17ROCPRIM_400000_NS6detail17trampoline_kernelINS0_14default_configENS1_29binary_search_config_selectorIxiEEZNS1_14transform_implILb0ES3_S5_N6thrust23THRUST_200600_302600_NS6detail15normal_iteratorINS8_7pointerIxNS8_11hip_rocprim5par_tENS8_11use_defaultESE_EEEENSA_INSB_IiSD_SE_SE_EEEEZNS1_13binary_searchIS3_S5_NSA_INS8_10device_ptrIxEEEESG_SI_NS1_16binary_search_opENS9_16wrapped_functionINS8_6system6detail7generic6detail18binary_search_lessEbEEEE10hipError_tPvRmT1_T2_T3_mmT4_T5_P12ihipStream_tbEUlRKxE_EESV_SZ_S10_mS11_S14_bEUlT_E_NS1_11comp_targetILNS1_3genE4ELNS1_11target_archE910ELNS1_3gpuE8ELNS1_3repE0EEENS1_30default_config_static_selectorELNS0_4arch9wavefront6targetE1EEEvSY_
		.amdhsa_group_segment_fixed_size 0
		.amdhsa_private_segment_fixed_size 0
		.amdhsa_kernarg_size 56
		.amdhsa_user_sgpr_count 6
		.amdhsa_user_sgpr_private_segment_buffer 1
		.amdhsa_user_sgpr_dispatch_ptr 0
		.amdhsa_user_sgpr_queue_ptr 0
		.amdhsa_user_sgpr_kernarg_segment_ptr 1
		.amdhsa_user_sgpr_dispatch_id 0
		.amdhsa_user_sgpr_flat_scratch_init 0
		.amdhsa_user_sgpr_private_segment_size 0
		.amdhsa_uses_dynamic_stack 0
		.amdhsa_system_sgpr_private_segment_wavefront_offset 0
		.amdhsa_system_sgpr_workgroup_id_x 1
		.amdhsa_system_sgpr_workgroup_id_y 0
		.amdhsa_system_sgpr_workgroup_id_z 0
		.amdhsa_system_sgpr_workgroup_info 0
		.amdhsa_system_vgpr_workitem_id 0
		.amdhsa_next_free_vgpr 1
		.amdhsa_next_free_sgpr 0
		.amdhsa_reserve_vcc 0
		.amdhsa_reserve_flat_scratch 0
		.amdhsa_float_round_mode_32 0
		.amdhsa_float_round_mode_16_64 0
		.amdhsa_float_denorm_mode_32 3
		.amdhsa_float_denorm_mode_16_64 3
		.amdhsa_dx10_clamp 1
		.amdhsa_ieee_mode 1
		.amdhsa_fp16_overflow 0
		.amdhsa_exception_fp_ieee_invalid_op 0
		.amdhsa_exception_fp_denorm_src 0
		.amdhsa_exception_fp_ieee_div_zero 0
		.amdhsa_exception_fp_ieee_overflow 0
		.amdhsa_exception_fp_ieee_underflow 0
		.amdhsa_exception_fp_ieee_inexact 0
		.amdhsa_exception_int_div_zero 0
	.end_amdhsa_kernel
	.section	.text._ZN7rocprim17ROCPRIM_400000_NS6detail17trampoline_kernelINS0_14default_configENS1_29binary_search_config_selectorIxiEEZNS1_14transform_implILb0ES3_S5_N6thrust23THRUST_200600_302600_NS6detail15normal_iteratorINS8_7pointerIxNS8_11hip_rocprim5par_tENS8_11use_defaultESE_EEEENSA_INSB_IiSD_SE_SE_EEEEZNS1_13binary_searchIS3_S5_NSA_INS8_10device_ptrIxEEEESG_SI_NS1_16binary_search_opENS9_16wrapped_functionINS8_6system6detail7generic6detail18binary_search_lessEbEEEE10hipError_tPvRmT1_T2_T3_mmT4_T5_P12ihipStream_tbEUlRKxE_EESV_SZ_S10_mS11_S14_bEUlT_E_NS1_11comp_targetILNS1_3genE4ELNS1_11target_archE910ELNS1_3gpuE8ELNS1_3repE0EEENS1_30default_config_static_selectorELNS0_4arch9wavefront6targetE1EEEvSY_,"axG",@progbits,_ZN7rocprim17ROCPRIM_400000_NS6detail17trampoline_kernelINS0_14default_configENS1_29binary_search_config_selectorIxiEEZNS1_14transform_implILb0ES3_S5_N6thrust23THRUST_200600_302600_NS6detail15normal_iteratorINS8_7pointerIxNS8_11hip_rocprim5par_tENS8_11use_defaultESE_EEEENSA_INSB_IiSD_SE_SE_EEEEZNS1_13binary_searchIS3_S5_NSA_INS8_10device_ptrIxEEEESG_SI_NS1_16binary_search_opENS9_16wrapped_functionINS8_6system6detail7generic6detail18binary_search_lessEbEEEE10hipError_tPvRmT1_T2_T3_mmT4_T5_P12ihipStream_tbEUlRKxE_EESV_SZ_S10_mS11_S14_bEUlT_E_NS1_11comp_targetILNS1_3genE4ELNS1_11target_archE910ELNS1_3gpuE8ELNS1_3repE0EEENS1_30default_config_static_selectorELNS0_4arch9wavefront6targetE1EEEvSY_,comdat
.Lfunc_end691:
	.size	_ZN7rocprim17ROCPRIM_400000_NS6detail17trampoline_kernelINS0_14default_configENS1_29binary_search_config_selectorIxiEEZNS1_14transform_implILb0ES3_S5_N6thrust23THRUST_200600_302600_NS6detail15normal_iteratorINS8_7pointerIxNS8_11hip_rocprim5par_tENS8_11use_defaultESE_EEEENSA_INSB_IiSD_SE_SE_EEEEZNS1_13binary_searchIS3_S5_NSA_INS8_10device_ptrIxEEEESG_SI_NS1_16binary_search_opENS9_16wrapped_functionINS8_6system6detail7generic6detail18binary_search_lessEbEEEE10hipError_tPvRmT1_T2_T3_mmT4_T5_P12ihipStream_tbEUlRKxE_EESV_SZ_S10_mS11_S14_bEUlT_E_NS1_11comp_targetILNS1_3genE4ELNS1_11target_archE910ELNS1_3gpuE8ELNS1_3repE0EEENS1_30default_config_static_selectorELNS0_4arch9wavefront6targetE1EEEvSY_, .Lfunc_end691-_ZN7rocprim17ROCPRIM_400000_NS6detail17trampoline_kernelINS0_14default_configENS1_29binary_search_config_selectorIxiEEZNS1_14transform_implILb0ES3_S5_N6thrust23THRUST_200600_302600_NS6detail15normal_iteratorINS8_7pointerIxNS8_11hip_rocprim5par_tENS8_11use_defaultESE_EEEENSA_INSB_IiSD_SE_SE_EEEEZNS1_13binary_searchIS3_S5_NSA_INS8_10device_ptrIxEEEESG_SI_NS1_16binary_search_opENS9_16wrapped_functionINS8_6system6detail7generic6detail18binary_search_lessEbEEEE10hipError_tPvRmT1_T2_T3_mmT4_T5_P12ihipStream_tbEUlRKxE_EESV_SZ_S10_mS11_S14_bEUlT_E_NS1_11comp_targetILNS1_3genE4ELNS1_11target_archE910ELNS1_3gpuE8ELNS1_3repE0EEENS1_30default_config_static_selectorELNS0_4arch9wavefront6targetE1EEEvSY_
                                        ; -- End function
	.set _ZN7rocprim17ROCPRIM_400000_NS6detail17trampoline_kernelINS0_14default_configENS1_29binary_search_config_selectorIxiEEZNS1_14transform_implILb0ES3_S5_N6thrust23THRUST_200600_302600_NS6detail15normal_iteratorINS8_7pointerIxNS8_11hip_rocprim5par_tENS8_11use_defaultESE_EEEENSA_INSB_IiSD_SE_SE_EEEEZNS1_13binary_searchIS3_S5_NSA_INS8_10device_ptrIxEEEESG_SI_NS1_16binary_search_opENS9_16wrapped_functionINS8_6system6detail7generic6detail18binary_search_lessEbEEEE10hipError_tPvRmT1_T2_T3_mmT4_T5_P12ihipStream_tbEUlRKxE_EESV_SZ_S10_mS11_S14_bEUlT_E_NS1_11comp_targetILNS1_3genE4ELNS1_11target_archE910ELNS1_3gpuE8ELNS1_3repE0EEENS1_30default_config_static_selectorELNS0_4arch9wavefront6targetE1EEEvSY_.num_vgpr, 0
	.set _ZN7rocprim17ROCPRIM_400000_NS6detail17trampoline_kernelINS0_14default_configENS1_29binary_search_config_selectorIxiEEZNS1_14transform_implILb0ES3_S5_N6thrust23THRUST_200600_302600_NS6detail15normal_iteratorINS8_7pointerIxNS8_11hip_rocprim5par_tENS8_11use_defaultESE_EEEENSA_INSB_IiSD_SE_SE_EEEEZNS1_13binary_searchIS3_S5_NSA_INS8_10device_ptrIxEEEESG_SI_NS1_16binary_search_opENS9_16wrapped_functionINS8_6system6detail7generic6detail18binary_search_lessEbEEEE10hipError_tPvRmT1_T2_T3_mmT4_T5_P12ihipStream_tbEUlRKxE_EESV_SZ_S10_mS11_S14_bEUlT_E_NS1_11comp_targetILNS1_3genE4ELNS1_11target_archE910ELNS1_3gpuE8ELNS1_3repE0EEENS1_30default_config_static_selectorELNS0_4arch9wavefront6targetE1EEEvSY_.num_agpr, 0
	.set _ZN7rocprim17ROCPRIM_400000_NS6detail17trampoline_kernelINS0_14default_configENS1_29binary_search_config_selectorIxiEEZNS1_14transform_implILb0ES3_S5_N6thrust23THRUST_200600_302600_NS6detail15normal_iteratorINS8_7pointerIxNS8_11hip_rocprim5par_tENS8_11use_defaultESE_EEEENSA_INSB_IiSD_SE_SE_EEEEZNS1_13binary_searchIS3_S5_NSA_INS8_10device_ptrIxEEEESG_SI_NS1_16binary_search_opENS9_16wrapped_functionINS8_6system6detail7generic6detail18binary_search_lessEbEEEE10hipError_tPvRmT1_T2_T3_mmT4_T5_P12ihipStream_tbEUlRKxE_EESV_SZ_S10_mS11_S14_bEUlT_E_NS1_11comp_targetILNS1_3genE4ELNS1_11target_archE910ELNS1_3gpuE8ELNS1_3repE0EEENS1_30default_config_static_selectorELNS0_4arch9wavefront6targetE1EEEvSY_.numbered_sgpr, 0
	.set _ZN7rocprim17ROCPRIM_400000_NS6detail17trampoline_kernelINS0_14default_configENS1_29binary_search_config_selectorIxiEEZNS1_14transform_implILb0ES3_S5_N6thrust23THRUST_200600_302600_NS6detail15normal_iteratorINS8_7pointerIxNS8_11hip_rocprim5par_tENS8_11use_defaultESE_EEEENSA_INSB_IiSD_SE_SE_EEEEZNS1_13binary_searchIS3_S5_NSA_INS8_10device_ptrIxEEEESG_SI_NS1_16binary_search_opENS9_16wrapped_functionINS8_6system6detail7generic6detail18binary_search_lessEbEEEE10hipError_tPvRmT1_T2_T3_mmT4_T5_P12ihipStream_tbEUlRKxE_EESV_SZ_S10_mS11_S14_bEUlT_E_NS1_11comp_targetILNS1_3genE4ELNS1_11target_archE910ELNS1_3gpuE8ELNS1_3repE0EEENS1_30default_config_static_selectorELNS0_4arch9wavefront6targetE1EEEvSY_.num_named_barrier, 0
	.set _ZN7rocprim17ROCPRIM_400000_NS6detail17trampoline_kernelINS0_14default_configENS1_29binary_search_config_selectorIxiEEZNS1_14transform_implILb0ES3_S5_N6thrust23THRUST_200600_302600_NS6detail15normal_iteratorINS8_7pointerIxNS8_11hip_rocprim5par_tENS8_11use_defaultESE_EEEENSA_INSB_IiSD_SE_SE_EEEEZNS1_13binary_searchIS3_S5_NSA_INS8_10device_ptrIxEEEESG_SI_NS1_16binary_search_opENS9_16wrapped_functionINS8_6system6detail7generic6detail18binary_search_lessEbEEEE10hipError_tPvRmT1_T2_T3_mmT4_T5_P12ihipStream_tbEUlRKxE_EESV_SZ_S10_mS11_S14_bEUlT_E_NS1_11comp_targetILNS1_3genE4ELNS1_11target_archE910ELNS1_3gpuE8ELNS1_3repE0EEENS1_30default_config_static_selectorELNS0_4arch9wavefront6targetE1EEEvSY_.private_seg_size, 0
	.set _ZN7rocprim17ROCPRIM_400000_NS6detail17trampoline_kernelINS0_14default_configENS1_29binary_search_config_selectorIxiEEZNS1_14transform_implILb0ES3_S5_N6thrust23THRUST_200600_302600_NS6detail15normal_iteratorINS8_7pointerIxNS8_11hip_rocprim5par_tENS8_11use_defaultESE_EEEENSA_INSB_IiSD_SE_SE_EEEEZNS1_13binary_searchIS3_S5_NSA_INS8_10device_ptrIxEEEESG_SI_NS1_16binary_search_opENS9_16wrapped_functionINS8_6system6detail7generic6detail18binary_search_lessEbEEEE10hipError_tPvRmT1_T2_T3_mmT4_T5_P12ihipStream_tbEUlRKxE_EESV_SZ_S10_mS11_S14_bEUlT_E_NS1_11comp_targetILNS1_3genE4ELNS1_11target_archE910ELNS1_3gpuE8ELNS1_3repE0EEENS1_30default_config_static_selectorELNS0_4arch9wavefront6targetE1EEEvSY_.uses_vcc, 0
	.set _ZN7rocprim17ROCPRIM_400000_NS6detail17trampoline_kernelINS0_14default_configENS1_29binary_search_config_selectorIxiEEZNS1_14transform_implILb0ES3_S5_N6thrust23THRUST_200600_302600_NS6detail15normal_iteratorINS8_7pointerIxNS8_11hip_rocprim5par_tENS8_11use_defaultESE_EEEENSA_INSB_IiSD_SE_SE_EEEEZNS1_13binary_searchIS3_S5_NSA_INS8_10device_ptrIxEEEESG_SI_NS1_16binary_search_opENS9_16wrapped_functionINS8_6system6detail7generic6detail18binary_search_lessEbEEEE10hipError_tPvRmT1_T2_T3_mmT4_T5_P12ihipStream_tbEUlRKxE_EESV_SZ_S10_mS11_S14_bEUlT_E_NS1_11comp_targetILNS1_3genE4ELNS1_11target_archE910ELNS1_3gpuE8ELNS1_3repE0EEENS1_30default_config_static_selectorELNS0_4arch9wavefront6targetE1EEEvSY_.uses_flat_scratch, 0
	.set _ZN7rocprim17ROCPRIM_400000_NS6detail17trampoline_kernelINS0_14default_configENS1_29binary_search_config_selectorIxiEEZNS1_14transform_implILb0ES3_S5_N6thrust23THRUST_200600_302600_NS6detail15normal_iteratorINS8_7pointerIxNS8_11hip_rocprim5par_tENS8_11use_defaultESE_EEEENSA_INSB_IiSD_SE_SE_EEEEZNS1_13binary_searchIS3_S5_NSA_INS8_10device_ptrIxEEEESG_SI_NS1_16binary_search_opENS9_16wrapped_functionINS8_6system6detail7generic6detail18binary_search_lessEbEEEE10hipError_tPvRmT1_T2_T3_mmT4_T5_P12ihipStream_tbEUlRKxE_EESV_SZ_S10_mS11_S14_bEUlT_E_NS1_11comp_targetILNS1_3genE4ELNS1_11target_archE910ELNS1_3gpuE8ELNS1_3repE0EEENS1_30default_config_static_selectorELNS0_4arch9wavefront6targetE1EEEvSY_.has_dyn_sized_stack, 0
	.set _ZN7rocprim17ROCPRIM_400000_NS6detail17trampoline_kernelINS0_14default_configENS1_29binary_search_config_selectorIxiEEZNS1_14transform_implILb0ES3_S5_N6thrust23THRUST_200600_302600_NS6detail15normal_iteratorINS8_7pointerIxNS8_11hip_rocprim5par_tENS8_11use_defaultESE_EEEENSA_INSB_IiSD_SE_SE_EEEEZNS1_13binary_searchIS3_S5_NSA_INS8_10device_ptrIxEEEESG_SI_NS1_16binary_search_opENS9_16wrapped_functionINS8_6system6detail7generic6detail18binary_search_lessEbEEEE10hipError_tPvRmT1_T2_T3_mmT4_T5_P12ihipStream_tbEUlRKxE_EESV_SZ_S10_mS11_S14_bEUlT_E_NS1_11comp_targetILNS1_3genE4ELNS1_11target_archE910ELNS1_3gpuE8ELNS1_3repE0EEENS1_30default_config_static_selectorELNS0_4arch9wavefront6targetE1EEEvSY_.has_recursion, 0
	.set _ZN7rocprim17ROCPRIM_400000_NS6detail17trampoline_kernelINS0_14default_configENS1_29binary_search_config_selectorIxiEEZNS1_14transform_implILb0ES3_S5_N6thrust23THRUST_200600_302600_NS6detail15normal_iteratorINS8_7pointerIxNS8_11hip_rocprim5par_tENS8_11use_defaultESE_EEEENSA_INSB_IiSD_SE_SE_EEEEZNS1_13binary_searchIS3_S5_NSA_INS8_10device_ptrIxEEEESG_SI_NS1_16binary_search_opENS9_16wrapped_functionINS8_6system6detail7generic6detail18binary_search_lessEbEEEE10hipError_tPvRmT1_T2_T3_mmT4_T5_P12ihipStream_tbEUlRKxE_EESV_SZ_S10_mS11_S14_bEUlT_E_NS1_11comp_targetILNS1_3genE4ELNS1_11target_archE910ELNS1_3gpuE8ELNS1_3repE0EEENS1_30default_config_static_selectorELNS0_4arch9wavefront6targetE1EEEvSY_.has_indirect_call, 0
	.section	.AMDGPU.csdata,"",@progbits
; Kernel info:
; codeLenInByte = 0
; TotalNumSgprs: 4
; NumVgprs: 0
; ScratchSize: 0
; MemoryBound: 0
; FloatMode: 240
; IeeeMode: 1
; LDSByteSize: 0 bytes/workgroup (compile time only)
; SGPRBlocks: 0
; VGPRBlocks: 0
; NumSGPRsForWavesPerEU: 4
; NumVGPRsForWavesPerEU: 1
; Occupancy: 10
; WaveLimiterHint : 0
; COMPUTE_PGM_RSRC2:SCRATCH_EN: 0
; COMPUTE_PGM_RSRC2:USER_SGPR: 6
; COMPUTE_PGM_RSRC2:TRAP_HANDLER: 0
; COMPUTE_PGM_RSRC2:TGID_X_EN: 1
; COMPUTE_PGM_RSRC2:TGID_Y_EN: 0
; COMPUTE_PGM_RSRC2:TGID_Z_EN: 0
; COMPUTE_PGM_RSRC2:TIDIG_COMP_CNT: 0
	.section	.text._ZN7rocprim17ROCPRIM_400000_NS6detail17trampoline_kernelINS0_14default_configENS1_29binary_search_config_selectorIxiEEZNS1_14transform_implILb0ES3_S5_N6thrust23THRUST_200600_302600_NS6detail15normal_iteratorINS8_7pointerIxNS8_11hip_rocprim5par_tENS8_11use_defaultESE_EEEENSA_INSB_IiSD_SE_SE_EEEEZNS1_13binary_searchIS3_S5_NSA_INS8_10device_ptrIxEEEESG_SI_NS1_16binary_search_opENS9_16wrapped_functionINS8_6system6detail7generic6detail18binary_search_lessEbEEEE10hipError_tPvRmT1_T2_T3_mmT4_T5_P12ihipStream_tbEUlRKxE_EESV_SZ_S10_mS11_S14_bEUlT_E_NS1_11comp_targetILNS1_3genE3ELNS1_11target_archE908ELNS1_3gpuE7ELNS1_3repE0EEENS1_30default_config_static_selectorELNS0_4arch9wavefront6targetE1EEEvSY_,"axG",@progbits,_ZN7rocprim17ROCPRIM_400000_NS6detail17trampoline_kernelINS0_14default_configENS1_29binary_search_config_selectorIxiEEZNS1_14transform_implILb0ES3_S5_N6thrust23THRUST_200600_302600_NS6detail15normal_iteratorINS8_7pointerIxNS8_11hip_rocprim5par_tENS8_11use_defaultESE_EEEENSA_INSB_IiSD_SE_SE_EEEEZNS1_13binary_searchIS3_S5_NSA_INS8_10device_ptrIxEEEESG_SI_NS1_16binary_search_opENS9_16wrapped_functionINS8_6system6detail7generic6detail18binary_search_lessEbEEEE10hipError_tPvRmT1_T2_T3_mmT4_T5_P12ihipStream_tbEUlRKxE_EESV_SZ_S10_mS11_S14_bEUlT_E_NS1_11comp_targetILNS1_3genE3ELNS1_11target_archE908ELNS1_3gpuE7ELNS1_3repE0EEENS1_30default_config_static_selectorELNS0_4arch9wavefront6targetE1EEEvSY_,comdat
	.protected	_ZN7rocprim17ROCPRIM_400000_NS6detail17trampoline_kernelINS0_14default_configENS1_29binary_search_config_selectorIxiEEZNS1_14transform_implILb0ES3_S5_N6thrust23THRUST_200600_302600_NS6detail15normal_iteratorINS8_7pointerIxNS8_11hip_rocprim5par_tENS8_11use_defaultESE_EEEENSA_INSB_IiSD_SE_SE_EEEEZNS1_13binary_searchIS3_S5_NSA_INS8_10device_ptrIxEEEESG_SI_NS1_16binary_search_opENS9_16wrapped_functionINS8_6system6detail7generic6detail18binary_search_lessEbEEEE10hipError_tPvRmT1_T2_T3_mmT4_T5_P12ihipStream_tbEUlRKxE_EESV_SZ_S10_mS11_S14_bEUlT_E_NS1_11comp_targetILNS1_3genE3ELNS1_11target_archE908ELNS1_3gpuE7ELNS1_3repE0EEENS1_30default_config_static_selectorELNS0_4arch9wavefront6targetE1EEEvSY_ ; -- Begin function _ZN7rocprim17ROCPRIM_400000_NS6detail17trampoline_kernelINS0_14default_configENS1_29binary_search_config_selectorIxiEEZNS1_14transform_implILb0ES3_S5_N6thrust23THRUST_200600_302600_NS6detail15normal_iteratorINS8_7pointerIxNS8_11hip_rocprim5par_tENS8_11use_defaultESE_EEEENSA_INSB_IiSD_SE_SE_EEEEZNS1_13binary_searchIS3_S5_NSA_INS8_10device_ptrIxEEEESG_SI_NS1_16binary_search_opENS9_16wrapped_functionINS8_6system6detail7generic6detail18binary_search_lessEbEEEE10hipError_tPvRmT1_T2_T3_mmT4_T5_P12ihipStream_tbEUlRKxE_EESV_SZ_S10_mS11_S14_bEUlT_E_NS1_11comp_targetILNS1_3genE3ELNS1_11target_archE908ELNS1_3gpuE7ELNS1_3repE0EEENS1_30default_config_static_selectorELNS0_4arch9wavefront6targetE1EEEvSY_
	.globl	_ZN7rocprim17ROCPRIM_400000_NS6detail17trampoline_kernelINS0_14default_configENS1_29binary_search_config_selectorIxiEEZNS1_14transform_implILb0ES3_S5_N6thrust23THRUST_200600_302600_NS6detail15normal_iteratorINS8_7pointerIxNS8_11hip_rocprim5par_tENS8_11use_defaultESE_EEEENSA_INSB_IiSD_SE_SE_EEEEZNS1_13binary_searchIS3_S5_NSA_INS8_10device_ptrIxEEEESG_SI_NS1_16binary_search_opENS9_16wrapped_functionINS8_6system6detail7generic6detail18binary_search_lessEbEEEE10hipError_tPvRmT1_T2_T3_mmT4_T5_P12ihipStream_tbEUlRKxE_EESV_SZ_S10_mS11_S14_bEUlT_E_NS1_11comp_targetILNS1_3genE3ELNS1_11target_archE908ELNS1_3gpuE7ELNS1_3repE0EEENS1_30default_config_static_selectorELNS0_4arch9wavefront6targetE1EEEvSY_
	.p2align	8
	.type	_ZN7rocprim17ROCPRIM_400000_NS6detail17trampoline_kernelINS0_14default_configENS1_29binary_search_config_selectorIxiEEZNS1_14transform_implILb0ES3_S5_N6thrust23THRUST_200600_302600_NS6detail15normal_iteratorINS8_7pointerIxNS8_11hip_rocprim5par_tENS8_11use_defaultESE_EEEENSA_INSB_IiSD_SE_SE_EEEEZNS1_13binary_searchIS3_S5_NSA_INS8_10device_ptrIxEEEESG_SI_NS1_16binary_search_opENS9_16wrapped_functionINS8_6system6detail7generic6detail18binary_search_lessEbEEEE10hipError_tPvRmT1_T2_T3_mmT4_T5_P12ihipStream_tbEUlRKxE_EESV_SZ_S10_mS11_S14_bEUlT_E_NS1_11comp_targetILNS1_3genE3ELNS1_11target_archE908ELNS1_3gpuE7ELNS1_3repE0EEENS1_30default_config_static_selectorELNS0_4arch9wavefront6targetE1EEEvSY_,@function
_ZN7rocprim17ROCPRIM_400000_NS6detail17trampoline_kernelINS0_14default_configENS1_29binary_search_config_selectorIxiEEZNS1_14transform_implILb0ES3_S5_N6thrust23THRUST_200600_302600_NS6detail15normal_iteratorINS8_7pointerIxNS8_11hip_rocprim5par_tENS8_11use_defaultESE_EEEENSA_INSB_IiSD_SE_SE_EEEEZNS1_13binary_searchIS3_S5_NSA_INS8_10device_ptrIxEEEESG_SI_NS1_16binary_search_opENS9_16wrapped_functionINS8_6system6detail7generic6detail18binary_search_lessEbEEEE10hipError_tPvRmT1_T2_T3_mmT4_T5_P12ihipStream_tbEUlRKxE_EESV_SZ_S10_mS11_S14_bEUlT_E_NS1_11comp_targetILNS1_3genE3ELNS1_11target_archE908ELNS1_3gpuE7ELNS1_3repE0EEENS1_30default_config_static_selectorELNS0_4arch9wavefront6targetE1EEEvSY_: ; @_ZN7rocprim17ROCPRIM_400000_NS6detail17trampoline_kernelINS0_14default_configENS1_29binary_search_config_selectorIxiEEZNS1_14transform_implILb0ES3_S5_N6thrust23THRUST_200600_302600_NS6detail15normal_iteratorINS8_7pointerIxNS8_11hip_rocprim5par_tENS8_11use_defaultESE_EEEENSA_INSB_IiSD_SE_SE_EEEEZNS1_13binary_searchIS3_S5_NSA_INS8_10device_ptrIxEEEESG_SI_NS1_16binary_search_opENS9_16wrapped_functionINS8_6system6detail7generic6detail18binary_search_lessEbEEEE10hipError_tPvRmT1_T2_T3_mmT4_T5_P12ihipStream_tbEUlRKxE_EESV_SZ_S10_mS11_S14_bEUlT_E_NS1_11comp_targetILNS1_3genE3ELNS1_11target_archE908ELNS1_3gpuE7ELNS1_3repE0EEENS1_30default_config_static_selectorELNS0_4arch9wavefront6targetE1EEEvSY_
; %bb.0:
	.section	.rodata,"a",@progbits
	.p2align	6, 0x0
	.amdhsa_kernel _ZN7rocprim17ROCPRIM_400000_NS6detail17trampoline_kernelINS0_14default_configENS1_29binary_search_config_selectorIxiEEZNS1_14transform_implILb0ES3_S5_N6thrust23THRUST_200600_302600_NS6detail15normal_iteratorINS8_7pointerIxNS8_11hip_rocprim5par_tENS8_11use_defaultESE_EEEENSA_INSB_IiSD_SE_SE_EEEEZNS1_13binary_searchIS3_S5_NSA_INS8_10device_ptrIxEEEESG_SI_NS1_16binary_search_opENS9_16wrapped_functionINS8_6system6detail7generic6detail18binary_search_lessEbEEEE10hipError_tPvRmT1_T2_T3_mmT4_T5_P12ihipStream_tbEUlRKxE_EESV_SZ_S10_mS11_S14_bEUlT_E_NS1_11comp_targetILNS1_3genE3ELNS1_11target_archE908ELNS1_3gpuE7ELNS1_3repE0EEENS1_30default_config_static_selectorELNS0_4arch9wavefront6targetE1EEEvSY_
		.amdhsa_group_segment_fixed_size 0
		.amdhsa_private_segment_fixed_size 0
		.amdhsa_kernarg_size 56
		.amdhsa_user_sgpr_count 6
		.amdhsa_user_sgpr_private_segment_buffer 1
		.amdhsa_user_sgpr_dispatch_ptr 0
		.amdhsa_user_sgpr_queue_ptr 0
		.amdhsa_user_sgpr_kernarg_segment_ptr 1
		.amdhsa_user_sgpr_dispatch_id 0
		.amdhsa_user_sgpr_flat_scratch_init 0
		.amdhsa_user_sgpr_private_segment_size 0
		.amdhsa_uses_dynamic_stack 0
		.amdhsa_system_sgpr_private_segment_wavefront_offset 0
		.amdhsa_system_sgpr_workgroup_id_x 1
		.amdhsa_system_sgpr_workgroup_id_y 0
		.amdhsa_system_sgpr_workgroup_id_z 0
		.amdhsa_system_sgpr_workgroup_info 0
		.amdhsa_system_vgpr_workitem_id 0
		.amdhsa_next_free_vgpr 1
		.amdhsa_next_free_sgpr 0
		.amdhsa_reserve_vcc 0
		.amdhsa_reserve_flat_scratch 0
		.amdhsa_float_round_mode_32 0
		.amdhsa_float_round_mode_16_64 0
		.amdhsa_float_denorm_mode_32 3
		.amdhsa_float_denorm_mode_16_64 3
		.amdhsa_dx10_clamp 1
		.amdhsa_ieee_mode 1
		.amdhsa_fp16_overflow 0
		.amdhsa_exception_fp_ieee_invalid_op 0
		.amdhsa_exception_fp_denorm_src 0
		.amdhsa_exception_fp_ieee_div_zero 0
		.amdhsa_exception_fp_ieee_overflow 0
		.amdhsa_exception_fp_ieee_underflow 0
		.amdhsa_exception_fp_ieee_inexact 0
		.amdhsa_exception_int_div_zero 0
	.end_amdhsa_kernel
	.section	.text._ZN7rocprim17ROCPRIM_400000_NS6detail17trampoline_kernelINS0_14default_configENS1_29binary_search_config_selectorIxiEEZNS1_14transform_implILb0ES3_S5_N6thrust23THRUST_200600_302600_NS6detail15normal_iteratorINS8_7pointerIxNS8_11hip_rocprim5par_tENS8_11use_defaultESE_EEEENSA_INSB_IiSD_SE_SE_EEEEZNS1_13binary_searchIS3_S5_NSA_INS8_10device_ptrIxEEEESG_SI_NS1_16binary_search_opENS9_16wrapped_functionINS8_6system6detail7generic6detail18binary_search_lessEbEEEE10hipError_tPvRmT1_T2_T3_mmT4_T5_P12ihipStream_tbEUlRKxE_EESV_SZ_S10_mS11_S14_bEUlT_E_NS1_11comp_targetILNS1_3genE3ELNS1_11target_archE908ELNS1_3gpuE7ELNS1_3repE0EEENS1_30default_config_static_selectorELNS0_4arch9wavefront6targetE1EEEvSY_,"axG",@progbits,_ZN7rocprim17ROCPRIM_400000_NS6detail17trampoline_kernelINS0_14default_configENS1_29binary_search_config_selectorIxiEEZNS1_14transform_implILb0ES3_S5_N6thrust23THRUST_200600_302600_NS6detail15normal_iteratorINS8_7pointerIxNS8_11hip_rocprim5par_tENS8_11use_defaultESE_EEEENSA_INSB_IiSD_SE_SE_EEEEZNS1_13binary_searchIS3_S5_NSA_INS8_10device_ptrIxEEEESG_SI_NS1_16binary_search_opENS9_16wrapped_functionINS8_6system6detail7generic6detail18binary_search_lessEbEEEE10hipError_tPvRmT1_T2_T3_mmT4_T5_P12ihipStream_tbEUlRKxE_EESV_SZ_S10_mS11_S14_bEUlT_E_NS1_11comp_targetILNS1_3genE3ELNS1_11target_archE908ELNS1_3gpuE7ELNS1_3repE0EEENS1_30default_config_static_selectorELNS0_4arch9wavefront6targetE1EEEvSY_,comdat
.Lfunc_end692:
	.size	_ZN7rocprim17ROCPRIM_400000_NS6detail17trampoline_kernelINS0_14default_configENS1_29binary_search_config_selectorIxiEEZNS1_14transform_implILb0ES3_S5_N6thrust23THRUST_200600_302600_NS6detail15normal_iteratorINS8_7pointerIxNS8_11hip_rocprim5par_tENS8_11use_defaultESE_EEEENSA_INSB_IiSD_SE_SE_EEEEZNS1_13binary_searchIS3_S5_NSA_INS8_10device_ptrIxEEEESG_SI_NS1_16binary_search_opENS9_16wrapped_functionINS8_6system6detail7generic6detail18binary_search_lessEbEEEE10hipError_tPvRmT1_T2_T3_mmT4_T5_P12ihipStream_tbEUlRKxE_EESV_SZ_S10_mS11_S14_bEUlT_E_NS1_11comp_targetILNS1_3genE3ELNS1_11target_archE908ELNS1_3gpuE7ELNS1_3repE0EEENS1_30default_config_static_selectorELNS0_4arch9wavefront6targetE1EEEvSY_, .Lfunc_end692-_ZN7rocprim17ROCPRIM_400000_NS6detail17trampoline_kernelINS0_14default_configENS1_29binary_search_config_selectorIxiEEZNS1_14transform_implILb0ES3_S5_N6thrust23THRUST_200600_302600_NS6detail15normal_iteratorINS8_7pointerIxNS8_11hip_rocprim5par_tENS8_11use_defaultESE_EEEENSA_INSB_IiSD_SE_SE_EEEEZNS1_13binary_searchIS3_S5_NSA_INS8_10device_ptrIxEEEESG_SI_NS1_16binary_search_opENS9_16wrapped_functionINS8_6system6detail7generic6detail18binary_search_lessEbEEEE10hipError_tPvRmT1_T2_T3_mmT4_T5_P12ihipStream_tbEUlRKxE_EESV_SZ_S10_mS11_S14_bEUlT_E_NS1_11comp_targetILNS1_3genE3ELNS1_11target_archE908ELNS1_3gpuE7ELNS1_3repE0EEENS1_30default_config_static_selectorELNS0_4arch9wavefront6targetE1EEEvSY_
                                        ; -- End function
	.set _ZN7rocprim17ROCPRIM_400000_NS6detail17trampoline_kernelINS0_14default_configENS1_29binary_search_config_selectorIxiEEZNS1_14transform_implILb0ES3_S5_N6thrust23THRUST_200600_302600_NS6detail15normal_iteratorINS8_7pointerIxNS8_11hip_rocprim5par_tENS8_11use_defaultESE_EEEENSA_INSB_IiSD_SE_SE_EEEEZNS1_13binary_searchIS3_S5_NSA_INS8_10device_ptrIxEEEESG_SI_NS1_16binary_search_opENS9_16wrapped_functionINS8_6system6detail7generic6detail18binary_search_lessEbEEEE10hipError_tPvRmT1_T2_T3_mmT4_T5_P12ihipStream_tbEUlRKxE_EESV_SZ_S10_mS11_S14_bEUlT_E_NS1_11comp_targetILNS1_3genE3ELNS1_11target_archE908ELNS1_3gpuE7ELNS1_3repE0EEENS1_30default_config_static_selectorELNS0_4arch9wavefront6targetE1EEEvSY_.num_vgpr, 0
	.set _ZN7rocprim17ROCPRIM_400000_NS6detail17trampoline_kernelINS0_14default_configENS1_29binary_search_config_selectorIxiEEZNS1_14transform_implILb0ES3_S5_N6thrust23THRUST_200600_302600_NS6detail15normal_iteratorINS8_7pointerIxNS8_11hip_rocprim5par_tENS8_11use_defaultESE_EEEENSA_INSB_IiSD_SE_SE_EEEEZNS1_13binary_searchIS3_S5_NSA_INS8_10device_ptrIxEEEESG_SI_NS1_16binary_search_opENS9_16wrapped_functionINS8_6system6detail7generic6detail18binary_search_lessEbEEEE10hipError_tPvRmT1_T2_T3_mmT4_T5_P12ihipStream_tbEUlRKxE_EESV_SZ_S10_mS11_S14_bEUlT_E_NS1_11comp_targetILNS1_3genE3ELNS1_11target_archE908ELNS1_3gpuE7ELNS1_3repE0EEENS1_30default_config_static_selectorELNS0_4arch9wavefront6targetE1EEEvSY_.num_agpr, 0
	.set _ZN7rocprim17ROCPRIM_400000_NS6detail17trampoline_kernelINS0_14default_configENS1_29binary_search_config_selectorIxiEEZNS1_14transform_implILb0ES3_S5_N6thrust23THRUST_200600_302600_NS6detail15normal_iteratorINS8_7pointerIxNS8_11hip_rocprim5par_tENS8_11use_defaultESE_EEEENSA_INSB_IiSD_SE_SE_EEEEZNS1_13binary_searchIS3_S5_NSA_INS8_10device_ptrIxEEEESG_SI_NS1_16binary_search_opENS9_16wrapped_functionINS8_6system6detail7generic6detail18binary_search_lessEbEEEE10hipError_tPvRmT1_T2_T3_mmT4_T5_P12ihipStream_tbEUlRKxE_EESV_SZ_S10_mS11_S14_bEUlT_E_NS1_11comp_targetILNS1_3genE3ELNS1_11target_archE908ELNS1_3gpuE7ELNS1_3repE0EEENS1_30default_config_static_selectorELNS0_4arch9wavefront6targetE1EEEvSY_.numbered_sgpr, 0
	.set _ZN7rocprim17ROCPRIM_400000_NS6detail17trampoline_kernelINS0_14default_configENS1_29binary_search_config_selectorIxiEEZNS1_14transform_implILb0ES3_S5_N6thrust23THRUST_200600_302600_NS6detail15normal_iteratorINS8_7pointerIxNS8_11hip_rocprim5par_tENS8_11use_defaultESE_EEEENSA_INSB_IiSD_SE_SE_EEEEZNS1_13binary_searchIS3_S5_NSA_INS8_10device_ptrIxEEEESG_SI_NS1_16binary_search_opENS9_16wrapped_functionINS8_6system6detail7generic6detail18binary_search_lessEbEEEE10hipError_tPvRmT1_T2_T3_mmT4_T5_P12ihipStream_tbEUlRKxE_EESV_SZ_S10_mS11_S14_bEUlT_E_NS1_11comp_targetILNS1_3genE3ELNS1_11target_archE908ELNS1_3gpuE7ELNS1_3repE0EEENS1_30default_config_static_selectorELNS0_4arch9wavefront6targetE1EEEvSY_.num_named_barrier, 0
	.set _ZN7rocprim17ROCPRIM_400000_NS6detail17trampoline_kernelINS0_14default_configENS1_29binary_search_config_selectorIxiEEZNS1_14transform_implILb0ES3_S5_N6thrust23THRUST_200600_302600_NS6detail15normal_iteratorINS8_7pointerIxNS8_11hip_rocprim5par_tENS8_11use_defaultESE_EEEENSA_INSB_IiSD_SE_SE_EEEEZNS1_13binary_searchIS3_S5_NSA_INS8_10device_ptrIxEEEESG_SI_NS1_16binary_search_opENS9_16wrapped_functionINS8_6system6detail7generic6detail18binary_search_lessEbEEEE10hipError_tPvRmT1_T2_T3_mmT4_T5_P12ihipStream_tbEUlRKxE_EESV_SZ_S10_mS11_S14_bEUlT_E_NS1_11comp_targetILNS1_3genE3ELNS1_11target_archE908ELNS1_3gpuE7ELNS1_3repE0EEENS1_30default_config_static_selectorELNS0_4arch9wavefront6targetE1EEEvSY_.private_seg_size, 0
	.set _ZN7rocprim17ROCPRIM_400000_NS6detail17trampoline_kernelINS0_14default_configENS1_29binary_search_config_selectorIxiEEZNS1_14transform_implILb0ES3_S5_N6thrust23THRUST_200600_302600_NS6detail15normal_iteratorINS8_7pointerIxNS8_11hip_rocprim5par_tENS8_11use_defaultESE_EEEENSA_INSB_IiSD_SE_SE_EEEEZNS1_13binary_searchIS3_S5_NSA_INS8_10device_ptrIxEEEESG_SI_NS1_16binary_search_opENS9_16wrapped_functionINS8_6system6detail7generic6detail18binary_search_lessEbEEEE10hipError_tPvRmT1_T2_T3_mmT4_T5_P12ihipStream_tbEUlRKxE_EESV_SZ_S10_mS11_S14_bEUlT_E_NS1_11comp_targetILNS1_3genE3ELNS1_11target_archE908ELNS1_3gpuE7ELNS1_3repE0EEENS1_30default_config_static_selectorELNS0_4arch9wavefront6targetE1EEEvSY_.uses_vcc, 0
	.set _ZN7rocprim17ROCPRIM_400000_NS6detail17trampoline_kernelINS0_14default_configENS1_29binary_search_config_selectorIxiEEZNS1_14transform_implILb0ES3_S5_N6thrust23THRUST_200600_302600_NS6detail15normal_iteratorINS8_7pointerIxNS8_11hip_rocprim5par_tENS8_11use_defaultESE_EEEENSA_INSB_IiSD_SE_SE_EEEEZNS1_13binary_searchIS3_S5_NSA_INS8_10device_ptrIxEEEESG_SI_NS1_16binary_search_opENS9_16wrapped_functionINS8_6system6detail7generic6detail18binary_search_lessEbEEEE10hipError_tPvRmT1_T2_T3_mmT4_T5_P12ihipStream_tbEUlRKxE_EESV_SZ_S10_mS11_S14_bEUlT_E_NS1_11comp_targetILNS1_3genE3ELNS1_11target_archE908ELNS1_3gpuE7ELNS1_3repE0EEENS1_30default_config_static_selectorELNS0_4arch9wavefront6targetE1EEEvSY_.uses_flat_scratch, 0
	.set _ZN7rocprim17ROCPRIM_400000_NS6detail17trampoline_kernelINS0_14default_configENS1_29binary_search_config_selectorIxiEEZNS1_14transform_implILb0ES3_S5_N6thrust23THRUST_200600_302600_NS6detail15normal_iteratorINS8_7pointerIxNS8_11hip_rocprim5par_tENS8_11use_defaultESE_EEEENSA_INSB_IiSD_SE_SE_EEEEZNS1_13binary_searchIS3_S5_NSA_INS8_10device_ptrIxEEEESG_SI_NS1_16binary_search_opENS9_16wrapped_functionINS8_6system6detail7generic6detail18binary_search_lessEbEEEE10hipError_tPvRmT1_T2_T3_mmT4_T5_P12ihipStream_tbEUlRKxE_EESV_SZ_S10_mS11_S14_bEUlT_E_NS1_11comp_targetILNS1_3genE3ELNS1_11target_archE908ELNS1_3gpuE7ELNS1_3repE0EEENS1_30default_config_static_selectorELNS0_4arch9wavefront6targetE1EEEvSY_.has_dyn_sized_stack, 0
	.set _ZN7rocprim17ROCPRIM_400000_NS6detail17trampoline_kernelINS0_14default_configENS1_29binary_search_config_selectorIxiEEZNS1_14transform_implILb0ES3_S5_N6thrust23THRUST_200600_302600_NS6detail15normal_iteratorINS8_7pointerIxNS8_11hip_rocprim5par_tENS8_11use_defaultESE_EEEENSA_INSB_IiSD_SE_SE_EEEEZNS1_13binary_searchIS3_S5_NSA_INS8_10device_ptrIxEEEESG_SI_NS1_16binary_search_opENS9_16wrapped_functionINS8_6system6detail7generic6detail18binary_search_lessEbEEEE10hipError_tPvRmT1_T2_T3_mmT4_T5_P12ihipStream_tbEUlRKxE_EESV_SZ_S10_mS11_S14_bEUlT_E_NS1_11comp_targetILNS1_3genE3ELNS1_11target_archE908ELNS1_3gpuE7ELNS1_3repE0EEENS1_30default_config_static_selectorELNS0_4arch9wavefront6targetE1EEEvSY_.has_recursion, 0
	.set _ZN7rocprim17ROCPRIM_400000_NS6detail17trampoline_kernelINS0_14default_configENS1_29binary_search_config_selectorIxiEEZNS1_14transform_implILb0ES3_S5_N6thrust23THRUST_200600_302600_NS6detail15normal_iteratorINS8_7pointerIxNS8_11hip_rocprim5par_tENS8_11use_defaultESE_EEEENSA_INSB_IiSD_SE_SE_EEEEZNS1_13binary_searchIS3_S5_NSA_INS8_10device_ptrIxEEEESG_SI_NS1_16binary_search_opENS9_16wrapped_functionINS8_6system6detail7generic6detail18binary_search_lessEbEEEE10hipError_tPvRmT1_T2_T3_mmT4_T5_P12ihipStream_tbEUlRKxE_EESV_SZ_S10_mS11_S14_bEUlT_E_NS1_11comp_targetILNS1_3genE3ELNS1_11target_archE908ELNS1_3gpuE7ELNS1_3repE0EEENS1_30default_config_static_selectorELNS0_4arch9wavefront6targetE1EEEvSY_.has_indirect_call, 0
	.section	.AMDGPU.csdata,"",@progbits
; Kernel info:
; codeLenInByte = 0
; TotalNumSgprs: 4
; NumVgprs: 0
; ScratchSize: 0
; MemoryBound: 0
; FloatMode: 240
; IeeeMode: 1
; LDSByteSize: 0 bytes/workgroup (compile time only)
; SGPRBlocks: 0
; VGPRBlocks: 0
; NumSGPRsForWavesPerEU: 4
; NumVGPRsForWavesPerEU: 1
; Occupancy: 10
; WaveLimiterHint : 0
; COMPUTE_PGM_RSRC2:SCRATCH_EN: 0
; COMPUTE_PGM_RSRC2:USER_SGPR: 6
; COMPUTE_PGM_RSRC2:TRAP_HANDLER: 0
; COMPUTE_PGM_RSRC2:TGID_X_EN: 1
; COMPUTE_PGM_RSRC2:TGID_Y_EN: 0
; COMPUTE_PGM_RSRC2:TGID_Z_EN: 0
; COMPUTE_PGM_RSRC2:TIDIG_COMP_CNT: 0
	.section	.text._ZN7rocprim17ROCPRIM_400000_NS6detail17trampoline_kernelINS0_14default_configENS1_29binary_search_config_selectorIxiEEZNS1_14transform_implILb0ES3_S5_N6thrust23THRUST_200600_302600_NS6detail15normal_iteratorINS8_7pointerIxNS8_11hip_rocprim5par_tENS8_11use_defaultESE_EEEENSA_INSB_IiSD_SE_SE_EEEEZNS1_13binary_searchIS3_S5_NSA_INS8_10device_ptrIxEEEESG_SI_NS1_16binary_search_opENS9_16wrapped_functionINS8_6system6detail7generic6detail18binary_search_lessEbEEEE10hipError_tPvRmT1_T2_T3_mmT4_T5_P12ihipStream_tbEUlRKxE_EESV_SZ_S10_mS11_S14_bEUlT_E_NS1_11comp_targetILNS1_3genE2ELNS1_11target_archE906ELNS1_3gpuE6ELNS1_3repE0EEENS1_30default_config_static_selectorELNS0_4arch9wavefront6targetE1EEEvSY_,"axG",@progbits,_ZN7rocprim17ROCPRIM_400000_NS6detail17trampoline_kernelINS0_14default_configENS1_29binary_search_config_selectorIxiEEZNS1_14transform_implILb0ES3_S5_N6thrust23THRUST_200600_302600_NS6detail15normal_iteratorINS8_7pointerIxNS8_11hip_rocprim5par_tENS8_11use_defaultESE_EEEENSA_INSB_IiSD_SE_SE_EEEEZNS1_13binary_searchIS3_S5_NSA_INS8_10device_ptrIxEEEESG_SI_NS1_16binary_search_opENS9_16wrapped_functionINS8_6system6detail7generic6detail18binary_search_lessEbEEEE10hipError_tPvRmT1_T2_T3_mmT4_T5_P12ihipStream_tbEUlRKxE_EESV_SZ_S10_mS11_S14_bEUlT_E_NS1_11comp_targetILNS1_3genE2ELNS1_11target_archE906ELNS1_3gpuE6ELNS1_3repE0EEENS1_30default_config_static_selectorELNS0_4arch9wavefront6targetE1EEEvSY_,comdat
	.protected	_ZN7rocprim17ROCPRIM_400000_NS6detail17trampoline_kernelINS0_14default_configENS1_29binary_search_config_selectorIxiEEZNS1_14transform_implILb0ES3_S5_N6thrust23THRUST_200600_302600_NS6detail15normal_iteratorINS8_7pointerIxNS8_11hip_rocprim5par_tENS8_11use_defaultESE_EEEENSA_INSB_IiSD_SE_SE_EEEEZNS1_13binary_searchIS3_S5_NSA_INS8_10device_ptrIxEEEESG_SI_NS1_16binary_search_opENS9_16wrapped_functionINS8_6system6detail7generic6detail18binary_search_lessEbEEEE10hipError_tPvRmT1_T2_T3_mmT4_T5_P12ihipStream_tbEUlRKxE_EESV_SZ_S10_mS11_S14_bEUlT_E_NS1_11comp_targetILNS1_3genE2ELNS1_11target_archE906ELNS1_3gpuE6ELNS1_3repE0EEENS1_30default_config_static_selectorELNS0_4arch9wavefront6targetE1EEEvSY_ ; -- Begin function _ZN7rocprim17ROCPRIM_400000_NS6detail17trampoline_kernelINS0_14default_configENS1_29binary_search_config_selectorIxiEEZNS1_14transform_implILb0ES3_S5_N6thrust23THRUST_200600_302600_NS6detail15normal_iteratorINS8_7pointerIxNS8_11hip_rocprim5par_tENS8_11use_defaultESE_EEEENSA_INSB_IiSD_SE_SE_EEEEZNS1_13binary_searchIS3_S5_NSA_INS8_10device_ptrIxEEEESG_SI_NS1_16binary_search_opENS9_16wrapped_functionINS8_6system6detail7generic6detail18binary_search_lessEbEEEE10hipError_tPvRmT1_T2_T3_mmT4_T5_P12ihipStream_tbEUlRKxE_EESV_SZ_S10_mS11_S14_bEUlT_E_NS1_11comp_targetILNS1_3genE2ELNS1_11target_archE906ELNS1_3gpuE6ELNS1_3repE0EEENS1_30default_config_static_selectorELNS0_4arch9wavefront6targetE1EEEvSY_
	.globl	_ZN7rocprim17ROCPRIM_400000_NS6detail17trampoline_kernelINS0_14default_configENS1_29binary_search_config_selectorIxiEEZNS1_14transform_implILb0ES3_S5_N6thrust23THRUST_200600_302600_NS6detail15normal_iteratorINS8_7pointerIxNS8_11hip_rocprim5par_tENS8_11use_defaultESE_EEEENSA_INSB_IiSD_SE_SE_EEEEZNS1_13binary_searchIS3_S5_NSA_INS8_10device_ptrIxEEEESG_SI_NS1_16binary_search_opENS9_16wrapped_functionINS8_6system6detail7generic6detail18binary_search_lessEbEEEE10hipError_tPvRmT1_T2_T3_mmT4_T5_P12ihipStream_tbEUlRKxE_EESV_SZ_S10_mS11_S14_bEUlT_E_NS1_11comp_targetILNS1_3genE2ELNS1_11target_archE906ELNS1_3gpuE6ELNS1_3repE0EEENS1_30default_config_static_selectorELNS0_4arch9wavefront6targetE1EEEvSY_
	.p2align	8
	.type	_ZN7rocprim17ROCPRIM_400000_NS6detail17trampoline_kernelINS0_14default_configENS1_29binary_search_config_selectorIxiEEZNS1_14transform_implILb0ES3_S5_N6thrust23THRUST_200600_302600_NS6detail15normal_iteratorINS8_7pointerIxNS8_11hip_rocprim5par_tENS8_11use_defaultESE_EEEENSA_INSB_IiSD_SE_SE_EEEEZNS1_13binary_searchIS3_S5_NSA_INS8_10device_ptrIxEEEESG_SI_NS1_16binary_search_opENS9_16wrapped_functionINS8_6system6detail7generic6detail18binary_search_lessEbEEEE10hipError_tPvRmT1_T2_T3_mmT4_T5_P12ihipStream_tbEUlRKxE_EESV_SZ_S10_mS11_S14_bEUlT_E_NS1_11comp_targetILNS1_3genE2ELNS1_11target_archE906ELNS1_3gpuE6ELNS1_3repE0EEENS1_30default_config_static_selectorELNS0_4arch9wavefront6targetE1EEEvSY_,@function
_ZN7rocprim17ROCPRIM_400000_NS6detail17trampoline_kernelINS0_14default_configENS1_29binary_search_config_selectorIxiEEZNS1_14transform_implILb0ES3_S5_N6thrust23THRUST_200600_302600_NS6detail15normal_iteratorINS8_7pointerIxNS8_11hip_rocprim5par_tENS8_11use_defaultESE_EEEENSA_INSB_IiSD_SE_SE_EEEEZNS1_13binary_searchIS3_S5_NSA_INS8_10device_ptrIxEEEESG_SI_NS1_16binary_search_opENS9_16wrapped_functionINS8_6system6detail7generic6detail18binary_search_lessEbEEEE10hipError_tPvRmT1_T2_T3_mmT4_T5_P12ihipStream_tbEUlRKxE_EESV_SZ_S10_mS11_S14_bEUlT_E_NS1_11comp_targetILNS1_3genE2ELNS1_11target_archE906ELNS1_3gpuE6ELNS1_3repE0EEENS1_30default_config_static_selectorELNS0_4arch9wavefront6targetE1EEEvSY_: ; @_ZN7rocprim17ROCPRIM_400000_NS6detail17trampoline_kernelINS0_14default_configENS1_29binary_search_config_selectorIxiEEZNS1_14transform_implILb0ES3_S5_N6thrust23THRUST_200600_302600_NS6detail15normal_iteratorINS8_7pointerIxNS8_11hip_rocprim5par_tENS8_11use_defaultESE_EEEENSA_INSB_IiSD_SE_SE_EEEEZNS1_13binary_searchIS3_S5_NSA_INS8_10device_ptrIxEEEESG_SI_NS1_16binary_search_opENS9_16wrapped_functionINS8_6system6detail7generic6detail18binary_search_lessEbEEEE10hipError_tPvRmT1_T2_T3_mmT4_T5_P12ihipStream_tbEUlRKxE_EESV_SZ_S10_mS11_S14_bEUlT_E_NS1_11comp_targetILNS1_3genE2ELNS1_11target_archE906ELNS1_3gpuE6ELNS1_3repE0EEENS1_30default_config_static_selectorELNS0_4arch9wavefront6targetE1EEEvSY_
; %bb.0:
	s_load_dwordx4 s[0:3], s[4:5], 0x0
	s_load_dwordx4 s[8:11], s[4:5], 0x18
	s_load_dwordx2 s[14:15], s[4:5], 0x28
	s_load_dword s7, s[4:5], 0x38
	s_waitcnt lgkmcnt(0)
	s_lshl_b64 s[12:13], s[2:3], 3
	s_add_u32 s18, s0, s12
	s_addc_u32 s19, s1, s13
	s_lshl_b32 s12, s6, 8
	s_add_i32 s7, s7, -1
	s_cmp_lg_u32 s6, s7
	s_mov_b32 s13, 0
	s_cbranch_scc0 .LBB693_6
; %bb.1:
	s_lshl_b64 s[0:1], s[12:13], 3
	s_add_u32 s0, s18, s0
	s_addc_u32 s1, s19, s1
	v_lshlrev_b32_e32 v1, 3, v0
	v_mov_b32_e32 v2, s1
	v_add_co_u32_e32 v1, vcc, s0, v1
	v_addc_co_u32_e32 v2, vcc, 0, v2, vcc
	flat_load_dwordx2 v[2:3], v[1:2]
	v_mov_b32_e32 v4, 0
	v_mov_b32_e32 v1, 0
	s_cmp_eq_u64 s[14:15], 0
	s_mov_b64 s[0:1], 0
	v_mov_b32_e32 v5, 0
	s_cbranch_scc1 .LBB693_5
; %bb.2:
	v_mov_b32_e32 v6, s14
	v_mov_b32_e32 v7, s15
	;; [unrolled: 1-line block ×3, first 2 shown]
.LBB693_3:                              ; =>This Inner Loop Header: Depth=1
	v_sub_co_u32_e32 v9, vcc, v6, v4
	v_subb_co_u32_e32 v10, vcc, v7, v5, vcc
	v_lshrrev_b64 v[11:12], 1, v[9:10]
	v_lshrrev_b64 v[9:10], 6, v[9:10]
	v_add_co_u32_e32 v11, vcc, v11, v4
	v_addc_co_u32_e32 v12, vcc, v12, v5, vcc
	v_add_co_u32_e32 v9, vcc, v11, v9
	v_addc_co_u32_e32 v10, vcc, v12, v10, vcc
	v_lshlrev_b64 v[11:12], 3, v[9:10]
	v_add_co_u32_e32 v11, vcc, s10, v11
	v_addc_co_u32_e32 v12, vcc, v8, v12, vcc
	global_load_dwordx2 v[11:12], v[11:12], off
	v_add_co_u32_e32 v13, vcc, 1, v9
	v_addc_co_u32_e32 v14, vcc, 0, v10, vcc
	s_waitcnt vmcnt(0) lgkmcnt(0)
	v_cmp_lt_i64_e32 vcc, v[11:12], v[2:3]
	v_cndmask_b32_e32 v7, v10, v7, vcc
	v_cndmask_b32_e32 v6, v9, v6, vcc
	;; [unrolled: 1-line block ×4, first 2 shown]
	v_cmp_ge_u64_e32 vcc, v[4:5], v[6:7]
	s_or_b64 s[0:1], vcc, s[0:1]
	s_andn2_b64 exec, exec, s[0:1]
	s_cbranch_execnz .LBB693_3
; %bb.4:
	s_or_b64 exec, exec, s[0:1]
.LBB693_5:
	v_cmp_eq_u64_e64 s[6:7], s[14:15], v[4:5]
	v_cmp_ne_u64_e64 s[16:17], s[14:15], v[4:5]
	s_branch .LBB693_14
.LBB693_6:
	s_mov_b64 s[16:17], 0
	s_mov_b64 s[6:7], 0
                                        ; implicit-def: $vgpr2_vgpr3
                                        ; implicit-def: $vgpr4_vgpr5
	s_cbranch_execz .LBB693_14
; %bb.7:
	s_load_dword s0, s[4:5], 0x10
                                        ; implicit-def: $vgpr2_vgpr3
                                        ; implicit-def: $vgpr4_vgpr5
	s_waitcnt lgkmcnt(0)
	s_sub_i32 s0, s0, s12
	v_cmp_gt_u32_e32 vcc, s0, v0
	s_and_saveexec_b64 s[4:5], vcc
	s_cbranch_execz .LBB693_13
; %bb.8:
	s_lshl_b64 s[0:1], s[12:13], 3
	s_add_u32 s0, s18, s0
	s_addc_u32 s1, s19, s1
	v_lshlrev_b32_e32 v1, 3, v0
	s_waitcnt vmcnt(0)
	v_mov_b32_e32 v2, s1
	v_add_co_u32_e32 v1, vcc, s0, v1
	v_addc_co_u32_e32 v2, vcc, 0, v2, vcc
	flat_load_dwordx2 v[2:3], v[1:2]
	v_mov_b32_e32 v4, 0
	v_mov_b32_e32 v1, 0
	s_cmp_eq_u64 s[14:15], 0
	s_mov_b64 s[0:1], 0
	v_mov_b32_e32 v5, 0
	s_cbranch_scc1 .LBB693_12
; %bb.9:
	v_mov_b32_e32 v6, s14
	v_mov_b32_e32 v7, s15
	;; [unrolled: 1-line block ×3, first 2 shown]
.LBB693_10:                             ; =>This Inner Loop Header: Depth=1
	v_sub_co_u32_e32 v9, vcc, v6, v4
	v_subb_co_u32_e32 v10, vcc, v7, v5, vcc
	v_lshrrev_b64 v[11:12], 1, v[9:10]
	v_lshrrev_b64 v[9:10], 6, v[9:10]
	v_add_co_u32_e32 v11, vcc, v11, v4
	v_addc_co_u32_e32 v12, vcc, v12, v5, vcc
	v_add_co_u32_e32 v9, vcc, v11, v9
	v_addc_co_u32_e32 v10, vcc, v12, v10, vcc
	v_lshlrev_b64 v[11:12], 3, v[9:10]
	v_add_co_u32_e32 v11, vcc, s10, v11
	v_addc_co_u32_e32 v12, vcc, v8, v12, vcc
	global_load_dwordx2 v[11:12], v[11:12], off
	v_add_co_u32_e32 v13, vcc, 1, v9
	v_addc_co_u32_e32 v14, vcc, 0, v10, vcc
	s_waitcnt vmcnt(0) lgkmcnt(0)
	v_cmp_lt_i64_e32 vcc, v[11:12], v[2:3]
	v_cndmask_b32_e32 v7, v10, v7, vcc
	v_cndmask_b32_e32 v6, v9, v6, vcc
	;; [unrolled: 1-line block ×4, first 2 shown]
	v_cmp_ge_u64_e32 vcc, v[4:5], v[6:7]
	s_or_b64 s[0:1], vcc, s[0:1]
	s_andn2_b64 exec, exec, s[0:1]
	s_cbranch_execnz .LBB693_10
; %bb.11:
	s_or_b64 exec, exec, s[0:1]
.LBB693_12:
	v_cmp_eq_u64_e32 vcc, s[14:15], v[4:5]
	v_cmp_ne_u64_e64 s[0:1], s[14:15], v[4:5]
	s_andn2_b64 s[6:7], s[6:7], exec
	s_and_b64 s[14:15], vcc, exec
	s_or_b64 s[6:7], s[6:7], s[14:15]
	s_andn2_b64 s[14:15], s[16:17], exec
	s_and_b64 s[0:1], s[0:1], exec
	s_or_b64 s[16:17], s[14:15], s[0:1]
.LBB693_13:
	s_or_b64 exec, exec, s[4:5]
.LBB693_14:
	v_mov_b32_e32 v6, 0
	s_and_saveexec_b64 s[0:1], s[16:17]
	s_cbranch_execnz .LBB693_17
; %bb.15:
	s_or_b64 exec, exec, s[0:1]
	s_and_saveexec_b64 s[0:1], s[6:7]
	s_cbranch_execnz .LBB693_18
.LBB693_16:
	s_endpgm
.LBB693_17:
	v_lshlrev_b64 v[4:5], 3, v[4:5]
	v_mov_b32_e32 v6, s11
	v_add_co_u32_e32 v4, vcc, s10, v4
	v_addc_co_u32_e32 v5, vcc, v6, v5, vcc
	global_load_dwordx2 v[4:5], v[4:5], off
	s_or_b64 s[6:7], s[6:7], exec
	s_waitcnt vmcnt(0) lgkmcnt(0)
	v_cmp_ge_i64_e32 vcc, v[2:3], v[4:5]
	v_cndmask_b32_e64 v6, 0, 1, vcc
	s_or_b64 exec, exec, s[0:1]
	s_and_saveexec_b64 s[0:1], s[6:7]
	s_cbranch_execz .LBB693_16
.LBB693_18:
	s_lshl_b64 s[0:1], s[2:3], 2
	s_add_u32 s2, s8, s0
	s_addc_u32 s3, s9, s1
	s_lshl_b64 s[0:1], s[12:13], 2
	s_add_u32 s0, s2, s0
	v_lshlrev_b64 v[0:1], 2, v[0:1]
	s_addc_u32 s1, s3, s1
	s_waitcnt vmcnt(0) lgkmcnt(0)
	v_mov_b32_e32 v2, s1
	v_add_co_u32_e32 v0, vcc, s0, v0
	v_addc_co_u32_e32 v1, vcc, v2, v1, vcc
	flat_store_dword v[0:1], v6
	s_endpgm
	.section	.rodata,"a",@progbits
	.p2align	6, 0x0
	.amdhsa_kernel _ZN7rocprim17ROCPRIM_400000_NS6detail17trampoline_kernelINS0_14default_configENS1_29binary_search_config_selectorIxiEEZNS1_14transform_implILb0ES3_S5_N6thrust23THRUST_200600_302600_NS6detail15normal_iteratorINS8_7pointerIxNS8_11hip_rocprim5par_tENS8_11use_defaultESE_EEEENSA_INSB_IiSD_SE_SE_EEEEZNS1_13binary_searchIS3_S5_NSA_INS8_10device_ptrIxEEEESG_SI_NS1_16binary_search_opENS9_16wrapped_functionINS8_6system6detail7generic6detail18binary_search_lessEbEEEE10hipError_tPvRmT1_T2_T3_mmT4_T5_P12ihipStream_tbEUlRKxE_EESV_SZ_S10_mS11_S14_bEUlT_E_NS1_11comp_targetILNS1_3genE2ELNS1_11target_archE906ELNS1_3gpuE6ELNS1_3repE0EEENS1_30default_config_static_selectorELNS0_4arch9wavefront6targetE1EEEvSY_
		.amdhsa_group_segment_fixed_size 0
		.amdhsa_private_segment_fixed_size 0
		.amdhsa_kernarg_size 312
		.amdhsa_user_sgpr_count 6
		.amdhsa_user_sgpr_private_segment_buffer 1
		.amdhsa_user_sgpr_dispatch_ptr 0
		.amdhsa_user_sgpr_queue_ptr 0
		.amdhsa_user_sgpr_kernarg_segment_ptr 1
		.amdhsa_user_sgpr_dispatch_id 0
		.amdhsa_user_sgpr_flat_scratch_init 0
		.amdhsa_user_sgpr_private_segment_size 0
		.amdhsa_uses_dynamic_stack 0
		.amdhsa_system_sgpr_private_segment_wavefront_offset 0
		.amdhsa_system_sgpr_workgroup_id_x 1
		.amdhsa_system_sgpr_workgroup_id_y 0
		.amdhsa_system_sgpr_workgroup_id_z 0
		.amdhsa_system_sgpr_workgroup_info 0
		.amdhsa_system_vgpr_workitem_id 0
		.amdhsa_next_free_vgpr 15
		.amdhsa_next_free_sgpr 20
		.amdhsa_reserve_vcc 1
		.amdhsa_reserve_flat_scratch 0
		.amdhsa_float_round_mode_32 0
		.amdhsa_float_round_mode_16_64 0
		.amdhsa_float_denorm_mode_32 3
		.amdhsa_float_denorm_mode_16_64 3
		.amdhsa_dx10_clamp 1
		.amdhsa_ieee_mode 1
		.amdhsa_fp16_overflow 0
		.amdhsa_exception_fp_ieee_invalid_op 0
		.amdhsa_exception_fp_denorm_src 0
		.amdhsa_exception_fp_ieee_div_zero 0
		.amdhsa_exception_fp_ieee_overflow 0
		.amdhsa_exception_fp_ieee_underflow 0
		.amdhsa_exception_fp_ieee_inexact 0
		.amdhsa_exception_int_div_zero 0
	.end_amdhsa_kernel
	.section	.text._ZN7rocprim17ROCPRIM_400000_NS6detail17trampoline_kernelINS0_14default_configENS1_29binary_search_config_selectorIxiEEZNS1_14transform_implILb0ES3_S5_N6thrust23THRUST_200600_302600_NS6detail15normal_iteratorINS8_7pointerIxNS8_11hip_rocprim5par_tENS8_11use_defaultESE_EEEENSA_INSB_IiSD_SE_SE_EEEEZNS1_13binary_searchIS3_S5_NSA_INS8_10device_ptrIxEEEESG_SI_NS1_16binary_search_opENS9_16wrapped_functionINS8_6system6detail7generic6detail18binary_search_lessEbEEEE10hipError_tPvRmT1_T2_T3_mmT4_T5_P12ihipStream_tbEUlRKxE_EESV_SZ_S10_mS11_S14_bEUlT_E_NS1_11comp_targetILNS1_3genE2ELNS1_11target_archE906ELNS1_3gpuE6ELNS1_3repE0EEENS1_30default_config_static_selectorELNS0_4arch9wavefront6targetE1EEEvSY_,"axG",@progbits,_ZN7rocprim17ROCPRIM_400000_NS6detail17trampoline_kernelINS0_14default_configENS1_29binary_search_config_selectorIxiEEZNS1_14transform_implILb0ES3_S5_N6thrust23THRUST_200600_302600_NS6detail15normal_iteratorINS8_7pointerIxNS8_11hip_rocprim5par_tENS8_11use_defaultESE_EEEENSA_INSB_IiSD_SE_SE_EEEEZNS1_13binary_searchIS3_S5_NSA_INS8_10device_ptrIxEEEESG_SI_NS1_16binary_search_opENS9_16wrapped_functionINS8_6system6detail7generic6detail18binary_search_lessEbEEEE10hipError_tPvRmT1_T2_T3_mmT4_T5_P12ihipStream_tbEUlRKxE_EESV_SZ_S10_mS11_S14_bEUlT_E_NS1_11comp_targetILNS1_3genE2ELNS1_11target_archE906ELNS1_3gpuE6ELNS1_3repE0EEENS1_30default_config_static_selectorELNS0_4arch9wavefront6targetE1EEEvSY_,comdat
.Lfunc_end693:
	.size	_ZN7rocprim17ROCPRIM_400000_NS6detail17trampoline_kernelINS0_14default_configENS1_29binary_search_config_selectorIxiEEZNS1_14transform_implILb0ES3_S5_N6thrust23THRUST_200600_302600_NS6detail15normal_iteratorINS8_7pointerIxNS8_11hip_rocprim5par_tENS8_11use_defaultESE_EEEENSA_INSB_IiSD_SE_SE_EEEEZNS1_13binary_searchIS3_S5_NSA_INS8_10device_ptrIxEEEESG_SI_NS1_16binary_search_opENS9_16wrapped_functionINS8_6system6detail7generic6detail18binary_search_lessEbEEEE10hipError_tPvRmT1_T2_T3_mmT4_T5_P12ihipStream_tbEUlRKxE_EESV_SZ_S10_mS11_S14_bEUlT_E_NS1_11comp_targetILNS1_3genE2ELNS1_11target_archE906ELNS1_3gpuE6ELNS1_3repE0EEENS1_30default_config_static_selectorELNS0_4arch9wavefront6targetE1EEEvSY_, .Lfunc_end693-_ZN7rocprim17ROCPRIM_400000_NS6detail17trampoline_kernelINS0_14default_configENS1_29binary_search_config_selectorIxiEEZNS1_14transform_implILb0ES3_S5_N6thrust23THRUST_200600_302600_NS6detail15normal_iteratorINS8_7pointerIxNS8_11hip_rocprim5par_tENS8_11use_defaultESE_EEEENSA_INSB_IiSD_SE_SE_EEEEZNS1_13binary_searchIS3_S5_NSA_INS8_10device_ptrIxEEEESG_SI_NS1_16binary_search_opENS9_16wrapped_functionINS8_6system6detail7generic6detail18binary_search_lessEbEEEE10hipError_tPvRmT1_T2_T3_mmT4_T5_P12ihipStream_tbEUlRKxE_EESV_SZ_S10_mS11_S14_bEUlT_E_NS1_11comp_targetILNS1_3genE2ELNS1_11target_archE906ELNS1_3gpuE6ELNS1_3repE0EEENS1_30default_config_static_selectorELNS0_4arch9wavefront6targetE1EEEvSY_
                                        ; -- End function
	.set _ZN7rocprim17ROCPRIM_400000_NS6detail17trampoline_kernelINS0_14default_configENS1_29binary_search_config_selectorIxiEEZNS1_14transform_implILb0ES3_S5_N6thrust23THRUST_200600_302600_NS6detail15normal_iteratorINS8_7pointerIxNS8_11hip_rocprim5par_tENS8_11use_defaultESE_EEEENSA_INSB_IiSD_SE_SE_EEEEZNS1_13binary_searchIS3_S5_NSA_INS8_10device_ptrIxEEEESG_SI_NS1_16binary_search_opENS9_16wrapped_functionINS8_6system6detail7generic6detail18binary_search_lessEbEEEE10hipError_tPvRmT1_T2_T3_mmT4_T5_P12ihipStream_tbEUlRKxE_EESV_SZ_S10_mS11_S14_bEUlT_E_NS1_11comp_targetILNS1_3genE2ELNS1_11target_archE906ELNS1_3gpuE6ELNS1_3repE0EEENS1_30default_config_static_selectorELNS0_4arch9wavefront6targetE1EEEvSY_.num_vgpr, 15
	.set _ZN7rocprim17ROCPRIM_400000_NS6detail17trampoline_kernelINS0_14default_configENS1_29binary_search_config_selectorIxiEEZNS1_14transform_implILb0ES3_S5_N6thrust23THRUST_200600_302600_NS6detail15normal_iteratorINS8_7pointerIxNS8_11hip_rocprim5par_tENS8_11use_defaultESE_EEEENSA_INSB_IiSD_SE_SE_EEEEZNS1_13binary_searchIS3_S5_NSA_INS8_10device_ptrIxEEEESG_SI_NS1_16binary_search_opENS9_16wrapped_functionINS8_6system6detail7generic6detail18binary_search_lessEbEEEE10hipError_tPvRmT1_T2_T3_mmT4_T5_P12ihipStream_tbEUlRKxE_EESV_SZ_S10_mS11_S14_bEUlT_E_NS1_11comp_targetILNS1_3genE2ELNS1_11target_archE906ELNS1_3gpuE6ELNS1_3repE0EEENS1_30default_config_static_selectorELNS0_4arch9wavefront6targetE1EEEvSY_.num_agpr, 0
	.set _ZN7rocprim17ROCPRIM_400000_NS6detail17trampoline_kernelINS0_14default_configENS1_29binary_search_config_selectorIxiEEZNS1_14transform_implILb0ES3_S5_N6thrust23THRUST_200600_302600_NS6detail15normal_iteratorINS8_7pointerIxNS8_11hip_rocprim5par_tENS8_11use_defaultESE_EEEENSA_INSB_IiSD_SE_SE_EEEEZNS1_13binary_searchIS3_S5_NSA_INS8_10device_ptrIxEEEESG_SI_NS1_16binary_search_opENS9_16wrapped_functionINS8_6system6detail7generic6detail18binary_search_lessEbEEEE10hipError_tPvRmT1_T2_T3_mmT4_T5_P12ihipStream_tbEUlRKxE_EESV_SZ_S10_mS11_S14_bEUlT_E_NS1_11comp_targetILNS1_3genE2ELNS1_11target_archE906ELNS1_3gpuE6ELNS1_3repE0EEENS1_30default_config_static_selectorELNS0_4arch9wavefront6targetE1EEEvSY_.numbered_sgpr, 20
	.set _ZN7rocprim17ROCPRIM_400000_NS6detail17trampoline_kernelINS0_14default_configENS1_29binary_search_config_selectorIxiEEZNS1_14transform_implILb0ES3_S5_N6thrust23THRUST_200600_302600_NS6detail15normal_iteratorINS8_7pointerIxNS8_11hip_rocprim5par_tENS8_11use_defaultESE_EEEENSA_INSB_IiSD_SE_SE_EEEEZNS1_13binary_searchIS3_S5_NSA_INS8_10device_ptrIxEEEESG_SI_NS1_16binary_search_opENS9_16wrapped_functionINS8_6system6detail7generic6detail18binary_search_lessEbEEEE10hipError_tPvRmT1_T2_T3_mmT4_T5_P12ihipStream_tbEUlRKxE_EESV_SZ_S10_mS11_S14_bEUlT_E_NS1_11comp_targetILNS1_3genE2ELNS1_11target_archE906ELNS1_3gpuE6ELNS1_3repE0EEENS1_30default_config_static_selectorELNS0_4arch9wavefront6targetE1EEEvSY_.num_named_barrier, 0
	.set _ZN7rocprim17ROCPRIM_400000_NS6detail17trampoline_kernelINS0_14default_configENS1_29binary_search_config_selectorIxiEEZNS1_14transform_implILb0ES3_S5_N6thrust23THRUST_200600_302600_NS6detail15normal_iteratorINS8_7pointerIxNS8_11hip_rocprim5par_tENS8_11use_defaultESE_EEEENSA_INSB_IiSD_SE_SE_EEEEZNS1_13binary_searchIS3_S5_NSA_INS8_10device_ptrIxEEEESG_SI_NS1_16binary_search_opENS9_16wrapped_functionINS8_6system6detail7generic6detail18binary_search_lessEbEEEE10hipError_tPvRmT1_T2_T3_mmT4_T5_P12ihipStream_tbEUlRKxE_EESV_SZ_S10_mS11_S14_bEUlT_E_NS1_11comp_targetILNS1_3genE2ELNS1_11target_archE906ELNS1_3gpuE6ELNS1_3repE0EEENS1_30default_config_static_selectorELNS0_4arch9wavefront6targetE1EEEvSY_.private_seg_size, 0
	.set _ZN7rocprim17ROCPRIM_400000_NS6detail17trampoline_kernelINS0_14default_configENS1_29binary_search_config_selectorIxiEEZNS1_14transform_implILb0ES3_S5_N6thrust23THRUST_200600_302600_NS6detail15normal_iteratorINS8_7pointerIxNS8_11hip_rocprim5par_tENS8_11use_defaultESE_EEEENSA_INSB_IiSD_SE_SE_EEEEZNS1_13binary_searchIS3_S5_NSA_INS8_10device_ptrIxEEEESG_SI_NS1_16binary_search_opENS9_16wrapped_functionINS8_6system6detail7generic6detail18binary_search_lessEbEEEE10hipError_tPvRmT1_T2_T3_mmT4_T5_P12ihipStream_tbEUlRKxE_EESV_SZ_S10_mS11_S14_bEUlT_E_NS1_11comp_targetILNS1_3genE2ELNS1_11target_archE906ELNS1_3gpuE6ELNS1_3repE0EEENS1_30default_config_static_selectorELNS0_4arch9wavefront6targetE1EEEvSY_.uses_vcc, 1
	.set _ZN7rocprim17ROCPRIM_400000_NS6detail17trampoline_kernelINS0_14default_configENS1_29binary_search_config_selectorIxiEEZNS1_14transform_implILb0ES3_S5_N6thrust23THRUST_200600_302600_NS6detail15normal_iteratorINS8_7pointerIxNS8_11hip_rocprim5par_tENS8_11use_defaultESE_EEEENSA_INSB_IiSD_SE_SE_EEEEZNS1_13binary_searchIS3_S5_NSA_INS8_10device_ptrIxEEEESG_SI_NS1_16binary_search_opENS9_16wrapped_functionINS8_6system6detail7generic6detail18binary_search_lessEbEEEE10hipError_tPvRmT1_T2_T3_mmT4_T5_P12ihipStream_tbEUlRKxE_EESV_SZ_S10_mS11_S14_bEUlT_E_NS1_11comp_targetILNS1_3genE2ELNS1_11target_archE906ELNS1_3gpuE6ELNS1_3repE0EEENS1_30default_config_static_selectorELNS0_4arch9wavefront6targetE1EEEvSY_.uses_flat_scratch, 0
	.set _ZN7rocprim17ROCPRIM_400000_NS6detail17trampoline_kernelINS0_14default_configENS1_29binary_search_config_selectorIxiEEZNS1_14transform_implILb0ES3_S5_N6thrust23THRUST_200600_302600_NS6detail15normal_iteratorINS8_7pointerIxNS8_11hip_rocprim5par_tENS8_11use_defaultESE_EEEENSA_INSB_IiSD_SE_SE_EEEEZNS1_13binary_searchIS3_S5_NSA_INS8_10device_ptrIxEEEESG_SI_NS1_16binary_search_opENS9_16wrapped_functionINS8_6system6detail7generic6detail18binary_search_lessEbEEEE10hipError_tPvRmT1_T2_T3_mmT4_T5_P12ihipStream_tbEUlRKxE_EESV_SZ_S10_mS11_S14_bEUlT_E_NS1_11comp_targetILNS1_3genE2ELNS1_11target_archE906ELNS1_3gpuE6ELNS1_3repE0EEENS1_30default_config_static_selectorELNS0_4arch9wavefront6targetE1EEEvSY_.has_dyn_sized_stack, 0
	.set _ZN7rocprim17ROCPRIM_400000_NS6detail17trampoline_kernelINS0_14default_configENS1_29binary_search_config_selectorIxiEEZNS1_14transform_implILb0ES3_S5_N6thrust23THRUST_200600_302600_NS6detail15normal_iteratorINS8_7pointerIxNS8_11hip_rocprim5par_tENS8_11use_defaultESE_EEEENSA_INSB_IiSD_SE_SE_EEEEZNS1_13binary_searchIS3_S5_NSA_INS8_10device_ptrIxEEEESG_SI_NS1_16binary_search_opENS9_16wrapped_functionINS8_6system6detail7generic6detail18binary_search_lessEbEEEE10hipError_tPvRmT1_T2_T3_mmT4_T5_P12ihipStream_tbEUlRKxE_EESV_SZ_S10_mS11_S14_bEUlT_E_NS1_11comp_targetILNS1_3genE2ELNS1_11target_archE906ELNS1_3gpuE6ELNS1_3repE0EEENS1_30default_config_static_selectorELNS0_4arch9wavefront6targetE1EEEvSY_.has_recursion, 0
	.set _ZN7rocprim17ROCPRIM_400000_NS6detail17trampoline_kernelINS0_14default_configENS1_29binary_search_config_selectorIxiEEZNS1_14transform_implILb0ES3_S5_N6thrust23THRUST_200600_302600_NS6detail15normal_iteratorINS8_7pointerIxNS8_11hip_rocprim5par_tENS8_11use_defaultESE_EEEENSA_INSB_IiSD_SE_SE_EEEEZNS1_13binary_searchIS3_S5_NSA_INS8_10device_ptrIxEEEESG_SI_NS1_16binary_search_opENS9_16wrapped_functionINS8_6system6detail7generic6detail18binary_search_lessEbEEEE10hipError_tPvRmT1_T2_T3_mmT4_T5_P12ihipStream_tbEUlRKxE_EESV_SZ_S10_mS11_S14_bEUlT_E_NS1_11comp_targetILNS1_3genE2ELNS1_11target_archE906ELNS1_3gpuE6ELNS1_3repE0EEENS1_30default_config_static_selectorELNS0_4arch9wavefront6targetE1EEEvSY_.has_indirect_call, 0
	.section	.AMDGPU.csdata,"",@progbits
; Kernel info:
; codeLenInByte = 696
; TotalNumSgprs: 24
; NumVgprs: 15
; ScratchSize: 0
; MemoryBound: 0
; FloatMode: 240
; IeeeMode: 1
; LDSByteSize: 0 bytes/workgroup (compile time only)
; SGPRBlocks: 2
; VGPRBlocks: 3
; NumSGPRsForWavesPerEU: 24
; NumVGPRsForWavesPerEU: 15
; Occupancy: 10
; WaveLimiterHint : 0
; COMPUTE_PGM_RSRC2:SCRATCH_EN: 0
; COMPUTE_PGM_RSRC2:USER_SGPR: 6
; COMPUTE_PGM_RSRC2:TRAP_HANDLER: 0
; COMPUTE_PGM_RSRC2:TGID_X_EN: 1
; COMPUTE_PGM_RSRC2:TGID_Y_EN: 0
; COMPUTE_PGM_RSRC2:TGID_Z_EN: 0
; COMPUTE_PGM_RSRC2:TIDIG_COMP_CNT: 0
	.section	.text._ZN7rocprim17ROCPRIM_400000_NS6detail17trampoline_kernelINS0_14default_configENS1_29binary_search_config_selectorIxiEEZNS1_14transform_implILb0ES3_S5_N6thrust23THRUST_200600_302600_NS6detail15normal_iteratorINS8_7pointerIxNS8_11hip_rocprim5par_tENS8_11use_defaultESE_EEEENSA_INSB_IiSD_SE_SE_EEEEZNS1_13binary_searchIS3_S5_NSA_INS8_10device_ptrIxEEEESG_SI_NS1_16binary_search_opENS9_16wrapped_functionINS8_6system6detail7generic6detail18binary_search_lessEbEEEE10hipError_tPvRmT1_T2_T3_mmT4_T5_P12ihipStream_tbEUlRKxE_EESV_SZ_S10_mS11_S14_bEUlT_E_NS1_11comp_targetILNS1_3genE10ELNS1_11target_archE1201ELNS1_3gpuE5ELNS1_3repE0EEENS1_30default_config_static_selectorELNS0_4arch9wavefront6targetE1EEEvSY_,"axG",@progbits,_ZN7rocprim17ROCPRIM_400000_NS6detail17trampoline_kernelINS0_14default_configENS1_29binary_search_config_selectorIxiEEZNS1_14transform_implILb0ES3_S5_N6thrust23THRUST_200600_302600_NS6detail15normal_iteratorINS8_7pointerIxNS8_11hip_rocprim5par_tENS8_11use_defaultESE_EEEENSA_INSB_IiSD_SE_SE_EEEEZNS1_13binary_searchIS3_S5_NSA_INS8_10device_ptrIxEEEESG_SI_NS1_16binary_search_opENS9_16wrapped_functionINS8_6system6detail7generic6detail18binary_search_lessEbEEEE10hipError_tPvRmT1_T2_T3_mmT4_T5_P12ihipStream_tbEUlRKxE_EESV_SZ_S10_mS11_S14_bEUlT_E_NS1_11comp_targetILNS1_3genE10ELNS1_11target_archE1201ELNS1_3gpuE5ELNS1_3repE0EEENS1_30default_config_static_selectorELNS0_4arch9wavefront6targetE1EEEvSY_,comdat
	.protected	_ZN7rocprim17ROCPRIM_400000_NS6detail17trampoline_kernelINS0_14default_configENS1_29binary_search_config_selectorIxiEEZNS1_14transform_implILb0ES3_S5_N6thrust23THRUST_200600_302600_NS6detail15normal_iteratorINS8_7pointerIxNS8_11hip_rocprim5par_tENS8_11use_defaultESE_EEEENSA_INSB_IiSD_SE_SE_EEEEZNS1_13binary_searchIS3_S5_NSA_INS8_10device_ptrIxEEEESG_SI_NS1_16binary_search_opENS9_16wrapped_functionINS8_6system6detail7generic6detail18binary_search_lessEbEEEE10hipError_tPvRmT1_T2_T3_mmT4_T5_P12ihipStream_tbEUlRKxE_EESV_SZ_S10_mS11_S14_bEUlT_E_NS1_11comp_targetILNS1_3genE10ELNS1_11target_archE1201ELNS1_3gpuE5ELNS1_3repE0EEENS1_30default_config_static_selectorELNS0_4arch9wavefront6targetE1EEEvSY_ ; -- Begin function _ZN7rocprim17ROCPRIM_400000_NS6detail17trampoline_kernelINS0_14default_configENS1_29binary_search_config_selectorIxiEEZNS1_14transform_implILb0ES3_S5_N6thrust23THRUST_200600_302600_NS6detail15normal_iteratorINS8_7pointerIxNS8_11hip_rocprim5par_tENS8_11use_defaultESE_EEEENSA_INSB_IiSD_SE_SE_EEEEZNS1_13binary_searchIS3_S5_NSA_INS8_10device_ptrIxEEEESG_SI_NS1_16binary_search_opENS9_16wrapped_functionINS8_6system6detail7generic6detail18binary_search_lessEbEEEE10hipError_tPvRmT1_T2_T3_mmT4_T5_P12ihipStream_tbEUlRKxE_EESV_SZ_S10_mS11_S14_bEUlT_E_NS1_11comp_targetILNS1_3genE10ELNS1_11target_archE1201ELNS1_3gpuE5ELNS1_3repE0EEENS1_30default_config_static_selectorELNS0_4arch9wavefront6targetE1EEEvSY_
	.globl	_ZN7rocprim17ROCPRIM_400000_NS6detail17trampoline_kernelINS0_14default_configENS1_29binary_search_config_selectorIxiEEZNS1_14transform_implILb0ES3_S5_N6thrust23THRUST_200600_302600_NS6detail15normal_iteratorINS8_7pointerIxNS8_11hip_rocprim5par_tENS8_11use_defaultESE_EEEENSA_INSB_IiSD_SE_SE_EEEEZNS1_13binary_searchIS3_S5_NSA_INS8_10device_ptrIxEEEESG_SI_NS1_16binary_search_opENS9_16wrapped_functionINS8_6system6detail7generic6detail18binary_search_lessEbEEEE10hipError_tPvRmT1_T2_T3_mmT4_T5_P12ihipStream_tbEUlRKxE_EESV_SZ_S10_mS11_S14_bEUlT_E_NS1_11comp_targetILNS1_3genE10ELNS1_11target_archE1201ELNS1_3gpuE5ELNS1_3repE0EEENS1_30default_config_static_selectorELNS0_4arch9wavefront6targetE1EEEvSY_
	.p2align	8
	.type	_ZN7rocprim17ROCPRIM_400000_NS6detail17trampoline_kernelINS0_14default_configENS1_29binary_search_config_selectorIxiEEZNS1_14transform_implILb0ES3_S5_N6thrust23THRUST_200600_302600_NS6detail15normal_iteratorINS8_7pointerIxNS8_11hip_rocprim5par_tENS8_11use_defaultESE_EEEENSA_INSB_IiSD_SE_SE_EEEEZNS1_13binary_searchIS3_S5_NSA_INS8_10device_ptrIxEEEESG_SI_NS1_16binary_search_opENS9_16wrapped_functionINS8_6system6detail7generic6detail18binary_search_lessEbEEEE10hipError_tPvRmT1_T2_T3_mmT4_T5_P12ihipStream_tbEUlRKxE_EESV_SZ_S10_mS11_S14_bEUlT_E_NS1_11comp_targetILNS1_3genE10ELNS1_11target_archE1201ELNS1_3gpuE5ELNS1_3repE0EEENS1_30default_config_static_selectorELNS0_4arch9wavefront6targetE1EEEvSY_,@function
_ZN7rocprim17ROCPRIM_400000_NS6detail17trampoline_kernelINS0_14default_configENS1_29binary_search_config_selectorIxiEEZNS1_14transform_implILb0ES3_S5_N6thrust23THRUST_200600_302600_NS6detail15normal_iteratorINS8_7pointerIxNS8_11hip_rocprim5par_tENS8_11use_defaultESE_EEEENSA_INSB_IiSD_SE_SE_EEEEZNS1_13binary_searchIS3_S5_NSA_INS8_10device_ptrIxEEEESG_SI_NS1_16binary_search_opENS9_16wrapped_functionINS8_6system6detail7generic6detail18binary_search_lessEbEEEE10hipError_tPvRmT1_T2_T3_mmT4_T5_P12ihipStream_tbEUlRKxE_EESV_SZ_S10_mS11_S14_bEUlT_E_NS1_11comp_targetILNS1_3genE10ELNS1_11target_archE1201ELNS1_3gpuE5ELNS1_3repE0EEENS1_30default_config_static_selectorELNS0_4arch9wavefront6targetE1EEEvSY_: ; @_ZN7rocprim17ROCPRIM_400000_NS6detail17trampoline_kernelINS0_14default_configENS1_29binary_search_config_selectorIxiEEZNS1_14transform_implILb0ES3_S5_N6thrust23THRUST_200600_302600_NS6detail15normal_iteratorINS8_7pointerIxNS8_11hip_rocprim5par_tENS8_11use_defaultESE_EEEENSA_INSB_IiSD_SE_SE_EEEEZNS1_13binary_searchIS3_S5_NSA_INS8_10device_ptrIxEEEESG_SI_NS1_16binary_search_opENS9_16wrapped_functionINS8_6system6detail7generic6detail18binary_search_lessEbEEEE10hipError_tPvRmT1_T2_T3_mmT4_T5_P12ihipStream_tbEUlRKxE_EESV_SZ_S10_mS11_S14_bEUlT_E_NS1_11comp_targetILNS1_3genE10ELNS1_11target_archE1201ELNS1_3gpuE5ELNS1_3repE0EEENS1_30default_config_static_selectorELNS0_4arch9wavefront6targetE1EEEvSY_
; %bb.0:
	.section	.rodata,"a",@progbits
	.p2align	6, 0x0
	.amdhsa_kernel _ZN7rocprim17ROCPRIM_400000_NS6detail17trampoline_kernelINS0_14default_configENS1_29binary_search_config_selectorIxiEEZNS1_14transform_implILb0ES3_S5_N6thrust23THRUST_200600_302600_NS6detail15normal_iteratorINS8_7pointerIxNS8_11hip_rocprim5par_tENS8_11use_defaultESE_EEEENSA_INSB_IiSD_SE_SE_EEEEZNS1_13binary_searchIS3_S5_NSA_INS8_10device_ptrIxEEEESG_SI_NS1_16binary_search_opENS9_16wrapped_functionINS8_6system6detail7generic6detail18binary_search_lessEbEEEE10hipError_tPvRmT1_T2_T3_mmT4_T5_P12ihipStream_tbEUlRKxE_EESV_SZ_S10_mS11_S14_bEUlT_E_NS1_11comp_targetILNS1_3genE10ELNS1_11target_archE1201ELNS1_3gpuE5ELNS1_3repE0EEENS1_30default_config_static_selectorELNS0_4arch9wavefront6targetE1EEEvSY_
		.amdhsa_group_segment_fixed_size 0
		.amdhsa_private_segment_fixed_size 0
		.amdhsa_kernarg_size 56
		.amdhsa_user_sgpr_count 6
		.amdhsa_user_sgpr_private_segment_buffer 1
		.amdhsa_user_sgpr_dispatch_ptr 0
		.amdhsa_user_sgpr_queue_ptr 0
		.amdhsa_user_sgpr_kernarg_segment_ptr 1
		.amdhsa_user_sgpr_dispatch_id 0
		.amdhsa_user_sgpr_flat_scratch_init 0
		.amdhsa_user_sgpr_private_segment_size 0
		.amdhsa_uses_dynamic_stack 0
		.amdhsa_system_sgpr_private_segment_wavefront_offset 0
		.amdhsa_system_sgpr_workgroup_id_x 1
		.amdhsa_system_sgpr_workgroup_id_y 0
		.amdhsa_system_sgpr_workgroup_id_z 0
		.amdhsa_system_sgpr_workgroup_info 0
		.amdhsa_system_vgpr_workitem_id 0
		.amdhsa_next_free_vgpr 1
		.amdhsa_next_free_sgpr 0
		.amdhsa_reserve_vcc 0
		.amdhsa_reserve_flat_scratch 0
		.amdhsa_float_round_mode_32 0
		.amdhsa_float_round_mode_16_64 0
		.amdhsa_float_denorm_mode_32 3
		.amdhsa_float_denorm_mode_16_64 3
		.amdhsa_dx10_clamp 1
		.amdhsa_ieee_mode 1
		.amdhsa_fp16_overflow 0
		.amdhsa_exception_fp_ieee_invalid_op 0
		.amdhsa_exception_fp_denorm_src 0
		.amdhsa_exception_fp_ieee_div_zero 0
		.amdhsa_exception_fp_ieee_overflow 0
		.amdhsa_exception_fp_ieee_underflow 0
		.amdhsa_exception_fp_ieee_inexact 0
		.amdhsa_exception_int_div_zero 0
	.end_amdhsa_kernel
	.section	.text._ZN7rocprim17ROCPRIM_400000_NS6detail17trampoline_kernelINS0_14default_configENS1_29binary_search_config_selectorIxiEEZNS1_14transform_implILb0ES3_S5_N6thrust23THRUST_200600_302600_NS6detail15normal_iteratorINS8_7pointerIxNS8_11hip_rocprim5par_tENS8_11use_defaultESE_EEEENSA_INSB_IiSD_SE_SE_EEEEZNS1_13binary_searchIS3_S5_NSA_INS8_10device_ptrIxEEEESG_SI_NS1_16binary_search_opENS9_16wrapped_functionINS8_6system6detail7generic6detail18binary_search_lessEbEEEE10hipError_tPvRmT1_T2_T3_mmT4_T5_P12ihipStream_tbEUlRKxE_EESV_SZ_S10_mS11_S14_bEUlT_E_NS1_11comp_targetILNS1_3genE10ELNS1_11target_archE1201ELNS1_3gpuE5ELNS1_3repE0EEENS1_30default_config_static_selectorELNS0_4arch9wavefront6targetE1EEEvSY_,"axG",@progbits,_ZN7rocprim17ROCPRIM_400000_NS6detail17trampoline_kernelINS0_14default_configENS1_29binary_search_config_selectorIxiEEZNS1_14transform_implILb0ES3_S5_N6thrust23THRUST_200600_302600_NS6detail15normal_iteratorINS8_7pointerIxNS8_11hip_rocprim5par_tENS8_11use_defaultESE_EEEENSA_INSB_IiSD_SE_SE_EEEEZNS1_13binary_searchIS3_S5_NSA_INS8_10device_ptrIxEEEESG_SI_NS1_16binary_search_opENS9_16wrapped_functionINS8_6system6detail7generic6detail18binary_search_lessEbEEEE10hipError_tPvRmT1_T2_T3_mmT4_T5_P12ihipStream_tbEUlRKxE_EESV_SZ_S10_mS11_S14_bEUlT_E_NS1_11comp_targetILNS1_3genE10ELNS1_11target_archE1201ELNS1_3gpuE5ELNS1_3repE0EEENS1_30default_config_static_selectorELNS0_4arch9wavefront6targetE1EEEvSY_,comdat
.Lfunc_end694:
	.size	_ZN7rocprim17ROCPRIM_400000_NS6detail17trampoline_kernelINS0_14default_configENS1_29binary_search_config_selectorIxiEEZNS1_14transform_implILb0ES3_S5_N6thrust23THRUST_200600_302600_NS6detail15normal_iteratorINS8_7pointerIxNS8_11hip_rocprim5par_tENS8_11use_defaultESE_EEEENSA_INSB_IiSD_SE_SE_EEEEZNS1_13binary_searchIS3_S5_NSA_INS8_10device_ptrIxEEEESG_SI_NS1_16binary_search_opENS9_16wrapped_functionINS8_6system6detail7generic6detail18binary_search_lessEbEEEE10hipError_tPvRmT1_T2_T3_mmT4_T5_P12ihipStream_tbEUlRKxE_EESV_SZ_S10_mS11_S14_bEUlT_E_NS1_11comp_targetILNS1_3genE10ELNS1_11target_archE1201ELNS1_3gpuE5ELNS1_3repE0EEENS1_30default_config_static_selectorELNS0_4arch9wavefront6targetE1EEEvSY_, .Lfunc_end694-_ZN7rocprim17ROCPRIM_400000_NS6detail17trampoline_kernelINS0_14default_configENS1_29binary_search_config_selectorIxiEEZNS1_14transform_implILb0ES3_S5_N6thrust23THRUST_200600_302600_NS6detail15normal_iteratorINS8_7pointerIxNS8_11hip_rocprim5par_tENS8_11use_defaultESE_EEEENSA_INSB_IiSD_SE_SE_EEEEZNS1_13binary_searchIS3_S5_NSA_INS8_10device_ptrIxEEEESG_SI_NS1_16binary_search_opENS9_16wrapped_functionINS8_6system6detail7generic6detail18binary_search_lessEbEEEE10hipError_tPvRmT1_T2_T3_mmT4_T5_P12ihipStream_tbEUlRKxE_EESV_SZ_S10_mS11_S14_bEUlT_E_NS1_11comp_targetILNS1_3genE10ELNS1_11target_archE1201ELNS1_3gpuE5ELNS1_3repE0EEENS1_30default_config_static_selectorELNS0_4arch9wavefront6targetE1EEEvSY_
                                        ; -- End function
	.set _ZN7rocprim17ROCPRIM_400000_NS6detail17trampoline_kernelINS0_14default_configENS1_29binary_search_config_selectorIxiEEZNS1_14transform_implILb0ES3_S5_N6thrust23THRUST_200600_302600_NS6detail15normal_iteratorINS8_7pointerIxNS8_11hip_rocprim5par_tENS8_11use_defaultESE_EEEENSA_INSB_IiSD_SE_SE_EEEEZNS1_13binary_searchIS3_S5_NSA_INS8_10device_ptrIxEEEESG_SI_NS1_16binary_search_opENS9_16wrapped_functionINS8_6system6detail7generic6detail18binary_search_lessEbEEEE10hipError_tPvRmT1_T2_T3_mmT4_T5_P12ihipStream_tbEUlRKxE_EESV_SZ_S10_mS11_S14_bEUlT_E_NS1_11comp_targetILNS1_3genE10ELNS1_11target_archE1201ELNS1_3gpuE5ELNS1_3repE0EEENS1_30default_config_static_selectorELNS0_4arch9wavefront6targetE1EEEvSY_.num_vgpr, 0
	.set _ZN7rocprim17ROCPRIM_400000_NS6detail17trampoline_kernelINS0_14default_configENS1_29binary_search_config_selectorIxiEEZNS1_14transform_implILb0ES3_S5_N6thrust23THRUST_200600_302600_NS6detail15normal_iteratorINS8_7pointerIxNS8_11hip_rocprim5par_tENS8_11use_defaultESE_EEEENSA_INSB_IiSD_SE_SE_EEEEZNS1_13binary_searchIS3_S5_NSA_INS8_10device_ptrIxEEEESG_SI_NS1_16binary_search_opENS9_16wrapped_functionINS8_6system6detail7generic6detail18binary_search_lessEbEEEE10hipError_tPvRmT1_T2_T3_mmT4_T5_P12ihipStream_tbEUlRKxE_EESV_SZ_S10_mS11_S14_bEUlT_E_NS1_11comp_targetILNS1_3genE10ELNS1_11target_archE1201ELNS1_3gpuE5ELNS1_3repE0EEENS1_30default_config_static_selectorELNS0_4arch9wavefront6targetE1EEEvSY_.num_agpr, 0
	.set _ZN7rocprim17ROCPRIM_400000_NS6detail17trampoline_kernelINS0_14default_configENS1_29binary_search_config_selectorIxiEEZNS1_14transform_implILb0ES3_S5_N6thrust23THRUST_200600_302600_NS6detail15normal_iteratorINS8_7pointerIxNS8_11hip_rocprim5par_tENS8_11use_defaultESE_EEEENSA_INSB_IiSD_SE_SE_EEEEZNS1_13binary_searchIS3_S5_NSA_INS8_10device_ptrIxEEEESG_SI_NS1_16binary_search_opENS9_16wrapped_functionINS8_6system6detail7generic6detail18binary_search_lessEbEEEE10hipError_tPvRmT1_T2_T3_mmT4_T5_P12ihipStream_tbEUlRKxE_EESV_SZ_S10_mS11_S14_bEUlT_E_NS1_11comp_targetILNS1_3genE10ELNS1_11target_archE1201ELNS1_3gpuE5ELNS1_3repE0EEENS1_30default_config_static_selectorELNS0_4arch9wavefront6targetE1EEEvSY_.numbered_sgpr, 0
	.set _ZN7rocprim17ROCPRIM_400000_NS6detail17trampoline_kernelINS0_14default_configENS1_29binary_search_config_selectorIxiEEZNS1_14transform_implILb0ES3_S5_N6thrust23THRUST_200600_302600_NS6detail15normal_iteratorINS8_7pointerIxNS8_11hip_rocprim5par_tENS8_11use_defaultESE_EEEENSA_INSB_IiSD_SE_SE_EEEEZNS1_13binary_searchIS3_S5_NSA_INS8_10device_ptrIxEEEESG_SI_NS1_16binary_search_opENS9_16wrapped_functionINS8_6system6detail7generic6detail18binary_search_lessEbEEEE10hipError_tPvRmT1_T2_T3_mmT4_T5_P12ihipStream_tbEUlRKxE_EESV_SZ_S10_mS11_S14_bEUlT_E_NS1_11comp_targetILNS1_3genE10ELNS1_11target_archE1201ELNS1_3gpuE5ELNS1_3repE0EEENS1_30default_config_static_selectorELNS0_4arch9wavefront6targetE1EEEvSY_.num_named_barrier, 0
	.set _ZN7rocprim17ROCPRIM_400000_NS6detail17trampoline_kernelINS0_14default_configENS1_29binary_search_config_selectorIxiEEZNS1_14transform_implILb0ES3_S5_N6thrust23THRUST_200600_302600_NS6detail15normal_iteratorINS8_7pointerIxNS8_11hip_rocprim5par_tENS8_11use_defaultESE_EEEENSA_INSB_IiSD_SE_SE_EEEEZNS1_13binary_searchIS3_S5_NSA_INS8_10device_ptrIxEEEESG_SI_NS1_16binary_search_opENS9_16wrapped_functionINS8_6system6detail7generic6detail18binary_search_lessEbEEEE10hipError_tPvRmT1_T2_T3_mmT4_T5_P12ihipStream_tbEUlRKxE_EESV_SZ_S10_mS11_S14_bEUlT_E_NS1_11comp_targetILNS1_3genE10ELNS1_11target_archE1201ELNS1_3gpuE5ELNS1_3repE0EEENS1_30default_config_static_selectorELNS0_4arch9wavefront6targetE1EEEvSY_.private_seg_size, 0
	.set _ZN7rocprim17ROCPRIM_400000_NS6detail17trampoline_kernelINS0_14default_configENS1_29binary_search_config_selectorIxiEEZNS1_14transform_implILb0ES3_S5_N6thrust23THRUST_200600_302600_NS6detail15normal_iteratorINS8_7pointerIxNS8_11hip_rocprim5par_tENS8_11use_defaultESE_EEEENSA_INSB_IiSD_SE_SE_EEEEZNS1_13binary_searchIS3_S5_NSA_INS8_10device_ptrIxEEEESG_SI_NS1_16binary_search_opENS9_16wrapped_functionINS8_6system6detail7generic6detail18binary_search_lessEbEEEE10hipError_tPvRmT1_T2_T3_mmT4_T5_P12ihipStream_tbEUlRKxE_EESV_SZ_S10_mS11_S14_bEUlT_E_NS1_11comp_targetILNS1_3genE10ELNS1_11target_archE1201ELNS1_3gpuE5ELNS1_3repE0EEENS1_30default_config_static_selectorELNS0_4arch9wavefront6targetE1EEEvSY_.uses_vcc, 0
	.set _ZN7rocprim17ROCPRIM_400000_NS6detail17trampoline_kernelINS0_14default_configENS1_29binary_search_config_selectorIxiEEZNS1_14transform_implILb0ES3_S5_N6thrust23THRUST_200600_302600_NS6detail15normal_iteratorINS8_7pointerIxNS8_11hip_rocprim5par_tENS8_11use_defaultESE_EEEENSA_INSB_IiSD_SE_SE_EEEEZNS1_13binary_searchIS3_S5_NSA_INS8_10device_ptrIxEEEESG_SI_NS1_16binary_search_opENS9_16wrapped_functionINS8_6system6detail7generic6detail18binary_search_lessEbEEEE10hipError_tPvRmT1_T2_T3_mmT4_T5_P12ihipStream_tbEUlRKxE_EESV_SZ_S10_mS11_S14_bEUlT_E_NS1_11comp_targetILNS1_3genE10ELNS1_11target_archE1201ELNS1_3gpuE5ELNS1_3repE0EEENS1_30default_config_static_selectorELNS0_4arch9wavefront6targetE1EEEvSY_.uses_flat_scratch, 0
	.set _ZN7rocprim17ROCPRIM_400000_NS6detail17trampoline_kernelINS0_14default_configENS1_29binary_search_config_selectorIxiEEZNS1_14transform_implILb0ES3_S5_N6thrust23THRUST_200600_302600_NS6detail15normal_iteratorINS8_7pointerIxNS8_11hip_rocprim5par_tENS8_11use_defaultESE_EEEENSA_INSB_IiSD_SE_SE_EEEEZNS1_13binary_searchIS3_S5_NSA_INS8_10device_ptrIxEEEESG_SI_NS1_16binary_search_opENS9_16wrapped_functionINS8_6system6detail7generic6detail18binary_search_lessEbEEEE10hipError_tPvRmT1_T2_T3_mmT4_T5_P12ihipStream_tbEUlRKxE_EESV_SZ_S10_mS11_S14_bEUlT_E_NS1_11comp_targetILNS1_3genE10ELNS1_11target_archE1201ELNS1_3gpuE5ELNS1_3repE0EEENS1_30default_config_static_selectorELNS0_4arch9wavefront6targetE1EEEvSY_.has_dyn_sized_stack, 0
	.set _ZN7rocprim17ROCPRIM_400000_NS6detail17trampoline_kernelINS0_14default_configENS1_29binary_search_config_selectorIxiEEZNS1_14transform_implILb0ES3_S5_N6thrust23THRUST_200600_302600_NS6detail15normal_iteratorINS8_7pointerIxNS8_11hip_rocprim5par_tENS8_11use_defaultESE_EEEENSA_INSB_IiSD_SE_SE_EEEEZNS1_13binary_searchIS3_S5_NSA_INS8_10device_ptrIxEEEESG_SI_NS1_16binary_search_opENS9_16wrapped_functionINS8_6system6detail7generic6detail18binary_search_lessEbEEEE10hipError_tPvRmT1_T2_T3_mmT4_T5_P12ihipStream_tbEUlRKxE_EESV_SZ_S10_mS11_S14_bEUlT_E_NS1_11comp_targetILNS1_3genE10ELNS1_11target_archE1201ELNS1_3gpuE5ELNS1_3repE0EEENS1_30default_config_static_selectorELNS0_4arch9wavefront6targetE1EEEvSY_.has_recursion, 0
	.set _ZN7rocprim17ROCPRIM_400000_NS6detail17trampoline_kernelINS0_14default_configENS1_29binary_search_config_selectorIxiEEZNS1_14transform_implILb0ES3_S5_N6thrust23THRUST_200600_302600_NS6detail15normal_iteratorINS8_7pointerIxNS8_11hip_rocprim5par_tENS8_11use_defaultESE_EEEENSA_INSB_IiSD_SE_SE_EEEEZNS1_13binary_searchIS3_S5_NSA_INS8_10device_ptrIxEEEESG_SI_NS1_16binary_search_opENS9_16wrapped_functionINS8_6system6detail7generic6detail18binary_search_lessEbEEEE10hipError_tPvRmT1_T2_T3_mmT4_T5_P12ihipStream_tbEUlRKxE_EESV_SZ_S10_mS11_S14_bEUlT_E_NS1_11comp_targetILNS1_3genE10ELNS1_11target_archE1201ELNS1_3gpuE5ELNS1_3repE0EEENS1_30default_config_static_selectorELNS0_4arch9wavefront6targetE1EEEvSY_.has_indirect_call, 0
	.section	.AMDGPU.csdata,"",@progbits
; Kernel info:
; codeLenInByte = 0
; TotalNumSgprs: 4
; NumVgprs: 0
; ScratchSize: 0
; MemoryBound: 0
; FloatMode: 240
; IeeeMode: 1
; LDSByteSize: 0 bytes/workgroup (compile time only)
; SGPRBlocks: 0
; VGPRBlocks: 0
; NumSGPRsForWavesPerEU: 4
; NumVGPRsForWavesPerEU: 1
; Occupancy: 10
; WaveLimiterHint : 0
; COMPUTE_PGM_RSRC2:SCRATCH_EN: 0
; COMPUTE_PGM_RSRC2:USER_SGPR: 6
; COMPUTE_PGM_RSRC2:TRAP_HANDLER: 0
; COMPUTE_PGM_RSRC2:TGID_X_EN: 1
; COMPUTE_PGM_RSRC2:TGID_Y_EN: 0
; COMPUTE_PGM_RSRC2:TGID_Z_EN: 0
; COMPUTE_PGM_RSRC2:TIDIG_COMP_CNT: 0
	.section	.text._ZN7rocprim17ROCPRIM_400000_NS6detail17trampoline_kernelINS0_14default_configENS1_29binary_search_config_selectorIxiEEZNS1_14transform_implILb0ES3_S5_N6thrust23THRUST_200600_302600_NS6detail15normal_iteratorINS8_7pointerIxNS8_11hip_rocprim5par_tENS8_11use_defaultESE_EEEENSA_INSB_IiSD_SE_SE_EEEEZNS1_13binary_searchIS3_S5_NSA_INS8_10device_ptrIxEEEESG_SI_NS1_16binary_search_opENS9_16wrapped_functionINS8_6system6detail7generic6detail18binary_search_lessEbEEEE10hipError_tPvRmT1_T2_T3_mmT4_T5_P12ihipStream_tbEUlRKxE_EESV_SZ_S10_mS11_S14_bEUlT_E_NS1_11comp_targetILNS1_3genE10ELNS1_11target_archE1200ELNS1_3gpuE4ELNS1_3repE0EEENS1_30default_config_static_selectorELNS0_4arch9wavefront6targetE1EEEvSY_,"axG",@progbits,_ZN7rocprim17ROCPRIM_400000_NS6detail17trampoline_kernelINS0_14default_configENS1_29binary_search_config_selectorIxiEEZNS1_14transform_implILb0ES3_S5_N6thrust23THRUST_200600_302600_NS6detail15normal_iteratorINS8_7pointerIxNS8_11hip_rocprim5par_tENS8_11use_defaultESE_EEEENSA_INSB_IiSD_SE_SE_EEEEZNS1_13binary_searchIS3_S5_NSA_INS8_10device_ptrIxEEEESG_SI_NS1_16binary_search_opENS9_16wrapped_functionINS8_6system6detail7generic6detail18binary_search_lessEbEEEE10hipError_tPvRmT1_T2_T3_mmT4_T5_P12ihipStream_tbEUlRKxE_EESV_SZ_S10_mS11_S14_bEUlT_E_NS1_11comp_targetILNS1_3genE10ELNS1_11target_archE1200ELNS1_3gpuE4ELNS1_3repE0EEENS1_30default_config_static_selectorELNS0_4arch9wavefront6targetE1EEEvSY_,comdat
	.protected	_ZN7rocprim17ROCPRIM_400000_NS6detail17trampoline_kernelINS0_14default_configENS1_29binary_search_config_selectorIxiEEZNS1_14transform_implILb0ES3_S5_N6thrust23THRUST_200600_302600_NS6detail15normal_iteratorINS8_7pointerIxNS8_11hip_rocprim5par_tENS8_11use_defaultESE_EEEENSA_INSB_IiSD_SE_SE_EEEEZNS1_13binary_searchIS3_S5_NSA_INS8_10device_ptrIxEEEESG_SI_NS1_16binary_search_opENS9_16wrapped_functionINS8_6system6detail7generic6detail18binary_search_lessEbEEEE10hipError_tPvRmT1_T2_T3_mmT4_T5_P12ihipStream_tbEUlRKxE_EESV_SZ_S10_mS11_S14_bEUlT_E_NS1_11comp_targetILNS1_3genE10ELNS1_11target_archE1200ELNS1_3gpuE4ELNS1_3repE0EEENS1_30default_config_static_selectorELNS0_4arch9wavefront6targetE1EEEvSY_ ; -- Begin function _ZN7rocprim17ROCPRIM_400000_NS6detail17trampoline_kernelINS0_14default_configENS1_29binary_search_config_selectorIxiEEZNS1_14transform_implILb0ES3_S5_N6thrust23THRUST_200600_302600_NS6detail15normal_iteratorINS8_7pointerIxNS8_11hip_rocprim5par_tENS8_11use_defaultESE_EEEENSA_INSB_IiSD_SE_SE_EEEEZNS1_13binary_searchIS3_S5_NSA_INS8_10device_ptrIxEEEESG_SI_NS1_16binary_search_opENS9_16wrapped_functionINS8_6system6detail7generic6detail18binary_search_lessEbEEEE10hipError_tPvRmT1_T2_T3_mmT4_T5_P12ihipStream_tbEUlRKxE_EESV_SZ_S10_mS11_S14_bEUlT_E_NS1_11comp_targetILNS1_3genE10ELNS1_11target_archE1200ELNS1_3gpuE4ELNS1_3repE0EEENS1_30default_config_static_selectorELNS0_4arch9wavefront6targetE1EEEvSY_
	.globl	_ZN7rocprim17ROCPRIM_400000_NS6detail17trampoline_kernelINS0_14default_configENS1_29binary_search_config_selectorIxiEEZNS1_14transform_implILb0ES3_S5_N6thrust23THRUST_200600_302600_NS6detail15normal_iteratorINS8_7pointerIxNS8_11hip_rocprim5par_tENS8_11use_defaultESE_EEEENSA_INSB_IiSD_SE_SE_EEEEZNS1_13binary_searchIS3_S5_NSA_INS8_10device_ptrIxEEEESG_SI_NS1_16binary_search_opENS9_16wrapped_functionINS8_6system6detail7generic6detail18binary_search_lessEbEEEE10hipError_tPvRmT1_T2_T3_mmT4_T5_P12ihipStream_tbEUlRKxE_EESV_SZ_S10_mS11_S14_bEUlT_E_NS1_11comp_targetILNS1_3genE10ELNS1_11target_archE1200ELNS1_3gpuE4ELNS1_3repE0EEENS1_30default_config_static_selectorELNS0_4arch9wavefront6targetE1EEEvSY_
	.p2align	8
	.type	_ZN7rocprim17ROCPRIM_400000_NS6detail17trampoline_kernelINS0_14default_configENS1_29binary_search_config_selectorIxiEEZNS1_14transform_implILb0ES3_S5_N6thrust23THRUST_200600_302600_NS6detail15normal_iteratorINS8_7pointerIxNS8_11hip_rocprim5par_tENS8_11use_defaultESE_EEEENSA_INSB_IiSD_SE_SE_EEEEZNS1_13binary_searchIS3_S5_NSA_INS8_10device_ptrIxEEEESG_SI_NS1_16binary_search_opENS9_16wrapped_functionINS8_6system6detail7generic6detail18binary_search_lessEbEEEE10hipError_tPvRmT1_T2_T3_mmT4_T5_P12ihipStream_tbEUlRKxE_EESV_SZ_S10_mS11_S14_bEUlT_E_NS1_11comp_targetILNS1_3genE10ELNS1_11target_archE1200ELNS1_3gpuE4ELNS1_3repE0EEENS1_30default_config_static_selectorELNS0_4arch9wavefront6targetE1EEEvSY_,@function
_ZN7rocprim17ROCPRIM_400000_NS6detail17trampoline_kernelINS0_14default_configENS1_29binary_search_config_selectorIxiEEZNS1_14transform_implILb0ES3_S5_N6thrust23THRUST_200600_302600_NS6detail15normal_iteratorINS8_7pointerIxNS8_11hip_rocprim5par_tENS8_11use_defaultESE_EEEENSA_INSB_IiSD_SE_SE_EEEEZNS1_13binary_searchIS3_S5_NSA_INS8_10device_ptrIxEEEESG_SI_NS1_16binary_search_opENS9_16wrapped_functionINS8_6system6detail7generic6detail18binary_search_lessEbEEEE10hipError_tPvRmT1_T2_T3_mmT4_T5_P12ihipStream_tbEUlRKxE_EESV_SZ_S10_mS11_S14_bEUlT_E_NS1_11comp_targetILNS1_3genE10ELNS1_11target_archE1200ELNS1_3gpuE4ELNS1_3repE0EEENS1_30default_config_static_selectorELNS0_4arch9wavefront6targetE1EEEvSY_: ; @_ZN7rocprim17ROCPRIM_400000_NS6detail17trampoline_kernelINS0_14default_configENS1_29binary_search_config_selectorIxiEEZNS1_14transform_implILb0ES3_S5_N6thrust23THRUST_200600_302600_NS6detail15normal_iteratorINS8_7pointerIxNS8_11hip_rocprim5par_tENS8_11use_defaultESE_EEEENSA_INSB_IiSD_SE_SE_EEEEZNS1_13binary_searchIS3_S5_NSA_INS8_10device_ptrIxEEEESG_SI_NS1_16binary_search_opENS9_16wrapped_functionINS8_6system6detail7generic6detail18binary_search_lessEbEEEE10hipError_tPvRmT1_T2_T3_mmT4_T5_P12ihipStream_tbEUlRKxE_EESV_SZ_S10_mS11_S14_bEUlT_E_NS1_11comp_targetILNS1_3genE10ELNS1_11target_archE1200ELNS1_3gpuE4ELNS1_3repE0EEENS1_30default_config_static_selectorELNS0_4arch9wavefront6targetE1EEEvSY_
; %bb.0:
	.section	.rodata,"a",@progbits
	.p2align	6, 0x0
	.amdhsa_kernel _ZN7rocprim17ROCPRIM_400000_NS6detail17trampoline_kernelINS0_14default_configENS1_29binary_search_config_selectorIxiEEZNS1_14transform_implILb0ES3_S5_N6thrust23THRUST_200600_302600_NS6detail15normal_iteratorINS8_7pointerIxNS8_11hip_rocprim5par_tENS8_11use_defaultESE_EEEENSA_INSB_IiSD_SE_SE_EEEEZNS1_13binary_searchIS3_S5_NSA_INS8_10device_ptrIxEEEESG_SI_NS1_16binary_search_opENS9_16wrapped_functionINS8_6system6detail7generic6detail18binary_search_lessEbEEEE10hipError_tPvRmT1_T2_T3_mmT4_T5_P12ihipStream_tbEUlRKxE_EESV_SZ_S10_mS11_S14_bEUlT_E_NS1_11comp_targetILNS1_3genE10ELNS1_11target_archE1200ELNS1_3gpuE4ELNS1_3repE0EEENS1_30default_config_static_selectorELNS0_4arch9wavefront6targetE1EEEvSY_
		.amdhsa_group_segment_fixed_size 0
		.amdhsa_private_segment_fixed_size 0
		.amdhsa_kernarg_size 56
		.amdhsa_user_sgpr_count 6
		.amdhsa_user_sgpr_private_segment_buffer 1
		.amdhsa_user_sgpr_dispatch_ptr 0
		.amdhsa_user_sgpr_queue_ptr 0
		.amdhsa_user_sgpr_kernarg_segment_ptr 1
		.amdhsa_user_sgpr_dispatch_id 0
		.amdhsa_user_sgpr_flat_scratch_init 0
		.amdhsa_user_sgpr_private_segment_size 0
		.amdhsa_uses_dynamic_stack 0
		.amdhsa_system_sgpr_private_segment_wavefront_offset 0
		.amdhsa_system_sgpr_workgroup_id_x 1
		.amdhsa_system_sgpr_workgroup_id_y 0
		.amdhsa_system_sgpr_workgroup_id_z 0
		.amdhsa_system_sgpr_workgroup_info 0
		.amdhsa_system_vgpr_workitem_id 0
		.amdhsa_next_free_vgpr 1
		.amdhsa_next_free_sgpr 0
		.amdhsa_reserve_vcc 0
		.amdhsa_reserve_flat_scratch 0
		.amdhsa_float_round_mode_32 0
		.amdhsa_float_round_mode_16_64 0
		.amdhsa_float_denorm_mode_32 3
		.amdhsa_float_denorm_mode_16_64 3
		.amdhsa_dx10_clamp 1
		.amdhsa_ieee_mode 1
		.amdhsa_fp16_overflow 0
		.amdhsa_exception_fp_ieee_invalid_op 0
		.amdhsa_exception_fp_denorm_src 0
		.amdhsa_exception_fp_ieee_div_zero 0
		.amdhsa_exception_fp_ieee_overflow 0
		.amdhsa_exception_fp_ieee_underflow 0
		.amdhsa_exception_fp_ieee_inexact 0
		.amdhsa_exception_int_div_zero 0
	.end_amdhsa_kernel
	.section	.text._ZN7rocprim17ROCPRIM_400000_NS6detail17trampoline_kernelINS0_14default_configENS1_29binary_search_config_selectorIxiEEZNS1_14transform_implILb0ES3_S5_N6thrust23THRUST_200600_302600_NS6detail15normal_iteratorINS8_7pointerIxNS8_11hip_rocprim5par_tENS8_11use_defaultESE_EEEENSA_INSB_IiSD_SE_SE_EEEEZNS1_13binary_searchIS3_S5_NSA_INS8_10device_ptrIxEEEESG_SI_NS1_16binary_search_opENS9_16wrapped_functionINS8_6system6detail7generic6detail18binary_search_lessEbEEEE10hipError_tPvRmT1_T2_T3_mmT4_T5_P12ihipStream_tbEUlRKxE_EESV_SZ_S10_mS11_S14_bEUlT_E_NS1_11comp_targetILNS1_3genE10ELNS1_11target_archE1200ELNS1_3gpuE4ELNS1_3repE0EEENS1_30default_config_static_selectorELNS0_4arch9wavefront6targetE1EEEvSY_,"axG",@progbits,_ZN7rocprim17ROCPRIM_400000_NS6detail17trampoline_kernelINS0_14default_configENS1_29binary_search_config_selectorIxiEEZNS1_14transform_implILb0ES3_S5_N6thrust23THRUST_200600_302600_NS6detail15normal_iteratorINS8_7pointerIxNS8_11hip_rocprim5par_tENS8_11use_defaultESE_EEEENSA_INSB_IiSD_SE_SE_EEEEZNS1_13binary_searchIS3_S5_NSA_INS8_10device_ptrIxEEEESG_SI_NS1_16binary_search_opENS9_16wrapped_functionINS8_6system6detail7generic6detail18binary_search_lessEbEEEE10hipError_tPvRmT1_T2_T3_mmT4_T5_P12ihipStream_tbEUlRKxE_EESV_SZ_S10_mS11_S14_bEUlT_E_NS1_11comp_targetILNS1_3genE10ELNS1_11target_archE1200ELNS1_3gpuE4ELNS1_3repE0EEENS1_30default_config_static_selectorELNS0_4arch9wavefront6targetE1EEEvSY_,comdat
.Lfunc_end695:
	.size	_ZN7rocprim17ROCPRIM_400000_NS6detail17trampoline_kernelINS0_14default_configENS1_29binary_search_config_selectorIxiEEZNS1_14transform_implILb0ES3_S5_N6thrust23THRUST_200600_302600_NS6detail15normal_iteratorINS8_7pointerIxNS8_11hip_rocprim5par_tENS8_11use_defaultESE_EEEENSA_INSB_IiSD_SE_SE_EEEEZNS1_13binary_searchIS3_S5_NSA_INS8_10device_ptrIxEEEESG_SI_NS1_16binary_search_opENS9_16wrapped_functionINS8_6system6detail7generic6detail18binary_search_lessEbEEEE10hipError_tPvRmT1_T2_T3_mmT4_T5_P12ihipStream_tbEUlRKxE_EESV_SZ_S10_mS11_S14_bEUlT_E_NS1_11comp_targetILNS1_3genE10ELNS1_11target_archE1200ELNS1_3gpuE4ELNS1_3repE0EEENS1_30default_config_static_selectorELNS0_4arch9wavefront6targetE1EEEvSY_, .Lfunc_end695-_ZN7rocprim17ROCPRIM_400000_NS6detail17trampoline_kernelINS0_14default_configENS1_29binary_search_config_selectorIxiEEZNS1_14transform_implILb0ES3_S5_N6thrust23THRUST_200600_302600_NS6detail15normal_iteratorINS8_7pointerIxNS8_11hip_rocprim5par_tENS8_11use_defaultESE_EEEENSA_INSB_IiSD_SE_SE_EEEEZNS1_13binary_searchIS3_S5_NSA_INS8_10device_ptrIxEEEESG_SI_NS1_16binary_search_opENS9_16wrapped_functionINS8_6system6detail7generic6detail18binary_search_lessEbEEEE10hipError_tPvRmT1_T2_T3_mmT4_T5_P12ihipStream_tbEUlRKxE_EESV_SZ_S10_mS11_S14_bEUlT_E_NS1_11comp_targetILNS1_3genE10ELNS1_11target_archE1200ELNS1_3gpuE4ELNS1_3repE0EEENS1_30default_config_static_selectorELNS0_4arch9wavefront6targetE1EEEvSY_
                                        ; -- End function
	.set _ZN7rocprim17ROCPRIM_400000_NS6detail17trampoline_kernelINS0_14default_configENS1_29binary_search_config_selectorIxiEEZNS1_14transform_implILb0ES3_S5_N6thrust23THRUST_200600_302600_NS6detail15normal_iteratorINS8_7pointerIxNS8_11hip_rocprim5par_tENS8_11use_defaultESE_EEEENSA_INSB_IiSD_SE_SE_EEEEZNS1_13binary_searchIS3_S5_NSA_INS8_10device_ptrIxEEEESG_SI_NS1_16binary_search_opENS9_16wrapped_functionINS8_6system6detail7generic6detail18binary_search_lessEbEEEE10hipError_tPvRmT1_T2_T3_mmT4_T5_P12ihipStream_tbEUlRKxE_EESV_SZ_S10_mS11_S14_bEUlT_E_NS1_11comp_targetILNS1_3genE10ELNS1_11target_archE1200ELNS1_3gpuE4ELNS1_3repE0EEENS1_30default_config_static_selectorELNS0_4arch9wavefront6targetE1EEEvSY_.num_vgpr, 0
	.set _ZN7rocprim17ROCPRIM_400000_NS6detail17trampoline_kernelINS0_14default_configENS1_29binary_search_config_selectorIxiEEZNS1_14transform_implILb0ES3_S5_N6thrust23THRUST_200600_302600_NS6detail15normal_iteratorINS8_7pointerIxNS8_11hip_rocprim5par_tENS8_11use_defaultESE_EEEENSA_INSB_IiSD_SE_SE_EEEEZNS1_13binary_searchIS3_S5_NSA_INS8_10device_ptrIxEEEESG_SI_NS1_16binary_search_opENS9_16wrapped_functionINS8_6system6detail7generic6detail18binary_search_lessEbEEEE10hipError_tPvRmT1_T2_T3_mmT4_T5_P12ihipStream_tbEUlRKxE_EESV_SZ_S10_mS11_S14_bEUlT_E_NS1_11comp_targetILNS1_3genE10ELNS1_11target_archE1200ELNS1_3gpuE4ELNS1_3repE0EEENS1_30default_config_static_selectorELNS0_4arch9wavefront6targetE1EEEvSY_.num_agpr, 0
	.set _ZN7rocprim17ROCPRIM_400000_NS6detail17trampoline_kernelINS0_14default_configENS1_29binary_search_config_selectorIxiEEZNS1_14transform_implILb0ES3_S5_N6thrust23THRUST_200600_302600_NS6detail15normal_iteratorINS8_7pointerIxNS8_11hip_rocprim5par_tENS8_11use_defaultESE_EEEENSA_INSB_IiSD_SE_SE_EEEEZNS1_13binary_searchIS3_S5_NSA_INS8_10device_ptrIxEEEESG_SI_NS1_16binary_search_opENS9_16wrapped_functionINS8_6system6detail7generic6detail18binary_search_lessEbEEEE10hipError_tPvRmT1_T2_T3_mmT4_T5_P12ihipStream_tbEUlRKxE_EESV_SZ_S10_mS11_S14_bEUlT_E_NS1_11comp_targetILNS1_3genE10ELNS1_11target_archE1200ELNS1_3gpuE4ELNS1_3repE0EEENS1_30default_config_static_selectorELNS0_4arch9wavefront6targetE1EEEvSY_.numbered_sgpr, 0
	.set _ZN7rocprim17ROCPRIM_400000_NS6detail17trampoline_kernelINS0_14default_configENS1_29binary_search_config_selectorIxiEEZNS1_14transform_implILb0ES3_S5_N6thrust23THRUST_200600_302600_NS6detail15normal_iteratorINS8_7pointerIxNS8_11hip_rocprim5par_tENS8_11use_defaultESE_EEEENSA_INSB_IiSD_SE_SE_EEEEZNS1_13binary_searchIS3_S5_NSA_INS8_10device_ptrIxEEEESG_SI_NS1_16binary_search_opENS9_16wrapped_functionINS8_6system6detail7generic6detail18binary_search_lessEbEEEE10hipError_tPvRmT1_T2_T3_mmT4_T5_P12ihipStream_tbEUlRKxE_EESV_SZ_S10_mS11_S14_bEUlT_E_NS1_11comp_targetILNS1_3genE10ELNS1_11target_archE1200ELNS1_3gpuE4ELNS1_3repE0EEENS1_30default_config_static_selectorELNS0_4arch9wavefront6targetE1EEEvSY_.num_named_barrier, 0
	.set _ZN7rocprim17ROCPRIM_400000_NS6detail17trampoline_kernelINS0_14default_configENS1_29binary_search_config_selectorIxiEEZNS1_14transform_implILb0ES3_S5_N6thrust23THRUST_200600_302600_NS6detail15normal_iteratorINS8_7pointerIxNS8_11hip_rocprim5par_tENS8_11use_defaultESE_EEEENSA_INSB_IiSD_SE_SE_EEEEZNS1_13binary_searchIS3_S5_NSA_INS8_10device_ptrIxEEEESG_SI_NS1_16binary_search_opENS9_16wrapped_functionINS8_6system6detail7generic6detail18binary_search_lessEbEEEE10hipError_tPvRmT1_T2_T3_mmT4_T5_P12ihipStream_tbEUlRKxE_EESV_SZ_S10_mS11_S14_bEUlT_E_NS1_11comp_targetILNS1_3genE10ELNS1_11target_archE1200ELNS1_3gpuE4ELNS1_3repE0EEENS1_30default_config_static_selectorELNS0_4arch9wavefront6targetE1EEEvSY_.private_seg_size, 0
	.set _ZN7rocprim17ROCPRIM_400000_NS6detail17trampoline_kernelINS0_14default_configENS1_29binary_search_config_selectorIxiEEZNS1_14transform_implILb0ES3_S5_N6thrust23THRUST_200600_302600_NS6detail15normal_iteratorINS8_7pointerIxNS8_11hip_rocprim5par_tENS8_11use_defaultESE_EEEENSA_INSB_IiSD_SE_SE_EEEEZNS1_13binary_searchIS3_S5_NSA_INS8_10device_ptrIxEEEESG_SI_NS1_16binary_search_opENS9_16wrapped_functionINS8_6system6detail7generic6detail18binary_search_lessEbEEEE10hipError_tPvRmT1_T2_T3_mmT4_T5_P12ihipStream_tbEUlRKxE_EESV_SZ_S10_mS11_S14_bEUlT_E_NS1_11comp_targetILNS1_3genE10ELNS1_11target_archE1200ELNS1_3gpuE4ELNS1_3repE0EEENS1_30default_config_static_selectorELNS0_4arch9wavefront6targetE1EEEvSY_.uses_vcc, 0
	.set _ZN7rocprim17ROCPRIM_400000_NS6detail17trampoline_kernelINS0_14default_configENS1_29binary_search_config_selectorIxiEEZNS1_14transform_implILb0ES3_S5_N6thrust23THRUST_200600_302600_NS6detail15normal_iteratorINS8_7pointerIxNS8_11hip_rocprim5par_tENS8_11use_defaultESE_EEEENSA_INSB_IiSD_SE_SE_EEEEZNS1_13binary_searchIS3_S5_NSA_INS8_10device_ptrIxEEEESG_SI_NS1_16binary_search_opENS9_16wrapped_functionINS8_6system6detail7generic6detail18binary_search_lessEbEEEE10hipError_tPvRmT1_T2_T3_mmT4_T5_P12ihipStream_tbEUlRKxE_EESV_SZ_S10_mS11_S14_bEUlT_E_NS1_11comp_targetILNS1_3genE10ELNS1_11target_archE1200ELNS1_3gpuE4ELNS1_3repE0EEENS1_30default_config_static_selectorELNS0_4arch9wavefront6targetE1EEEvSY_.uses_flat_scratch, 0
	.set _ZN7rocprim17ROCPRIM_400000_NS6detail17trampoline_kernelINS0_14default_configENS1_29binary_search_config_selectorIxiEEZNS1_14transform_implILb0ES3_S5_N6thrust23THRUST_200600_302600_NS6detail15normal_iteratorINS8_7pointerIxNS8_11hip_rocprim5par_tENS8_11use_defaultESE_EEEENSA_INSB_IiSD_SE_SE_EEEEZNS1_13binary_searchIS3_S5_NSA_INS8_10device_ptrIxEEEESG_SI_NS1_16binary_search_opENS9_16wrapped_functionINS8_6system6detail7generic6detail18binary_search_lessEbEEEE10hipError_tPvRmT1_T2_T3_mmT4_T5_P12ihipStream_tbEUlRKxE_EESV_SZ_S10_mS11_S14_bEUlT_E_NS1_11comp_targetILNS1_3genE10ELNS1_11target_archE1200ELNS1_3gpuE4ELNS1_3repE0EEENS1_30default_config_static_selectorELNS0_4arch9wavefront6targetE1EEEvSY_.has_dyn_sized_stack, 0
	.set _ZN7rocprim17ROCPRIM_400000_NS6detail17trampoline_kernelINS0_14default_configENS1_29binary_search_config_selectorIxiEEZNS1_14transform_implILb0ES3_S5_N6thrust23THRUST_200600_302600_NS6detail15normal_iteratorINS8_7pointerIxNS8_11hip_rocprim5par_tENS8_11use_defaultESE_EEEENSA_INSB_IiSD_SE_SE_EEEEZNS1_13binary_searchIS3_S5_NSA_INS8_10device_ptrIxEEEESG_SI_NS1_16binary_search_opENS9_16wrapped_functionINS8_6system6detail7generic6detail18binary_search_lessEbEEEE10hipError_tPvRmT1_T2_T3_mmT4_T5_P12ihipStream_tbEUlRKxE_EESV_SZ_S10_mS11_S14_bEUlT_E_NS1_11comp_targetILNS1_3genE10ELNS1_11target_archE1200ELNS1_3gpuE4ELNS1_3repE0EEENS1_30default_config_static_selectorELNS0_4arch9wavefront6targetE1EEEvSY_.has_recursion, 0
	.set _ZN7rocprim17ROCPRIM_400000_NS6detail17trampoline_kernelINS0_14default_configENS1_29binary_search_config_selectorIxiEEZNS1_14transform_implILb0ES3_S5_N6thrust23THRUST_200600_302600_NS6detail15normal_iteratorINS8_7pointerIxNS8_11hip_rocprim5par_tENS8_11use_defaultESE_EEEENSA_INSB_IiSD_SE_SE_EEEEZNS1_13binary_searchIS3_S5_NSA_INS8_10device_ptrIxEEEESG_SI_NS1_16binary_search_opENS9_16wrapped_functionINS8_6system6detail7generic6detail18binary_search_lessEbEEEE10hipError_tPvRmT1_T2_T3_mmT4_T5_P12ihipStream_tbEUlRKxE_EESV_SZ_S10_mS11_S14_bEUlT_E_NS1_11comp_targetILNS1_3genE10ELNS1_11target_archE1200ELNS1_3gpuE4ELNS1_3repE0EEENS1_30default_config_static_selectorELNS0_4arch9wavefront6targetE1EEEvSY_.has_indirect_call, 0
	.section	.AMDGPU.csdata,"",@progbits
; Kernel info:
; codeLenInByte = 0
; TotalNumSgprs: 4
; NumVgprs: 0
; ScratchSize: 0
; MemoryBound: 0
; FloatMode: 240
; IeeeMode: 1
; LDSByteSize: 0 bytes/workgroup (compile time only)
; SGPRBlocks: 0
; VGPRBlocks: 0
; NumSGPRsForWavesPerEU: 4
; NumVGPRsForWavesPerEU: 1
; Occupancy: 10
; WaveLimiterHint : 0
; COMPUTE_PGM_RSRC2:SCRATCH_EN: 0
; COMPUTE_PGM_RSRC2:USER_SGPR: 6
; COMPUTE_PGM_RSRC2:TRAP_HANDLER: 0
; COMPUTE_PGM_RSRC2:TGID_X_EN: 1
; COMPUTE_PGM_RSRC2:TGID_Y_EN: 0
; COMPUTE_PGM_RSRC2:TGID_Z_EN: 0
; COMPUTE_PGM_RSRC2:TIDIG_COMP_CNT: 0
	.section	.text._ZN7rocprim17ROCPRIM_400000_NS6detail17trampoline_kernelINS0_14default_configENS1_29binary_search_config_selectorIxiEEZNS1_14transform_implILb0ES3_S5_N6thrust23THRUST_200600_302600_NS6detail15normal_iteratorINS8_7pointerIxNS8_11hip_rocprim5par_tENS8_11use_defaultESE_EEEENSA_INSB_IiSD_SE_SE_EEEEZNS1_13binary_searchIS3_S5_NSA_INS8_10device_ptrIxEEEESG_SI_NS1_16binary_search_opENS9_16wrapped_functionINS8_6system6detail7generic6detail18binary_search_lessEbEEEE10hipError_tPvRmT1_T2_T3_mmT4_T5_P12ihipStream_tbEUlRKxE_EESV_SZ_S10_mS11_S14_bEUlT_E_NS1_11comp_targetILNS1_3genE9ELNS1_11target_archE1100ELNS1_3gpuE3ELNS1_3repE0EEENS1_30default_config_static_selectorELNS0_4arch9wavefront6targetE1EEEvSY_,"axG",@progbits,_ZN7rocprim17ROCPRIM_400000_NS6detail17trampoline_kernelINS0_14default_configENS1_29binary_search_config_selectorIxiEEZNS1_14transform_implILb0ES3_S5_N6thrust23THRUST_200600_302600_NS6detail15normal_iteratorINS8_7pointerIxNS8_11hip_rocprim5par_tENS8_11use_defaultESE_EEEENSA_INSB_IiSD_SE_SE_EEEEZNS1_13binary_searchIS3_S5_NSA_INS8_10device_ptrIxEEEESG_SI_NS1_16binary_search_opENS9_16wrapped_functionINS8_6system6detail7generic6detail18binary_search_lessEbEEEE10hipError_tPvRmT1_T2_T3_mmT4_T5_P12ihipStream_tbEUlRKxE_EESV_SZ_S10_mS11_S14_bEUlT_E_NS1_11comp_targetILNS1_3genE9ELNS1_11target_archE1100ELNS1_3gpuE3ELNS1_3repE0EEENS1_30default_config_static_selectorELNS0_4arch9wavefront6targetE1EEEvSY_,comdat
	.protected	_ZN7rocprim17ROCPRIM_400000_NS6detail17trampoline_kernelINS0_14default_configENS1_29binary_search_config_selectorIxiEEZNS1_14transform_implILb0ES3_S5_N6thrust23THRUST_200600_302600_NS6detail15normal_iteratorINS8_7pointerIxNS8_11hip_rocprim5par_tENS8_11use_defaultESE_EEEENSA_INSB_IiSD_SE_SE_EEEEZNS1_13binary_searchIS3_S5_NSA_INS8_10device_ptrIxEEEESG_SI_NS1_16binary_search_opENS9_16wrapped_functionINS8_6system6detail7generic6detail18binary_search_lessEbEEEE10hipError_tPvRmT1_T2_T3_mmT4_T5_P12ihipStream_tbEUlRKxE_EESV_SZ_S10_mS11_S14_bEUlT_E_NS1_11comp_targetILNS1_3genE9ELNS1_11target_archE1100ELNS1_3gpuE3ELNS1_3repE0EEENS1_30default_config_static_selectorELNS0_4arch9wavefront6targetE1EEEvSY_ ; -- Begin function _ZN7rocprim17ROCPRIM_400000_NS6detail17trampoline_kernelINS0_14default_configENS1_29binary_search_config_selectorIxiEEZNS1_14transform_implILb0ES3_S5_N6thrust23THRUST_200600_302600_NS6detail15normal_iteratorINS8_7pointerIxNS8_11hip_rocprim5par_tENS8_11use_defaultESE_EEEENSA_INSB_IiSD_SE_SE_EEEEZNS1_13binary_searchIS3_S5_NSA_INS8_10device_ptrIxEEEESG_SI_NS1_16binary_search_opENS9_16wrapped_functionINS8_6system6detail7generic6detail18binary_search_lessEbEEEE10hipError_tPvRmT1_T2_T3_mmT4_T5_P12ihipStream_tbEUlRKxE_EESV_SZ_S10_mS11_S14_bEUlT_E_NS1_11comp_targetILNS1_3genE9ELNS1_11target_archE1100ELNS1_3gpuE3ELNS1_3repE0EEENS1_30default_config_static_selectorELNS0_4arch9wavefront6targetE1EEEvSY_
	.globl	_ZN7rocprim17ROCPRIM_400000_NS6detail17trampoline_kernelINS0_14default_configENS1_29binary_search_config_selectorIxiEEZNS1_14transform_implILb0ES3_S5_N6thrust23THRUST_200600_302600_NS6detail15normal_iteratorINS8_7pointerIxNS8_11hip_rocprim5par_tENS8_11use_defaultESE_EEEENSA_INSB_IiSD_SE_SE_EEEEZNS1_13binary_searchIS3_S5_NSA_INS8_10device_ptrIxEEEESG_SI_NS1_16binary_search_opENS9_16wrapped_functionINS8_6system6detail7generic6detail18binary_search_lessEbEEEE10hipError_tPvRmT1_T2_T3_mmT4_T5_P12ihipStream_tbEUlRKxE_EESV_SZ_S10_mS11_S14_bEUlT_E_NS1_11comp_targetILNS1_3genE9ELNS1_11target_archE1100ELNS1_3gpuE3ELNS1_3repE0EEENS1_30default_config_static_selectorELNS0_4arch9wavefront6targetE1EEEvSY_
	.p2align	8
	.type	_ZN7rocprim17ROCPRIM_400000_NS6detail17trampoline_kernelINS0_14default_configENS1_29binary_search_config_selectorIxiEEZNS1_14transform_implILb0ES3_S5_N6thrust23THRUST_200600_302600_NS6detail15normal_iteratorINS8_7pointerIxNS8_11hip_rocprim5par_tENS8_11use_defaultESE_EEEENSA_INSB_IiSD_SE_SE_EEEEZNS1_13binary_searchIS3_S5_NSA_INS8_10device_ptrIxEEEESG_SI_NS1_16binary_search_opENS9_16wrapped_functionINS8_6system6detail7generic6detail18binary_search_lessEbEEEE10hipError_tPvRmT1_T2_T3_mmT4_T5_P12ihipStream_tbEUlRKxE_EESV_SZ_S10_mS11_S14_bEUlT_E_NS1_11comp_targetILNS1_3genE9ELNS1_11target_archE1100ELNS1_3gpuE3ELNS1_3repE0EEENS1_30default_config_static_selectorELNS0_4arch9wavefront6targetE1EEEvSY_,@function
_ZN7rocprim17ROCPRIM_400000_NS6detail17trampoline_kernelINS0_14default_configENS1_29binary_search_config_selectorIxiEEZNS1_14transform_implILb0ES3_S5_N6thrust23THRUST_200600_302600_NS6detail15normal_iteratorINS8_7pointerIxNS8_11hip_rocprim5par_tENS8_11use_defaultESE_EEEENSA_INSB_IiSD_SE_SE_EEEEZNS1_13binary_searchIS3_S5_NSA_INS8_10device_ptrIxEEEESG_SI_NS1_16binary_search_opENS9_16wrapped_functionINS8_6system6detail7generic6detail18binary_search_lessEbEEEE10hipError_tPvRmT1_T2_T3_mmT4_T5_P12ihipStream_tbEUlRKxE_EESV_SZ_S10_mS11_S14_bEUlT_E_NS1_11comp_targetILNS1_3genE9ELNS1_11target_archE1100ELNS1_3gpuE3ELNS1_3repE0EEENS1_30default_config_static_selectorELNS0_4arch9wavefront6targetE1EEEvSY_: ; @_ZN7rocprim17ROCPRIM_400000_NS6detail17trampoline_kernelINS0_14default_configENS1_29binary_search_config_selectorIxiEEZNS1_14transform_implILb0ES3_S5_N6thrust23THRUST_200600_302600_NS6detail15normal_iteratorINS8_7pointerIxNS8_11hip_rocprim5par_tENS8_11use_defaultESE_EEEENSA_INSB_IiSD_SE_SE_EEEEZNS1_13binary_searchIS3_S5_NSA_INS8_10device_ptrIxEEEESG_SI_NS1_16binary_search_opENS9_16wrapped_functionINS8_6system6detail7generic6detail18binary_search_lessEbEEEE10hipError_tPvRmT1_T2_T3_mmT4_T5_P12ihipStream_tbEUlRKxE_EESV_SZ_S10_mS11_S14_bEUlT_E_NS1_11comp_targetILNS1_3genE9ELNS1_11target_archE1100ELNS1_3gpuE3ELNS1_3repE0EEENS1_30default_config_static_selectorELNS0_4arch9wavefront6targetE1EEEvSY_
; %bb.0:
	.section	.rodata,"a",@progbits
	.p2align	6, 0x0
	.amdhsa_kernel _ZN7rocprim17ROCPRIM_400000_NS6detail17trampoline_kernelINS0_14default_configENS1_29binary_search_config_selectorIxiEEZNS1_14transform_implILb0ES3_S5_N6thrust23THRUST_200600_302600_NS6detail15normal_iteratorINS8_7pointerIxNS8_11hip_rocprim5par_tENS8_11use_defaultESE_EEEENSA_INSB_IiSD_SE_SE_EEEEZNS1_13binary_searchIS3_S5_NSA_INS8_10device_ptrIxEEEESG_SI_NS1_16binary_search_opENS9_16wrapped_functionINS8_6system6detail7generic6detail18binary_search_lessEbEEEE10hipError_tPvRmT1_T2_T3_mmT4_T5_P12ihipStream_tbEUlRKxE_EESV_SZ_S10_mS11_S14_bEUlT_E_NS1_11comp_targetILNS1_3genE9ELNS1_11target_archE1100ELNS1_3gpuE3ELNS1_3repE0EEENS1_30default_config_static_selectorELNS0_4arch9wavefront6targetE1EEEvSY_
		.amdhsa_group_segment_fixed_size 0
		.amdhsa_private_segment_fixed_size 0
		.amdhsa_kernarg_size 56
		.amdhsa_user_sgpr_count 6
		.amdhsa_user_sgpr_private_segment_buffer 1
		.amdhsa_user_sgpr_dispatch_ptr 0
		.amdhsa_user_sgpr_queue_ptr 0
		.amdhsa_user_sgpr_kernarg_segment_ptr 1
		.amdhsa_user_sgpr_dispatch_id 0
		.amdhsa_user_sgpr_flat_scratch_init 0
		.amdhsa_user_sgpr_private_segment_size 0
		.amdhsa_uses_dynamic_stack 0
		.amdhsa_system_sgpr_private_segment_wavefront_offset 0
		.amdhsa_system_sgpr_workgroup_id_x 1
		.amdhsa_system_sgpr_workgroup_id_y 0
		.amdhsa_system_sgpr_workgroup_id_z 0
		.amdhsa_system_sgpr_workgroup_info 0
		.amdhsa_system_vgpr_workitem_id 0
		.amdhsa_next_free_vgpr 1
		.amdhsa_next_free_sgpr 0
		.amdhsa_reserve_vcc 0
		.amdhsa_reserve_flat_scratch 0
		.amdhsa_float_round_mode_32 0
		.amdhsa_float_round_mode_16_64 0
		.amdhsa_float_denorm_mode_32 3
		.amdhsa_float_denorm_mode_16_64 3
		.amdhsa_dx10_clamp 1
		.amdhsa_ieee_mode 1
		.amdhsa_fp16_overflow 0
		.amdhsa_exception_fp_ieee_invalid_op 0
		.amdhsa_exception_fp_denorm_src 0
		.amdhsa_exception_fp_ieee_div_zero 0
		.amdhsa_exception_fp_ieee_overflow 0
		.amdhsa_exception_fp_ieee_underflow 0
		.amdhsa_exception_fp_ieee_inexact 0
		.amdhsa_exception_int_div_zero 0
	.end_amdhsa_kernel
	.section	.text._ZN7rocprim17ROCPRIM_400000_NS6detail17trampoline_kernelINS0_14default_configENS1_29binary_search_config_selectorIxiEEZNS1_14transform_implILb0ES3_S5_N6thrust23THRUST_200600_302600_NS6detail15normal_iteratorINS8_7pointerIxNS8_11hip_rocprim5par_tENS8_11use_defaultESE_EEEENSA_INSB_IiSD_SE_SE_EEEEZNS1_13binary_searchIS3_S5_NSA_INS8_10device_ptrIxEEEESG_SI_NS1_16binary_search_opENS9_16wrapped_functionINS8_6system6detail7generic6detail18binary_search_lessEbEEEE10hipError_tPvRmT1_T2_T3_mmT4_T5_P12ihipStream_tbEUlRKxE_EESV_SZ_S10_mS11_S14_bEUlT_E_NS1_11comp_targetILNS1_3genE9ELNS1_11target_archE1100ELNS1_3gpuE3ELNS1_3repE0EEENS1_30default_config_static_selectorELNS0_4arch9wavefront6targetE1EEEvSY_,"axG",@progbits,_ZN7rocprim17ROCPRIM_400000_NS6detail17trampoline_kernelINS0_14default_configENS1_29binary_search_config_selectorIxiEEZNS1_14transform_implILb0ES3_S5_N6thrust23THRUST_200600_302600_NS6detail15normal_iteratorINS8_7pointerIxNS8_11hip_rocprim5par_tENS8_11use_defaultESE_EEEENSA_INSB_IiSD_SE_SE_EEEEZNS1_13binary_searchIS3_S5_NSA_INS8_10device_ptrIxEEEESG_SI_NS1_16binary_search_opENS9_16wrapped_functionINS8_6system6detail7generic6detail18binary_search_lessEbEEEE10hipError_tPvRmT1_T2_T3_mmT4_T5_P12ihipStream_tbEUlRKxE_EESV_SZ_S10_mS11_S14_bEUlT_E_NS1_11comp_targetILNS1_3genE9ELNS1_11target_archE1100ELNS1_3gpuE3ELNS1_3repE0EEENS1_30default_config_static_selectorELNS0_4arch9wavefront6targetE1EEEvSY_,comdat
.Lfunc_end696:
	.size	_ZN7rocprim17ROCPRIM_400000_NS6detail17trampoline_kernelINS0_14default_configENS1_29binary_search_config_selectorIxiEEZNS1_14transform_implILb0ES3_S5_N6thrust23THRUST_200600_302600_NS6detail15normal_iteratorINS8_7pointerIxNS8_11hip_rocprim5par_tENS8_11use_defaultESE_EEEENSA_INSB_IiSD_SE_SE_EEEEZNS1_13binary_searchIS3_S5_NSA_INS8_10device_ptrIxEEEESG_SI_NS1_16binary_search_opENS9_16wrapped_functionINS8_6system6detail7generic6detail18binary_search_lessEbEEEE10hipError_tPvRmT1_T2_T3_mmT4_T5_P12ihipStream_tbEUlRKxE_EESV_SZ_S10_mS11_S14_bEUlT_E_NS1_11comp_targetILNS1_3genE9ELNS1_11target_archE1100ELNS1_3gpuE3ELNS1_3repE0EEENS1_30default_config_static_selectorELNS0_4arch9wavefront6targetE1EEEvSY_, .Lfunc_end696-_ZN7rocprim17ROCPRIM_400000_NS6detail17trampoline_kernelINS0_14default_configENS1_29binary_search_config_selectorIxiEEZNS1_14transform_implILb0ES3_S5_N6thrust23THRUST_200600_302600_NS6detail15normal_iteratorINS8_7pointerIxNS8_11hip_rocprim5par_tENS8_11use_defaultESE_EEEENSA_INSB_IiSD_SE_SE_EEEEZNS1_13binary_searchIS3_S5_NSA_INS8_10device_ptrIxEEEESG_SI_NS1_16binary_search_opENS9_16wrapped_functionINS8_6system6detail7generic6detail18binary_search_lessEbEEEE10hipError_tPvRmT1_T2_T3_mmT4_T5_P12ihipStream_tbEUlRKxE_EESV_SZ_S10_mS11_S14_bEUlT_E_NS1_11comp_targetILNS1_3genE9ELNS1_11target_archE1100ELNS1_3gpuE3ELNS1_3repE0EEENS1_30default_config_static_selectorELNS0_4arch9wavefront6targetE1EEEvSY_
                                        ; -- End function
	.set _ZN7rocprim17ROCPRIM_400000_NS6detail17trampoline_kernelINS0_14default_configENS1_29binary_search_config_selectorIxiEEZNS1_14transform_implILb0ES3_S5_N6thrust23THRUST_200600_302600_NS6detail15normal_iteratorINS8_7pointerIxNS8_11hip_rocprim5par_tENS8_11use_defaultESE_EEEENSA_INSB_IiSD_SE_SE_EEEEZNS1_13binary_searchIS3_S5_NSA_INS8_10device_ptrIxEEEESG_SI_NS1_16binary_search_opENS9_16wrapped_functionINS8_6system6detail7generic6detail18binary_search_lessEbEEEE10hipError_tPvRmT1_T2_T3_mmT4_T5_P12ihipStream_tbEUlRKxE_EESV_SZ_S10_mS11_S14_bEUlT_E_NS1_11comp_targetILNS1_3genE9ELNS1_11target_archE1100ELNS1_3gpuE3ELNS1_3repE0EEENS1_30default_config_static_selectorELNS0_4arch9wavefront6targetE1EEEvSY_.num_vgpr, 0
	.set _ZN7rocprim17ROCPRIM_400000_NS6detail17trampoline_kernelINS0_14default_configENS1_29binary_search_config_selectorIxiEEZNS1_14transform_implILb0ES3_S5_N6thrust23THRUST_200600_302600_NS6detail15normal_iteratorINS8_7pointerIxNS8_11hip_rocprim5par_tENS8_11use_defaultESE_EEEENSA_INSB_IiSD_SE_SE_EEEEZNS1_13binary_searchIS3_S5_NSA_INS8_10device_ptrIxEEEESG_SI_NS1_16binary_search_opENS9_16wrapped_functionINS8_6system6detail7generic6detail18binary_search_lessEbEEEE10hipError_tPvRmT1_T2_T3_mmT4_T5_P12ihipStream_tbEUlRKxE_EESV_SZ_S10_mS11_S14_bEUlT_E_NS1_11comp_targetILNS1_3genE9ELNS1_11target_archE1100ELNS1_3gpuE3ELNS1_3repE0EEENS1_30default_config_static_selectorELNS0_4arch9wavefront6targetE1EEEvSY_.num_agpr, 0
	.set _ZN7rocprim17ROCPRIM_400000_NS6detail17trampoline_kernelINS0_14default_configENS1_29binary_search_config_selectorIxiEEZNS1_14transform_implILb0ES3_S5_N6thrust23THRUST_200600_302600_NS6detail15normal_iteratorINS8_7pointerIxNS8_11hip_rocprim5par_tENS8_11use_defaultESE_EEEENSA_INSB_IiSD_SE_SE_EEEEZNS1_13binary_searchIS3_S5_NSA_INS8_10device_ptrIxEEEESG_SI_NS1_16binary_search_opENS9_16wrapped_functionINS8_6system6detail7generic6detail18binary_search_lessEbEEEE10hipError_tPvRmT1_T2_T3_mmT4_T5_P12ihipStream_tbEUlRKxE_EESV_SZ_S10_mS11_S14_bEUlT_E_NS1_11comp_targetILNS1_3genE9ELNS1_11target_archE1100ELNS1_3gpuE3ELNS1_3repE0EEENS1_30default_config_static_selectorELNS0_4arch9wavefront6targetE1EEEvSY_.numbered_sgpr, 0
	.set _ZN7rocprim17ROCPRIM_400000_NS6detail17trampoline_kernelINS0_14default_configENS1_29binary_search_config_selectorIxiEEZNS1_14transform_implILb0ES3_S5_N6thrust23THRUST_200600_302600_NS6detail15normal_iteratorINS8_7pointerIxNS8_11hip_rocprim5par_tENS8_11use_defaultESE_EEEENSA_INSB_IiSD_SE_SE_EEEEZNS1_13binary_searchIS3_S5_NSA_INS8_10device_ptrIxEEEESG_SI_NS1_16binary_search_opENS9_16wrapped_functionINS8_6system6detail7generic6detail18binary_search_lessEbEEEE10hipError_tPvRmT1_T2_T3_mmT4_T5_P12ihipStream_tbEUlRKxE_EESV_SZ_S10_mS11_S14_bEUlT_E_NS1_11comp_targetILNS1_3genE9ELNS1_11target_archE1100ELNS1_3gpuE3ELNS1_3repE0EEENS1_30default_config_static_selectorELNS0_4arch9wavefront6targetE1EEEvSY_.num_named_barrier, 0
	.set _ZN7rocprim17ROCPRIM_400000_NS6detail17trampoline_kernelINS0_14default_configENS1_29binary_search_config_selectorIxiEEZNS1_14transform_implILb0ES3_S5_N6thrust23THRUST_200600_302600_NS6detail15normal_iteratorINS8_7pointerIxNS8_11hip_rocprim5par_tENS8_11use_defaultESE_EEEENSA_INSB_IiSD_SE_SE_EEEEZNS1_13binary_searchIS3_S5_NSA_INS8_10device_ptrIxEEEESG_SI_NS1_16binary_search_opENS9_16wrapped_functionINS8_6system6detail7generic6detail18binary_search_lessEbEEEE10hipError_tPvRmT1_T2_T3_mmT4_T5_P12ihipStream_tbEUlRKxE_EESV_SZ_S10_mS11_S14_bEUlT_E_NS1_11comp_targetILNS1_3genE9ELNS1_11target_archE1100ELNS1_3gpuE3ELNS1_3repE0EEENS1_30default_config_static_selectorELNS0_4arch9wavefront6targetE1EEEvSY_.private_seg_size, 0
	.set _ZN7rocprim17ROCPRIM_400000_NS6detail17trampoline_kernelINS0_14default_configENS1_29binary_search_config_selectorIxiEEZNS1_14transform_implILb0ES3_S5_N6thrust23THRUST_200600_302600_NS6detail15normal_iteratorINS8_7pointerIxNS8_11hip_rocprim5par_tENS8_11use_defaultESE_EEEENSA_INSB_IiSD_SE_SE_EEEEZNS1_13binary_searchIS3_S5_NSA_INS8_10device_ptrIxEEEESG_SI_NS1_16binary_search_opENS9_16wrapped_functionINS8_6system6detail7generic6detail18binary_search_lessEbEEEE10hipError_tPvRmT1_T2_T3_mmT4_T5_P12ihipStream_tbEUlRKxE_EESV_SZ_S10_mS11_S14_bEUlT_E_NS1_11comp_targetILNS1_3genE9ELNS1_11target_archE1100ELNS1_3gpuE3ELNS1_3repE0EEENS1_30default_config_static_selectorELNS0_4arch9wavefront6targetE1EEEvSY_.uses_vcc, 0
	.set _ZN7rocprim17ROCPRIM_400000_NS6detail17trampoline_kernelINS0_14default_configENS1_29binary_search_config_selectorIxiEEZNS1_14transform_implILb0ES3_S5_N6thrust23THRUST_200600_302600_NS6detail15normal_iteratorINS8_7pointerIxNS8_11hip_rocprim5par_tENS8_11use_defaultESE_EEEENSA_INSB_IiSD_SE_SE_EEEEZNS1_13binary_searchIS3_S5_NSA_INS8_10device_ptrIxEEEESG_SI_NS1_16binary_search_opENS9_16wrapped_functionINS8_6system6detail7generic6detail18binary_search_lessEbEEEE10hipError_tPvRmT1_T2_T3_mmT4_T5_P12ihipStream_tbEUlRKxE_EESV_SZ_S10_mS11_S14_bEUlT_E_NS1_11comp_targetILNS1_3genE9ELNS1_11target_archE1100ELNS1_3gpuE3ELNS1_3repE0EEENS1_30default_config_static_selectorELNS0_4arch9wavefront6targetE1EEEvSY_.uses_flat_scratch, 0
	.set _ZN7rocprim17ROCPRIM_400000_NS6detail17trampoline_kernelINS0_14default_configENS1_29binary_search_config_selectorIxiEEZNS1_14transform_implILb0ES3_S5_N6thrust23THRUST_200600_302600_NS6detail15normal_iteratorINS8_7pointerIxNS8_11hip_rocprim5par_tENS8_11use_defaultESE_EEEENSA_INSB_IiSD_SE_SE_EEEEZNS1_13binary_searchIS3_S5_NSA_INS8_10device_ptrIxEEEESG_SI_NS1_16binary_search_opENS9_16wrapped_functionINS8_6system6detail7generic6detail18binary_search_lessEbEEEE10hipError_tPvRmT1_T2_T3_mmT4_T5_P12ihipStream_tbEUlRKxE_EESV_SZ_S10_mS11_S14_bEUlT_E_NS1_11comp_targetILNS1_3genE9ELNS1_11target_archE1100ELNS1_3gpuE3ELNS1_3repE0EEENS1_30default_config_static_selectorELNS0_4arch9wavefront6targetE1EEEvSY_.has_dyn_sized_stack, 0
	.set _ZN7rocprim17ROCPRIM_400000_NS6detail17trampoline_kernelINS0_14default_configENS1_29binary_search_config_selectorIxiEEZNS1_14transform_implILb0ES3_S5_N6thrust23THRUST_200600_302600_NS6detail15normal_iteratorINS8_7pointerIxNS8_11hip_rocprim5par_tENS8_11use_defaultESE_EEEENSA_INSB_IiSD_SE_SE_EEEEZNS1_13binary_searchIS3_S5_NSA_INS8_10device_ptrIxEEEESG_SI_NS1_16binary_search_opENS9_16wrapped_functionINS8_6system6detail7generic6detail18binary_search_lessEbEEEE10hipError_tPvRmT1_T2_T3_mmT4_T5_P12ihipStream_tbEUlRKxE_EESV_SZ_S10_mS11_S14_bEUlT_E_NS1_11comp_targetILNS1_3genE9ELNS1_11target_archE1100ELNS1_3gpuE3ELNS1_3repE0EEENS1_30default_config_static_selectorELNS0_4arch9wavefront6targetE1EEEvSY_.has_recursion, 0
	.set _ZN7rocprim17ROCPRIM_400000_NS6detail17trampoline_kernelINS0_14default_configENS1_29binary_search_config_selectorIxiEEZNS1_14transform_implILb0ES3_S5_N6thrust23THRUST_200600_302600_NS6detail15normal_iteratorINS8_7pointerIxNS8_11hip_rocprim5par_tENS8_11use_defaultESE_EEEENSA_INSB_IiSD_SE_SE_EEEEZNS1_13binary_searchIS3_S5_NSA_INS8_10device_ptrIxEEEESG_SI_NS1_16binary_search_opENS9_16wrapped_functionINS8_6system6detail7generic6detail18binary_search_lessEbEEEE10hipError_tPvRmT1_T2_T3_mmT4_T5_P12ihipStream_tbEUlRKxE_EESV_SZ_S10_mS11_S14_bEUlT_E_NS1_11comp_targetILNS1_3genE9ELNS1_11target_archE1100ELNS1_3gpuE3ELNS1_3repE0EEENS1_30default_config_static_selectorELNS0_4arch9wavefront6targetE1EEEvSY_.has_indirect_call, 0
	.section	.AMDGPU.csdata,"",@progbits
; Kernel info:
; codeLenInByte = 0
; TotalNumSgprs: 4
; NumVgprs: 0
; ScratchSize: 0
; MemoryBound: 0
; FloatMode: 240
; IeeeMode: 1
; LDSByteSize: 0 bytes/workgroup (compile time only)
; SGPRBlocks: 0
; VGPRBlocks: 0
; NumSGPRsForWavesPerEU: 4
; NumVGPRsForWavesPerEU: 1
; Occupancy: 10
; WaveLimiterHint : 0
; COMPUTE_PGM_RSRC2:SCRATCH_EN: 0
; COMPUTE_PGM_RSRC2:USER_SGPR: 6
; COMPUTE_PGM_RSRC2:TRAP_HANDLER: 0
; COMPUTE_PGM_RSRC2:TGID_X_EN: 1
; COMPUTE_PGM_RSRC2:TGID_Y_EN: 0
; COMPUTE_PGM_RSRC2:TGID_Z_EN: 0
; COMPUTE_PGM_RSRC2:TIDIG_COMP_CNT: 0
	.section	.text._ZN7rocprim17ROCPRIM_400000_NS6detail17trampoline_kernelINS0_14default_configENS1_29binary_search_config_selectorIxiEEZNS1_14transform_implILb0ES3_S5_N6thrust23THRUST_200600_302600_NS6detail15normal_iteratorINS8_7pointerIxNS8_11hip_rocprim5par_tENS8_11use_defaultESE_EEEENSA_INSB_IiSD_SE_SE_EEEEZNS1_13binary_searchIS3_S5_NSA_INS8_10device_ptrIxEEEESG_SI_NS1_16binary_search_opENS9_16wrapped_functionINS8_6system6detail7generic6detail18binary_search_lessEbEEEE10hipError_tPvRmT1_T2_T3_mmT4_T5_P12ihipStream_tbEUlRKxE_EESV_SZ_S10_mS11_S14_bEUlT_E_NS1_11comp_targetILNS1_3genE8ELNS1_11target_archE1030ELNS1_3gpuE2ELNS1_3repE0EEENS1_30default_config_static_selectorELNS0_4arch9wavefront6targetE1EEEvSY_,"axG",@progbits,_ZN7rocprim17ROCPRIM_400000_NS6detail17trampoline_kernelINS0_14default_configENS1_29binary_search_config_selectorIxiEEZNS1_14transform_implILb0ES3_S5_N6thrust23THRUST_200600_302600_NS6detail15normal_iteratorINS8_7pointerIxNS8_11hip_rocprim5par_tENS8_11use_defaultESE_EEEENSA_INSB_IiSD_SE_SE_EEEEZNS1_13binary_searchIS3_S5_NSA_INS8_10device_ptrIxEEEESG_SI_NS1_16binary_search_opENS9_16wrapped_functionINS8_6system6detail7generic6detail18binary_search_lessEbEEEE10hipError_tPvRmT1_T2_T3_mmT4_T5_P12ihipStream_tbEUlRKxE_EESV_SZ_S10_mS11_S14_bEUlT_E_NS1_11comp_targetILNS1_3genE8ELNS1_11target_archE1030ELNS1_3gpuE2ELNS1_3repE0EEENS1_30default_config_static_selectorELNS0_4arch9wavefront6targetE1EEEvSY_,comdat
	.protected	_ZN7rocprim17ROCPRIM_400000_NS6detail17trampoline_kernelINS0_14default_configENS1_29binary_search_config_selectorIxiEEZNS1_14transform_implILb0ES3_S5_N6thrust23THRUST_200600_302600_NS6detail15normal_iteratorINS8_7pointerIxNS8_11hip_rocprim5par_tENS8_11use_defaultESE_EEEENSA_INSB_IiSD_SE_SE_EEEEZNS1_13binary_searchIS3_S5_NSA_INS8_10device_ptrIxEEEESG_SI_NS1_16binary_search_opENS9_16wrapped_functionINS8_6system6detail7generic6detail18binary_search_lessEbEEEE10hipError_tPvRmT1_T2_T3_mmT4_T5_P12ihipStream_tbEUlRKxE_EESV_SZ_S10_mS11_S14_bEUlT_E_NS1_11comp_targetILNS1_3genE8ELNS1_11target_archE1030ELNS1_3gpuE2ELNS1_3repE0EEENS1_30default_config_static_selectorELNS0_4arch9wavefront6targetE1EEEvSY_ ; -- Begin function _ZN7rocprim17ROCPRIM_400000_NS6detail17trampoline_kernelINS0_14default_configENS1_29binary_search_config_selectorIxiEEZNS1_14transform_implILb0ES3_S5_N6thrust23THRUST_200600_302600_NS6detail15normal_iteratorINS8_7pointerIxNS8_11hip_rocprim5par_tENS8_11use_defaultESE_EEEENSA_INSB_IiSD_SE_SE_EEEEZNS1_13binary_searchIS3_S5_NSA_INS8_10device_ptrIxEEEESG_SI_NS1_16binary_search_opENS9_16wrapped_functionINS8_6system6detail7generic6detail18binary_search_lessEbEEEE10hipError_tPvRmT1_T2_T3_mmT4_T5_P12ihipStream_tbEUlRKxE_EESV_SZ_S10_mS11_S14_bEUlT_E_NS1_11comp_targetILNS1_3genE8ELNS1_11target_archE1030ELNS1_3gpuE2ELNS1_3repE0EEENS1_30default_config_static_selectorELNS0_4arch9wavefront6targetE1EEEvSY_
	.globl	_ZN7rocprim17ROCPRIM_400000_NS6detail17trampoline_kernelINS0_14default_configENS1_29binary_search_config_selectorIxiEEZNS1_14transform_implILb0ES3_S5_N6thrust23THRUST_200600_302600_NS6detail15normal_iteratorINS8_7pointerIxNS8_11hip_rocprim5par_tENS8_11use_defaultESE_EEEENSA_INSB_IiSD_SE_SE_EEEEZNS1_13binary_searchIS3_S5_NSA_INS8_10device_ptrIxEEEESG_SI_NS1_16binary_search_opENS9_16wrapped_functionINS8_6system6detail7generic6detail18binary_search_lessEbEEEE10hipError_tPvRmT1_T2_T3_mmT4_T5_P12ihipStream_tbEUlRKxE_EESV_SZ_S10_mS11_S14_bEUlT_E_NS1_11comp_targetILNS1_3genE8ELNS1_11target_archE1030ELNS1_3gpuE2ELNS1_3repE0EEENS1_30default_config_static_selectorELNS0_4arch9wavefront6targetE1EEEvSY_
	.p2align	8
	.type	_ZN7rocprim17ROCPRIM_400000_NS6detail17trampoline_kernelINS0_14default_configENS1_29binary_search_config_selectorIxiEEZNS1_14transform_implILb0ES3_S5_N6thrust23THRUST_200600_302600_NS6detail15normal_iteratorINS8_7pointerIxNS8_11hip_rocprim5par_tENS8_11use_defaultESE_EEEENSA_INSB_IiSD_SE_SE_EEEEZNS1_13binary_searchIS3_S5_NSA_INS8_10device_ptrIxEEEESG_SI_NS1_16binary_search_opENS9_16wrapped_functionINS8_6system6detail7generic6detail18binary_search_lessEbEEEE10hipError_tPvRmT1_T2_T3_mmT4_T5_P12ihipStream_tbEUlRKxE_EESV_SZ_S10_mS11_S14_bEUlT_E_NS1_11comp_targetILNS1_3genE8ELNS1_11target_archE1030ELNS1_3gpuE2ELNS1_3repE0EEENS1_30default_config_static_selectorELNS0_4arch9wavefront6targetE1EEEvSY_,@function
_ZN7rocprim17ROCPRIM_400000_NS6detail17trampoline_kernelINS0_14default_configENS1_29binary_search_config_selectorIxiEEZNS1_14transform_implILb0ES3_S5_N6thrust23THRUST_200600_302600_NS6detail15normal_iteratorINS8_7pointerIxNS8_11hip_rocprim5par_tENS8_11use_defaultESE_EEEENSA_INSB_IiSD_SE_SE_EEEEZNS1_13binary_searchIS3_S5_NSA_INS8_10device_ptrIxEEEESG_SI_NS1_16binary_search_opENS9_16wrapped_functionINS8_6system6detail7generic6detail18binary_search_lessEbEEEE10hipError_tPvRmT1_T2_T3_mmT4_T5_P12ihipStream_tbEUlRKxE_EESV_SZ_S10_mS11_S14_bEUlT_E_NS1_11comp_targetILNS1_3genE8ELNS1_11target_archE1030ELNS1_3gpuE2ELNS1_3repE0EEENS1_30default_config_static_selectorELNS0_4arch9wavefront6targetE1EEEvSY_: ; @_ZN7rocprim17ROCPRIM_400000_NS6detail17trampoline_kernelINS0_14default_configENS1_29binary_search_config_selectorIxiEEZNS1_14transform_implILb0ES3_S5_N6thrust23THRUST_200600_302600_NS6detail15normal_iteratorINS8_7pointerIxNS8_11hip_rocprim5par_tENS8_11use_defaultESE_EEEENSA_INSB_IiSD_SE_SE_EEEEZNS1_13binary_searchIS3_S5_NSA_INS8_10device_ptrIxEEEESG_SI_NS1_16binary_search_opENS9_16wrapped_functionINS8_6system6detail7generic6detail18binary_search_lessEbEEEE10hipError_tPvRmT1_T2_T3_mmT4_T5_P12ihipStream_tbEUlRKxE_EESV_SZ_S10_mS11_S14_bEUlT_E_NS1_11comp_targetILNS1_3genE8ELNS1_11target_archE1030ELNS1_3gpuE2ELNS1_3repE0EEENS1_30default_config_static_selectorELNS0_4arch9wavefront6targetE1EEEvSY_
; %bb.0:
	.section	.rodata,"a",@progbits
	.p2align	6, 0x0
	.amdhsa_kernel _ZN7rocprim17ROCPRIM_400000_NS6detail17trampoline_kernelINS0_14default_configENS1_29binary_search_config_selectorIxiEEZNS1_14transform_implILb0ES3_S5_N6thrust23THRUST_200600_302600_NS6detail15normal_iteratorINS8_7pointerIxNS8_11hip_rocprim5par_tENS8_11use_defaultESE_EEEENSA_INSB_IiSD_SE_SE_EEEEZNS1_13binary_searchIS3_S5_NSA_INS8_10device_ptrIxEEEESG_SI_NS1_16binary_search_opENS9_16wrapped_functionINS8_6system6detail7generic6detail18binary_search_lessEbEEEE10hipError_tPvRmT1_T2_T3_mmT4_T5_P12ihipStream_tbEUlRKxE_EESV_SZ_S10_mS11_S14_bEUlT_E_NS1_11comp_targetILNS1_3genE8ELNS1_11target_archE1030ELNS1_3gpuE2ELNS1_3repE0EEENS1_30default_config_static_selectorELNS0_4arch9wavefront6targetE1EEEvSY_
		.amdhsa_group_segment_fixed_size 0
		.amdhsa_private_segment_fixed_size 0
		.amdhsa_kernarg_size 56
		.amdhsa_user_sgpr_count 6
		.amdhsa_user_sgpr_private_segment_buffer 1
		.amdhsa_user_sgpr_dispatch_ptr 0
		.amdhsa_user_sgpr_queue_ptr 0
		.amdhsa_user_sgpr_kernarg_segment_ptr 1
		.amdhsa_user_sgpr_dispatch_id 0
		.amdhsa_user_sgpr_flat_scratch_init 0
		.amdhsa_user_sgpr_private_segment_size 0
		.amdhsa_uses_dynamic_stack 0
		.amdhsa_system_sgpr_private_segment_wavefront_offset 0
		.amdhsa_system_sgpr_workgroup_id_x 1
		.amdhsa_system_sgpr_workgroup_id_y 0
		.amdhsa_system_sgpr_workgroup_id_z 0
		.amdhsa_system_sgpr_workgroup_info 0
		.amdhsa_system_vgpr_workitem_id 0
		.amdhsa_next_free_vgpr 1
		.amdhsa_next_free_sgpr 0
		.amdhsa_reserve_vcc 0
		.amdhsa_reserve_flat_scratch 0
		.amdhsa_float_round_mode_32 0
		.amdhsa_float_round_mode_16_64 0
		.amdhsa_float_denorm_mode_32 3
		.amdhsa_float_denorm_mode_16_64 3
		.amdhsa_dx10_clamp 1
		.amdhsa_ieee_mode 1
		.amdhsa_fp16_overflow 0
		.amdhsa_exception_fp_ieee_invalid_op 0
		.amdhsa_exception_fp_denorm_src 0
		.amdhsa_exception_fp_ieee_div_zero 0
		.amdhsa_exception_fp_ieee_overflow 0
		.amdhsa_exception_fp_ieee_underflow 0
		.amdhsa_exception_fp_ieee_inexact 0
		.amdhsa_exception_int_div_zero 0
	.end_amdhsa_kernel
	.section	.text._ZN7rocprim17ROCPRIM_400000_NS6detail17trampoline_kernelINS0_14default_configENS1_29binary_search_config_selectorIxiEEZNS1_14transform_implILb0ES3_S5_N6thrust23THRUST_200600_302600_NS6detail15normal_iteratorINS8_7pointerIxNS8_11hip_rocprim5par_tENS8_11use_defaultESE_EEEENSA_INSB_IiSD_SE_SE_EEEEZNS1_13binary_searchIS3_S5_NSA_INS8_10device_ptrIxEEEESG_SI_NS1_16binary_search_opENS9_16wrapped_functionINS8_6system6detail7generic6detail18binary_search_lessEbEEEE10hipError_tPvRmT1_T2_T3_mmT4_T5_P12ihipStream_tbEUlRKxE_EESV_SZ_S10_mS11_S14_bEUlT_E_NS1_11comp_targetILNS1_3genE8ELNS1_11target_archE1030ELNS1_3gpuE2ELNS1_3repE0EEENS1_30default_config_static_selectorELNS0_4arch9wavefront6targetE1EEEvSY_,"axG",@progbits,_ZN7rocprim17ROCPRIM_400000_NS6detail17trampoline_kernelINS0_14default_configENS1_29binary_search_config_selectorIxiEEZNS1_14transform_implILb0ES3_S5_N6thrust23THRUST_200600_302600_NS6detail15normal_iteratorINS8_7pointerIxNS8_11hip_rocprim5par_tENS8_11use_defaultESE_EEEENSA_INSB_IiSD_SE_SE_EEEEZNS1_13binary_searchIS3_S5_NSA_INS8_10device_ptrIxEEEESG_SI_NS1_16binary_search_opENS9_16wrapped_functionINS8_6system6detail7generic6detail18binary_search_lessEbEEEE10hipError_tPvRmT1_T2_T3_mmT4_T5_P12ihipStream_tbEUlRKxE_EESV_SZ_S10_mS11_S14_bEUlT_E_NS1_11comp_targetILNS1_3genE8ELNS1_11target_archE1030ELNS1_3gpuE2ELNS1_3repE0EEENS1_30default_config_static_selectorELNS0_4arch9wavefront6targetE1EEEvSY_,comdat
.Lfunc_end697:
	.size	_ZN7rocprim17ROCPRIM_400000_NS6detail17trampoline_kernelINS0_14default_configENS1_29binary_search_config_selectorIxiEEZNS1_14transform_implILb0ES3_S5_N6thrust23THRUST_200600_302600_NS6detail15normal_iteratorINS8_7pointerIxNS8_11hip_rocprim5par_tENS8_11use_defaultESE_EEEENSA_INSB_IiSD_SE_SE_EEEEZNS1_13binary_searchIS3_S5_NSA_INS8_10device_ptrIxEEEESG_SI_NS1_16binary_search_opENS9_16wrapped_functionINS8_6system6detail7generic6detail18binary_search_lessEbEEEE10hipError_tPvRmT1_T2_T3_mmT4_T5_P12ihipStream_tbEUlRKxE_EESV_SZ_S10_mS11_S14_bEUlT_E_NS1_11comp_targetILNS1_3genE8ELNS1_11target_archE1030ELNS1_3gpuE2ELNS1_3repE0EEENS1_30default_config_static_selectorELNS0_4arch9wavefront6targetE1EEEvSY_, .Lfunc_end697-_ZN7rocprim17ROCPRIM_400000_NS6detail17trampoline_kernelINS0_14default_configENS1_29binary_search_config_selectorIxiEEZNS1_14transform_implILb0ES3_S5_N6thrust23THRUST_200600_302600_NS6detail15normal_iteratorINS8_7pointerIxNS8_11hip_rocprim5par_tENS8_11use_defaultESE_EEEENSA_INSB_IiSD_SE_SE_EEEEZNS1_13binary_searchIS3_S5_NSA_INS8_10device_ptrIxEEEESG_SI_NS1_16binary_search_opENS9_16wrapped_functionINS8_6system6detail7generic6detail18binary_search_lessEbEEEE10hipError_tPvRmT1_T2_T3_mmT4_T5_P12ihipStream_tbEUlRKxE_EESV_SZ_S10_mS11_S14_bEUlT_E_NS1_11comp_targetILNS1_3genE8ELNS1_11target_archE1030ELNS1_3gpuE2ELNS1_3repE0EEENS1_30default_config_static_selectorELNS0_4arch9wavefront6targetE1EEEvSY_
                                        ; -- End function
	.set _ZN7rocprim17ROCPRIM_400000_NS6detail17trampoline_kernelINS0_14default_configENS1_29binary_search_config_selectorIxiEEZNS1_14transform_implILb0ES3_S5_N6thrust23THRUST_200600_302600_NS6detail15normal_iteratorINS8_7pointerIxNS8_11hip_rocprim5par_tENS8_11use_defaultESE_EEEENSA_INSB_IiSD_SE_SE_EEEEZNS1_13binary_searchIS3_S5_NSA_INS8_10device_ptrIxEEEESG_SI_NS1_16binary_search_opENS9_16wrapped_functionINS8_6system6detail7generic6detail18binary_search_lessEbEEEE10hipError_tPvRmT1_T2_T3_mmT4_T5_P12ihipStream_tbEUlRKxE_EESV_SZ_S10_mS11_S14_bEUlT_E_NS1_11comp_targetILNS1_3genE8ELNS1_11target_archE1030ELNS1_3gpuE2ELNS1_3repE0EEENS1_30default_config_static_selectorELNS0_4arch9wavefront6targetE1EEEvSY_.num_vgpr, 0
	.set _ZN7rocprim17ROCPRIM_400000_NS6detail17trampoline_kernelINS0_14default_configENS1_29binary_search_config_selectorIxiEEZNS1_14transform_implILb0ES3_S5_N6thrust23THRUST_200600_302600_NS6detail15normal_iteratorINS8_7pointerIxNS8_11hip_rocprim5par_tENS8_11use_defaultESE_EEEENSA_INSB_IiSD_SE_SE_EEEEZNS1_13binary_searchIS3_S5_NSA_INS8_10device_ptrIxEEEESG_SI_NS1_16binary_search_opENS9_16wrapped_functionINS8_6system6detail7generic6detail18binary_search_lessEbEEEE10hipError_tPvRmT1_T2_T3_mmT4_T5_P12ihipStream_tbEUlRKxE_EESV_SZ_S10_mS11_S14_bEUlT_E_NS1_11comp_targetILNS1_3genE8ELNS1_11target_archE1030ELNS1_3gpuE2ELNS1_3repE0EEENS1_30default_config_static_selectorELNS0_4arch9wavefront6targetE1EEEvSY_.num_agpr, 0
	.set _ZN7rocprim17ROCPRIM_400000_NS6detail17trampoline_kernelINS0_14default_configENS1_29binary_search_config_selectorIxiEEZNS1_14transform_implILb0ES3_S5_N6thrust23THRUST_200600_302600_NS6detail15normal_iteratorINS8_7pointerIxNS8_11hip_rocprim5par_tENS8_11use_defaultESE_EEEENSA_INSB_IiSD_SE_SE_EEEEZNS1_13binary_searchIS3_S5_NSA_INS8_10device_ptrIxEEEESG_SI_NS1_16binary_search_opENS9_16wrapped_functionINS8_6system6detail7generic6detail18binary_search_lessEbEEEE10hipError_tPvRmT1_T2_T3_mmT4_T5_P12ihipStream_tbEUlRKxE_EESV_SZ_S10_mS11_S14_bEUlT_E_NS1_11comp_targetILNS1_3genE8ELNS1_11target_archE1030ELNS1_3gpuE2ELNS1_3repE0EEENS1_30default_config_static_selectorELNS0_4arch9wavefront6targetE1EEEvSY_.numbered_sgpr, 0
	.set _ZN7rocprim17ROCPRIM_400000_NS6detail17trampoline_kernelINS0_14default_configENS1_29binary_search_config_selectorIxiEEZNS1_14transform_implILb0ES3_S5_N6thrust23THRUST_200600_302600_NS6detail15normal_iteratorINS8_7pointerIxNS8_11hip_rocprim5par_tENS8_11use_defaultESE_EEEENSA_INSB_IiSD_SE_SE_EEEEZNS1_13binary_searchIS3_S5_NSA_INS8_10device_ptrIxEEEESG_SI_NS1_16binary_search_opENS9_16wrapped_functionINS8_6system6detail7generic6detail18binary_search_lessEbEEEE10hipError_tPvRmT1_T2_T3_mmT4_T5_P12ihipStream_tbEUlRKxE_EESV_SZ_S10_mS11_S14_bEUlT_E_NS1_11comp_targetILNS1_3genE8ELNS1_11target_archE1030ELNS1_3gpuE2ELNS1_3repE0EEENS1_30default_config_static_selectorELNS0_4arch9wavefront6targetE1EEEvSY_.num_named_barrier, 0
	.set _ZN7rocprim17ROCPRIM_400000_NS6detail17trampoline_kernelINS0_14default_configENS1_29binary_search_config_selectorIxiEEZNS1_14transform_implILb0ES3_S5_N6thrust23THRUST_200600_302600_NS6detail15normal_iteratorINS8_7pointerIxNS8_11hip_rocprim5par_tENS8_11use_defaultESE_EEEENSA_INSB_IiSD_SE_SE_EEEEZNS1_13binary_searchIS3_S5_NSA_INS8_10device_ptrIxEEEESG_SI_NS1_16binary_search_opENS9_16wrapped_functionINS8_6system6detail7generic6detail18binary_search_lessEbEEEE10hipError_tPvRmT1_T2_T3_mmT4_T5_P12ihipStream_tbEUlRKxE_EESV_SZ_S10_mS11_S14_bEUlT_E_NS1_11comp_targetILNS1_3genE8ELNS1_11target_archE1030ELNS1_3gpuE2ELNS1_3repE0EEENS1_30default_config_static_selectorELNS0_4arch9wavefront6targetE1EEEvSY_.private_seg_size, 0
	.set _ZN7rocprim17ROCPRIM_400000_NS6detail17trampoline_kernelINS0_14default_configENS1_29binary_search_config_selectorIxiEEZNS1_14transform_implILb0ES3_S5_N6thrust23THRUST_200600_302600_NS6detail15normal_iteratorINS8_7pointerIxNS8_11hip_rocprim5par_tENS8_11use_defaultESE_EEEENSA_INSB_IiSD_SE_SE_EEEEZNS1_13binary_searchIS3_S5_NSA_INS8_10device_ptrIxEEEESG_SI_NS1_16binary_search_opENS9_16wrapped_functionINS8_6system6detail7generic6detail18binary_search_lessEbEEEE10hipError_tPvRmT1_T2_T3_mmT4_T5_P12ihipStream_tbEUlRKxE_EESV_SZ_S10_mS11_S14_bEUlT_E_NS1_11comp_targetILNS1_3genE8ELNS1_11target_archE1030ELNS1_3gpuE2ELNS1_3repE0EEENS1_30default_config_static_selectorELNS0_4arch9wavefront6targetE1EEEvSY_.uses_vcc, 0
	.set _ZN7rocprim17ROCPRIM_400000_NS6detail17trampoline_kernelINS0_14default_configENS1_29binary_search_config_selectorIxiEEZNS1_14transform_implILb0ES3_S5_N6thrust23THRUST_200600_302600_NS6detail15normal_iteratorINS8_7pointerIxNS8_11hip_rocprim5par_tENS8_11use_defaultESE_EEEENSA_INSB_IiSD_SE_SE_EEEEZNS1_13binary_searchIS3_S5_NSA_INS8_10device_ptrIxEEEESG_SI_NS1_16binary_search_opENS9_16wrapped_functionINS8_6system6detail7generic6detail18binary_search_lessEbEEEE10hipError_tPvRmT1_T2_T3_mmT4_T5_P12ihipStream_tbEUlRKxE_EESV_SZ_S10_mS11_S14_bEUlT_E_NS1_11comp_targetILNS1_3genE8ELNS1_11target_archE1030ELNS1_3gpuE2ELNS1_3repE0EEENS1_30default_config_static_selectorELNS0_4arch9wavefront6targetE1EEEvSY_.uses_flat_scratch, 0
	.set _ZN7rocprim17ROCPRIM_400000_NS6detail17trampoline_kernelINS0_14default_configENS1_29binary_search_config_selectorIxiEEZNS1_14transform_implILb0ES3_S5_N6thrust23THRUST_200600_302600_NS6detail15normal_iteratorINS8_7pointerIxNS8_11hip_rocprim5par_tENS8_11use_defaultESE_EEEENSA_INSB_IiSD_SE_SE_EEEEZNS1_13binary_searchIS3_S5_NSA_INS8_10device_ptrIxEEEESG_SI_NS1_16binary_search_opENS9_16wrapped_functionINS8_6system6detail7generic6detail18binary_search_lessEbEEEE10hipError_tPvRmT1_T2_T3_mmT4_T5_P12ihipStream_tbEUlRKxE_EESV_SZ_S10_mS11_S14_bEUlT_E_NS1_11comp_targetILNS1_3genE8ELNS1_11target_archE1030ELNS1_3gpuE2ELNS1_3repE0EEENS1_30default_config_static_selectorELNS0_4arch9wavefront6targetE1EEEvSY_.has_dyn_sized_stack, 0
	.set _ZN7rocprim17ROCPRIM_400000_NS6detail17trampoline_kernelINS0_14default_configENS1_29binary_search_config_selectorIxiEEZNS1_14transform_implILb0ES3_S5_N6thrust23THRUST_200600_302600_NS6detail15normal_iteratorINS8_7pointerIxNS8_11hip_rocprim5par_tENS8_11use_defaultESE_EEEENSA_INSB_IiSD_SE_SE_EEEEZNS1_13binary_searchIS3_S5_NSA_INS8_10device_ptrIxEEEESG_SI_NS1_16binary_search_opENS9_16wrapped_functionINS8_6system6detail7generic6detail18binary_search_lessEbEEEE10hipError_tPvRmT1_T2_T3_mmT4_T5_P12ihipStream_tbEUlRKxE_EESV_SZ_S10_mS11_S14_bEUlT_E_NS1_11comp_targetILNS1_3genE8ELNS1_11target_archE1030ELNS1_3gpuE2ELNS1_3repE0EEENS1_30default_config_static_selectorELNS0_4arch9wavefront6targetE1EEEvSY_.has_recursion, 0
	.set _ZN7rocprim17ROCPRIM_400000_NS6detail17trampoline_kernelINS0_14default_configENS1_29binary_search_config_selectorIxiEEZNS1_14transform_implILb0ES3_S5_N6thrust23THRUST_200600_302600_NS6detail15normal_iteratorINS8_7pointerIxNS8_11hip_rocprim5par_tENS8_11use_defaultESE_EEEENSA_INSB_IiSD_SE_SE_EEEEZNS1_13binary_searchIS3_S5_NSA_INS8_10device_ptrIxEEEESG_SI_NS1_16binary_search_opENS9_16wrapped_functionINS8_6system6detail7generic6detail18binary_search_lessEbEEEE10hipError_tPvRmT1_T2_T3_mmT4_T5_P12ihipStream_tbEUlRKxE_EESV_SZ_S10_mS11_S14_bEUlT_E_NS1_11comp_targetILNS1_3genE8ELNS1_11target_archE1030ELNS1_3gpuE2ELNS1_3repE0EEENS1_30default_config_static_selectorELNS0_4arch9wavefront6targetE1EEEvSY_.has_indirect_call, 0
	.section	.AMDGPU.csdata,"",@progbits
; Kernel info:
; codeLenInByte = 0
; TotalNumSgprs: 4
; NumVgprs: 0
; ScratchSize: 0
; MemoryBound: 0
; FloatMode: 240
; IeeeMode: 1
; LDSByteSize: 0 bytes/workgroup (compile time only)
; SGPRBlocks: 0
; VGPRBlocks: 0
; NumSGPRsForWavesPerEU: 4
; NumVGPRsForWavesPerEU: 1
; Occupancy: 10
; WaveLimiterHint : 0
; COMPUTE_PGM_RSRC2:SCRATCH_EN: 0
; COMPUTE_PGM_RSRC2:USER_SGPR: 6
; COMPUTE_PGM_RSRC2:TRAP_HANDLER: 0
; COMPUTE_PGM_RSRC2:TGID_X_EN: 1
; COMPUTE_PGM_RSRC2:TGID_Y_EN: 0
; COMPUTE_PGM_RSRC2:TGID_Z_EN: 0
; COMPUTE_PGM_RSRC2:TIDIG_COMP_CNT: 0
	.section	.text._ZN7rocprim17ROCPRIM_400000_NS6detail17trampoline_kernelINS0_14default_configENS1_29binary_search_config_selectorIiiEEZNS1_14transform_implILb0ES3_S5_N6thrust23THRUST_200600_302600_NS6detail15normal_iteratorINS8_7pointerIiNS8_11hip_rocprim12par_nosync_tENS8_11use_defaultESE_EEEESG_ZNS1_13binary_searchIS3_S5_NSA_INS8_10device_ptrIiEEEESG_SG_NS1_16binary_search_opENS9_16wrapped_functionINS8_6system6detail7generic6detail18binary_search_lessEbEEEE10hipError_tPvRmT1_T2_T3_mmT4_T5_P12ihipStream_tbEUlRKiE_EEST_SX_SY_mSZ_S12_bEUlT_E_NS1_11comp_targetILNS1_3genE0ELNS1_11target_archE4294967295ELNS1_3gpuE0ELNS1_3repE0EEENS1_30default_config_static_selectorELNS0_4arch9wavefront6targetE1EEEvSW_,"axG",@progbits,_ZN7rocprim17ROCPRIM_400000_NS6detail17trampoline_kernelINS0_14default_configENS1_29binary_search_config_selectorIiiEEZNS1_14transform_implILb0ES3_S5_N6thrust23THRUST_200600_302600_NS6detail15normal_iteratorINS8_7pointerIiNS8_11hip_rocprim12par_nosync_tENS8_11use_defaultESE_EEEESG_ZNS1_13binary_searchIS3_S5_NSA_INS8_10device_ptrIiEEEESG_SG_NS1_16binary_search_opENS9_16wrapped_functionINS8_6system6detail7generic6detail18binary_search_lessEbEEEE10hipError_tPvRmT1_T2_T3_mmT4_T5_P12ihipStream_tbEUlRKiE_EEST_SX_SY_mSZ_S12_bEUlT_E_NS1_11comp_targetILNS1_3genE0ELNS1_11target_archE4294967295ELNS1_3gpuE0ELNS1_3repE0EEENS1_30default_config_static_selectorELNS0_4arch9wavefront6targetE1EEEvSW_,comdat
	.protected	_ZN7rocprim17ROCPRIM_400000_NS6detail17trampoline_kernelINS0_14default_configENS1_29binary_search_config_selectorIiiEEZNS1_14transform_implILb0ES3_S5_N6thrust23THRUST_200600_302600_NS6detail15normal_iteratorINS8_7pointerIiNS8_11hip_rocprim12par_nosync_tENS8_11use_defaultESE_EEEESG_ZNS1_13binary_searchIS3_S5_NSA_INS8_10device_ptrIiEEEESG_SG_NS1_16binary_search_opENS9_16wrapped_functionINS8_6system6detail7generic6detail18binary_search_lessEbEEEE10hipError_tPvRmT1_T2_T3_mmT4_T5_P12ihipStream_tbEUlRKiE_EEST_SX_SY_mSZ_S12_bEUlT_E_NS1_11comp_targetILNS1_3genE0ELNS1_11target_archE4294967295ELNS1_3gpuE0ELNS1_3repE0EEENS1_30default_config_static_selectorELNS0_4arch9wavefront6targetE1EEEvSW_ ; -- Begin function _ZN7rocprim17ROCPRIM_400000_NS6detail17trampoline_kernelINS0_14default_configENS1_29binary_search_config_selectorIiiEEZNS1_14transform_implILb0ES3_S5_N6thrust23THRUST_200600_302600_NS6detail15normal_iteratorINS8_7pointerIiNS8_11hip_rocprim12par_nosync_tENS8_11use_defaultESE_EEEESG_ZNS1_13binary_searchIS3_S5_NSA_INS8_10device_ptrIiEEEESG_SG_NS1_16binary_search_opENS9_16wrapped_functionINS8_6system6detail7generic6detail18binary_search_lessEbEEEE10hipError_tPvRmT1_T2_T3_mmT4_T5_P12ihipStream_tbEUlRKiE_EEST_SX_SY_mSZ_S12_bEUlT_E_NS1_11comp_targetILNS1_3genE0ELNS1_11target_archE4294967295ELNS1_3gpuE0ELNS1_3repE0EEENS1_30default_config_static_selectorELNS0_4arch9wavefront6targetE1EEEvSW_
	.globl	_ZN7rocprim17ROCPRIM_400000_NS6detail17trampoline_kernelINS0_14default_configENS1_29binary_search_config_selectorIiiEEZNS1_14transform_implILb0ES3_S5_N6thrust23THRUST_200600_302600_NS6detail15normal_iteratorINS8_7pointerIiNS8_11hip_rocprim12par_nosync_tENS8_11use_defaultESE_EEEESG_ZNS1_13binary_searchIS3_S5_NSA_INS8_10device_ptrIiEEEESG_SG_NS1_16binary_search_opENS9_16wrapped_functionINS8_6system6detail7generic6detail18binary_search_lessEbEEEE10hipError_tPvRmT1_T2_T3_mmT4_T5_P12ihipStream_tbEUlRKiE_EEST_SX_SY_mSZ_S12_bEUlT_E_NS1_11comp_targetILNS1_3genE0ELNS1_11target_archE4294967295ELNS1_3gpuE0ELNS1_3repE0EEENS1_30default_config_static_selectorELNS0_4arch9wavefront6targetE1EEEvSW_
	.p2align	8
	.type	_ZN7rocprim17ROCPRIM_400000_NS6detail17trampoline_kernelINS0_14default_configENS1_29binary_search_config_selectorIiiEEZNS1_14transform_implILb0ES3_S5_N6thrust23THRUST_200600_302600_NS6detail15normal_iteratorINS8_7pointerIiNS8_11hip_rocprim12par_nosync_tENS8_11use_defaultESE_EEEESG_ZNS1_13binary_searchIS3_S5_NSA_INS8_10device_ptrIiEEEESG_SG_NS1_16binary_search_opENS9_16wrapped_functionINS8_6system6detail7generic6detail18binary_search_lessEbEEEE10hipError_tPvRmT1_T2_T3_mmT4_T5_P12ihipStream_tbEUlRKiE_EEST_SX_SY_mSZ_S12_bEUlT_E_NS1_11comp_targetILNS1_3genE0ELNS1_11target_archE4294967295ELNS1_3gpuE0ELNS1_3repE0EEENS1_30default_config_static_selectorELNS0_4arch9wavefront6targetE1EEEvSW_,@function
_ZN7rocprim17ROCPRIM_400000_NS6detail17trampoline_kernelINS0_14default_configENS1_29binary_search_config_selectorIiiEEZNS1_14transform_implILb0ES3_S5_N6thrust23THRUST_200600_302600_NS6detail15normal_iteratorINS8_7pointerIiNS8_11hip_rocprim12par_nosync_tENS8_11use_defaultESE_EEEESG_ZNS1_13binary_searchIS3_S5_NSA_INS8_10device_ptrIiEEEESG_SG_NS1_16binary_search_opENS9_16wrapped_functionINS8_6system6detail7generic6detail18binary_search_lessEbEEEE10hipError_tPvRmT1_T2_T3_mmT4_T5_P12ihipStream_tbEUlRKiE_EEST_SX_SY_mSZ_S12_bEUlT_E_NS1_11comp_targetILNS1_3genE0ELNS1_11target_archE4294967295ELNS1_3gpuE0ELNS1_3repE0EEENS1_30default_config_static_selectorELNS0_4arch9wavefront6targetE1EEEvSW_: ; @_ZN7rocprim17ROCPRIM_400000_NS6detail17trampoline_kernelINS0_14default_configENS1_29binary_search_config_selectorIiiEEZNS1_14transform_implILb0ES3_S5_N6thrust23THRUST_200600_302600_NS6detail15normal_iteratorINS8_7pointerIiNS8_11hip_rocprim12par_nosync_tENS8_11use_defaultESE_EEEESG_ZNS1_13binary_searchIS3_S5_NSA_INS8_10device_ptrIiEEEESG_SG_NS1_16binary_search_opENS9_16wrapped_functionINS8_6system6detail7generic6detail18binary_search_lessEbEEEE10hipError_tPvRmT1_T2_T3_mmT4_T5_P12ihipStream_tbEUlRKiE_EEST_SX_SY_mSZ_S12_bEUlT_E_NS1_11comp_targetILNS1_3genE0ELNS1_11target_archE4294967295ELNS1_3gpuE0ELNS1_3repE0EEENS1_30default_config_static_selectorELNS0_4arch9wavefront6targetE1EEEvSW_
; %bb.0:
	.section	.rodata,"a",@progbits
	.p2align	6, 0x0
	.amdhsa_kernel _ZN7rocprim17ROCPRIM_400000_NS6detail17trampoline_kernelINS0_14default_configENS1_29binary_search_config_selectorIiiEEZNS1_14transform_implILb0ES3_S5_N6thrust23THRUST_200600_302600_NS6detail15normal_iteratorINS8_7pointerIiNS8_11hip_rocprim12par_nosync_tENS8_11use_defaultESE_EEEESG_ZNS1_13binary_searchIS3_S5_NSA_INS8_10device_ptrIiEEEESG_SG_NS1_16binary_search_opENS9_16wrapped_functionINS8_6system6detail7generic6detail18binary_search_lessEbEEEE10hipError_tPvRmT1_T2_T3_mmT4_T5_P12ihipStream_tbEUlRKiE_EEST_SX_SY_mSZ_S12_bEUlT_E_NS1_11comp_targetILNS1_3genE0ELNS1_11target_archE4294967295ELNS1_3gpuE0ELNS1_3repE0EEENS1_30default_config_static_selectorELNS0_4arch9wavefront6targetE1EEEvSW_
		.amdhsa_group_segment_fixed_size 0
		.amdhsa_private_segment_fixed_size 0
		.amdhsa_kernarg_size 56
		.amdhsa_user_sgpr_count 6
		.amdhsa_user_sgpr_private_segment_buffer 1
		.amdhsa_user_sgpr_dispatch_ptr 0
		.amdhsa_user_sgpr_queue_ptr 0
		.amdhsa_user_sgpr_kernarg_segment_ptr 1
		.amdhsa_user_sgpr_dispatch_id 0
		.amdhsa_user_sgpr_flat_scratch_init 0
		.amdhsa_user_sgpr_private_segment_size 0
		.amdhsa_uses_dynamic_stack 0
		.amdhsa_system_sgpr_private_segment_wavefront_offset 0
		.amdhsa_system_sgpr_workgroup_id_x 1
		.amdhsa_system_sgpr_workgroup_id_y 0
		.amdhsa_system_sgpr_workgroup_id_z 0
		.amdhsa_system_sgpr_workgroup_info 0
		.amdhsa_system_vgpr_workitem_id 0
		.amdhsa_next_free_vgpr 1
		.amdhsa_next_free_sgpr 0
		.amdhsa_reserve_vcc 0
		.amdhsa_reserve_flat_scratch 0
		.amdhsa_float_round_mode_32 0
		.amdhsa_float_round_mode_16_64 0
		.amdhsa_float_denorm_mode_32 3
		.amdhsa_float_denorm_mode_16_64 3
		.amdhsa_dx10_clamp 1
		.amdhsa_ieee_mode 1
		.amdhsa_fp16_overflow 0
		.amdhsa_exception_fp_ieee_invalid_op 0
		.amdhsa_exception_fp_denorm_src 0
		.amdhsa_exception_fp_ieee_div_zero 0
		.amdhsa_exception_fp_ieee_overflow 0
		.amdhsa_exception_fp_ieee_underflow 0
		.amdhsa_exception_fp_ieee_inexact 0
		.amdhsa_exception_int_div_zero 0
	.end_amdhsa_kernel
	.section	.text._ZN7rocprim17ROCPRIM_400000_NS6detail17trampoline_kernelINS0_14default_configENS1_29binary_search_config_selectorIiiEEZNS1_14transform_implILb0ES3_S5_N6thrust23THRUST_200600_302600_NS6detail15normal_iteratorINS8_7pointerIiNS8_11hip_rocprim12par_nosync_tENS8_11use_defaultESE_EEEESG_ZNS1_13binary_searchIS3_S5_NSA_INS8_10device_ptrIiEEEESG_SG_NS1_16binary_search_opENS9_16wrapped_functionINS8_6system6detail7generic6detail18binary_search_lessEbEEEE10hipError_tPvRmT1_T2_T3_mmT4_T5_P12ihipStream_tbEUlRKiE_EEST_SX_SY_mSZ_S12_bEUlT_E_NS1_11comp_targetILNS1_3genE0ELNS1_11target_archE4294967295ELNS1_3gpuE0ELNS1_3repE0EEENS1_30default_config_static_selectorELNS0_4arch9wavefront6targetE1EEEvSW_,"axG",@progbits,_ZN7rocprim17ROCPRIM_400000_NS6detail17trampoline_kernelINS0_14default_configENS1_29binary_search_config_selectorIiiEEZNS1_14transform_implILb0ES3_S5_N6thrust23THRUST_200600_302600_NS6detail15normal_iteratorINS8_7pointerIiNS8_11hip_rocprim12par_nosync_tENS8_11use_defaultESE_EEEESG_ZNS1_13binary_searchIS3_S5_NSA_INS8_10device_ptrIiEEEESG_SG_NS1_16binary_search_opENS9_16wrapped_functionINS8_6system6detail7generic6detail18binary_search_lessEbEEEE10hipError_tPvRmT1_T2_T3_mmT4_T5_P12ihipStream_tbEUlRKiE_EEST_SX_SY_mSZ_S12_bEUlT_E_NS1_11comp_targetILNS1_3genE0ELNS1_11target_archE4294967295ELNS1_3gpuE0ELNS1_3repE0EEENS1_30default_config_static_selectorELNS0_4arch9wavefront6targetE1EEEvSW_,comdat
.Lfunc_end698:
	.size	_ZN7rocprim17ROCPRIM_400000_NS6detail17trampoline_kernelINS0_14default_configENS1_29binary_search_config_selectorIiiEEZNS1_14transform_implILb0ES3_S5_N6thrust23THRUST_200600_302600_NS6detail15normal_iteratorINS8_7pointerIiNS8_11hip_rocprim12par_nosync_tENS8_11use_defaultESE_EEEESG_ZNS1_13binary_searchIS3_S5_NSA_INS8_10device_ptrIiEEEESG_SG_NS1_16binary_search_opENS9_16wrapped_functionINS8_6system6detail7generic6detail18binary_search_lessEbEEEE10hipError_tPvRmT1_T2_T3_mmT4_T5_P12ihipStream_tbEUlRKiE_EEST_SX_SY_mSZ_S12_bEUlT_E_NS1_11comp_targetILNS1_3genE0ELNS1_11target_archE4294967295ELNS1_3gpuE0ELNS1_3repE0EEENS1_30default_config_static_selectorELNS0_4arch9wavefront6targetE1EEEvSW_, .Lfunc_end698-_ZN7rocprim17ROCPRIM_400000_NS6detail17trampoline_kernelINS0_14default_configENS1_29binary_search_config_selectorIiiEEZNS1_14transform_implILb0ES3_S5_N6thrust23THRUST_200600_302600_NS6detail15normal_iteratorINS8_7pointerIiNS8_11hip_rocprim12par_nosync_tENS8_11use_defaultESE_EEEESG_ZNS1_13binary_searchIS3_S5_NSA_INS8_10device_ptrIiEEEESG_SG_NS1_16binary_search_opENS9_16wrapped_functionINS8_6system6detail7generic6detail18binary_search_lessEbEEEE10hipError_tPvRmT1_T2_T3_mmT4_T5_P12ihipStream_tbEUlRKiE_EEST_SX_SY_mSZ_S12_bEUlT_E_NS1_11comp_targetILNS1_3genE0ELNS1_11target_archE4294967295ELNS1_3gpuE0ELNS1_3repE0EEENS1_30default_config_static_selectorELNS0_4arch9wavefront6targetE1EEEvSW_
                                        ; -- End function
	.set _ZN7rocprim17ROCPRIM_400000_NS6detail17trampoline_kernelINS0_14default_configENS1_29binary_search_config_selectorIiiEEZNS1_14transform_implILb0ES3_S5_N6thrust23THRUST_200600_302600_NS6detail15normal_iteratorINS8_7pointerIiNS8_11hip_rocprim12par_nosync_tENS8_11use_defaultESE_EEEESG_ZNS1_13binary_searchIS3_S5_NSA_INS8_10device_ptrIiEEEESG_SG_NS1_16binary_search_opENS9_16wrapped_functionINS8_6system6detail7generic6detail18binary_search_lessEbEEEE10hipError_tPvRmT1_T2_T3_mmT4_T5_P12ihipStream_tbEUlRKiE_EEST_SX_SY_mSZ_S12_bEUlT_E_NS1_11comp_targetILNS1_3genE0ELNS1_11target_archE4294967295ELNS1_3gpuE0ELNS1_3repE0EEENS1_30default_config_static_selectorELNS0_4arch9wavefront6targetE1EEEvSW_.num_vgpr, 0
	.set _ZN7rocprim17ROCPRIM_400000_NS6detail17trampoline_kernelINS0_14default_configENS1_29binary_search_config_selectorIiiEEZNS1_14transform_implILb0ES3_S5_N6thrust23THRUST_200600_302600_NS6detail15normal_iteratorINS8_7pointerIiNS8_11hip_rocprim12par_nosync_tENS8_11use_defaultESE_EEEESG_ZNS1_13binary_searchIS3_S5_NSA_INS8_10device_ptrIiEEEESG_SG_NS1_16binary_search_opENS9_16wrapped_functionINS8_6system6detail7generic6detail18binary_search_lessEbEEEE10hipError_tPvRmT1_T2_T3_mmT4_T5_P12ihipStream_tbEUlRKiE_EEST_SX_SY_mSZ_S12_bEUlT_E_NS1_11comp_targetILNS1_3genE0ELNS1_11target_archE4294967295ELNS1_3gpuE0ELNS1_3repE0EEENS1_30default_config_static_selectorELNS0_4arch9wavefront6targetE1EEEvSW_.num_agpr, 0
	.set _ZN7rocprim17ROCPRIM_400000_NS6detail17trampoline_kernelINS0_14default_configENS1_29binary_search_config_selectorIiiEEZNS1_14transform_implILb0ES3_S5_N6thrust23THRUST_200600_302600_NS6detail15normal_iteratorINS8_7pointerIiNS8_11hip_rocprim12par_nosync_tENS8_11use_defaultESE_EEEESG_ZNS1_13binary_searchIS3_S5_NSA_INS8_10device_ptrIiEEEESG_SG_NS1_16binary_search_opENS9_16wrapped_functionINS8_6system6detail7generic6detail18binary_search_lessEbEEEE10hipError_tPvRmT1_T2_T3_mmT4_T5_P12ihipStream_tbEUlRKiE_EEST_SX_SY_mSZ_S12_bEUlT_E_NS1_11comp_targetILNS1_3genE0ELNS1_11target_archE4294967295ELNS1_3gpuE0ELNS1_3repE0EEENS1_30default_config_static_selectorELNS0_4arch9wavefront6targetE1EEEvSW_.numbered_sgpr, 0
	.set _ZN7rocprim17ROCPRIM_400000_NS6detail17trampoline_kernelINS0_14default_configENS1_29binary_search_config_selectorIiiEEZNS1_14transform_implILb0ES3_S5_N6thrust23THRUST_200600_302600_NS6detail15normal_iteratorINS8_7pointerIiNS8_11hip_rocprim12par_nosync_tENS8_11use_defaultESE_EEEESG_ZNS1_13binary_searchIS3_S5_NSA_INS8_10device_ptrIiEEEESG_SG_NS1_16binary_search_opENS9_16wrapped_functionINS8_6system6detail7generic6detail18binary_search_lessEbEEEE10hipError_tPvRmT1_T2_T3_mmT4_T5_P12ihipStream_tbEUlRKiE_EEST_SX_SY_mSZ_S12_bEUlT_E_NS1_11comp_targetILNS1_3genE0ELNS1_11target_archE4294967295ELNS1_3gpuE0ELNS1_3repE0EEENS1_30default_config_static_selectorELNS0_4arch9wavefront6targetE1EEEvSW_.num_named_barrier, 0
	.set _ZN7rocprim17ROCPRIM_400000_NS6detail17trampoline_kernelINS0_14default_configENS1_29binary_search_config_selectorIiiEEZNS1_14transform_implILb0ES3_S5_N6thrust23THRUST_200600_302600_NS6detail15normal_iteratorINS8_7pointerIiNS8_11hip_rocprim12par_nosync_tENS8_11use_defaultESE_EEEESG_ZNS1_13binary_searchIS3_S5_NSA_INS8_10device_ptrIiEEEESG_SG_NS1_16binary_search_opENS9_16wrapped_functionINS8_6system6detail7generic6detail18binary_search_lessEbEEEE10hipError_tPvRmT1_T2_T3_mmT4_T5_P12ihipStream_tbEUlRKiE_EEST_SX_SY_mSZ_S12_bEUlT_E_NS1_11comp_targetILNS1_3genE0ELNS1_11target_archE4294967295ELNS1_3gpuE0ELNS1_3repE0EEENS1_30default_config_static_selectorELNS0_4arch9wavefront6targetE1EEEvSW_.private_seg_size, 0
	.set _ZN7rocprim17ROCPRIM_400000_NS6detail17trampoline_kernelINS0_14default_configENS1_29binary_search_config_selectorIiiEEZNS1_14transform_implILb0ES3_S5_N6thrust23THRUST_200600_302600_NS6detail15normal_iteratorINS8_7pointerIiNS8_11hip_rocprim12par_nosync_tENS8_11use_defaultESE_EEEESG_ZNS1_13binary_searchIS3_S5_NSA_INS8_10device_ptrIiEEEESG_SG_NS1_16binary_search_opENS9_16wrapped_functionINS8_6system6detail7generic6detail18binary_search_lessEbEEEE10hipError_tPvRmT1_T2_T3_mmT4_T5_P12ihipStream_tbEUlRKiE_EEST_SX_SY_mSZ_S12_bEUlT_E_NS1_11comp_targetILNS1_3genE0ELNS1_11target_archE4294967295ELNS1_3gpuE0ELNS1_3repE0EEENS1_30default_config_static_selectorELNS0_4arch9wavefront6targetE1EEEvSW_.uses_vcc, 0
	.set _ZN7rocprim17ROCPRIM_400000_NS6detail17trampoline_kernelINS0_14default_configENS1_29binary_search_config_selectorIiiEEZNS1_14transform_implILb0ES3_S5_N6thrust23THRUST_200600_302600_NS6detail15normal_iteratorINS8_7pointerIiNS8_11hip_rocprim12par_nosync_tENS8_11use_defaultESE_EEEESG_ZNS1_13binary_searchIS3_S5_NSA_INS8_10device_ptrIiEEEESG_SG_NS1_16binary_search_opENS9_16wrapped_functionINS8_6system6detail7generic6detail18binary_search_lessEbEEEE10hipError_tPvRmT1_T2_T3_mmT4_T5_P12ihipStream_tbEUlRKiE_EEST_SX_SY_mSZ_S12_bEUlT_E_NS1_11comp_targetILNS1_3genE0ELNS1_11target_archE4294967295ELNS1_3gpuE0ELNS1_3repE0EEENS1_30default_config_static_selectorELNS0_4arch9wavefront6targetE1EEEvSW_.uses_flat_scratch, 0
	.set _ZN7rocprim17ROCPRIM_400000_NS6detail17trampoline_kernelINS0_14default_configENS1_29binary_search_config_selectorIiiEEZNS1_14transform_implILb0ES3_S5_N6thrust23THRUST_200600_302600_NS6detail15normal_iteratorINS8_7pointerIiNS8_11hip_rocprim12par_nosync_tENS8_11use_defaultESE_EEEESG_ZNS1_13binary_searchIS3_S5_NSA_INS8_10device_ptrIiEEEESG_SG_NS1_16binary_search_opENS9_16wrapped_functionINS8_6system6detail7generic6detail18binary_search_lessEbEEEE10hipError_tPvRmT1_T2_T3_mmT4_T5_P12ihipStream_tbEUlRKiE_EEST_SX_SY_mSZ_S12_bEUlT_E_NS1_11comp_targetILNS1_3genE0ELNS1_11target_archE4294967295ELNS1_3gpuE0ELNS1_3repE0EEENS1_30default_config_static_selectorELNS0_4arch9wavefront6targetE1EEEvSW_.has_dyn_sized_stack, 0
	.set _ZN7rocprim17ROCPRIM_400000_NS6detail17trampoline_kernelINS0_14default_configENS1_29binary_search_config_selectorIiiEEZNS1_14transform_implILb0ES3_S5_N6thrust23THRUST_200600_302600_NS6detail15normal_iteratorINS8_7pointerIiNS8_11hip_rocprim12par_nosync_tENS8_11use_defaultESE_EEEESG_ZNS1_13binary_searchIS3_S5_NSA_INS8_10device_ptrIiEEEESG_SG_NS1_16binary_search_opENS9_16wrapped_functionINS8_6system6detail7generic6detail18binary_search_lessEbEEEE10hipError_tPvRmT1_T2_T3_mmT4_T5_P12ihipStream_tbEUlRKiE_EEST_SX_SY_mSZ_S12_bEUlT_E_NS1_11comp_targetILNS1_3genE0ELNS1_11target_archE4294967295ELNS1_3gpuE0ELNS1_3repE0EEENS1_30default_config_static_selectorELNS0_4arch9wavefront6targetE1EEEvSW_.has_recursion, 0
	.set _ZN7rocprim17ROCPRIM_400000_NS6detail17trampoline_kernelINS0_14default_configENS1_29binary_search_config_selectorIiiEEZNS1_14transform_implILb0ES3_S5_N6thrust23THRUST_200600_302600_NS6detail15normal_iteratorINS8_7pointerIiNS8_11hip_rocprim12par_nosync_tENS8_11use_defaultESE_EEEESG_ZNS1_13binary_searchIS3_S5_NSA_INS8_10device_ptrIiEEEESG_SG_NS1_16binary_search_opENS9_16wrapped_functionINS8_6system6detail7generic6detail18binary_search_lessEbEEEE10hipError_tPvRmT1_T2_T3_mmT4_T5_P12ihipStream_tbEUlRKiE_EEST_SX_SY_mSZ_S12_bEUlT_E_NS1_11comp_targetILNS1_3genE0ELNS1_11target_archE4294967295ELNS1_3gpuE0ELNS1_3repE0EEENS1_30default_config_static_selectorELNS0_4arch9wavefront6targetE1EEEvSW_.has_indirect_call, 0
	.section	.AMDGPU.csdata,"",@progbits
; Kernel info:
; codeLenInByte = 0
; TotalNumSgprs: 4
; NumVgprs: 0
; ScratchSize: 0
; MemoryBound: 0
; FloatMode: 240
; IeeeMode: 1
; LDSByteSize: 0 bytes/workgroup (compile time only)
; SGPRBlocks: 0
; VGPRBlocks: 0
; NumSGPRsForWavesPerEU: 4
; NumVGPRsForWavesPerEU: 1
; Occupancy: 10
; WaveLimiterHint : 0
; COMPUTE_PGM_RSRC2:SCRATCH_EN: 0
; COMPUTE_PGM_RSRC2:USER_SGPR: 6
; COMPUTE_PGM_RSRC2:TRAP_HANDLER: 0
; COMPUTE_PGM_RSRC2:TGID_X_EN: 1
; COMPUTE_PGM_RSRC2:TGID_Y_EN: 0
; COMPUTE_PGM_RSRC2:TGID_Z_EN: 0
; COMPUTE_PGM_RSRC2:TIDIG_COMP_CNT: 0
	.section	.text._ZN7rocprim17ROCPRIM_400000_NS6detail17trampoline_kernelINS0_14default_configENS1_29binary_search_config_selectorIiiEEZNS1_14transform_implILb0ES3_S5_N6thrust23THRUST_200600_302600_NS6detail15normal_iteratorINS8_7pointerIiNS8_11hip_rocprim12par_nosync_tENS8_11use_defaultESE_EEEESG_ZNS1_13binary_searchIS3_S5_NSA_INS8_10device_ptrIiEEEESG_SG_NS1_16binary_search_opENS9_16wrapped_functionINS8_6system6detail7generic6detail18binary_search_lessEbEEEE10hipError_tPvRmT1_T2_T3_mmT4_T5_P12ihipStream_tbEUlRKiE_EEST_SX_SY_mSZ_S12_bEUlT_E_NS1_11comp_targetILNS1_3genE5ELNS1_11target_archE942ELNS1_3gpuE9ELNS1_3repE0EEENS1_30default_config_static_selectorELNS0_4arch9wavefront6targetE1EEEvSW_,"axG",@progbits,_ZN7rocprim17ROCPRIM_400000_NS6detail17trampoline_kernelINS0_14default_configENS1_29binary_search_config_selectorIiiEEZNS1_14transform_implILb0ES3_S5_N6thrust23THRUST_200600_302600_NS6detail15normal_iteratorINS8_7pointerIiNS8_11hip_rocprim12par_nosync_tENS8_11use_defaultESE_EEEESG_ZNS1_13binary_searchIS3_S5_NSA_INS8_10device_ptrIiEEEESG_SG_NS1_16binary_search_opENS9_16wrapped_functionINS8_6system6detail7generic6detail18binary_search_lessEbEEEE10hipError_tPvRmT1_T2_T3_mmT4_T5_P12ihipStream_tbEUlRKiE_EEST_SX_SY_mSZ_S12_bEUlT_E_NS1_11comp_targetILNS1_3genE5ELNS1_11target_archE942ELNS1_3gpuE9ELNS1_3repE0EEENS1_30default_config_static_selectorELNS0_4arch9wavefront6targetE1EEEvSW_,comdat
	.protected	_ZN7rocprim17ROCPRIM_400000_NS6detail17trampoline_kernelINS0_14default_configENS1_29binary_search_config_selectorIiiEEZNS1_14transform_implILb0ES3_S5_N6thrust23THRUST_200600_302600_NS6detail15normal_iteratorINS8_7pointerIiNS8_11hip_rocprim12par_nosync_tENS8_11use_defaultESE_EEEESG_ZNS1_13binary_searchIS3_S5_NSA_INS8_10device_ptrIiEEEESG_SG_NS1_16binary_search_opENS9_16wrapped_functionINS8_6system6detail7generic6detail18binary_search_lessEbEEEE10hipError_tPvRmT1_T2_T3_mmT4_T5_P12ihipStream_tbEUlRKiE_EEST_SX_SY_mSZ_S12_bEUlT_E_NS1_11comp_targetILNS1_3genE5ELNS1_11target_archE942ELNS1_3gpuE9ELNS1_3repE0EEENS1_30default_config_static_selectorELNS0_4arch9wavefront6targetE1EEEvSW_ ; -- Begin function _ZN7rocprim17ROCPRIM_400000_NS6detail17trampoline_kernelINS0_14default_configENS1_29binary_search_config_selectorIiiEEZNS1_14transform_implILb0ES3_S5_N6thrust23THRUST_200600_302600_NS6detail15normal_iteratorINS8_7pointerIiNS8_11hip_rocprim12par_nosync_tENS8_11use_defaultESE_EEEESG_ZNS1_13binary_searchIS3_S5_NSA_INS8_10device_ptrIiEEEESG_SG_NS1_16binary_search_opENS9_16wrapped_functionINS8_6system6detail7generic6detail18binary_search_lessEbEEEE10hipError_tPvRmT1_T2_T3_mmT4_T5_P12ihipStream_tbEUlRKiE_EEST_SX_SY_mSZ_S12_bEUlT_E_NS1_11comp_targetILNS1_3genE5ELNS1_11target_archE942ELNS1_3gpuE9ELNS1_3repE0EEENS1_30default_config_static_selectorELNS0_4arch9wavefront6targetE1EEEvSW_
	.globl	_ZN7rocprim17ROCPRIM_400000_NS6detail17trampoline_kernelINS0_14default_configENS1_29binary_search_config_selectorIiiEEZNS1_14transform_implILb0ES3_S5_N6thrust23THRUST_200600_302600_NS6detail15normal_iteratorINS8_7pointerIiNS8_11hip_rocprim12par_nosync_tENS8_11use_defaultESE_EEEESG_ZNS1_13binary_searchIS3_S5_NSA_INS8_10device_ptrIiEEEESG_SG_NS1_16binary_search_opENS9_16wrapped_functionINS8_6system6detail7generic6detail18binary_search_lessEbEEEE10hipError_tPvRmT1_T2_T3_mmT4_T5_P12ihipStream_tbEUlRKiE_EEST_SX_SY_mSZ_S12_bEUlT_E_NS1_11comp_targetILNS1_3genE5ELNS1_11target_archE942ELNS1_3gpuE9ELNS1_3repE0EEENS1_30default_config_static_selectorELNS0_4arch9wavefront6targetE1EEEvSW_
	.p2align	8
	.type	_ZN7rocprim17ROCPRIM_400000_NS6detail17trampoline_kernelINS0_14default_configENS1_29binary_search_config_selectorIiiEEZNS1_14transform_implILb0ES3_S5_N6thrust23THRUST_200600_302600_NS6detail15normal_iteratorINS8_7pointerIiNS8_11hip_rocprim12par_nosync_tENS8_11use_defaultESE_EEEESG_ZNS1_13binary_searchIS3_S5_NSA_INS8_10device_ptrIiEEEESG_SG_NS1_16binary_search_opENS9_16wrapped_functionINS8_6system6detail7generic6detail18binary_search_lessEbEEEE10hipError_tPvRmT1_T2_T3_mmT4_T5_P12ihipStream_tbEUlRKiE_EEST_SX_SY_mSZ_S12_bEUlT_E_NS1_11comp_targetILNS1_3genE5ELNS1_11target_archE942ELNS1_3gpuE9ELNS1_3repE0EEENS1_30default_config_static_selectorELNS0_4arch9wavefront6targetE1EEEvSW_,@function
_ZN7rocprim17ROCPRIM_400000_NS6detail17trampoline_kernelINS0_14default_configENS1_29binary_search_config_selectorIiiEEZNS1_14transform_implILb0ES3_S5_N6thrust23THRUST_200600_302600_NS6detail15normal_iteratorINS8_7pointerIiNS8_11hip_rocprim12par_nosync_tENS8_11use_defaultESE_EEEESG_ZNS1_13binary_searchIS3_S5_NSA_INS8_10device_ptrIiEEEESG_SG_NS1_16binary_search_opENS9_16wrapped_functionINS8_6system6detail7generic6detail18binary_search_lessEbEEEE10hipError_tPvRmT1_T2_T3_mmT4_T5_P12ihipStream_tbEUlRKiE_EEST_SX_SY_mSZ_S12_bEUlT_E_NS1_11comp_targetILNS1_3genE5ELNS1_11target_archE942ELNS1_3gpuE9ELNS1_3repE0EEENS1_30default_config_static_selectorELNS0_4arch9wavefront6targetE1EEEvSW_: ; @_ZN7rocprim17ROCPRIM_400000_NS6detail17trampoline_kernelINS0_14default_configENS1_29binary_search_config_selectorIiiEEZNS1_14transform_implILb0ES3_S5_N6thrust23THRUST_200600_302600_NS6detail15normal_iteratorINS8_7pointerIiNS8_11hip_rocprim12par_nosync_tENS8_11use_defaultESE_EEEESG_ZNS1_13binary_searchIS3_S5_NSA_INS8_10device_ptrIiEEEESG_SG_NS1_16binary_search_opENS9_16wrapped_functionINS8_6system6detail7generic6detail18binary_search_lessEbEEEE10hipError_tPvRmT1_T2_T3_mmT4_T5_P12ihipStream_tbEUlRKiE_EEST_SX_SY_mSZ_S12_bEUlT_E_NS1_11comp_targetILNS1_3genE5ELNS1_11target_archE942ELNS1_3gpuE9ELNS1_3repE0EEENS1_30default_config_static_selectorELNS0_4arch9wavefront6targetE1EEEvSW_
; %bb.0:
	.section	.rodata,"a",@progbits
	.p2align	6, 0x0
	.amdhsa_kernel _ZN7rocprim17ROCPRIM_400000_NS6detail17trampoline_kernelINS0_14default_configENS1_29binary_search_config_selectorIiiEEZNS1_14transform_implILb0ES3_S5_N6thrust23THRUST_200600_302600_NS6detail15normal_iteratorINS8_7pointerIiNS8_11hip_rocprim12par_nosync_tENS8_11use_defaultESE_EEEESG_ZNS1_13binary_searchIS3_S5_NSA_INS8_10device_ptrIiEEEESG_SG_NS1_16binary_search_opENS9_16wrapped_functionINS8_6system6detail7generic6detail18binary_search_lessEbEEEE10hipError_tPvRmT1_T2_T3_mmT4_T5_P12ihipStream_tbEUlRKiE_EEST_SX_SY_mSZ_S12_bEUlT_E_NS1_11comp_targetILNS1_3genE5ELNS1_11target_archE942ELNS1_3gpuE9ELNS1_3repE0EEENS1_30default_config_static_selectorELNS0_4arch9wavefront6targetE1EEEvSW_
		.amdhsa_group_segment_fixed_size 0
		.amdhsa_private_segment_fixed_size 0
		.amdhsa_kernarg_size 56
		.amdhsa_user_sgpr_count 6
		.amdhsa_user_sgpr_private_segment_buffer 1
		.amdhsa_user_sgpr_dispatch_ptr 0
		.amdhsa_user_sgpr_queue_ptr 0
		.amdhsa_user_sgpr_kernarg_segment_ptr 1
		.amdhsa_user_sgpr_dispatch_id 0
		.amdhsa_user_sgpr_flat_scratch_init 0
		.amdhsa_user_sgpr_private_segment_size 0
		.amdhsa_uses_dynamic_stack 0
		.amdhsa_system_sgpr_private_segment_wavefront_offset 0
		.amdhsa_system_sgpr_workgroup_id_x 1
		.amdhsa_system_sgpr_workgroup_id_y 0
		.amdhsa_system_sgpr_workgroup_id_z 0
		.amdhsa_system_sgpr_workgroup_info 0
		.amdhsa_system_vgpr_workitem_id 0
		.amdhsa_next_free_vgpr 1
		.amdhsa_next_free_sgpr 0
		.amdhsa_reserve_vcc 0
		.amdhsa_reserve_flat_scratch 0
		.amdhsa_float_round_mode_32 0
		.amdhsa_float_round_mode_16_64 0
		.amdhsa_float_denorm_mode_32 3
		.amdhsa_float_denorm_mode_16_64 3
		.amdhsa_dx10_clamp 1
		.amdhsa_ieee_mode 1
		.amdhsa_fp16_overflow 0
		.amdhsa_exception_fp_ieee_invalid_op 0
		.amdhsa_exception_fp_denorm_src 0
		.amdhsa_exception_fp_ieee_div_zero 0
		.amdhsa_exception_fp_ieee_overflow 0
		.amdhsa_exception_fp_ieee_underflow 0
		.amdhsa_exception_fp_ieee_inexact 0
		.amdhsa_exception_int_div_zero 0
	.end_amdhsa_kernel
	.section	.text._ZN7rocprim17ROCPRIM_400000_NS6detail17trampoline_kernelINS0_14default_configENS1_29binary_search_config_selectorIiiEEZNS1_14transform_implILb0ES3_S5_N6thrust23THRUST_200600_302600_NS6detail15normal_iteratorINS8_7pointerIiNS8_11hip_rocprim12par_nosync_tENS8_11use_defaultESE_EEEESG_ZNS1_13binary_searchIS3_S5_NSA_INS8_10device_ptrIiEEEESG_SG_NS1_16binary_search_opENS9_16wrapped_functionINS8_6system6detail7generic6detail18binary_search_lessEbEEEE10hipError_tPvRmT1_T2_T3_mmT4_T5_P12ihipStream_tbEUlRKiE_EEST_SX_SY_mSZ_S12_bEUlT_E_NS1_11comp_targetILNS1_3genE5ELNS1_11target_archE942ELNS1_3gpuE9ELNS1_3repE0EEENS1_30default_config_static_selectorELNS0_4arch9wavefront6targetE1EEEvSW_,"axG",@progbits,_ZN7rocprim17ROCPRIM_400000_NS6detail17trampoline_kernelINS0_14default_configENS1_29binary_search_config_selectorIiiEEZNS1_14transform_implILb0ES3_S5_N6thrust23THRUST_200600_302600_NS6detail15normal_iteratorINS8_7pointerIiNS8_11hip_rocprim12par_nosync_tENS8_11use_defaultESE_EEEESG_ZNS1_13binary_searchIS3_S5_NSA_INS8_10device_ptrIiEEEESG_SG_NS1_16binary_search_opENS9_16wrapped_functionINS8_6system6detail7generic6detail18binary_search_lessEbEEEE10hipError_tPvRmT1_T2_T3_mmT4_T5_P12ihipStream_tbEUlRKiE_EEST_SX_SY_mSZ_S12_bEUlT_E_NS1_11comp_targetILNS1_3genE5ELNS1_11target_archE942ELNS1_3gpuE9ELNS1_3repE0EEENS1_30default_config_static_selectorELNS0_4arch9wavefront6targetE1EEEvSW_,comdat
.Lfunc_end699:
	.size	_ZN7rocprim17ROCPRIM_400000_NS6detail17trampoline_kernelINS0_14default_configENS1_29binary_search_config_selectorIiiEEZNS1_14transform_implILb0ES3_S5_N6thrust23THRUST_200600_302600_NS6detail15normal_iteratorINS8_7pointerIiNS8_11hip_rocprim12par_nosync_tENS8_11use_defaultESE_EEEESG_ZNS1_13binary_searchIS3_S5_NSA_INS8_10device_ptrIiEEEESG_SG_NS1_16binary_search_opENS9_16wrapped_functionINS8_6system6detail7generic6detail18binary_search_lessEbEEEE10hipError_tPvRmT1_T2_T3_mmT4_T5_P12ihipStream_tbEUlRKiE_EEST_SX_SY_mSZ_S12_bEUlT_E_NS1_11comp_targetILNS1_3genE5ELNS1_11target_archE942ELNS1_3gpuE9ELNS1_3repE0EEENS1_30default_config_static_selectorELNS0_4arch9wavefront6targetE1EEEvSW_, .Lfunc_end699-_ZN7rocprim17ROCPRIM_400000_NS6detail17trampoline_kernelINS0_14default_configENS1_29binary_search_config_selectorIiiEEZNS1_14transform_implILb0ES3_S5_N6thrust23THRUST_200600_302600_NS6detail15normal_iteratorINS8_7pointerIiNS8_11hip_rocprim12par_nosync_tENS8_11use_defaultESE_EEEESG_ZNS1_13binary_searchIS3_S5_NSA_INS8_10device_ptrIiEEEESG_SG_NS1_16binary_search_opENS9_16wrapped_functionINS8_6system6detail7generic6detail18binary_search_lessEbEEEE10hipError_tPvRmT1_T2_T3_mmT4_T5_P12ihipStream_tbEUlRKiE_EEST_SX_SY_mSZ_S12_bEUlT_E_NS1_11comp_targetILNS1_3genE5ELNS1_11target_archE942ELNS1_3gpuE9ELNS1_3repE0EEENS1_30default_config_static_selectorELNS0_4arch9wavefront6targetE1EEEvSW_
                                        ; -- End function
	.set _ZN7rocprim17ROCPRIM_400000_NS6detail17trampoline_kernelINS0_14default_configENS1_29binary_search_config_selectorIiiEEZNS1_14transform_implILb0ES3_S5_N6thrust23THRUST_200600_302600_NS6detail15normal_iteratorINS8_7pointerIiNS8_11hip_rocprim12par_nosync_tENS8_11use_defaultESE_EEEESG_ZNS1_13binary_searchIS3_S5_NSA_INS8_10device_ptrIiEEEESG_SG_NS1_16binary_search_opENS9_16wrapped_functionINS8_6system6detail7generic6detail18binary_search_lessEbEEEE10hipError_tPvRmT1_T2_T3_mmT4_T5_P12ihipStream_tbEUlRKiE_EEST_SX_SY_mSZ_S12_bEUlT_E_NS1_11comp_targetILNS1_3genE5ELNS1_11target_archE942ELNS1_3gpuE9ELNS1_3repE0EEENS1_30default_config_static_selectorELNS0_4arch9wavefront6targetE1EEEvSW_.num_vgpr, 0
	.set _ZN7rocprim17ROCPRIM_400000_NS6detail17trampoline_kernelINS0_14default_configENS1_29binary_search_config_selectorIiiEEZNS1_14transform_implILb0ES3_S5_N6thrust23THRUST_200600_302600_NS6detail15normal_iteratorINS8_7pointerIiNS8_11hip_rocprim12par_nosync_tENS8_11use_defaultESE_EEEESG_ZNS1_13binary_searchIS3_S5_NSA_INS8_10device_ptrIiEEEESG_SG_NS1_16binary_search_opENS9_16wrapped_functionINS8_6system6detail7generic6detail18binary_search_lessEbEEEE10hipError_tPvRmT1_T2_T3_mmT4_T5_P12ihipStream_tbEUlRKiE_EEST_SX_SY_mSZ_S12_bEUlT_E_NS1_11comp_targetILNS1_3genE5ELNS1_11target_archE942ELNS1_3gpuE9ELNS1_3repE0EEENS1_30default_config_static_selectorELNS0_4arch9wavefront6targetE1EEEvSW_.num_agpr, 0
	.set _ZN7rocprim17ROCPRIM_400000_NS6detail17trampoline_kernelINS0_14default_configENS1_29binary_search_config_selectorIiiEEZNS1_14transform_implILb0ES3_S5_N6thrust23THRUST_200600_302600_NS6detail15normal_iteratorINS8_7pointerIiNS8_11hip_rocprim12par_nosync_tENS8_11use_defaultESE_EEEESG_ZNS1_13binary_searchIS3_S5_NSA_INS8_10device_ptrIiEEEESG_SG_NS1_16binary_search_opENS9_16wrapped_functionINS8_6system6detail7generic6detail18binary_search_lessEbEEEE10hipError_tPvRmT1_T2_T3_mmT4_T5_P12ihipStream_tbEUlRKiE_EEST_SX_SY_mSZ_S12_bEUlT_E_NS1_11comp_targetILNS1_3genE5ELNS1_11target_archE942ELNS1_3gpuE9ELNS1_3repE0EEENS1_30default_config_static_selectorELNS0_4arch9wavefront6targetE1EEEvSW_.numbered_sgpr, 0
	.set _ZN7rocprim17ROCPRIM_400000_NS6detail17trampoline_kernelINS0_14default_configENS1_29binary_search_config_selectorIiiEEZNS1_14transform_implILb0ES3_S5_N6thrust23THRUST_200600_302600_NS6detail15normal_iteratorINS8_7pointerIiNS8_11hip_rocprim12par_nosync_tENS8_11use_defaultESE_EEEESG_ZNS1_13binary_searchIS3_S5_NSA_INS8_10device_ptrIiEEEESG_SG_NS1_16binary_search_opENS9_16wrapped_functionINS8_6system6detail7generic6detail18binary_search_lessEbEEEE10hipError_tPvRmT1_T2_T3_mmT4_T5_P12ihipStream_tbEUlRKiE_EEST_SX_SY_mSZ_S12_bEUlT_E_NS1_11comp_targetILNS1_3genE5ELNS1_11target_archE942ELNS1_3gpuE9ELNS1_3repE0EEENS1_30default_config_static_selectorELNS0_4arch9wavefront6targetE1EEEvSW_.num_named_barrier, 0
	.set _ZN7rocprim17ROCPRIM_400000_NS6detail17trampoline_kernelINS0_14default_configENS1_29binary_search_config_selectorIiiEEZNS1_14transform_implILb0ES3_S5_N6thrust23THRUST_200600_302600_NS6detail15normal_iteratorINS8_7pointerIiNS8_11hip_rocprim12par_nosync_tENS8_11use_defaultESE_EEEESG_ZNS1_13binary_searchIS3_S5_NSA_INS8_10device_ptrIiEEEESG_SG_NS1_16binary_search_opENS9_16wrapped_functionINS8_6system6detail7generic6detail18binary_search_lessEbEEEE10hipError_tPvRmT1_T2_T3_mmT4_T5_P12ihipStream_tbEUlRKiE_EEST_SX_SY_mSZ_S12_bEUlT_E_NS1_11comp_targetILNS1_3genE5ELNS1_11target_archE942ELNS1_3gpuE9ELNS1_3repE0EEENS1_30default_config_static_selectorELNS0_4arch9wavefront6targetE1EEEvSW_.private_seg_size, 0
	.set _ZN7rocprim17ROCPRIM_400000_NS6detail17trampoline_kernelINS0_14default_configENS1_29binary_search_config_selectorIiiEEZNS1_14transform_implILb0ES3_S5_N6thrust23THRUST_200600_302600_NS6detail15normal_iteratorINS8_7pointerIiNS8_11hip_rocprim12par_nosync_tENS8_11use_defaultESE_EEEESG_ZNS1_13binary_searchIS3_S5_NSA_INS8_10device_ptrIiEEEESG_SG_NS1_16binary_search_opENS9_16wrapped_functionINS8_6system6detail7generic6detail18binary_search_lessEbEEEE10hipError_tPvRmT1_T2_T3_mmT4_T5_P12ihipStream_tbEUlRKiE_EEST_SX_SY_mSZ_S12_bEUlT_E_NS1_11comp_targetILNS1_3genE5ELNS1_11target_archE942ELNS1_3gpuE9ELNS1_3repE0EEENS1_30default_config_static_selectorELNS0_4arch9wavefront6targetE1EEEvSW_.uses_vcc, 0
	.set _ZN7rocprim17ROCPRIM_400000_NS6detail17trampoline_kernelINS0_14default_configENS1_29binary_search_config_selectorIiiEEZNS1_14transform_implILb0ES3_S5_N6thrust23THRUST_200600_302600_NS6detail15normal_iteratorINS8_7pointerIiNS8_11hip_rocprim12par_nosync_tENS8_11use_defaultESE_EEEESG_ZNS1_13binary_searchIS3_S5_NSA_INS8_10device_ptrIiEEEESG_SG_NS1_16binary_search_opENS9_16wrapped_functionINS8_6system6detail7generic6detail18binary_search_lessEbEEEE10hipError_tPvRmT1_T2_T3_mmT4_T5_P12ihipStream_tbEUlRKiE_EEST_SX_SY_mSZ_S12_bEUlT_E_NS1_11comp_targetILNS1_3genE5ELNS1_11target_archE942ELNS1_3gpuE9ELNS1_3repE0EEENS1_30default_config_static_selectorELNS0_4arch9wavefront6targetE1EEEvSW_.uses_flat_scratch, 0
	.set _ZN7rocprim17ROCPRIM_400000_NS6detail17trampoline_kernelINS0_14default_configENS1_29binary_search_config_selectorIiiEEZNS1_14transform_implILb0ES3_S5_N6thrust23THRUST_200600_302600_NS6detail15normal_iteratorINS8_7pointerIiNS8_11hip_rocprim12par_nosync_tENS8_11use_defaultESE_EEEESG_ZNS1_13binary_searchIS3_S5_NSA_INS8_10device_ptrIiEEEESG_SG_NS1_16binary_search_opENS9_16wrapped_functionINS8_6system6detail7generic6detail18binary_search_lessEbEEEE10hipError_tPvRmT1_T2_T3_mmT4_T5_P12ihipStream_tbEUlRKiE_EEST_SX_SY_mSZ_S12_bEUlT_E_NS1_11comp_targetILNS1_3genE5ELNS1_11target_archE942ELNS1_3gpuE9ELNS1_3repE0EEENS1_30default_config_static_selectorELNS0_4arch9wavefront6targetE1EEEvSW_.has_dyn_sized_stack, 0
	.set _ZN7rocprim17ROCPRIM_400000_NS6detail17trampoline_kernelINS0_14default_configENS1_29binary_search_config_selectorIiiEEZNS1_14transform_implILb0ES3_S5_N6thrust23THRUST_200600_302600_NS6detail15normal_iteratorINS8_7pointerIiNS8_11hip_rocprim12par_nosync_tENS8_11use_defaultESE_EEEESG_ZNS1_13binary_searchIS3_S5_NSA_INS8_10device_ptrIiEEEESG_SG_NS1_16binary_search_opENS9_16wrapped_functionINS8_6system6detail7generic6detail18binary_search_lessEbEEEE10hipError_tPvRmT1_T2_T3_mmT4_T5_P12ihipStream_tbEUlRKiE_EEST_SX_SY_mSZ_S12_bEUlT_E_NS1_11comp_targetILNS1_3genE5ELNS1_11target_archE942ELNS1_3gpuE9ELNS1_3repE0EEENS1_30default_config_static_selectorELNS0_4arch9wavefront6targetE1EEEvSW_.has_recursion, 0
	.set _ZN7rocprim17ROCPRIM_400000_NS6detail17trampoline_kernelINS0_14default_configENS1_29binary_search_config_selectorIiiEEZNS1_14transform_implILb0ES3_S5_N6thrust23THRUST_200600_302600_NS6detail15normal_iteratorINS8_7pointerIiNS8_11hip_rocprim12par_nosync_tENS8_11use_defaultESE_EEEESG_ZNS1_13binary_searchIS3_S5_NSA_INS8_10device_ptrIiEEEESG_SG_NS1_16binary_search_opENS9_16wrapped_functionINS8_6system6detail7generic6detail18binary_search_lessEbEEEE10hipError_tPvRmT1_T2_T3_mmT4_T5_P12ihipStream_tbEUlRKiE_EEST_SX_SY_mSZ_S12_bEUlT_E_NS1_11comp_targetILNS1_3genE5ELNS1_11target_archE942ELNS1_3gpuE9ELNS1_3repE0EEENS1_30default_config_static_selectorELNS0_4arch9wavefront6targetE1EEEvSW_.has_indirect_call, 0
	.section	.AMDGPU.csdata,"",@progbits
; Kernel info:
; codeLenInByte = 0
; TotalNumSgprs: 4
; NumVgprs: 0
; ScratchSize: 0
; MemoryBound: 0
; FloatMode: 240
; IeeeMode: 1
; LDSByteSize: 0 bytes/workgroup (compile time only)
; SGPRBlocks: 0
; VGPRBlocks: 0
; NumSGPRsForWavesPerEU: 4
; NumVGPRsForWavesPerEU: 1
; Occupancy: 10
; WaveLimiterHint : 0
; COMPUTE_PGM_RSRC2:SCRATCH_EN: 0
; COMPUTE_PGM_RSRC2:USER_SGPR: 6
; COMPUTE_PGM_RSRC2:TRAP_HANDLER: 0
; COMPUTE_PGM_RSRC2:TGID_X_EN: 1
; COMPUTE_PGM_RSRC2:TGID_Y_EN: 0
; COMPUTE_PGM_RSRC2:TGID_Z_EN: 0
; COMPUTE_PGM_RSRC2:TIDIG_COMP_CNT: 0
	.section	.text._ZN7rocprim17ROCPRIM_400000_NS6detail17trampoline_kernelINS0_14default_configENS1_29binary_search_config_selectorIiiEEZNS1_14transform_implILb0ES3_S5_N6thrust23THRUST_200600_302600_NS6detail15normal_iteratorINS8_7pointerIiNS8_11hip_rocprim12par_nosync_tENS8_11use_defaultESE_EEEESG_ZNS1_13binary_searchIS3_S5_NSA_INS8_10device_ptrIiEEEESG_SG_NS1_16binary_search_opENS9_16wrapped_functionINS8_6system6detail7generic6detail18binary_search_lessEbEEEE10hipError_tPvRmT1_T2_T3_mmT4_T5_P12ihipStream_tbEUlRKiE_EEST_SX_SY_mSZ_S12_bEUlT_E_NS1_11comp_targetILNS1_3genE4ELNS1_11target_archE910ELNS1_3gpuE8ELNS1_3repE0EEENS1_30default_config_static_selectorELNS0_4arch9wavefront6targetE1EEEvSW_,"axG",@progbits,_ZN7rocprim17ROCPRIM_400000_NS6detail17trampoline_kernelINS0_14default_configENS1_29binary_search_config_selectorIiiEEZNS1_14transform_implILb0ES3_S5_N6thrust23THRUST_200600_302600_NS6detail15normal_iteratorINS8_7pointerIiNS8_11hip_rocprim12par_nosync_tENS8_11use_defaultESE_EEEESG_ZNS1_13binary_searchIS3_S5_NSA_INS8_10device_ptrIiEEEESG_SG_NS1_16binary_search_opENS9_16wrapped_functionINS8_6system6detail7generic6detail18binary_search_lessEbEEEE10hipError_tPvRmT1_T2_T3_mmT4_T5_P12ihipStream_tbEUlRKiE_EEST_SX_SY_mSZ_S12_bEUlT_E_NS1_11comp_targetILNS1_3genE4ELNS1_11target_archE910ELNS1_3gpuE8ELNS1_3repE0EEENS1_30default_config_static_selectorELNS0_4arch9wavefront6targetE1EEEvSW_,comdat
	.protected	_ZN7rocprim17ROCPRIM_400000_NS6detail17trampoline_kernelINS0_14default_configENS1_29binary_search_config_selectorIiiEEZNS1_14transform_implILb0ES3_S5_N6thrust23THRUST_200600_302600_NS6detail15normal_iteratorINS8_7pointerIiNS8_11hip_rocprim12par_nosync_tENS8_11use_defaultESE_EEEESG_ZNS1_13binary_searchIS3_S5_NSA_INS8_10device_ptrIiEEEESG_SG_NS1_16binary_search_opENS9_16wrapped_functionINS8_6system6detail7generic6detail18binary_search_lessEbEEEE10hipError_tPvRmT1_T2_T3_mmT4_T5_P12ihipStream_tbEUlRKiE_EEST_SX_SY_mSZ_S12_bEUlT_E_NS1_11comp_targetILNS1_3genE4ELNS1_11target_archE910ELNS1_3gpuE8ELNS1_3repE0EEENS1_30default_config_static_selectorELNS0_4arch9wavefront6targetE1EEEvSW_ ; -- Begin function _ZN7rocprim17ROCPRIM_400000_NS6detail17trampoline_kernelINS0_14default_configENS1_29binary_search_config_selectorIiiEEZNS1_14transform_implILb0ES3_S5_N6thrust23THRUST_200600_302600_NS6detail15normal_iteratorINS8_7pointerIiNS8_11hip_rocprim12par_nosync_tENS8_11use_defaultESE_EEEESG_ZNS1_13binary_searchIS3_S5_NSA_INS8_10device_ptrIiEEEESG_SG_NS1_16binary_search_opENS9_16wrapped_functionINS8_6system6detail7generic6detail18binary_search_lessEbEEEE10hipError_tPvRmT1_T2_T3_mmT4_T5_P12ihipStream_tbEUlRKiE_EEST_SX_SY_mSZ_S12_bEUlT_E_NS1_11comp_targetILNS1_3genE4ELNS1_11target_archE910ELNS1_3gpuE8ELNS1_3repE0EEENS1_30default_config_static_selectorELNS0_4arch9wavefront6targetE1EEEvSW_
	.globl	_ZN7rocprim17ROCPRIM_400000_NS6detail17trampoline_kernelINS0_14default_configENS1_29binary_search_config_selectorIiiEEZNS1_14transform_implILb0ES3_S5_N6thrust23THRUST_200600_302600_NS6detail15normal_iteratorINS8_7pointerIiNS8_11hip_rocprim12par_nosync_tENS8_11use_defaultESE_EEEESG_ZNS1_13binary_searchIS3_S5_NSA_INS8_10device_ptrIiEEEESG_SG_NS1_16binary_search_opENS9_16wrapped_functionINS8_6system6detail7generic6detail18binary_search_lessEbEEEE10hipError_tPvRmT1_T2_T3_mmT4_T5_P12ihipStream_tbEUlRKiE_EEST_SX_SY_mSZ_S12_bEUlT_E_NS1_11comp_targetILNS1_3genE4ELNS1_11target_archE910ELNS1_3gpuE8ELNS1_3repE0EEENS1_30default_config_static_selectorELNS0_4arch9wavefront6targetE1EEEvSW_
	.p2align	8
	.type	_ZN7rocprim17ROCPRIM_400000_NS6detail17trampoline_kernelINS0_14default_configENS1_29binary_search_config_selectorIiiEEZNS1_14transform_implILb0ES3_S5_N6thrust23THRUST_200600_302600_NS6detail15normal_iteratorINS8_7pointerIiNS8_11hip_rocprim12par_nosync_tENS8_11use_defaultESE_EEEESG_ZNS1_13binary_searchIS3_S5_NSA_INS8_10device_ptrIiEEEESG_SG_NS1_16binary_search_opENS9_16wrapped_functionINS8_6system6detail7generic6detail18binary_search_lessEbEEEE10hipError_tPvRmT1_T2_T3_mmT4_T5_P12ihipStream_tbEUlRKiE_EEST_SX_SY_mSZ_S12_bEUlT_E_NS1_11comp_targetILNS1_3genE4ELNS1_11target_archE910ELNS1_3gpuE8ELNS1_3repE0EEENS1_30default_config_static_selectorELNS0_4arch9wavefront6targetE1EEEvSW_,@function
_ZN7rocprim17ROCPRIM_400000_NS6detail17trampoline_kernelINS0_14default_configENS1_29binary_search_config_selectorIiiEEZNS1_14transform_implILb0ES3_S5_N6thrust23THRUST_200600_302600_NS6detail15normal_iteratorINS8_7pointerIiNS8_11hip_rocprim12par_nosync_tENS8_11use_defaultESE_EEEESG_ZNS1_13binary_searchIS3_S5_NSA_INS8_10device_ptrIiEEEESG_SG_NS1_16binary_search_opENS9_16wrapped_functionINS8_6system6detail7generic6detail18binary_search_lessEbEEEE10hipError_tPvRmT1_T2_T3_mmT4_T5_P12ihipStream_tbEUlRKiE_EEST_SX_SY_mSZ_S12_bEUlT_E_NS1_11comp_targetILNS1_3genE4ELNS1_11target_archE910ELNS1_3gpuE8ELNS1_3repE0EEENS1_30default_config_static_selectorELNS0_4arch9wavefront6targetE1EEEvSW_: ; @_ZN7rocprim17ROCPRIM_400000_NS6detail17trampoline_kernelINS0_14default_configENS1_29binary_search_config_selectorIiiEEZNS1_14transform_implILb0ES3_S5_N6thrust23THRUST_200600_302600_NS6detail15normal_iteratorINS8_7pointerIiNS8_11hip_rocprim12par_nosync_tENS8_11use_defaultESE_EEEESG_ZNS1_13binary_searchIS3_S5_NSA_INS8_10device_ptrIiEEEESG_SG_NS1_16binary_search_opENS9_16wrapped_functionINS8_6system6detail7generic6detail18binary_search_lessEbEEEE10hipError_tPvRmT1_T2_T3_mmT4_T5_P12ihipStream_tbEUlRKiE_EEST_SX_SY_mSZ_S12_bEUlT_E_NS1_11comp_targetILNS1_3genE4ELNS1_11target_archE910ELNS1_3gpuE8ELNS1_3repE0EEENS1_30default_config_static_selectorELNS0_4arch9wavefront6targetE1EEEvSW_
; %bb.0:
	.section	.rodata,"a",@progbits
	.p2align	6, 0x0
	.amdhsa_kernel _ZN7rocprim17ROCPRIM_400000_NS6detail17trampoline_kernelINS0_14default_configENS1_29binary_search_config_selectorIiiEEZNS1_14transform_implILb0ES3_S5_N6thrust23THRUST_200600_302600_NS6detail15normal_iteratorINS8_7pointerIiNS8_11hip_rocprim12par_nosync_tENS8_11use_defaultESE_EEEESG_ZNS1_13binary_searchIS3_S5_NSA_INS8_10device_ptrIiEEEESG_SG_NS1_16binary_search_opENS9_16wrapped_functionINS8_6system6detail7generic6detail18binary_search_lessEbEEEE10hipError_tPvRmT1_T2_T3_mmT4_T5_P12ihipStream_tbEUlRKiE_EEST_SX_SY_mSZ_S12_bEUlT_E_NS1_11comp_targetILNS1_3genE4ELNS1_11target_archE910ELNS1_3gpuE8ELNS1_3repE0EEENS1_30default_config_static_selectorELNS0_4arch9wavefront6targetE1EEEvSW_
		.amdhsa_group_segment_fixed_size 0
		.amdhsa_private_segment_fixed_size 0
		.amdhsa_kernarg_size 56
		.amdhsa_user_sgpr_count 6
		.amdhsa_user_sgpr_private_segment_buffer 1
		.amdhsa_user_sgpr_dispatch_ptr 0
		.amdhsa_user_sgpr_queue_ptr 0
		.amdhsa_user_sgpr_kernarg_segment_ptr 1
		.amdhsa_user_sgpr_dispatch_id 0
		.amdhsa_user_sgpr_flat_scratch_init 0
		.amdhsa_user_sgpr_private_segment_size 0
		.amdhsa_uses_dynamic_stack 0
		.amdhsa_system_sgpr_private_segment_wavefront_offset 0
		.amdhsa_system_sgpr_workgroup_id_x 1
		.amdhsa_system_sgpr_workgroup_id_y 0
		.amdhsa_system_sgpr_workgroup_id_z 0
		.amdhsa_system_sgpr_workgroup_info 0
		.amdhsa_system_vgpr_workitem_id 0
		.amdhsa_next_free_vgpr 1
		.amdhsa_next_free_sgpr 0
		.amdhsa_reserve_vcc 0
		.amdhsa_reserve_flat_scratch 0
		.amdhsa_float_round_mode_32 0
		.amdhsa_float_round_mode_16_64 0
		.amdhsa_float_denorm_mode_32 3
		.amdhsa_float_denorm_mode_16_64 3
		.amdhsa_dx10_clamp 1
		.amdhsa_ieee_mode 1
		.amdhsa_fp16_overflow 0
		.amdhsa_exception_fp_ieee_invalid_op 0
		.amdhsa_exception_fp_denorm_src 0
		.amdhsa_exception_fp_ieee_div_zero 0
		.amdhsa_exception_fp_ieee_overflow 0
		.amdhsa_exception_fp_ieee_underflow 0
		.amdhsa_exception_fp_ieee_inexact 0
		.amdhsa_exception_int_div_zero 0
	.end_amdhsa_kernel
	.section	.text._ZN7rocprim17ROCPRIM_400000_NS6detail17trampoline_kernelINS0_14default_configENS1_29binary_search_config_selectorIiiEEZNS1_14transform_implILb0ES3_S5_N6thrust23THRUST_200600_302600_NS6detail15normal_iteratorINS8_7pointerIiNS8_11hip_rocprim12par_nosync_tENS8_11use_defaultESE_EEEESG_ZNS1_13binary_searchIS3_S5_NSA_INS8_10device_ptrIiEEEESG_SG_NS1_16binary_search_opENS9_16wrapped_functionINS8_6system6detail7generic6detail18binary_search_lessEbEEEE10hipError_tPvRmT1_T2_T3_mmT4_T5_P12ihipStream_tbEUlRKiE_EEST_SX_SY_mSZ_S12_bEUlT_E_NS1_11comp_targetILNS1_3genE4ELNS1_11target_archE910ELNS1_3gpuE8ELNS1_3repE0EEENS1_30default_config_static_selectorELNS0_4arch9wavefront6targetE1EEEvSW_,"axG",@progbits,_ZN7rocprim17ROCPRIM_400000_NS6detail17trampoline_kernelINS0_14default_configENS1_29binary_search_config_selectorIiiEEZNS1_14transform_implILb0ES3_S5_N6thrust23THRUST_200600_302600_NS6detail15normal_iteratorINS8_7pointerIiNS8_11hip_rocprim12par_nosync_tENS8_11use_defaultESE_EEEESG_ZNS1_13binary_searchIS3_S5_NSA_INS8_10device_ptrIiEEEESG_SG_NS1_16binary_search_opENS9_16wrapped_functionINS8_6system6detail7generic6detail18binary_search_lessEbEEEE10hipError_tPvRmT1_T2_T3_mmT4_T5_P12ihipStream_tbEUlRKiE_EEST_SX_SY_mSZ_S12_bEUlT_E_NS1_11comp_targetILNS1_3genE4ELNS1_11target_archE910ELNS1_3gpuE8ELNS1_3repE0EEENS1_30default_config_static_selectorELNS0_4arch9wavefront6targetE1EEEvSW_,comdat
.Lfunc_end700:
	.size	_ZN7rocprim17ROCPRIM_400000_NS6detail17trampoline_kernelINS0_14default_configENS1_29binary_search_config_selectorIiiEEZNS1_14transform_implILb0ES3_S5_N6thrust23THRUST_200600_302600_NS6detail15normal_iteratorINS8_7pointerIiNS8_11hip_rocprim12par_nosync_tENS8_11use_defaultESE_EEEESG_ZNS1_13binary_searchIS3_S5_NSA_INS8_10device_ptrIiEEEESG_SG_NS1_16binary_search_opENS9_16wrapped_functionINS8_6system6detail7generic6detail18binary_search_lessEbEEEE10hipError_tPvRmT1_T2_T3_mmT4_T5_P12ihipStream_tbEUlRKiE_EEST_SX_SY_mSZ_S12_bEUlT_E_NS1_11comp_targetILNS1_3genE4ELNS1_11target_archE910ELNS1_3gpuE8ELNS1_3repE0EEENS1_30default_config_static_selectorELNS0_4arch9wavefront6targetE1EEEvSW_, .Lfunc_end700-_ZN7rocprim17ROCPRIM_400000_NS6detail17trampoline_kernelINS0_14default_configENS1_29binary_search_config_selectorIiiEEZNS1_14transform_implILb0ES3_S5_N6thrust23THRUST_200600_302600_NS6detail15normal_iteratorINS8_7pointerIiNS8_11hip_rocprim12par_nosync_tENS8_11use_defaultESE_EEEESG_ZNS1_13binary_searchIS3_S5_NSA_INS8_10device_ptrIiEEEESG_SG_NS1_16binary_search_opENS9_16wrapped_functionINS8_6system6detail7generic6detail18binary_search_lessEbEEEE10hipError_tPvRmT1_T2_T3_mmT4_T5_P12ihipStream_tbEUlRKiE_EEST_SX_SY_mSZ_S12_bEUlT_E_NS1_11comp_targetILNS1_3genE4ELNS1_11target_archE910ELNS1_3gpuE8ELNS1_3repE0EEENS1_30default_config_static_selectorELNS0_4arch9wavefront6targetE1EEEvSW_
                                        ; -- End function
	.set _ZN7rocprim17ROCPRIM_400000_NS6detail17trampoline_kernelINS0_14default_configENS1_29binary_search_config_selectorIiiEEZNS1_14transform_implILb0ES3_S5_N6thrust23THRUST_200600_302600_NS6detail15normal_iteratorINS8_7pointerIiNS8_11hip_rocprim12par_nosync_tENS8_11use_defaultESE_EEEESG_ZNS1_13binary_searchIS3_S5_NSA_INS8_10device_ptrIiEEEESG_SG_NS1_16binary_search_opENS9_16wrapped_functionINS8_6system6detail7generic6detail18binary_search_lessEbEEEE10hipError_tPvRmT1_T2_T3_mmT4_T5_P12ihipStream_tbEUlRKiE_EEST_SX_SY_mSZ_S12_bEUlT_E_NS1_11comp_targetILNS1_3genE4ELNS1_11target_archE910ELNS1_3gpuE8ELNS1_3repE0EEENS1_30default_config_static_selectorELNS0_4arch9wavefront6targetE1EEEvSW_.num_vgpr, 0
	.set _ZN7rocprim17ROCPRIM_400000_NS6detail17trampoline_kernelINS0_14default_configENS1_29binary_search_config_selectorIiiEEZNS1_14transform_implILb0ES3_S5_N6thrust23THRUST_200600_302600_NS6detail15normal_iteratorINS8_7pointerIiNS8_11hip_rocprim12par_nosync_tENS8_11use_defaultESE_EEEESG_ZNS1_13binary_searchIS3_S5_NSA_INS8_10device_ptrIiEEEESG_SG_NS1_16binary_search_opENS9_16wrapped_functionINS8_6system6detail7generic6detail18binary_search_lessEbEEEE10hipError_tPvRmT1_T2_T3_mmT4_T5_P12ihipStream_tbEUlRKiE_EEST_SX_SY_mSZ_S12_bEUlT_E_NS1_11comp_targetILNS1_3genE4ELNS1_11target_archE910ELNS1_3gpuE8ELNS1_3repE0EEENS1_30default_config_static_selectorELNS0_4arch9wavefront6targetE1EEEvSW_.num_agpr, 0
	.set _ZN7rocprim17ROCPRIM_400000_NS6detail17trampoline_kernelINS0_14default_configENS1_29binary_search_config_selectorIiiEEZNS1_14transform_implILb0ES3_S5_N6thrust23THRUST_200600_302600_NS6detail15normal_iteratorINS8_7pointerIiNS8_11hip_rocprim12par_nosync_tENS8_11use_defaultESE_EEEESG_ZNS1_13binary_searchIS3_S5_NSA_INS8_10device_ptrIiEEEESG_SG_NS1_16binary_search_opENS9_16wrapped_functionINS8_6system6detail7generic6detail18binary_search_lessEbEEEE10hipError_tPvRmT1_T2_T3_mmT4_T5_P12ihipStream_tbEUlRKiE_EEST_SX_SY_mSZ_S12_bEUlT_E_NS1_11comp_targetILNS1_3genE4ELNS1_11target_archE910ELNS1_3gpuE8ELNS1_3repE0EEENS1_30default_config_static_selectorELNS0_4arch9wavefront6targetE1EEEvSW_.numbered_sgpr, 0
	.set _ZN7rocprim17ROCPRIM_400000_NS6detail17trampoline_kernelINS0_14default_configENS1_29binary_search_config_selectorIiiEEZNS1_14transform_implILb0ES3_S5_N6thrust23THRUST_200600_302600_NS6detail15normal_iteratorINS8_7pointerIiNS8_11hip_rocprim12par_nosync_tENS8_11use_defaultESE_EEEESG_ZNS1_13binary_searchIS3_S5_NSA_INS8_10device_ptrIiEEEESG_SG_NS1_16binary_search_opENS9_16wrapped_functionINS8_6system6detail7generic6detail18binary_search_lessEbEEEE10hipError_tPvRmT1_T2_T3_mmT4_T5_P12ihipStream_tbEUlRKiE_EEST_SX_SY_mSZ_S12_bEUlT_E_NS1_11comp_targetILNS1_3genE4ELNS1_11target_archE910ELNS1_3gpuE8ELNS1_3repE0EEENS1_30default_config_static_selectorELNS0_4arch9wavefront6targetE1EEEvSW_.num_named_barrier, 0
	.set _ZN7rocprim17ROCPRIM_400000_NS6detail17trampoline_kernelINS0_14default_configENS1_29binary_search_config_selectorIiiEEZNS1_14transform_implILb0ES3_S5_N6thrust23THRUST_200600_302600_NS6detail15normal_iteratorINS8_7pointerIiNS8_11hip_rocprim12par_nosync_tENS8_11use_defaultESE_EEEESG_ZNS1_13binary_searchIS3_S5_NSA_INS8_10device_ptrIiEEEESG_SG_NS1_16binary_search_opENS9_16wrapped_functionINS8_6system6detail7generic6detail18binary_search_lessEbEEEE10hipError_tPvRmT1_T2_T3_mmT4_T5_P12ihipStream_tbEUlRKiE_EEST_SX_SY_mSZ_S12_bEUlT_E_NS1_11comp_targetILNS1_3genE4ELNS1_11target_archE910ELNS1_3gpuE8ELNS1_3repE0EEENS1_30default_config_static_selectorELNS0_4arch9wavefront6targetE1EEEvSW_.private_seg_size, 0
	.set _ZN7rocprim17ROCPRIM_400000_NS6detail17trampoline_kernelINS0_14default_configENS1_29binary_search_config_selectorIiiEEZNS1_14transform_implILb0ES3_S5_N6thrust23THRUST_200600_302600_NS6detail15normal_iteratorINS8_7pointerIiNS8_11hip_rocprim12par_nosync_tENS8_11use_defaultESE_EEEESG_ZNS1_13binary_searchIS3_S5_NSA_INS8_10device_ptrIiEEEESG_SG_NS1_16binary_search_opENS9_16wrapped_functionINS8_6system6detail7generic6detail18binary_search_lessEbEEEE10hipError_tPvRmT1_T2_T3_mmT4_T5_P12ihipStream_tbEUlRKiE_EEST_SX_SY_mSZ_S12_bEUlT_E_NS1_11comp_targetILNS1_3genE4ELNS1_11target_archE910ELNS1_3gpuE8ELNS1_3repE0EEENS1_30default_config_static_selectorELNS0_4arch9wavefront6targetE1EEEvSW_.uses_vcc, 0
	.set _ZN7rocprim17ROCPRIM_400000_NS6detail17trampoline_kernelINS0_14default_configENS1_29binary_search_config_selectorIiiEEZNS1_14transform_implILb0ES3_S5_N6thrust23THRUST_200600_302600_NS6detail15normal_iteratorINS8_7pointerIiNS8_11hip_rocprim12par_nosync_tENS8_11use_defaultESE_EEEESG_ZNS1_13binary_searchIS3_S5_NSA_INS8_10device_ptrIiEEEESG_SG_NS1_16binary_search_opENS9_16wrapped_functionINS8_6system6detail7generic6detail18binary_search_lessEbEEEE10hipError_tPvRmT1_T2_T3_mmT4_T5_P12ihipStream_tbEUlRKiE_EEST_SX_SY_mSZ_S12_bEUlT_E_NS1_11comp_targetILNS1_3genE4ELNS1_11target_archE910ELNS1_3gpuE8ELNS1_3repE0EEENS1_30default_config_static_selectorELNS0_4arch9wavefront6targetE1EEEvSW_.uses_flat_scratch, 0
	.set _ZN7rocprim17ROCPRIM_400000_NS6detail17trampoline_kernelINS0_14default_configENS1_29binary_search_config_selectorIiiEEZNS1_14transform_implILb0ES3_S5_N6thrust23THRUST_200600_302600_NS6detail15normal_iteratorINS8_7pointerIiNS8_11hip_rocprim12par_nosync_tENS8_11use_defaultESE_EEEESG_ZNS1_13binary_searchIS3_S5_NSA_INS8_10device_ptrIiEEEESG_SG_NS1_16binary_search_opENS9_16wrapped_functionINS8_6system6detail7generic6detail18binary_search_lessEbEEEE10hipError_tPvRmT1_T2_T3_mmT4_T5_P12ihipStream_tbEUlRKiE_EEST_SX_SY_mSZ_S12_bEUlT_E_NS1_11comp_targetILNS1_3genE4ELNS1_11target_archE910ELNS1_3gpuE8ELNS1_3repE0EEENS1_30default_config_static_selectorELNS0_4arch9wavefront6targetE1EEEvSW_.has_dyn_sized_stack, 0
	.set _ZN7rocprim17ROCPRIM_400000_NS6detail17trampoline_kernelINS0_14default_configENS1_29binary_search_config_selectorIiiEEZNS1_14transform_implILb0ES3_S5_N6thrust23THRUST_200600_302600_NS6detail15normal_iteratorINS8_7pointerIiNS8_11hip_rocprim12par_nosync_tENS8_11use_defaultESE_EEEESG_ZNS1_13binary_searchIS3_S5_NSA_INS8_10device_ptrIiEEEESG_SG_NS1_16binary_search_opENS9_16wrapped_functionINS8_6system6detail7generic6detail18binary_search_lessEbEEEE10hipError_tPvRmT1_T2_T3_mmT4_T5_P12ihipStream_tbEUlRKiE_EEST_SX_SY_mSZ_S12_bEUlT_E_NS1_11comp_targetILNS1_3genE4ELNS1_11target_archE910ELNS1_3gpuE8ELNS1_3repE0EEENS1_30default_config_static_selectorELNS0_4arch9wavefront6targetE1EEEvSW_.has_recursion, 0
	.set _ZN7rocprim17ROCPRIM_400000_NS6detail17trampoline_kernelINS0_14default_configENS1_29binary_search_config_selectorIiiEEZNS1_14transform_implILb0ES3_S5_N6thrust23THRUST_200600_302600_NS6detail15normal_iteratorINS8_7pointerIiNS8_11hip_rocprim12par_nosync_tENS8_11use_defaultESE_EEEESG_ZNS1_13binary_searchIS3_S5_NSA_INS8_10device_ptrIiEEEESG_SG_NS1_16binary_search_opENS9_16wrapped_functionINS8_6system6detail7generic6detail18binary_search_lessEbEEEE10hipError_tPvRmT1_T2_T3_mmT4_T5_P12ihipStream_tbEUlRKiE_EEST_SX_SY_mSZ_S12_bEUlT_E_NS1_11comp_targetILNS1_3genE4ELNS1_11target_archE910ELNS1_3gpuE8ELNS1_3repE0EEENS1_30default_config_static_selectorELNS0_4arch9wavefront6targetE1EEEvSW_.has_indirect_call, 0
	.section	.AMDGPU.csdata,"",@progbits
; Kernel info:
; codeLenInByte = 0
; TotalNumSgprs: 4
; NumVgprs: 0
; ScratchSize: 0
; MemoryBound: 0
; FloatMode: 240
; IeeeMode: 1
; LDSByteSize: 0 bytes/workgroup (compile time only)
; SGPRBlocks: 0
; VGPRBlocks: 0
; NumSGPRsForWavesPerEU: 4
; NumVGPRsForWavesPerEU: 1
; Occupancy: 10
; WaveLimiterHint : 0
; COMPUTE_PGM_RSRC2:SCRATCH_EN: 0
; COMPUTE_PGM_RSRC2:USER_SGPR: 6
; COMPUTE_PGM_RSRC2:TRAP_HANDLER: 0
; COMPUTE_PGM_RSRC2:TGID_X_EN: 1
; COMPUTE_PGM_RSRC2:TGID_Y_EN: 0
; COMPUTE_PGM_RSRC2:TGID_Z_EN: 0
; COMPUTE_PGM_RSRC2:TIDIG_COMP_CNT: 0
	.section	.text._ZN7rocprim17ROCPRIM_400000_NS6detail17trampoline_kernelINS0_14default_configENS1_29binary_search_config_selectorIiiEEZNS1_14transform_implILb0ES3_S5_N6thrust23THRUST_200600_302600_NS6detail15normal_iteratorINS8_7pointerIiNS8_11hip_rocprim12par_nosync_tENS8_11use_defaultESE_EEEESG_ZNS1_13binary_searchIS3_S5_NSA_INS8_10device_ptrIiEEEESG_SG_NS1_16binary_search_opENS9_16wrapped_functionINS8_6system6detail7generic6detail18binary_search_lessEbEEEE10hipError_tPvRmT1_T2_T3_mmT4_T5_P12ihipStream_tbEUlRKiE_EEST_SX_SY_mSZ_S12_bEUlT_E_NS1_11comp_targetILNS1_3genE3ELNS1_11target_archE908ELNS1_3gpuE7ELNS1_3repE0EEENS1_30default_config_static_selectorELNS0_4arch9wavefront6targetE1EEEvSW_,"axG",@progbits,_ZN7rocprim17ROCPRIM_400000_NS6detail17trampoline_kernelINS0_14default_configENS1_29binary_search_config_selectorIiiEEZNS1_14transform_implILb0ES3_S5_N6thrust23THRUST_200600_302600_NS6detail15normal_iteratorINS8_7pointerIiNS8_11hip_rocprim12par_nosync_tENS8_11use_defaultESE_EEEESG_ZNS1_13binary_searchIS3_S5_NSA_INS8_10device_ptrIiEEEESG_SG_NS1_16binary_search_opENS9_16wrapped_functionINS8_6system6detail7generic6detail18binary_search_lessEbEEEE10hipError_tPvRmT1_T2_T3_mmT4_T5_P12ihipStream_tbEUlRKiE_EEST_SX_SY_mSZ_S12_bEUlT_E_NS1_11comp_targetILNS1_3genE3ELNS1_11target_archE908ELNS1_3gpuE7ELNS1_3repE0EEENS1_30default_config_static_selectorELNS0_4arch9wavefront6targetE1EEEvSW_,comdat
	.protected	_ZN7rocprim17ROCPRIM_400000_NS6detail17trampoline_kernelINS0_14default_configENS1_29binary_search_config_selectorIiiEEZNS1_14transform_implILb0ES3_S5_N6thrust23THRUST_200600_302600_NS6detail15normal_iteratorINS8_7pointerIiNS8_11hip_rocprim12par_nosync_tENS8_11use_defaultESE_EEEESG_ZNS1_13binary_searchIS3_S5_NSA_INS8_10device_ptrIiEEEESG_SG_NS1_16binary_search_opENS9_16wrapped_functionINS8_6system6detail7generic6detail18binary_search_lessEbEEEE10hipError_tPvRmT1_T2_T3_mmT4_T5_P12ihipStream_tbEUlRKiE_EEST_SX_SY_mSZ_S12_bEUlT_E_NS1_11comp_targetILNS1_3genE3ELNS1_11target_archE908ELNS1_3gpuE7ELNS1_3repE0EEENS1_30default_config_static_selectorELNS0_4arch9wavefront6targetE1EEEvSW_ ; -- Begin function _ZN7rocprim17ROCPRIM_400000_NS6detail17trampoline_kernelINS0_14default_configENS1_29binary_search_config_selectorIiiEEZNS1_14transform_implILb0ES3_S5_N6thrust23THRUST_200600_302600_NS6detail15normal_iteratorINS8_7pointerIiNS8_11hip_rocprim12par_nosync_tENS8_11use_defaultESE_EEEESG_ZNS1_13binary_searchIS3_S5_NSA_INS8_10device_ptrIiEEEESG_SG_NS1_16binary_search_opENS9_16wrapped_functionINS8_6system6detail7generic6detail18binary_search_lessEbEEEE10hipError_tPvRmT1_T2_T3_mmT4_T5_P12ihipStream_tbEUlRKiE_EEST_SX_SY_mSZ_S12_bEUlT_E_NS1_11comp_targetILNS1_3genE3ELNS1_11target_archE908ELNS1_3gpuE7ELNS1_3repE0EEENS1_30default_config_static_selectorELNS0_4arch9wavefront6targetE1EEEvSW_
	.globl	_ZN7rocprim17ROCPRIM_400000_NS6detail17trampoline_kernelINS0_14default_configENS1_29binary_search_config_selectorIiiEEZNS1_14transform_implILb0ES3_S5_N6thrust23THRUST_200600_302600_NS6detail15normal_iteratorINS8_7pointerIiNS8_11hip_rocprim12par_nosync_tENS8_11use_defaultESE_EEEESG_ZNS1_13binary_searchIS3_S5_NSA_INS8_10device_ptrIiEEEESG_SG_NS1_16binary_search_opENS9_16wrapped_functionINS8_6system6detail7generic6detail18binary_search_lessEbEEEE10hipError_tPvRmT1_T2_T3_mmT4_T5_P12ihipStream_tbEUlRKiE_EEST_SX_SY_mSZ_S12_bEUlT_E_NS1_11comp_targetILNS1_3genE3ELNS1_11target_archE908ELNS1_3gpuE7ELNS1_3repE0EEENS1_30default_config_static_selectorELNS0_4arch9wavefront6targetE1EEEvSW_
	.p2align	8
	.type	_ZN7rocprim17ROCPRIM_400000_NS6detail17trampoline_kernelINS0_14default_configENS1_29binary_search_config_selectorIiiEEZNS1_14transform_implILb0ES3_S5_N6thrust23THRUST_200600_302600_NS6detail15normal_iteratorINS8_7pointerIiNS8_11hip_rocprim12par_nosync_tENS8_11use_defaultESE_EEEESG_ZNS1_13binary_searchIS3_S5_NSA_INS8_10device_ptrIiEEEESG_SG_NS1_16binary_search_opENS9_16wrapped_functionINS8_6system6detail7generic6detail18binary_search_lessEbEEEE10hipError_tPvRmT1_T2_T3_mmT4_T5_P12ihipStream_tbEUlRKiE_EEST_SX_SY_mSZ_S12_bEUlT_E_NS1_11comp_targetILNS1_3genE3ELNS1_11target_archE908ELNS1_3gpuE7ELNS1_3repE0EEENS1_30default_config_static_selectorELNS0_4arch9wavefront6targetE1EEEvSW_,@function
_ZN7rocprim17ROCPRIM_400000_NS6detail17trampoline_kernelINS0_14default_configENS1_29binary_search_config_selectorIiiEEZNS1_14transform_implILb0ES3_S5_N6thrust23THRUST_200600_302600_NS6detail15normal_iteratorINS8_7pointerIiNS8_11hip_rocprim12par_nosync_tENS8_11use_defaultESE_EEEESG_ZNS1_13binary_searchIS3_S5_NSA_INS8_10device_ptrIiEEEESG_SG_NS1_16binary_search_opENS9_16wrapped_functionINS8_6system6detail7generic6detail18binary_search_lessEbEEEE10hipError_tPvRmT1_T2_T3_mmT4_T5_P12ihipStream_tbEUlRKiE_EEST_SX_SY_mSZ_S12_bEUlT_E_NS1_11comp_targetILNS1_3genE3ELNS1_11target_archE908ELNS1_3gpuE7ELNS1_3repE0EEENS1_30default_config_static_selectorELNS0_4arch9wavefront6targetE1EEEvSW_: ; @_ZN7rocprim17ROCPRIM_400000_NS6detail17trampoline_kernelINS0_14default_configENS1_29binary_search_config_selectorIiiEEZNS1_14transform_implILb0ES3_S5_N6thrust23THRUST_200600_302600_NS6detail15normal_iteratorINS8_7pointerIiNS8_11hip_rocprim12par_nosync_tENS8_11use_defaultESE_EEEESG_ZNS1_13binary_searchIS3_S5_NSA_INS8_10device_ptrIiEEEESG_SG_NS1_16binary_search_opENS9_16wrapped_functionINS8_6system6detail7generic6detail18binary_search_lessEbEEEE10hipError_tPvRmT1_T2_T3_mmT4_T5_P12ihipStream_tbEUlRKiE_EEST_SX_SY_mSZ_S12_bEUlT_E_NS1_11comp_targetILNS1_3genE3ELNS1_11target_archE908ELNS1_3gpuE7ELNS1_3repE0EEENS1_30default_config_static_selectorELNS0_4arch9wavefront6targetE1EEEvSW_
; %bb.0:
	.section	.rodata,"a",@progbits
	.p2align	6, 0x0
	.amdhsa_kernel _ZN7rocprim17ROCPRIM_400000_NS6detail17trampoline_kernelINS0_14default_configENS1_29binary_search_config_selectorIiiEEZNS1_14transform_implILb0ES3_S5_N6thrust23THRUST_200600_302600_NS6detail15normal_iteratorINS8_7pointerIiNS8_11hip_rocprim12par_nosync_tENS8_11use_defaultESE_EEEESG_ZNS1_13binary_searchIS3_S5_NSA_INS8_10device_ptrIiEEEESG_SG_NS1_16binary_search_opENS9_16wrapped_functionINS8_6system6detail7generic6detail18binary_search_lessEbEEEE10hipError_tPvRmT1_T2_T3_mmT4_T5_P12ihipStream_tbEUlRKiE_EEST_SX_SY_mSZ_S12_bEUlT_E_NS1_11comp_targetILNS1_3genE3ELNS1_11target_archE908ELNS1_3gpuE7ELNS1_3repE0EEENS1_30default_config_static_selectorELNS0_4arch9wavefront6targetE1EEEvSW_
		.amdhsa_group_segment_fixed_size 0
		.amdhsa_private_segment_fixed_size 0
		.amdhsa_kernarg_size 56
		.amdhsa_user_sgpr_count 6
		.amdhsa_user_sgpr_private_segment_buffer 1
		.amdhsa_user_sgpr_dispatch_ptr 0
		.amdhsa_user_sgpr_queue_ptr 0
		.amdhsa_user_sgpr_kernarg_segment_ptr 1
		.amdhsa_user_sgpr_dispatch_id 0
		.amdhsa_user_sgpr_flat_scratch_init 0
		.amdhsa_user_sgpr_private_segment_size 0
		.amdhsa_uses_dynamic_stack 0
		.amdhsa_system_sgpr_private_segment_wavefront_offset 0
		.amdhsa_system_sgpr_workgroup_id_x 1
		.amdhsa_system_sgpr_workgroup_id_y 0
		.amdhsa_system_sgpr_workgroup_id_z 0
		.amdhsa_system_sgpr_workgroup_info 0
		.amdhsa_system_vgpr_workitem_id 0
		.amdhsa_next_free_vgpr 1
		.amdhsa_next_free_sgpr 0
		.amdhsa_reserve_vcc 0
		.amdhsa_reserve_flat_scratch 0
		.amdhsa_float_round_mode_32 0
		.amdhsa_float_round_mode_16_64 0
		.amdhsa_float_denorm_mode_32 3
		.amdhsa_float_denorm_mode_16_64 3
		.amdhsa_dx10_clamp 1
		.amdhsa_ieee_mode 1
		.amdhsa_fp16_overflow 0
		.amdhsa_exception_fp_ieee_invalid_op 0
		.amdhsa_exception_fp_denorm_src 0
		.amdhsa_exception_fp_ieee_div_zero 0
		.amdhsa_exception_fp_ieee_overflow 0
		.amdhsa_exception_fp_ieee_underflow 0
		.amdhsa_exception_fp_ieee_inexact 0
		.amdhsa_exception_int_div_zero 0
	.end_amdhsa_kernel
	.section	.text._ZN7rocprim17ROCPRIM_400000_NS6detail17trampoline_kernelINS0_14default_configENS1_29binary_search_config_selectorIiiEEZNS1_14transform_implILb0ES3_S5_N6thrust23THRUST_200600_302600_NS6detail15normal_iteratorINS8_7pointerIiNS8_11hip_rocprim12par_nosync_tENS8_11use_defaultESE_EEEESG_ZNS1_13binary_searchIS3_S5_NSA_INS8_10device_ptrIiEEEESG_SG_NS1_16binary_search_opENS9_16wrapped_functionINS8_6system6detail7generic6detail18binary_search_lessEbEEEE10hipError_tPvRmT1_T2_T3_mmT4_T5_P12ihipStream_tbEUlRKiE_EEST_SX_SY_mSZ_S12_bEUlT_E_NS1_11comp_targetILNS1_3genE3ELNS1_11target_archE908ELNS1_3gpuE7ELNS1_3repE0EEENS1_30default_config_static_selectorELNS0_4arch9wavefront6targetE1EEEvSW_,"axG",@progbits,_ZN7rocprim17ROCPRIM_400000_NS6detail17trampoline_kernelINS0_14default_configENS1_29binary_search_config_selectorIiiEEZNS1_14transform_implILb0ES3_S5_N6thrust23THRUST_200600_302600_NS6detail15normal_iteratorINS8_7pointerIiNS8_11hip_rocprim12par_nosync_tENS8_11use_defaultESE_EEEESG_ZNS1_13binary_searchIS3_S5_NSA_INS8_10device_ptrIiEEEESG_SG_NS1_16binary_search_opENS9_16wrapped_functionINS8_6system6detail7generic6detail18binary_search_lessEbEEEE10hipError_tPvRmT1_T2_T3_mmT4_T5_P12ihipStream_tbEUlRKiE_EEST_SX_SY_mSZ_S12_bEUlT_E_NS1_11comp_targetILNS1_3genE3ELNS1_11target_archE908ELNS1_3gpuE7ELNS1_3repE0EEENS1_30default_config_static_selectorELNS0_4arch9wavefront6targetE1EEEvSW_,comdat
.Lfunc_end701:
	.size	_ZN7rocprim17ROCPRIM_400000_NS6detail17trampoline_kernelINS0_14default_configENS1_29binary_search_config_selectorIiiEEZNS1_14transform_implILb0ES3_S5_N6thrust23THRUST_200600_302600_NS6detail15normal_iteratorINS8_7pointerIiNS8_11hip_rocprim12par_nosync_tENS8_11use_defaultESE_EEEESG_ZNS1_13binary_searchIS3_S5_NSA_INS8_10device_ptrIiEEEESG_SG_NS1_16binary_search_opENS9_16wrapped_functionINS8_6system6detail7generic6detail18binary_search_lessEbEEEE10hipError_tPvRmT1_T2_T3_mmT4_T5_P12ihipStream_tbEUlRKiE_EEST_SX_SY_mSZ_S12_bEUlT_E_NS1_11comp_targetILNS1_3genE3ELNS1_11target_archE908ELNS1_3gpuE7ELNS1_3repE0EEENS1_30default_config_static_selectorELNS0_4arch9wavefront6targetE1EEEvSW_, .Lfunc_end701-_ZN7rocprim17ROCPRIM_400000_NS6detail17trampoline_kernelINS0_14default_configENS1_29binary_search_config_selectorIiiEEZNS1_14transform_implILb0ES3_S5_N6thrust23THRUST_200600_302600_NS6detail15normal_iteratorINS8_7pointerIiNS8_11hip_rocprim12par_nosync_tENS8_11use_defaultESE_EEEESG_ZNS1_13binary_searchIS3_S5_NSA_INS8_10device_ptrIiEEEESG_SG_NS1_16binary_search_opENS9_16wrapped_functionINS8_6system6detail7generic6detail18binary_search_lessEbEEEE10hipError_tPvRmT1_T2_T3_mmT4_T5_P12ihipStream_tbEUlRKiE_EEST_SX_SY_mSZ_S12_bEUlT_E_NS1_11comp_targetILNS1_3genE3ELNS1_11target_archE908ELNS1_3gpuE7ELNS1_3repE0EEENS1_30default_config_static_selectorELNS0_4arch9wavefront6targetE1EEEvSW_
                                        ; -- End function
	.set _ZN7rocprim17ROCPRIM_400000_NS6detail17trampoline_kernelINS0_14default_configENS1_29binary_search_config_selectorIiiEEZNS1_14transform_implILb0ES3_S5_N6thrust23THRUST_200600_302600_NS6detail15normal_iteratorINS8_7pointerIiNS8_11hip_rocprim12par_nosync_tENS8_11use_defaultESE_EEEESG_ZNS1_13binary_searchIS3_S5_NSA_INS8_10device_ptrIiEEEESG_SG_NS1_16binary_search_opENS9_16wrapped_functionINS8_6system6detail7generic6detail18binary_search_lessEbEEEE10hipError_tPvRmT1_T2_T3_mmT4_T5_P12ihipStream_tbEUlRKiE_EEST_SX_SY_mSZ_S12_bEUlT_E_NS1_11comp_targetILNS1_3genE3ELNS1_11target_archE908ELNS1_3gpuE7ELNS1_3repE0EEENS1_30default_config_static_selectorELNS0_4arch9wavefront6targetE1EEEvSW_.num_vgpr, 0
	.set _ZN7rocprim17ROCPRIM_400000_NS6detail17trampoline_kernelINS0_14default_configENS1_29binary_search_config_selectorIiiEEZNS1_14transform_implILb0ES3_S5_N6thrust23THRUST_200600_302600_NS6detail15normal_iteratorINS8_7pointerIiNS8_11hip_rocprim12par_nosync_tENS8_11use_defaultESE_EEEESG_ZNS1_13binary_searchIS3_S5_NSA_INS8_10device_ptrIiEEEESG_SG_NS1_16binary_search_opENS9_16wrapped_functionINS8_6system6detail7generic6detail18binary_search_lessEbEEEE10hipError_tPvRmT1_T2_T3_mmT4_T5_P12ihipStream_tbEUlRKiE_EEST_SX_SY_mSZ_S12_bEUlT_E_NS1_11comp_targetILNS1_3genE3ELNS1_11target_archE908ELNS1_3gpuE7ELNS1_3repE0EEENS1_30default_config_static_selectorELNS0_4arch9wavefront6targetE1EEEvSW_.num_agpr, 0
	.set _ZN7rocprim17ROCPRIM_400000_NS6detail17trampoline_kernelINS0_14default_configENS1_29binary_search_config_selectorIiiEEZNS1_14transform_implILb0ES3_S5_N6thrust23THRUST_200600_302600_NS6detail15normal_iteratorINS8_7pointerIiNS8_11hip_rocprim12par_nosync_tENS8_11use_defaultESE_EEEESG_ZNS1_13binary_searchIS3_S5_NSA_INS8_10device_ptrIiEEEESG_SG_NS1_16binary_search_opENS9_16wrapped_functionINS8_6system6detail7generic6detail18binary_search_lessEbEEEE10hipError_tPvRmT1_T2_T3_mmT4_T5_P12ihipStream_tbEUlRKiE_EEST_SX_SY_mSZ_S12_bEUlT_E_NS1_11comp_targetILNS1_3genE3ELNS1_11target_archE908ELNS1_3gpuE7ELNS1_3repE0EEENS1_30default_config_static_selectorELNS0_4arch9wavefront6targetE1EEEvSW_.numbered_sgpr, 0
	.set _ZN7rocprim17ROCPRIM_400000_NS6detail17trampoline_kernelINS0_14default_configENS1_29binary_search_config_selectorIiiEEZNS1_14transform_implILb0ES3_S5_N6thrust23THRUST_200600_302600_NS6detail15normal_iteratorINS8_7pointerIiNS8_11hip_rocprim12par_nosync_tENS8_11use_defaultESE_EEEESG_ZNS1_13binary_searchIS3_S5_NSA_INS8_10device_ptrIiEEEESG_SG_NS1_16binary_search_opENS9_16wrapped_functionINS8_6system6detail7generic6detail18binary_search_lessEbEEEE10hipError_tPvRmT1_T2_T3_mmT4_T5_P12ihipStream_tbEUlRKiE_EEST_SX_SY_mSZ_S12_bEUlT_E_NS1_11comp_targetILNS1_3genE3ELNS1_11target_archE908ELNS1_3gpuE7ELNS1_3repE0EEENS1_30default_config_static_selectorELNS0_4arch9wavefront6targetE1EEEvSW_.num_named_barrier, 0
	.set _ZN7rocprim17ROCPRIM_400000_NS6detail17trampoline_kernelINS0_14default_configENS1_29binary_search_config_selectorIiiEEZNS1_14transform_implILb0ES3_S5_N6thrust23THRUST_200600_302600_NS6detail15normal_iteratorINS8_7pointerIiNS8_11hip_rocprim12par_nosync_tENS8_11use_defaultESE_EEEESG_ZNS1_13binary_searchIS3_S5_NSA_INS8_10device_ptrIiEEEESG_SG_NS1_16binary_search_opENS9_16wrapped_functionINS8_6system6detail7generic6detail18binary_search_lessEbEEEE10hipError_tPvRmT1_T2_T3_mmT4_T5_P12ihipStream_tbEUlRKiE_EEST_SX_SY_mSZ_S12_bEUlT_E_NS1_11comp_targetILNS1_3genE3ELNS1_11target_archE908ELNS1_3gpuE7ELNS1_3repE0EEENS1_30default_config_static_selectorELNS0_4arch9wavefront6targetE1EEEvSW_.private_seg_size, 0
	.set _ZN7rocprim17ROCPRIM_400000_NS6detail17trampoline_kernelINS0_14default_configENS1_29binary_search_config_selectorIiiEEZNS1_14transform_implILb0ES3_S5_N6thrust23THRUST_200600_302600_NS6detail15normal_iteratorINS8_7pointerIiNS8_11hip_rocprim12par_nosync_tENS8_11use_defaultESE_EEEESG_ZNS1_13binary_searchIS3_S5_NSA_INS8_10device_ptrIiEEEESG_SG_NS1_16binary_search_opENS9_16wrapped_functionINS8_6system6detail7generic6detail18binary_search_lessEbEEEE10hipError_tPvRmT1_T2_T3_mmT4_T5_P12ihipStream_tbEUlRKiE_EEST_SX_SY_mSZ_S12_bEUlT_E_NS1_11comp_targetILNS1_3genE3ELNS1_11target_archE908ELNS1_3gpuE7ELNS1_3repE0EEENS1_30default_config_static_selectorELNS0_4arch9wavefront6targetE1EEEvSW_.uses_vcc, 0
	.set _ZN7rocprim17ROCPRIM_400000_NS6detail17trampoline_kernelINS0_14default_configENS1_29binary_search_config_selectorIiiEEZNS1_14transform_implILb0ES3_S5_N6thrust23THRUST_200600_302600_NS6detail15normal_iteratorINS8_7pointerIiNS8_11hip_rocprim12par_nosync_tENS8_11use_defaultESE_EEEESG_ZNS1_13binary_searchIS3_S5_NSA_INS8_10device_ptrIiEEEESG_SG_NS1_16binary_search_opENS9_16wrapped_functionINS8_6system6detail7generic6detail18binary_search_lessEbEEEE10hipError_tPvRmT1_T2_T3_mmT4_T5_P12ihipStream_tbEUlRKiE_EEST_SX_SY_mSZ_S12_bEUlT_E_NS1_11comp_targetILNS1_3genE3ELNS1_11target_archE908ELNS1_3gpuE7ELNS1_3repE0EEENS1_30default_config_static_selectorELNS0_4arch9wavefront6targetE1EEEvSW_.uses_flat_scratch, 0
	.set _ZN7rocprim17ROCPRIM_400000_NS6detail17trampoline_kernelINS0_14default_configENS1_29binary_search_config_selectorIiiEEZNS1_14transform_implILb0ES3_S5_N6thrust23THRUST_200600_302600_NS6detail15normal_iteratorINS8_7pointerIiNS8_11hip_rocprim12par_nosync_tENS8_11use_defaultESE_EEEESG_ZNS1_13binary_searchIS3_S5_NSA_INS8_10device_ptrIiEEEESG_SG_NS1_16binary_search_opENS9_16wrapped_functionINS8_6system6detail7generic6detail18binary_search_lessEbEEEE10hipError_tPvRmT1_T2_T3_mmT4_T5_P12ihipStream_tbEUlRKiE_EEST_SX_SY_mSZ_S12_bEUlT_E_NS1_11comp_targetILNS1_3genE3ELNS1_11target_archE908ELNS1_3gpuE7ELNS1_3repE0EEENS1_30default_config_static_selectorELNS0_4arch9wavefront6targetE1EEEvSW_.has_dyn_sized_stack, 0
	.set _ZN7rocprim17ROCPRIM_400000_NS6detail17trampoline_kernelINS0_14default_configENS1_29binary_search_config_selectorIiiEEZNS1_14transform_implILb0ES3_S5_N6thrust23THRUST_200600_302600_NS6detail15normal_iteratorINS8_7pointerIiNS8_11hip_rocprim12par_nosync_tENS8_11use_defaultESE_EEEESG_ZNS1_13binary_searchIS3_S5_NSA_INS8_10device_ptrIiEEEESG_SG_NS1_16binary_search_opENS9_16wrapped_functionINS8_6system6detail7generic6detail18binary_search_lessEbEEEE10hipError_tPvRmT1_T2_T3_mmT4_T5_P12ihipStream_tbEUlRKiE_EEST_SX_SY_mSZ_S12_bEUlT_E_NS1_11comp_targetILNS1_3genE3ELNS1_11target_archE908ELNS1_3gpuE7ELNS1_3repE0EEENS1_30default_config_static_selectorELNS0_4arch9wavefront6targetE1EEEvSW_.has_recursion, 0
	.set _ZN7rocprim17ROCPRIM_400000_NS6detail17trampoline_kernelINS0_14default_configENS1_29binary_search_config_selectorIiiEEZNS1_14transform_implILb0ES3_S5_N6thrust23THRUST_200600_302600_NS6detail15normal_iteratorINS8_7pointerIiNS8_11hip_rocprim12par_nosync_tENS8_11use_defaultESE_EEEESG_ZNS1_13binary_searchIS3_S5_NSA_INS8_10device_ptrIiEEEESG_SG_NS1_16binary_search_opENS9_16wrapped_functionINS8_6system6detail7generic6detail18binary_search_lessEbEEEE10hipError_tPvRmT1_T2_T3_mmT4_T5_P12ihipStream_tbEUlRKiE_EEST_SX_SY_mSZ_S12_bEUlT_E_NS1_11comp_targetILNS1_3genE3ELNS1_11target_archE908ELNS1_3gpuE7ELNS1_3repE0EEENS1_30default_config_static_selectorELNS0_4arch9wavefront6targetE1EEEvSW_.has_indirect_call, 0
	.section	.AMDGPU.csdata,"",@progbits
; Kernel info:
; codeLenInByte = 0
; TotalNumSgprs: 4
; NumVgprs: 0
; ScratchSize: 0
; MemoryBound: 0
; FloatMode: 240
; IeeeMode: 1
; LDSByteSize: 0 bytes/workgroup (compile time only)
; SGPRBlocks: 0
; VGPRBlocks: 0
; NumSGPRsForWavesPerEU: 4
; NumVGPRsForWavesPerEU: 1
; Occupancy: 10
; WaveLimiterHint : 0
; COMPUTE_PGM_RSRC2:SCRATCH_EN: 0
; COMPUTE_PGM_RSRC2:USER_SGPR: 6
; COMPUTE_PGM_RSRC2:TRAP_HANDLER: 0
; COMPUTE_PGM_RSRC2:TGID_X_EN: 1
; COMPUTE_PGM_RSRC2:TGID_Y_EN: 0
; COMPUTE_PGM_RSRC2:TGID_Z_EN: 0
; COMPUTE_PGM_RSRC2:TIDIG_COMP_CNT: 0
	.section	.text._ZN7rocprim17ROCPRIM_400000_NS6detail17trampoline_kernelINS0_14default_configENS1_29binary_search_config_selectorIiiEEZNS1_14transform_implILb0ES3_S5_N6thrust23THRUST_200600_302600_NS6detail15normal_iteratorINS8_7pointerIiNS8_11hip_rocprim12par_nosync_tENS8_11use_defaultESE_EEEESG_ZNS1_13binary_searchIS3_S5_NSA_INS8_10device_ptrIiEEEESG_SG_NS1_16binary_search_opENS9_16wrapped_functionINS8_6system6detail7generic6detail18binary_search_lessEbEEEE10hipError_tPvRmT1_T2_T3_mmT4_T5_P12ihipStream_tbEUlRKiE_EEST_SX_SY_mSZ_S12_bEUlT_E_NS1_11comp_targetILNS1_3genE2ELNS1_11target_archE906ELNS1_3gpuE6ELNS1_3repE0EEENS1_30default_config_static_selectorELNS0_4arch9wavefront6targetE1EEEvSW_,"axG",@progbits,_ZN7rocprim17ROCPRIM_400000_NS6detail17trampoline_kernelINS0_14default_configENS1_29binary_search_config_selectorIiiEEZNS1_14transform_implILb0ES3_S5_N6thrust23THRUST_200600_302600_NS6detail15normal_iteratorINS8_7pointerIiNS8_11hip_rocprim12par_nosync_tENS8_11use_defaultESE_EEEESG_ZNS1_13binary_searchIS3_S5_NSA_INS8_10device_ptrIiEEEESG_SG_NS1_16binary_search_opENS9_16wrapped_functionINS8_6system6detail7generic6detail18binary_search_lessEbEEEE10hipError_tPvRmT1_T2_T3_mmT4_T5_P12ihipStream_tbEUlRKiE_EEST_SX_SY_mSZ_S12_bEUlT_E_NS1_11comp_targetILNS1_3genE2ELNS1_11target_archE906ELNS1_3gpuE6ELNS1_3repE0EEENS1_30default_config_static_selectorELNS0_4arch9wavefront6targetE1EEEvSW_,comdat
	.protected	_ZN7rocprim17ROCPRIM_400000_NS6detail17trampoline_kernelINS0_14default_configENS1_29binary_search_config_selectorIiiEEZNS1_14transform_implILb0ES3_S5_N6thrust23THRUST_200600_302600_NS6detail15normal_iteratorINS8_7pointerIiNS8_11hip_rocprim12par_nosync_tENS8_11use_defaultESE_EEEESG_ZNS1_13binary_searchIS3_S5_NSA_INS8_10device_ptrIiEEEESG_SG_NS1_16binary_search_opENS9_16wrapped_functionINS8_6system6detail7generic6detail18binary_search_lessEbEEEE10hipError_tPvRmT1_T2_T3_mmT4_T5_P12ihipStream_tbEUlRKiE_EEST_SX_SY_mSZ_S12_bEUlT_E_NS1_11comp_targetILNS1_3genE2ELNS1_11target_archE906ELNS1_3gpuE6ELNS1_3repE0EEENS1_30default_config_static_selectorELNS0_4arch9wavefront6targetE1EEEvSW_ ; -- Begin function _ZN7rocprim17ROCPRIM_400000_NS6detail17trampoline_kernelINS0_14default_configENS1_29binary_search_config_selectorIiiEEZNS1_14transform_implILb0ES3_S5_N6thrust23THRUST_200600_302600_NS6detail15normal_iteratorINS8_7pointerIiNS8_11hip_rocprim12par_nosync_tENS8_11use_defaultESE_EEEESG_ZNS1_13binary_searchIS3_S5_NSA_INS8_10device_ptrIiEEEESG_SG_NS1_16binary_search_opENS9_16wrapped_functionINS8_6system6detail7generic6detail18binary_search_lessEbEEEE10hipError_tPvRmT1_T2_T3_mmT4_T5_P12ihipStream_tbEUlRKiE_EEST_SX_SY_mSZ_S12_bEUlT_E_NS1_11comp_targetILNS1_3genE2ELNS1_11target_archE906ELNS1_3gpuE6ELNS1_3repE0EEENS1_30default_config_static_selectorELNS0_4arch9wavefront6targetE1EEEvSW_
	.globl	_ZN7rocprim17ROCPRIM_400000_NS6detail17trampoline_kernelINS0_14default_configENS1_29binary_search_config_selectorIiiEEZNS1_14transform_implILb0ES3_S5_N6thrust23THRUST_200600_302600_NS6detail15normal_iteratorINS8_7pointerIiNS8_11hip_rocprim12par_nosync_tENS8_11use_defaultESE_EEEESG_ZNS1_13binary_searchIS3_S5_NSA_INS8_10device_ptrIiEEEESG_SG_NS1_16binary_search_opENS9_16wrapped_functionINS8_6system6detail7generic6detail18binary_search_lessEbEEEE10hipError_tPvRmT1_T2_T3_mmT4_T5_P12ihipStream_tbEUlRKiE_EEST_SX_SY_mSZ_S12_bEUlT_E_NS1_11comp_targetILNS1_3genE2ELNS1_11target_archE906ELNS1_3gpuE6ELNS1_3repE0EEENS1_30default_config_static_selectorELNS0_4arch9wavefront6targetE1EEEvSW_
	.p2align	8
	.type	_ZN7rocprim17ROCPRIM_400000_NS6detail17trampoline_kernelINS0_14default_configENS1_29binary_search_config_selectorIiiEEZNS1_14transform_implILb0ES3_S5_N6thrust23THRUST_200600_302600_NS6detail15normal_iteratorINS8_7pointerIiNS8_11hip_rocprim12par_nosync_tENS8_11use_defaultESE_EEEESG_ZNS1_13binary_searchIS3_S5_NSA_INS8_10device_ptrIiEEEESG_SG_NS1_16binary_search_opENS9_16wrapped_functionINS8_6system6detail7generic6detail18binary_search_lessEbEEEE10hipError_tPvRmT1_T2_T3_mmT4_T5_P12ihipStream_tbEUlRKiE_EEST_SX_SY_mSZ_S12_bEUlT_E_NS1_11comp_targetILNS1_3genE2ELNS1_11target_archE906ELNS1_3gpuE6ELNS1_3repE0EEENS1_30default_config_static_selectorELNS0_4arch9wavefront6targetE1EEEvSW_,@function
_ZN7rocprim17ROCPRIM_400000_NS6detail17trampoline_kernelINS0_14default_configENS1_29binary_search_config_selectorIiiEEZNS1_14transform_implILb0ES3_S5_N6thrust23THRUST_200600_302600_NS6detail15normal_iteratorINS8_7pointerIiNS8_11hip_rocprim12par_nosync_tENS8_11use_defaultESE_EEEESG_ZNS1_13binary_searchIS3_S5_NSA_INS8_10device_ptrIiEEEESG_SG_NS1_16binary_search_opENS9_16wrapped_functionINS8_6system6detail7generic6detail18binary_search_lessEbEEEE10hipError_tPvRmT1_T2_T3_mmT4_T5_P12ihipStream_tbEUlRKiE_EEST_SX_SY_mSZ_S12_bEUlT_E_NS1_11comp_targetILNS1_3genE2ELNS1_11target_archE906ELNS1_3gpuE6ELNS1_3repE0EEENS1_30default_config_static_selectorELNS0_4arch9wavefront6targetE1EEEvSW_: ; @_ZN7rocprim17ROCPRIM_400000_NS6detail17trampoline_kernelINS0_14default_configENS1_29binary_search_config_selectorIiiEEZNS1_14transform_implILb0ES3_S5_N6thrust23THRUST_200600_302600_NS6detail15normal_iteratorINS8_7pointerIiNS8_11hip_rocprim12par_nosync_tENS8_11use_defaultESE_EEEESG_ZNS1_13binary_searchIS3_S5_NSA_INS8_10device_ptrIiEEEESG_SG_NS1_16binary_search_opENS9_16wrapped_functionINS8_6system6detail7generic6detail18binary_search_lessEbEEEE10hipError_tPvRmT1_T2_T3_mmT4_T5_P12ihipStream_tbEUlRKiE_EEST_SX_SY_mSZ_S12_bEUlT_E_NS1_11comp_targetILNS1_3genE2ELNS1_11target_archE906ELNS1_3gpuE6ELNS1_3repE0EEENS1_30default_config_static_selectorELNS0_4arch9wavefront6targetE1EEEvSW_
; %bb.0:
	s_load_dwordx4 s[12:15], s[4:5], 0x0
	s_load_dwordx4 s[8:11], s[4:5], 0x18
	s_load_dwordx2 s[0:1], s[4:5], 0x28
	s_load_dword s7, s[4:5], 0x38
	s_waitcnt lgkmcnt(0)
	s_lshl_b64 s[2:3], s[14:15], 2
	s_add_u32 s18, s12, s2
	s_addc_u32 s19, s13, s3
	s_lshl_b32 s12, s6, 8
	s_add_i32 s7, s7, -1
	s_cmp_lg_u32 s6, s7
	s_mov_b32 s13, 0
	s_cbranch_scc0 .LBB702_6
; %bb.1:
	s_lshl_b64 s[6:7], s[12:13], 2
	s_add_u32 s6, s18, s6
	s_addc_u32 s7, s19, s7
	v_lshlrev_b32_e32 v1, 2, v0
	v_mov_b32_e32 v2, s7
	v_add_co_u32_e32 v1, vcc, s6, v1
	v_addc_co_u32_e32 v2, vcc, 0, v2, vcc
	flat_load_dword v6, v[1:2]
	v_mov_b32_e32 v2, 0
	v_mov_b32_e32 v1, 0
	s_cmp_eq_u64 s[0:1], 0
	s_mov_b64 s[6:7], 0
	v_mov_b32_e32 v3, 0
	s_cbranch_scc1 .LBB702_5
; %bb.2:
	v_mov_b32_e32 v5, s1
	v_mov_b32_e32 v4, s0
	;; [unrolled: 1-line block ×3, first 2 shown]
.LBB702_3:                              ; =>This Inner Loop Header: Depth=1
	v_sub_co_u32_e32 v8, vcc, v4, v2
	v_subb_co_u32_e32 v9, vcc, v5, v3, vcc
	v_lshrrev_b64 v[10:11], 1, v[8:9]
	v_lshrrev_b64 v[8:9], 6, v[8:9]
	v_add_co_u32_e32 v10, vcc, v10, v2
	v_addc_co_u32_e32 v11, vcc, v11, v3, vcc
	v_add_co_u32_e32 v8, vcc, v10, v8
	v_addc_co_u32_e32 v9, vcc, v11, v9, vcc
	v_lshlrev_b64 v[10:11], 2, v[8:9]
	v_add_co_u32_e32 v10, vcc, s10, v10
	v_addc_co_u32_e32 v11, vcc, v7, v11, vcc
	global_load_dword v10, v[10:11], off
	v_add_co_u32_e32 v11, vcc, 1, v8
	v_addc_co_u32_e32 v12, vcc, 0, v9, vcc
	s_waitcnt vmcnt(0) lgkmcnt(0)
	v_cmp_lt_i32_e32 vcc, v10, v6
	v_cndmask_b32_e32 v5, v9, v5, vcc
	v_cndmask_b32_e32 v4, v8, v4, vcc
	;; [unrolled: 1-line block ×4, first 2 shown]
	v_cmp_ge_u64_e32 vcc, v[2:3], v[4:5]
	s_or_b64 s[6:7], vcc, s[6:7]
	s_andn2_b64 exec, exec, s[6:7]
	s_cbranch_execnz .LBB702_3
; %bb.4:
	s_or_b64 exec, exec, s[6:7]
.LBB702_5:
	v_cmp_eq_u64_e64 s[6:7], s[0:1], v[2:3]
	v_cmp_ne_u64_e64 s[14:15], s[0:1], v[2:3]
	s_branch .LBB702_14
.LBB702_6:
	s_mov_b64 s[14:15], 0
	s_mov_b64 s[6:7], 0
                                        ; implicit-def: $vgpr6
                                        ; implicit-def: $vgpr2_vgpr3
	s_cbranch_execz .LBB702_14
; %bb.7:
	s_load_dword s4, s[4:5], 0x10
                                        ; implicit-def: $vgpr6
                                        ; implicit-def: $vgpr2_vgpr3
	s_waitcnt lgkmcnt(0)
	s_sub_i32 s4, s4, s12
	v_cmp_gt_u32_e32 vcc, s4, v0
	s_and_saveexec_b64 s[4:5], vcc
	s_cbranch_execz .LBB702_13
; %bb.8:
	s_lshl_b64 s[16:17], s[12:13], 2
	s_add_u32 s16, s18, s16
	s_addc_u32 s17, s19, s17
	v_lshlrev_b32_e32 v1, 2, v0
	v_mov_b32_e32 v2, s17
	v_add_co_u32_e32 v1, vcc, s16, v1
	v_addc_co_u32_e32 v2, vcc, 0, v2, vcc
	s_waitcnt vmcnt(0)
	flat_load_dword v6, v[1:2]
	v_mov_b32_e32 v2, 0
	v_mov_b32_e32 v1, 0
	s_cmp_eq_u64 s[0:1], 0
	s_mov_b64 s[16:17], 0
	v_mov_b32_e32 v3, 0
	s_cbranch_scc1 .LBB702_12
; %bb.9:
	v_mov_b32_e32 v5, s1
	v_mov_b32_e32 v4, s0
	;; [unrolled: 1-line block ×3, first 2 shown]
.LBB702_10:                             ; =>This Inner Loop Header: Depth=1
	v_sub_co_u32_e32 v8, vcc, v4, v2
	v_subb_co_u32_e32 v9, vcc, v5, v3, vcc
	v_lshrrev_b64 v[10:11], 1, v[8:9]
	v_lshrrev_b64 v[8:9], 6, v[8:9]
	v_add_co_u32_e32 v10, vcc, v10, v2
	v_addc_co_u32_e32 v11, vcc, v11, v3, vcc
	v_add_co_u32_e32 v8, vcc, v10, v8
	v_addc_co_u32_e32 v9, vcc, v11, v9, vcc
	v_lshlrev_b64 v[10:11], 2, v[8:9]
	v_add_co_u32_e32 v10, vcc, s10, v10
	v_addc_co_u32_e32 v11, vcc, v7, v11, vcc
	global_load_dword v10, v[10:11], off
	v_add_co_u32_e32 v11, vcc, 1, v8
	v_addc_co_u32_e32 v12, vcc, 0, v9, vcc
	s_waitcnt vmcnt(0) lgkmcnt(0)
	v_cmp_lt_i32_e32 vcc, v10, v6
	v_cndmask_b32_e32 v5, v9, v5, vcc
	v_cndmask_b32_e32 v4, v8, v4, vcc
	;; [unrolled: 1-line block ×4, first 2 shown]
	v_cmp_ge_u64_e32 vcc, v[2:3], v[4:5]
	s_or_b64 s[16:17], vcc, s[16:17]
	s_andn2_b64 exec, exec, s[16:17]
	s_cbranch_execnz .LBB702_10
; %bb.11:
	s_or_b64 exec, exec, s[16:17]
.LBB702_12:
	v_cmp_eq_u64_e32 vcc, s[0:1], v[2:3]
	v_cmp_ne_u64_e64 s[0:1], s[0:1], v[2:3]
	s_andn2_b64 s[6:7], s[6:7], exec
	s_and_b64 s[16:17], vcc, exec
	s_andn2_b64 s[14:15], s[14:15], exec
	s_and_b64 s[0:1], s[0:1], exec
	s_or_b64 s[6:7], s[6:7], s[16:17]
	s_or_b64 s[14:15], s[14:15], s[0:1]
.LBB702_13:
	s_or_b64 exec, exec, s[4:5]
.LBB702_14:
	v_mov_b32_e32 v4, 0
	s_and_saveexec_b64 s[0:1], s[14:15]
	s_cbranch_execnz .LBB702_17
; %bb.15:
	s_or_b64 exec, exec, s[0:1]
	s_and_saveexec_b64 s[0:1], s[6:7]
	s_cbranch_execnz .LBB702_18
.LBB702_16:
	s_endpgm
.LBB702_17:
	v_lshlrev_b64 v[2:3], 2, v[2:3]
	v_mov_b32_e32 v4, s11
	v_add_co_u32_e32 v2, vcc, s10, v2
	v_addc_co_u32_e32 v3, vcc, v4, v3, vcc
	global_load_dword v2, v[2:3], off
	s_or_b64 s[6:7], s[6:7], exec
	s_waitcnt vmcnt(0) lgkmcnt(0)
	v_cmp_ge_i32_e32 vcc, v6, v2
	v_cndmask_b32_e64 v4, 0, 1, vcc
	s_or_b64 exec, exec, s[0:1]
	s_and_saveexec_b64 s[0:1], s[6:7]
	s_cbranch_execz .LBB702_16
.LBB702_18:
	s_add_u32 s2, s8, s2
	s_addc_u32 s3, s9, s3
	s_lshl_b64 s[0:1], s[12:13], 2
	s_add_u32 s0, s2, s0
	v_lshlrev_b64 v[0:1], 2, v[0:1]
	s_addc_u32 s1, s3, s1
	v_mov_b32_e32 v2, s1
	v_add_co_u32_e32 v0, vcc, s0, v0
	v_addc_co_u32_e32 v1, vcc, v2, v1, vcc
	flat_store_dword v[0:1], v4
	s_endpgm
	.section	.rodata,"a",@progbits
	.p2align	6, 0x0
	.amdhsa_kernel _ZN7rocprim17ROCPRIM_400000_NS6detail17trampoline_kernelINS0_14default_configENS1_29binary_search_config_selectorIiiEEZNS1_14transform_implILb0ES3_S5_N6thrust23THRUST_200600_302600_NS6detail15normal_iteratorINS8_7pointerIiNS8_11hip_rocprim12par_nosync_tENS8_11use_defaultESE_EEEESG_ZNS1_13binary_searchIS3_S5_NSA_INS8_10device_ptrIiEEEESG_SG_NS1_16binary_search_opENS9_16wrapped_functionINS8_6system6detail7generic6detail18binary_search_lessEbEEEE10hipError_tPvRmT1_T2_T3_mmT4_T5_P12ihipStream_tbEUlRKiE_EEST_SX_SY_mSZ_S12_bEUlT_E_NS1_11comp_targetILNS1_3genE2ELNS1_11target_archE906ELNS1_3gpuE6ELNS1_3repE0EEENS1_30default_config_static_selectorELNS0_4arch9wavefront6targetE1EEEvSW_
		.amdhsa_group_segment_fixed_size 0
		.amdhsa_private_segment_fixed_size 0
		.amdhsa_kernarg_size 312
		.amdhsa_user_sgpr_count 6
		.amdhsa_user_sgpr_private_segment_buffer 1
		.amdhsa_user_sgpr_dispatch_ptr 0
		.amdhsa_user_sgpr_queue_ptr 0
		.amdhsa_user_sgpr_kernarg_segment_ptr 1
		.amdhsa_user_sgpr_dispatch_id 0
		.amdhsa_user_sgpr_flat_scratch_init 0
		.amdhsa_user_sgpr_private_segment_size 0
		.amdhsa_uses_dynamic_stack 0
		.amdhsa_system_sgpr_private_segment_wavefront_offset 0
		.amdhsa_system_sgpr_workgroup_id_x 1
		.amdhsa_system_sgpr_workgroup_id_y 0
		.amdhsa_system_sgpr_workgroup_id_z 0
		.amdhsa_system_sgpr_workgroup_info 0
		.amdhsa_system_vgpr_workitem_id 0
		.amdhsa_next_free_vgpr 13
		.amdhsa_next_free_sgpr 20
		.amdhsa_reserve_vcc 1
		.amdhsa_reserve_flat_scratch 0
		.amdhsa_float_round_mode_32 0
		.amdhsa_float_round_mode_16_64 0
		.amdhsa_float_denorm_mode_32 3
		.amdhsa_float_denorm_mode_16_64 3
		.amdhsa_dx10_clamp 1
		.amdhsa_ieee_mode 1
		.amdhsa_fp16_overflow 0
		.amdhsa_exception_fp_ieee_invalid_op 0
		.amdhsa_exception_fp_denorm_src 0
		.amdhsa_exception_fp_ieee_div_zero 0
		.amdhsa_exception_fp_ieee_overflow 0
		.amdhsa_exception_fp_ieee_underflow 0
		.amdhsa_exception_fp_ieee_inexact 0
		.amdhsa_exception_int_div_zero 0
	.end_amdhsa_kernel
	.section	.text._ZN7rocprim17ROCPRIM_400000_NS6detail17trampoline_kernelINS0_14default_configENS1_29binary_search_config_selectorIiiEEZNS1_14transform_implILb0ES3_S5_N6thrust23THRUST_200600_302600_NS6detail15normal_iteratorINS8_7pointerIiNS8_11hip_rocprim12par_nosync_tENS8_11use_defaultESE_EEEESG_ZNS1_13binary_searchIS3_S5_NSA_INS8_10device_ptrIiEEEESG_SG_NS1_16binary_search_opENS9_16wrapped_functionINS8_6system6detail7generic6detail18binary_search_lessEbEEEE10hipError_tPvRmT1_T2_T3_mmT4_T5_P12ihipStream_tbEUlRKiE_EEST_SX_SY_mSZ_S12_bEUlT_E_NS1_11comp_targetILNS1_3genE2ELNS1_11target_archE906ELNS1_3gpuE6ELNS1_3repE0EEENS1_30default_config_static_selectorELNS0_4arch9wavefront6targetE1EEEvSW_,"axG",@progbits,_ZN7rocprim17ROCPRIM_400000_NS6detail17trampoline_kernelINS0_14default_configENS1_29binary_search_config_selectorIiiEEZNS1_14transform_implILb0ES3_S5_N6thrust23THRUST_200600_302600_NS6detail15normal_iteratorINS8_7pointerIiNS8_11hip_rocprim12par_nosync_tENS8_11use_defaultESE_EEEESG_ZNS1_13binary_searchIS3_S5_NSA_INS8_10device_ptrIiEEEESG_SG_NS1_16binary_search_opENS9_16wrapped_functionINS8_6system6detail7generic6detail18binary_search_lessEbEEEE10hipError_tPvRmT1_T2_T3_mmT4_T5_P12ihipStream_tbEUlRKiE_EEST_SX_SY_mSZ_S12_bEUlT_E_NS1_11comp_targetILNS1_3genE2ELNS1_11target_archE906ELNS1_3gpuE6ELNS1_3repE0EEENS1_30default_config_static_selectorELNS0_4arch9wavefront6targetE1EEEvSW_,comdat
.Lfunc_end702:
	.size	_ZN7rocprim17ROCPRIM_400000_NS6detail17trampoline_kernelINS0_14default_configENS1_29binary_search_config_selectorIiiEEZNS1_14transform_implILb0ES3_S5_N6thrust23THRUST_200600_302600_NS6detail15normal_iteratorINS8_7pointerIiNS8_11hip_rocprim12par_nosync_tENS8_11use_defaultESE_EEEESG_ZNS1_13binary_searchIS3_S5_NSA_INS8_10device_ptrIiEEEESG_SG_NS1_16binary_search_opENS9_16wrapped_functionINS8_6system6detail7generic6detail18binary_search_lessEbEEEE10hipError_tPvRmT1_T2_T3_mmT4_T5_P12ihipStream_tbEUlRKiE_EEST_SX_SY_mSZ_S12_bEUlT_E_NS1_11comp_targetILNS1_3genE2ELNS1_11target_archE906ELNS1_3gpuE6ELNS1_3repE0EEENS1_30default_config_static_selectorELNS0_4arch9wavefront6targetE1EEEvSW_, .Lfunc_end702-_ZN7rocprim17ROCPRIM_400000_NS6detail17trampoline_kernelINS0_14default_configENS1_29binary_search_config_selectorIiiEEZNS1_14transform_implILb0ES3_S5_N6thrust23THRUST_200600_302600_NS6detail15normal_iteratorINS8_7pointerIiNS8_11hip_rocprim12par_nosync_tENS8_11use_defaultESE_EEEESG_ZNS1_13binary_searchIS3_S5_NSA_INS8_10device_ptrIiEEEESG_SG_NS1_16binary_search_opENS9_16wrapped_functionINS8_6system6detail7generic6detail18binary_search_lessEbEEEE10hipError_tPvRmT1_T2_T3_mmT4_T5_P12ihipStream_tbEUlRKiE_EEST_SX_SY_mSZ_S12_bEUlT_E_NS1_11comp_targetILNS1_3genE2ELNS1_11target_archE906ELNS1_3gpuE6ELNS1_3repE0EEENS1_30default_config_static_selectorELNS0_4arch9wavefront6targetE1EEEvSW_
                                        ; -- End function
	.set _ZN7rocprim17ROCPRIM_400000_NS6detail17trampoline_kernelINS0_14default_configENS1_29binary_search_config_selectorIiiEEZNS1_14transform_implILb0ES3_S5_N6thrust23THRUST_200600_302600_NS6detail15normal_iteratorINS8_7pointerIiNS8_11hip_rocprim12par_nosync_tENS8_11use_defaultESE_EEEESG_ZNS1_13binary_searchIS3_S5_NSA_INS8_10device_ptrIiEEEESG_SG_NS1_16binary_search_opENS9_16wrapped_functionINS8_6system6detail7generic6detail18binary_search_lessEbEEEE10hipError_tPvRmT1_T2_T3_mmT4_T5_P12ihipStream_tbEUlRKiE_EEST_SX_SY_mSZ_S12_bEUlT_E_NS1_11comp_targetILNS1_3genE2ELNS1_11target_archE906ELNS1_3gpuE6ELNS1_3repE0EEENS1_30default_config_static_selectorELNS0_4arch9wavefront6targetE1EEEvSW_.num_vgpr, 13
	.set _ZN7rocprim17ROCPRIM_400000_NS6detail17trampoline_kernelINS0_14default_configENS1_29binary_search_config_selectorIiiEEZNS1_14transform_implILb0ES3_S5_N6thrust23THRUST_200600_302600_NS6detail15normal_iteratorINS8_7pointerIiNS8_11hip_rocprim12par_nosync_tENS8_11use_defaultESE_EEEESG_ZNS1_13binary_searchIS3_S5_NSA_INS8_10device_ptrIiEEEESG_SG_NS1_16binary_search_opENS9_16wrapped_functionINS8_6system6detail7generic6detail18binary_search_lessEbEEEE10hipError_tPvRmT1_T2_T3_mmT4_T5_P12ihipStream_tbEUlRKiE_EEST_SX_SY_mSZ_S12_bEUlT_E_NS1_11comp_targetILNS1_3genE2ELNS1_11target_archE906ELNS1_3gpuE6ELNS1_3repE0EEENS1_30default_config_static_selectorELNS0_4arch9wavefront6targetE1EEEvSW_.num_agpr, 0
	.set _ZN7rocprim17ROCPRIM_400000_NS6detail17trampoline_kernelINS0_14default_configENS1_29binary_search_config_selectorIiiEEZNS1_14transform_implILb0ES3_S5_N6thrust23THRUST_200600_302600_NS6detail15normal_iteratorINS8_7pointerIiNS8_11hip_rocprim12par_nosync_tENS8_11use_defaultESE_EEEESG_ZNS1_13binary_searchIS3_S5_NSA_INS8_10device_ptrIiEEEESG_SG_NS1_16binary_search_opENS9_16wrapped_functionINS8_6system6detail7generic6detail18binary_search_lessEbEEEE10hipError_tPvRmT1_T2_T3_mmT4_T5_P12ihipStream_tbEUlRKiE_EEST_SX_SY_mSZ_S12_bEUlT_E_NS1_11comp_targetILNS1_3genE2ELNS1_11target_archE906ELNS1_3gpuE6ELNS1_3repE0EEENS1_30default_config_static_selectorELNS0_4arch9wavefront6targetE1EEEvSW_.numbered_sgpr, 20
	.set _ZN7rocprim17ROCPRIM_400000_NS6detail17trampoline_kernelINS0_14default_configENS1_29binary_search_config_selectorIiiEEZNS1_14transform_implILb0ES3_S5_N6thrust23THRUST_200600_302600_NS6detail15normal_iteratorINS8_7pointerIiNS8_11hip_rocprim12par_nosync_tENS8_11use_defaultESE_EEEESG_ZNS1_13binary_searchIS3_S5_NSA_INS8_10device_ptrIiEEEESG_SG_NS1_16binary_search_opENS9_16wrapped_functionINS8_6system6detail7generic6detail18binary_search_lessEbEEEE10hipError_tPvRmT1_T2_T3_mmT4_T5_P12ihipStream_tbEUlRKiE_EEST_SX_SY_mSZ_S12_bEUlT_E_NS1_11comp_targetILNS1_3genE2ELNS1_11target_archE906ELNS1_3gpuE6ELNS1_3repE0EEENS1_30default_config_static_selectorELNS0_4arch9wavefront6targetE1EEEvSW_.num_named_barrier, 0
	.set _ZN7rocprim17ROCPRIM_400000_NS6detail17trampoline_kernelINS0_14default_configENS1_29binary_search_config_selectorIiiEEZNS1_14transform_implILb0ES3_S5_N6thrust23THRUST_200600_302600_NS6detail15normal_iteratorINS8_7pointerIiNS8_11hip_rocprim12par_nosync_tENS8_11use_defaultESE_EEEESG_ZNS1_13binary_searchIS3_S5_NSA_INS8_10device_ptrIiEEEESG_SG_NS1_16binary_search_opENS9_16wrapped_functionINS8_6system6detail7generic6detail18binary_search_lessEbEEEE10hipError_tPvRmT1_T2_T3_mmT4_T5_P12ihipStream_tbEUlRKiE_EEST_SX_SY_mSZ_S12_bEUlT_E_NS1_11comp_targetILNS1_3genE2ELNS1_11target_archE906ELNS1_3gpuE6ELNS1_3repE0EEENS1_30default_config_static_selectorELNS0_4arch9wavefront6targetE1EEEvSW_.private_seg_size, 0
	.set _ZN7rocprim17ROCPRIM_400000_NS6detail17trampoline_kernelINS0_14default_configENS1_29binary_search_config_selectorIiiEEZNS1_14transform_implILb0ES3_S5_N6thrust23THRUST_200600_302600_NS6detail15normal_iteratorINS8_7pointerIiNS8_11hip_rocprim12par_nosync_tENS8_11use_defaultESE_EEEESG_ZNS1_13binary_searchIS3_S5_NSA_INS8_10device_ptrIiEEEESG_SG_NS1_16binary_search_opENS9_16wrapped_functionINS8_6system6detail7generic6detail18binary_search_lessEbEEEE10hipError_tPvRmT1_T2_T3_mmT4_T5_P12ihipStream_tbEUlRKiE_EEST_SX_SY_mSZ_S12_bEUlT_E_NS1_11comp_targetILNS1_3genE2ELNS1_11target_archE906ELNS1_3gpuE6ELNS1_3repE0EEENS1_30default_config_static_selectorELNS0_4arch9wavefront6targetE1EEEvSW_.uses_vcc, 1
	.set _ZN7rocprim17ROCPRIM_400000_NS6detail17trampoline_kernelINS0_14default_configENS1_29binary_search_config_selectorIiiEEZNS1_14transform_implILb0ES3_S5_N6thrust23THRUST_200600_302600_NS6detail15normal_iteratorINS8_7pointerIiNS8_11hip_rocprim12par_nosync_tENS8_11use_defaultESE_EEEESG_ZNS1_13binary_searchIS3_S5_NSA_INS8_10device_ptrIiEEEESG_SG_NS1_16binary_search_opENS9_16wrapped_functionINS8_6system6detail7generic6detail18binary_search_lessEbEEEE10hipError_tPvRmT1_T2_T3_mmT4_T5_P12ihipStream_tbEUlRKiE_EEST_SX_SY_mSZ_S12_bEUlT_E_NS1_11comp_targetILNS1_3genE2ELNS1_11target_archE906ELNS1_3gpuE6ELNS1_3repE0EEENS1_30default_config_static_selectorELNS0_4arch9wavefront6targetE1EEEvSW_.uses_flat_scratch, 0
	.set _ZN7rocprim17ROCPRIM_400000_NS6detail17trampoline_kernelINS0_14default_configENS1_29binary_search_config_selectorIiiEEZNS1_14transform_implILb0ES3_S5_N6thrust23THRUST_200600_302600_NS6detail15normal_iteratorINS8_7pointerIiNS8_11hip_rocprim12par_nosync_tENS8_11use_defaultESE_EEEESG_ZNS1_13binary_searchIS3_S5_NSA_INS8_10device_ptrIiEEEESG_SG_NS1_16binary_search_opENS9_16wrapped_functionINS8_6system6detail7generic6detail18binary_search_lessEbEEEE10hipError_tPvRmT1_T2_T3_mmT4_T5_P12ihipStream_tbEUlRKiE_EEST_SX_SY_mSZ_S12_bEUlT_E_NS1_11comp_targetILNS1_3genE2ELNS1_11target_archE906ELNS1_3gpuE6ELNS1_3repE0EEENS1_30default_config_static_selectorELNS0_4arch9wavefront6targetE1EEEvSW_.has_dyn_sized_stack, 0
	.set _ZN7rocprim17ROCPRIM_400000_NS6detail17trampoline_kernelINS0_14default_configENS1_29binary_search_config_selectorIiiEEZNS1_14transform_implILb0ES3_S5_N6thrust23THRUST_200600_302600_NS6detail15normal_iteratorINS8_7pointerIiNS8_11hip_rocprim12par_nosync_tENS8_11use_defaultESE_EEEESG_ZNS1_13binary_searchIS3_S5_NSA_INS8_10device_ptrIiEEEESG_SG_NS1_16binary_search_opENS9_16wrapped_functionINS8_6system6detail7generic6detail18binary_search_lessEbEEEE10hipError_tPvRmT1_T2_T3_mmT4_T5_P12ihipStream_tbEUlRKiE_EEST_SX_SY_mSZ_S12_bEUlT_E_NS1_11comp_targetILNS1_3genE2ELNS1_11target_archE906ELNS1_3gpuE6ELNS1_3repE0EEENS1_30default_config_static_selectorELNS0_4arch9wavefront6targetE1EEEvSW_.has_recursion, 0
	.set _ZN7rocprim17ROCPRIM_400000_NS6detail17trampoline_kernelINS0_14default_configENS1_29binary_search_config_selectorIiiEEZNS1_14transform_implILb0ES3_S5_N6thrust23THRUST_200600_302600_NS6detail15normal_iteratorINS8_7pointerIiNS8_11hip_rocprim12par_nosync_tENS8_11use_defaultESE_EEEESG_ZNS1_13binary_searchIS3_S5_NSA_INS8_10device_ptrIiEEEESG_SG_NS1_16binary_search_opENS9_16wrapped_functionINS8_6system6detail7generic6detail18binary_search_lessEbEEEE10hipError_tPvRmT1_T2_T3_mmT4_T5_P12ihipStream_tbEUlRKiE_EEST_SX_SY_mSZ_S12_bEUlT_E_NS1_11comp_targetILNS1_3genE2ELNS1_11target_archE906ELNS1_3gpuE6ELNS1_3repE0EEENS1_30default_config_static_selectorELNS0_4arch9wavefront6targetE1EEEvSW_.has_indirect_call, 0
	.section	.AMDGPU.csdata,"",@progbits
; Kernel info:
; codeLenInByte = 688
; TotalNumSgprs: 24
; NumVgprs: 13
; ScratchSize: 0
; MemoryBound: 0
; FloatMode: 240
; IeeeMode: 1
; LDSByteSize: 0 bytes/workgroup (compile time only)
; SGPRBlocks: 2
; VGPRBlocks: 3
; NumSGPRsForWavesPerEU: 24
; NumVGPRsForWavesPerEU: 13
; Occupancy: 10
; WaveLimiterHint : 0
; COMPUTE_PGM_RSRC2:SCRATCH_EN: 0
; COMPUTE_PGM_RSRC2:USER_SGPR: 6
; COMPUTE_PGM_RSRC2:TRAP_HANDLER: 0
; COMPUTE_PGM_RSRC2:TGID_X_EN: 1
; COMPUTE_PGM_RSRC2:TGID_Y_EN: 0
; COMPUTE_PGM_RSRC2:TGID_Z_EN: 0
; COMPUTE_PGM_RSRC2:TIDIG_COMP_CNT: 0
	.section	.text._ZN7rocprim17ROCPRIM_400000_NS6detail17trampoline_kernelINS0_14default_configENS1_29binary_search_config_selectorIiiEEZNS1_14transform_implILb0ES3_S5_N6thrust23THRUST_200600_302600_NS6detail15normal_iteratorINS8_7pointerIiNS8_11hip_rocprim12par_nosync_tENS8_11use_defaultESE_EEEESG_ZNS1_13binary_searchIS3_S5_NSA_INS8_10device_ptrIiEEEESG_SG_NS1_16binary_search_opENS9_16wrapped_functionINS8_6system6detail7generic6detail18binary_search_lessEbEEEE10hipError_tPvRmT1_T2_T3_mmT4_T5_P12ihipStream_tbEUlRKiE_EEST_SX_SY_mSZ_S12_bEUlT_E_NS1_11comp_targetILNS1_3genE10ELNS1_11target_archE1201ELNS1_3gpuE5ELNS1_3repE0EEENS1_30default_config_static_selectorELNS0_4arch9wavefront6targetE1EEEvSW_,"axG",@progbits,_ZN7rocprim17ROCPRIM_400000_NS6detail17trampoline_kernelINS0_14default_configENS1_29binary_search_config_selectorIiiEEZNS1_14transform_implILb0ES3_S5_N6thrust23THRUST_200600_302600_NS6detail15normal_iteratorINS8_7pointerIiNS8_11hip_rocprim12par_nosync_tENS8_11use_defaultESE_EEEESG_ZNS1_13binary_searchIS3_S5_NSA_INS8_10device_ptrIiEEEESG_SG_NS1_16binary_search_opENS9_16wrapped_functionINS8_6system6detail7generic6detail18binary_search_lessEbEEEE10hipError_tPvRmT1_T2_T3_mmT4_T5_P12ihipStream_tbEUlRKiE_EEST_SX_SY_mSZ_S12_bEUlT_E_NS1_11comp_targetILNS1_3genE10ELNS1_11target_archE1201ELNS1_3gpuE5ELNS1_3repE0EEENS1_30default_config_static_selectorELNS0_4arch9wavefront6targetE1EEEvSW_,comdat
	.protected	_ZN7rocprim17ROCPRIM_400000_NS6detail17trampoline_kernelINS0_14default_configENS1_29binary_search_config_selectorIiiEEZNS1_14transform_implILb0ES3_S5_N6thrust23THRUST_200600_302600_NS6detail15normal_iteratorINS8_7pointerIiNS8_11hip_rocprim12par_nosync_tENS8_11use_defaultESE_EEEESG_ZNS1_13binary_searchIS3_S5_NSA_INS8_10device_ptrIiEEEESG_SG_NS1_16binary_search_opENS9_16wrapped_functionINS8_6system6detail7generic6detail18binary_search_lessEbEEEE10hipError_tPvRmT1_T2_T3_mmT4_T5_P12ihipStream_tbEUlRKiE_EEST_SX_SY_mSZ_S12_bEUlT_E_NS1_11comp_targetILNS1_3genE10ELNS1_11target_archE1201ELNS1_3gpuE5ELNS1_3repE0EEENS1_30default_config_static_selectorELNS0_4arch9wavefront6targetE1EEEvSW_ ; -- Begin function _ZN7rocprim17ROCPRIM_400000_NS6detail17trampoline_kernelINS0_14default_configENS1_29binary_search_config_selectorIiiEEZNS1_14transform_implILb0ES3_S5_N6thrust23THRUST_200600_302600_NS6detail15normal_iteratorINS8_7pointerIiNS8_11hip_rocprim12par_nosync_tENS8_11use_defaultESE_EEEESG_ZNS1_13binary_searchIS3_S5_NSA_INS8_10device_ptrIiEEEESG_SG_NS1_16binary_search_opENS9_16wrapped_functionINS8_6system6detail7generic6detail18binary_search_lessEbEEEE10hipError_tPvRmT1_T2_T3_mmT4_T5_P12ihipStream_tbEUlRKiE_EEST_SX_SY_mSZ_S12_bEUlT_E_NS1_11comp_targetILNS1_3genE10ELNS1_11target_archE1201ELNS1_3gpuE5ELNS1_3repE0EEENS1_30default_config_static_selectorELNS0_4arch9wavefront6targetE1EEEvSW_
	.globl	_ZN7rocprim17ROCPRIM_400000_NS6detail17trampoline_kernelINS0_14default_configENS1_29binary_search_config_selectorIiiEEZNS1_14transform_implILb0ES3_S5_N6thrust23THRUST_200600_302600_NS6detail15normal_iteratorINS8_7pointerIiNS8_11hip_rocprim12par_nosync_tENS8_11use_defaultESE_EEEESG_ZNS1_13binary_searchIS3_S5_NSA_INS8_10device_ptrIiEEEESG_SG_NS1_16binary_search_opENS9_16wrapped_functionINS8_6system6detail7generic6detail18binary_search_lessEbEEEE10hipError_tPvRmT1_T2_T3_mmT4_T5_P12ihipStream_tbEUlRKiE_EEST_SX_SY_mSZ_S12_bEUlT_E_NS1_11comp_targetILNS1_3genE10ELNS1_11target_archE1201ELNS1_3gpuE5ELNS1_3repE0EEENS1_30default_config_static_selectorELNS0_4arch9wavefront6targetE1EEEvSW_
	.p2align	8
	.type	_ZN7rocprim17ROCPRIM_400000_NS6detail17trampoline_kernelINS0_14default_configENS1_29binary_search_config_selectorIiiEEZNS1_14transform_implILb0ES3_S5_N6thrust23THRUST_200600_302600_NS6detail15normal_iteratorINS8_7pointerIiNS8_11hip_rocprim12par_nosync_tENS8_11use_defaultESE_EEEESG_ZNS1_13binary_searchIS3_S5_NSA_INS8_10device_ptrIiEEEESG_SG_NS1_16binary_search_opENS9_16wrapped_functionINS8_6system6detail7generic6detail18binary_search_lessEbEEEE10hipError_tPvRmT1_T2_T3_mmT4_T5_P12ihipStream_tbEUlRKiE_EEST_SX_SY_mSZ_S12_bEUlT_E_NS1_11comp_targetILNS1_3genE10ELNS1_11target_archE1201ELNS1_3gpuE5ELNS1_3repE0EEENS1_30default_config_static_selectorELNS0_4arch9wavefront6targetE1EEEvSW_,@function
_ZN7rocprim17ROCPRIM_400000_NS6detail17trampoline_kernelINS0_14default_configENS1_29binary_search_config_selectorIiiEEZNS1_14transform_implILb0ES3_S5_N6thrust23THRUST_200600_302600_NS6detail15normal_iteratorINS8_7pointerIiNS8_11hip_rocprim12par_nosync_tENS8_11use_defaultESE_EEEESG_ZNS1_13binary_searchIS3_S5_NSA_INS8_10device_ptrIiEEEESG_SG_NS1_16binary_search_opENS9_16wrapped_functionINS8_6system6detail7generic6detail18binary_search_lessEbEEEE10hipError_tPvRmT1_T2_T3_mmT4_T5_P12ihipStream_tbEUlRKiE_EEST_SX_SY_mSZ_S12_bEUlT_E_NS1_11comp_targetILNS1_3genE10ELNS1_11target_archE1201ELNS1_3gpuE5ELNS1_3repE0EEENS1_30default_config_static_selectorELNS0_4arch9wavefront6targetE1EEEvSW_: ; @_ZN7rocprim17ROCPRIM_400000_NS6detail17trampoline_kernelINS0_14default_configENS1_29binary_search_config_selectorIiiEEZNS1_14transform_implILb0ES3_S5_N6thrust23THRUST_200600_302600_NS6detail15normal_iteratorINS8_7pointerIiNS8_11hip_rocprim12par_nosync_tENS8_11use_defaultESE_EEEESG_ZNS1_13binary_searchIS3_S5_NSA_INS8_10device_ptrIiEEEESG_SG_NS1_16binary_search_opENS9_16wrapped_functionINS8_6system6detail7generic6detail18binary_search_lessEbEEEE10hipError_tPvRmT1_T2_T3_mmT4_T5_P12ihipStream_tbEUlRKiE_EEST_SX_SY_mSZ_S12_bEUlT_E_NS1_11comp_targetILNS1_3genE10ELNS1_11target_archE1201ELNS1_3gpuE5ELNS1_3repE0EEENS1_30default_config_static_selectorELNS0_4arch9wavefront6targetE1EEEvSW_
; %bb.0:
	.section	.rodata,"a",@progbits
	.p2align	6, 0x0
	.amdhsa_kernel _ZN7rocprim17ROCPRIM_400000_NS6detail17trampoline_kernelINS0_14default_configENS1_29binary_search_config_selectorIiiEEZNS1_14transform_implILb0ES3_S5_N6thrust23THRUST_200600_302600_NS6detail15normal_iteratorINS8_7pointerIiNS8_11hip_rocprim12par_nosync_tENS8_11use_defaultESE_EEEESG_ZNS1_13binary_searchIS3_S5_NSA_INS8_10device_ptrIiEEEESG_SG_NS1_16binary_search_opENS9_16wrapped_functionINS8_6system6detail7generic6detail18binary_search_lessEbEEEE10hipError_tPvRmT1_T2_T3_mmT4_T5_P12ihipStream_tbEUlRKiE_EEST_SX_SY_mSZ_S12_bEUlT_E_NS1_11comp_targetILNS1_3genE10ELNS1_11target_archE1201ELNS1_3gpuE5ELNS1_3repE0EEENS1_30default_config_static_selectorELNS0_4arch9wavefront6targetE1EEEvSW_
		.amdhsa_group_segment_fixed_size 0
		.amdhsa_private_segment_fixed_size 0
		.amdhsa_kernarg_size 56
		.amdhsa_user_sgpr_count 6
		.amdhsa_user_sgpr_private_segment_buffer 1
		.amdhsa_user_sgpr_dispatch_ptr 0
		.amdhsa_user_sgpr_queue_ptr 0
		.amdhsa_user_sgpr_kernarg_segment_ptr 1
		.amdhsa_user_sgpr_dispatch_id 0
		.amdhsa_user_sgpr_flat_scratch_init 0
		.amdhsa_user_sgpr_private_segment_size 0
		.amdhsa_uses_dynamic_stack 0
		.amdhsa_system_sgpr_private_segment_wavefront_offset 0
		.amdhsa_system_sgpr_workgroup_id_x 1
		.amdhsa_system_sgpr_workgroup_id_y 0
		.amdhsa_system_sgpr_workgroup_id_z 0
		.amdhsa_system_sgpr_workgroup_info 0
		.amdhsa_system_vgpr_workitem_id 0
		.amdhsa_next_free_vgpr 1
		.amdhsa_next_free_sgpr 0
		.amdhsa_reserve_vcc 0
		.amdhsa_reserve_flat_scratch 0
		.amdhsa_float_round_mode_32 0
		.amdhsa_float_round_mode_16_64 0
		.amdhsa_float_denorm_mode_32 3
		.amdhsa_float_denorm_mode_16_64 3
		.amdhsa_dx10_clamp 1
		.amdhsa_ieee_mode 1
		.amdhsa_fp16_overflow 0
		.amdhsa_exception_fp_ieee_invalid_op 0
		.amdhsa_exception_fp_denorm_src 0
		.amdhsa_exception_fp_ieee_div_zero 0
		.amdhsa_exception_fp_ieee_overflow 0
		.amdhsa_exception_fp_ieee_underflow 0
		.amdhsa_exception_fp_ieee_inexact 0
		.amdhsa_exception_int_div_zero 0
	.end_amdhsa_kernel
	.section	.text._ZN7rocprim17ROCPRIM_400000_NS6detail17trampoline_kernelINS0_14default_configENS1_29binary_search_config_selectorIiiEEZNS1_14transform_implILb0ES3_S5_N6thrust23THRUST_200600_302600_NS6detail15normal_iteratorINS8_7pointerIiNS8_11hip_rocprim12par_nosync_tENS8_11use_defaultESE_EEEESG_ZNS1_13binary_searchIS3_S5_NSA_INS8_10device_ptrIiEEEESG_SG_NS1_16binary_search_opENS9_16wrapped_functionINS8_6system6detail7generic6detail18binary_search_lessEbEEEE10hipError_tPvRmT1_T2_T3_mmT4_T5_P12ihipStream_tbEUlRKiE_EEST_SX_SY_mSZ_S12_bEUlT_E_NS1_11comp_targetILNS1_3genE10ELNS1_11target_archE1201ELNS1_3gpuE5ELNS1_3repE0EEENS1_30default_config_static_selectorELNS0_4arch9wavefront6targetE1EEEvSW_,"axG",@progbits,_ZN7rocprim17ROCPRIM_400000_NS6detail17trampoline_kernelINS0_14default_configENS1_29binary_search_config_selectorIiiEEZNS1_14transform_implILb0ES3_S5_N6thrust23THRUST_200600_302600_NS6detail15normal_iteratorINS8_7pointerIiNS8_11hip_rocprim12par_nosync_tENS8_11use_defaultESE_EEEESG_ZNS1_13binary_searchIS3_S5_NSA_INS8_10device_ptrIiEEEESG_SG_NS1_16binary_search_opENS9_16wrapped_functionINS8_6system6detail7generic6detail18binary_search_lessEbEEEE10hipError_tPvRmT1_T2_T3_mmT4_T5_P12ihipStream_tbEUlRKiE_EEST_SX_SY_mSZ_S12_bEUlT_E_NS1_11comp_targetILNS1_3genE10ELNS1_11target_archE1201ELNS1_3gpuE5ELNS1_3repE0EEENS1_30default_config_static_selectorELNS0_4arch9wavefront6targetE1EEEvSW_,comdat
.Lfunc_end703:
	.size	_ZN7rocprim17ROCPRIM_400000_NS6detail17trampoline_kernelINS0_14default_configENS1_29binary_search_config_selectorIiiEEZNS1_14transform_implILb0ES3_S5_N6thrust23THRUST_200600_302600_NS6detail15normal_iteratorINS8_7pointerIiNS8_11hip_rocprim12par_nosync_tENS8_11use_defaultESE_EEEESG_ZNS1_13binary_searchIS3_S5_NSA_INS8_10device_ptrIiEEEESG_SG_NS1_16binary_search_opENS9_16wrapped_functionINS8_6system6detail7generic6detail18binary_search_lessEbEEEE10hipError_tPvRmT1_T2_T3_mmT4_T5_P12ihipStream_tbEUlRKiE_EEST_SX_SY_mSZ_S12_bEUlT_E_NS1_11comp_targetILNS1_3genE10ELNS1_11target_archE1201ELNS1_3gpuE5ELNS1_3repE0EEENS1_30default_config_static_selectorELNS0_4arch9wavefront6targetE1EEEvSW_, .Lfunc_end703-_ZN7rocprim17ROCPRIM_400000_NS6detail17trampoline_kernelINS0_14default_configENS1_29binary_search_config_selectorIiiEEZNS1_14transform_implILb0ES3_S5_N6thrust23THRUST_200600_302600_NS6detail15normal_iteratorINS8_7pointerIiNS8_11hip_rocprim12par_nosync_tENS8_11use_defaultESE_EEEESG_ZNS1_13binary_searchIS3_S5_NSA_INS8_10device_ptrIiEEEESG_SG_NS1_16binary_search_opENS9_16wrapped_functionINS8_6system6detail7generic6detail18binary_search_lessEbEEEE10hipError_tPvRmT1_T2_T3_mmT4_T5_P12ihipStream_tbEUlRKiE_EEST_SX_SY_mSZ_S12_bEUlT_E_NS1_11comp_targetILNS1_3genE10ELNS1_11target_archE1201ELNS1_3gpuE5ELNS1_3repE0EEENS1_30default_config_static_selectorELNS0_4arch9wavefront6targetE1EEEvSW_
                                        ; -- End function
	.set _ZN7rocprim17ROCPRIM_400000_NS6detail17trampoline_kernelINS0_14default_configENS1_29binary_search_config_selectorIiiEEZNS1_14transform_implILb0ES3_S5_N6thrust23THRUST_200600_302600_NS6detail15normal_iteratorINS8_7pointerIiNS8_11hip_rocprim12par_nosync_tENS8_11use_defaultESE_EEEESG_ZNS1_13binary_searchIS3_S5_NSA_INS8_10device_ptrIiEEEESG_SG_NS1_16binary_search_opENS9_16wrapped_functionINS8_6system6detail7generic6detail18binary_search_lessEbEEEE10hipError_tPvRmT1_T2_T3_mmT4_T5_P12ihipStream_tbEUlRKiE_EEST_SX_SY_mSZ_S12_bEUlT_E_NS1_11comp_targetILNS1_3genE10ELNS1_11target_archE1201ELNS1_3gpuE5ELNS1_3repE0EEENS1_30default_config_static_selectorELNS0_4arch9wavefront6targetE1EEEvSW_.num_vgpr, 0
	.set _ZN7rocprim17ROCPRIM_400000_NS6detail17trampoline_kernelINS0_14default_configENS1_29binary_search_config_selectorIiiEEZNS1_14transform_implILb0ES3_S5_N6thrust23THRUST_200600_302600_NS6detail15normal_iteratorINS8_7pointerIiNS8_11hip_rocprim12par_nosync_tENS8_11use_defaultESE_EEEESG_ZNS1_13binary_searchIS3_S5_NSA_INS8_10device_ptrIiEEEESG_SG_NS1_16binary_search_opENS9_16wrapped_functionINS8_6system6detail7generic6detail18binary_search_lessEbEEEE10hipError_tPvRmT1_T2_T3_mmT4_T5_P12ihipStream_tbEUlRKiE_EEST_SX_SY_mSZ_S12_bEUlT_E_NS1_11comp_targetILNS1_3genE10ELNS1_11target_archE1201ELNS1_3gpuE5ELNS1_3repE0EEENS1_30default_config_static_selectorELNS0_4arch9wavefront6targetE1EEEvSW_.num_agpr, 0
	.set _ZN7rocprim17ROCPRIM_400000_NS6detail17trampoline_kernelINS0_14default_configENS1_29binary_search_config_selectorIiiEEZNS1_14transform_implILb0ES3_S5_N6thrust23THRUST_200600_302600_NS6detail15normal_iteratorINS8_7pointerIiNS8_11hip_rocprim12par_nosync_tENS8_11use_defaultESE_EEEESG_ZNS1_13binary_searchIS3_S5_NSA_INS8_10device_ptrIiEEEESG_SG_NS1_16binary_search_opENS9_16wrapped_functionINS8_6system6detail7generic6detail18binary_search_lessEbEEEE10hipError_tPvRmT1_T2_T3_mmT4_T5_P12ihipStream_tbEUlRKiE_EEST_SX_SY_mSZ_S12_bEUlT_E_NS1_11comp_targetILNS1_3genE10ELNS1_11target_archE1201ELNS1_3gpuE5ELNS1_3repE0EEENS1_30default_config_static_selectorELNS0_4arch9wavefront6targetE1EEEvSW_.numbered_sgpr, 0
	.set _ZN7rocprim17ROCPRIM_400000_NS6detail17trampoline_kernelINS0_14default_configENS1_29binary_search_config_selectorIiiEEZNS1_14transform_implILb0ES3_S5_N6thrust23THRUST_200600_302600_NS6detail15normal_iteratorINS8_7pointerIiNS8_11hip_rocprim12par_nosync_tENS8_11use_defaultESE_EEEESG_ZNS1_13binary_searchIS3_S5_NSA_INS8_10device_ptrIiEEEESG_SG_NS1_16binary_search_opENS9_16wrapped_functionINS8_6system6detail7generic6detail18binary_search_lessEbEEEE10hipError_tPvRmT1_T2_T3_mmT4_T5_P12ihipStream_tbEUlRKiE_EEST_SX_SY_mSZ_S12_bEUlT_E_NS1_11comp_targetILNS1_3genE10ELNS1_11target_archE1201ELNS1_3gpuE5ELNS1_3repE0EEENS1_30default_config_static_selectorELNS0_4arch9wavefront6targetE1EEEvSW_.num_named_barrier, 0
	.set _ZN7rocprim17ROCPRIM_400000_NS6detail17trampoline_kernelINS0_14default_configENS1_29binary_search_config_selectorIiiEEZNS1_14transform_implILb0ES3_S5_N6thrust23THRUST_200600_302600_NS6detail15normal_iteratorINS8_7pointerIiNS8_11hip_rocprim12par_nosync_tENS8_11use_defaultESE_EEEESG_ZNS1_13binary_searchIS3_S5_NSA_INS8_10device_ptrIiEEEESG_SG_NS1_16binary_search_opENS9_16wrapped_functionINS8_6system6detail7generic6detail18binary_search_lessEbEEEE10hipError_tPvRmT1_T2_T3_mmT4_T5_P12ihipStream_tbEUlRKiE_EEST_SX_SY_mSZ_S12_bEUlT_E_NS1_11comp_targetILNS1_3genE10ELNS1_11target_archE1201ELNS1_3gpuE5ELNS1_3repE0EEENS1_30default_config_static_selectorELNS0_4arch9wavefront6targetE1EEEvSW_.private_seg_size, 0
	.set _ZN7rocprim17ROCPRIM_400000_NS6detail17trampoline_kernelINS0_14default_configENS1_29binary_search_config_selectorIiiEEZNS1_14transform_implILb0ES3_S5_N6thrust23THRUST_200600_302600_NS6detail15normal_iteratorINS8_7pointerIiNS8_11hip_rocprim12par_nosync_tENS8_11use_defaultESE_EEEESG_ZNS1_13binary_searchIS3_S5_NSA_INS8_10device_ptrIiEEEESG_SG_NS1_16binary_search_opENS9_16wrapped_functionINS8_6system6detail7generic6detail18binary_search_lessEbEEEE10hipError_tPvRmT1_T2_T3_mmT4_T5_P12ihipStream_tbEUlRKiE_EEST_SX_SY_mSZ_S12_bEUlT_E_NS1_11comp_targetILNS1_3genE10ELNS1_11target_archE1201ELNS1_3gpuE5ELNS1_3repE0EEENS1_30default_config_static_selectorELNS0_4arch9wavefront6targetE1EEEvSW_.uses_vcc, 0
	.set _ZN7rocprim17ROCPRIM_400000_NS6detail17trampoline_kernelINS0_14default_configENS1_29binary_search_config_selectorIiiEEZNS1_14transform_implILb0ES3_S5_N6thrust23THRUST_200600_302600_NS6detail15normal_iteratorINS8_7pointerIiNS8_11hip_rocprim12par_nosync_tENS8_11use_defaultESE_EEEESG_ZNS1_13binary_searchIS3_S5_NSA_INS8_10device_ptrIiEEEESG_SG_NS1_16binary_search_opENS9_16wrapped_functionINS8_6system6detail7generic6detail18binary_search_lessEbEEEE10hipError_tPvRmT1_T2_T3_mmT4_T5_P12ihipStream_tbEUlRKiE_EEST_SX_SY_mSZ_S12_bEUlT_E_NS1_11comp_targetILNS1_3genE10ELNS1_11target_archE1201ELNS1_3gpuE5ELNS1_3repE0EEENS1_30default_config_static_selectorELNS0_4arch9wavefront6targetE1EEEvSW_.uses_flat_scratch, 0
	.set _ZN7rocprim17ROCPRIM_400000_NS6detail17trampoline_kernelINS0_14default_configENS1_29binary_search_config_selectorIiiEEZNS1_14transform_implILb0ES3_S5_N6thrust23THRUST_200600_302600_NS6detail15normal_iteratorINS8_7pointerIiNS8_11hip_rocprim12par_nosync_tENS8_11use_defaultESE_EEEESG_ZNS1_13binary_searchIS3_S5_NSA_INS8_10device_ptrIiEEEESG_SG_NS1_16binary_search_opENS9_16wrapped_functionINS8_6system6detail7generic6detail18binary_search_lessEbEEEE10hipError_tPvRmT1_T2_T3_mmT4_T5_P12ihipStream_tbEUlRKiE_EEST_SX_SY_mSZ_S12_bEUlT_E_NS1_11comp_targetILNS1_3genE10ELNS1_11target_archE1201ELNS1_3gpuE5ELNS1_3repE0EEENS1_30default_config_static_selectorELNS0_4arch9wavefront6targetE1EEEvSW_.has_dyn_sized_stack, 0
	.set _ZN7rocprim17ROCPRIM_400000_NS6detail17trampoline_kernelINS0_14default_configENS1_29binary_search_config_selectorIiiEEZNS1_14transform_implILb0ES3_S5_N6thrust23THRUST_200600_302600_NS6detail15normal_iteratorINS8_7pointerIiNS8_11hip_rocprim12par_nosync_tENS8_11use_defaultESE_EEEESG_ZNS1_13binary_searchIS3_S5_NSA_INS8_10device_ptrIiEEEESG_SG_NS1_16binary_search_opENS9_16wrapped_functionINS8_6system6detail7generic6detail18binary_search_lessEbEEEE10hipError_tPvRmT1_T2_T3_mmT4_T5_P12ihipStream_tbEUlRKiE_EEST_SX_SY_mSZ_S12_bEUlT_E_NS1_11comp_targetILNS1_3genE10ELNS1_11target_archE1201ELNS1_3gpuE5ELNS1_3repE0EEENS1_30default_config_static_selectorELNS0_4arch9wavefront6targetE1EEEvSW_.has_recursion, 0
	.set _ZN7rocprim17ROCPRIM_400000_NS6detail17trampoline_kernelINS0_14default_configENS1_29binary_search_config_selectorIiiEEZNS1_14transform_implILb0ES3_S5_N6thrust23THRUST_200600_302600_NS6detail15normal_iteratorINS8_7pointerIiNS8_11hip_rocprim12par_nosync_tENS8_11use_defaultESE_EEEESG_ZNS1_13binary_searchIS3_S5_NSA_INS8_10device_ptrIiEEEESG_SG_NS1_16binary_search_opENS9_16wrapped_functionINS8_6system6detail7generic6detail18binary_search_lessEbEEEE10hipError_tPvRmT1_T2_T3_mmT4_T5_P12ihipStream_tbEUlRKiE_EEST_SX_SY_mSZ_S12_bEUlT_E_NS1_11comp_targetILNS1_3genE10ELNS1_11target_archE1201ELNS1_3gpuE5ELNS1_3repE0EEENS1_30default_config_static_selectorELNS0_4arch9wavefront6targetE1EEEvSW_.has_indirect_call, 0
	.section	.AMDGPU.csdata,"",@progbits
; Kernel info:
; codeLenInByte = 0
; TotalNumSgprs: 4
; NumVgprs: 0
; ScratchSize: 0
; MemoryBound: 0
; FloatMode: 240
; IeeeMode: 1
; LDSByteSize: 0 bytes/workgroup (compile time only)
; SGPRBlocks: 0
; VGPRBlocks: 0
; NumSGPRsForWavesPerEU: 4
; NumVGPRsForWavesPerEU: 1
; Occupancy: 10
; WaveLimiterHint : 0
; COMPUTE_PGM_RSRC2:SCRATCH_EN: 0
; COMPUTE_PGM_RSRC2:USER_SGPR: 6
; COMPUTE_PGM_RSRC2:TRAP_HANDLER: 0
; COMPUTE_PGM_RSRC2:TGID_X_EN: 1
; COMPUTE_PGM_RSRC2:TGID_Y_EN: 0
; COMPUTE_PGM_RSRC2:TGID_Z_EN: 0
; COMPUTE_PGM_RSRC2:TIDIG_COMP_CNT: 0
	.section	.text._ZN7rocprim17ROCPRIM_400000_NS6detail17trampoline_kernelINS0_14default_configENS1_29binary_search_config_selectorIiiEEZNS1_14transform_implILb0ES3_S5_N6thrust23THRUST_200600_302600_NS6detail15normal_iteratorINS8_7pointerIiNS8_11hip_rocprim12par_nosync_tENS8_11use_defaultESE_EEEESG_ZNS1_13binary_searchIS3_S5_NSA_INS8_10device_ptrIiEEEESG_SG_NS1_16binary_search_opENS9_16wrapped_functionINS8_6system6detail7generic6detail18binary_search_lessEbEEEE10hipError_tPvRmT1_T2_T3_mmT4_T5_P12ihipStream_tbEUlRKiE_EEST_SX_SY_mSZ_S12_bEUlT_E_NS1_11comp_targetILNS1_3genE10ELNS1_11target_archE1200ELNS1_3gpuE4ELNS1_3repE0EEENS1_30default_config_static_selectorELNS0_4arch9wavefront6targetE1EEEvSW_,"axG",@progbits,_ZN7rocprim17ROCPRIM_400000_NS6detail17trampoline_kernelINS0_14default_configENS1_29binary_search_config_selectorIiiEEZNS1_14transform_implILb0ES3_S5_N6thrust23THRUST_200600_302600_NS6detail15normal_iteratorINS8_7pointerIiNS8_11hip_rocprim12par_nosync_tENS8_11use_defaultESE_EEEESG_ZNS1_13binary_searchIS3_S5_NSA_INS8_10device_ptrIiEEEESG_SG_NS1_16binary_search_opENS9_16wrapped_functionINS8_6system6detail7generic6detail18binary_search_lessEbEEEE10hipError_tPvRmT1_T2_T3_mmT4_T5_P12ihipStream_tbEUlRKiE_EEST_SX_SY_mSZ_S12_bEUlT_E_NS1_11comp_targetILNS1_3genE10ELNS1_11target_archE1200ELNS1_3gpuE4ELNS1_3repE0EEENS1_30default_config_static_selectorELNS0_4arch9wavefront6targetE1EEEvSW_,comdat
	.protected	_ZN7rocprim17ROCPRIM_400000_NS6detail17trampoline_kernelINS0_14default_configENS1_29binary_search_config_selectorIiiEEZNS1_14transform_implILb0ES3_S5_N6thrust23THRUST_200600_302600_NS6detail15normal_iteratorINS8_7pointerIiNS8_11hip_rocprim12par_nosync_tENS8_11use_defaultESE_EEEESG_ZNS1_13binary_searchIS3_S5_NSA_INS8_10device_ptrIiEEEESG_SG_NS1_16binary_search_opENS9_16wrapped_functionINS8_6system6detail7generic6detail18binary_search_lessEbEEEE10hipError_tPvRmT1_T2_T3_mmT4_T5_P12ihipStream_tbEUlRKiE_EEST_SX_SY_mSZ_S12_bEUlT_E_NS1_11comp_targetILNS1_3genE10ELNS1_11target_archE1200ELNS1_3gpuE4ELNS1_3repE0EEENS1_30default_config_static_selectorELNS0_4arch9wavefront6targetE1EEEvSW_ ; -- Begin function _ZN7rocprim17ROCPRIM_400000_NS6detail17trampoline_kernelINS0_14default_configENS1_29binary_search_config_selectorIiiEEZNS1_14transform_implILb0ES3_S5_N6thrust23THRUST_200600_302600_NS6detail15normal_iteratorINS8_7pointerIiNS8_11hip_rocprim12par_nosync_tENS8_11use_defaultESE_EEEESG_ZNS1_13binary_searchIS3_S5_NSA_INS8_10device_ptrIiEEEESG_SG_NS1_16binary_search_opENS9_16wrapped_functionINS8_6system6detail7generic6detail18binary_search_lessEbEEEE10hipError_tPvRmT1_T2_T3_mmT4_T5_P12ihipStream_tbEUlRKiE_EEST_SX_SY_mSZ_S12_bEUlT_E_NS1_11comp_targetILNS1_3genE10ELNS1_11target_archE1200ELNS1_3gpuE4ELNS1_3repE0EEENS1_30default_config_static_selectorELNS0_4arch9wavefront6targetE1EEEvSW_
	.globl	_ZN7rocprim17ROCPRIM_400000_NS6detail17trampoline_kernelINS0_14default_configENS1_29binary_search_config_selectorIiiEEZNS1_14transform_implILb0ES3_S5_N6thrust23THRUST_200600_302600_NS6detail15normal_iteratorINS8_7pointerIiNS8_11hip_rocprim12par_nosync_tENS8_11use_defaultESE_EEEESG_ZNS1_13binary_searchIS3_S5_NSA_INS8_10device_ptrIiEEEESG_SG_NS1_16binary_search_opENS9_16wrapped_functionINS8_6system6detail7generic6detail18binary_search_lessEbEEEE10hipError_tPvRmT1_T2_T3_mmT4_T5_P12ihipStream_tbEUlRKiE_EEST_SX_SY_mSZ_S12_bEUlT_E_NS1_11comp_targetILNS1_3genE10ELNS1_11target_archE1200ELNS1_3gpuE4ELNS1_3repE0EEENS1_30default_config_static_selectorELNS0_4arch9wavefront6targetE1EEEvSW_
	.p2align	8
	.type	_ZN7rocprim17ROCPRIM_400000_NS6detail17trampoline_kernelINS0_14default_configENS1_29binary_search_config_selectorIiiEEZNS1_14transform_implILb0ES3_S5_N6thrust23THRUST_200600_302600_NS6detail15normal_iteratorINS8_7pointerIiNS8_11hip_rocprim12par_nosync_tENS8_11use_defaultESE_EEEESG_ZNS1_13binary_searchIS3_S5_NSA_INS8_10device_ptrIiEEEESG_SG_NS1_16binary_search_opENS9_16wrapped_functionINS8_6system6detail7generic6detail18binary_search_lessEbEEEE10hipError_tPvRmT1_T2_T3_mmT4_T5_P12ihipStream_tbEUlRKiE_EEST_SX_SY_mSZ_S12_bEUlT_E_NS1_11comp_targetILNS1_3genE10ELNS1_11target_archE1200ELNS1_3gpuE4ELNS1_3repE0EEENS1_30default_config_static_selectorELNS0_4arch9wavefront6targetE1EEEvSW_,@function
_ZN7rocprim17ROCPRIM_400000_NS6detail17trampoline_kernelINS0_14default_configENS1_29binary_search_config_selectorIiiEEZNS1_14transform_implILb0ES3_S5_N6thrust23THRUST_200600_302600_NS6detail15normal_iteratorINS8_7pointerIiNS8_11hip_rocprim12par_nosync_tENS8_11use_defaultESE_EEEESG_ZNS1_13binary_searchIS3_S5_NSA_INS8_10device_ptrIiEEEESG_SG_NS1_16binary_search_opENS9_16wrapped_functionINS8_6system6detail7generic6detail18binary_search_lessEbEEEE10hipError_tPvRmT1_T2_T3_mmT4_T5_P12ihipStream_tbEUlRKiE_EEST_SX_SY_mSZ_S12_bEUlT_E_NS1_11comp_targetILNS1_3genE10ELNS1_11target_archE1200ELNS1_3gpuE4ELNS1_3repE0EEENS1_30default_config_static_selectorELNS0_4arch9wavefront6targetE1EEEvSW_: ; @_ZN7rocprim17ROCPRIM_400000_NS6detail17trampoline_kernelINS0_14default_configENS1_29binary_search_config_selectorIiiEEZNS1_14transform_implILb0ES3_S5_N6thrust23THRUST_200600_302600_NS6detail15normal_iteratorINS8_7pointerIiNS8_11hip_rocprim12par_nosync_tENS8_11use_defaultESE_EEEESG_ZNS1_13binary_searchIS3_S5_NSA_INS8_10device_ptrIiEEEESG_SG_NS1_16binary_search_opENS9_16wrapped_functionINS8_6system6detail7generic6detail18binary_search_lessEbEEEE10hipError_tPvRmT1_T2_T3_mmT4_T5_P12ihipStream_tbEUlRKiE_EEST_SX_SY_mSZ_S12_bEUlT_E_NS1_11comp_targetILNS1_3genE10ELNS1_11target_archE1200ELNS1_3gpuE4ELNS1_3repE0EEENS1_30default_config_static_selectorELNS0_4arch9wavefront6targetE1EEEvSW_
; %bb.0:
	.section	.rodata,"a",@progbits
	.p2align	6, 0x0
	.amdhsa_kernel _ZN7rocprim17ROCPRIM_400000_NS6detail17trampoline_kernelINS0_14default_configENS1_29binary_search_config_selectorIiiEEZNS1_14transform_implILb0ES3_S5_N6thrust23THRUST_200600_302600_NS6detail15normal_iteratorINS8_7pointerIiNS8_11hip_rocprim12par_nosync_tENS8_11use_defaultESE_EEEESG_ZNS1_13binary_searchIS3_S5_NSA_INS8_10device_ptrIiEEEESG_SG_NS1_16binary_search_opENS9_16wrapped_functionINS8_6system6detail7generic6detail18binary_search_lessEbEEEE10hipError_tPvRmT1_T2_T3_mmT4_T5_P12ihipStream_tbEUlRKiE_EEST_SX_SY_mSZ_S12_bEUlT_E_NS1_11comp_targetILNS1_3genE10ELNS1_11target_archE1200ELNS1_3gpuE4ELNS1_3repE0EEENS1_30default_config_static_selectorELNS0_4arch9wavefront6targetE1EEEvSW_
		.amdhsa_group_segment_fixed_size 0
		.amdhsa_private_segment_fixed_size 0
		.amdhsa_kernarg_size 56
		.amdhsa_user_sgpr_count 6
		.amdhsa_user_sgpr_private_segment_buffer 1
		.amdhsa_user_sgpr_dispatch_ptr 0
		.amdhsa_user_sgpr_queue_ptr 0
		.amdhsa_user_sgpr_kernarg_segment_ptr 1
		.amdhsa_user_sgpr_dispatch_id 0
		.amdhsa_user_sgpr_flat_scratch_init 0
		.amdhsa_user_sgpr_private_segment_size 0
		.amdhsa_uses_dynamic_stack 0
		.amdhsa_system_sgpr_private_segment_wavefront_offset 0
		.amdhsa_system_sgpr_workgroup_id_x 1
		.amdhsa_system_sgpr_workgroup_id_y 0
		.amdhsa_system_sgpr_workgroup_id_z 0
		.amdhsa_system_sgpr_workgroup_info 0
		.amdhsa_system_vgpr_workitem_id 0
		.amdhsa_next_free_vgpr 1
		.amdhsa_next_free_sgpr 0
		.amdhsa_reserve_vcc 0
		.amdhsa_reserve_flat_scratch 0
		.amdhsa_float_round_mode_32 0
		.amdhsa_float_round_mode_16_64 0
		.amdhsa_float_denorm_mode_32 3
		.amdhsa_float_denorm_mode_16_64 3
		.amdhsa_dx10_clamp 1
		.amdhsa_ieee_mode 1
		.amdhsa_fp16_overflow 0
		.amdhsa_exception_fp_ieee_invalid_op 0
		.amdhsa_exception_fp_denorm_src 0
		.amdhsa_exception_fp_ieee_div_zero 0
		.amdhsa_exception_fp_ieee_overflow 0
		.amdhsa_exception_fp_ieee_underflow 0
		.amdhsa_exception_fp_ieee_inexact 0
		.amdhsa_exception_int_div_zero 0
	.end_amdhsa_kernel
	.section	.text._ZN7rocprim17ROCPRIM_400000_NS6detail17trampoline_kernelINS0_14default_configENS1_29binary_search_config_selectorIiiEEZNS1_14transform_implILb0ES3_S5_N6thrust23THRUST_200600_302600_NS6detail15normal_iteratorINS8_7pointerIiNS8_11hip_rocprim12par_nosync_tENS8_11use_defaultESE_EEEESG_ZNS1_13binary_searchIS3_S5_NSA_INS8_10device_ptrIiEEEESG_SG_NS1_16binary_search_opENS9_16wrapped_functionINS8_6system6detail7generic6detail18binary_search_lessEbEEEE10hipError_tPvRmT1_T2_T3_mmT4_T5_P12ihipStream_tbEUlRKiE_EEST_SX_SY_mSZ_S12_bEUlT_E_NS1_11comp_targetILNS1_3genE10ELNS1_11target_archE1200ELNS1_3gpuE4ELNS1_3repE0EEENS1_30default_config_static_selectorELNS0_4arch9wavefront6targetE1EEEvSW_,"axG",@progbits,_ZN7rocprim17ROCPRIM_400000_NS6detail17trampoline_kernelINS0_14default_configENS1_29binary_search_config_selectorIiiEEZNS1_14transform_implILb0ES3_S5_N6thrust23THRUST_200600_302600_NS6detail15normal_iteratorINS8_7pointerIiNS8_11hip_rocprim12par_nosync_tENS8_11use_defaultESE_EEEESG_ZNS1_13binary_searchIS3_S5_NSA_INS8_10device_ptrIiEEEESG_SG_NS1_16binary_search_opENS9_16wrapped_functionINS8_6system6detail7generic6detail18binary_search_lessEbEEEE10hipError_tPvRmT1_T2_T3_mmT4_T5_P12ihipStream_tbEUlRKiE_EEST_SX_SY_mSZ_S12_bEUlT_E_NS1_11comp_targetILNS1_3genE10ELNS1_11target_archE1200ELNS1_3gpuE4ELNS1_3repE0EEENS1_30default_config_static_selectorELNS0_4arch9wavefront6targetE1EEEvSW_,comdat
.Lfunc_end704:
	.size	_ZN7rocprim17ROCPRIM_400000_NS6detail17trampoline_kernelINS0_14default_configENS1_29binary_search_config_selectorIiiEEZNS1_14transform_implILb0ES3_S5_N6thrust23THRUST_200600_302600_NS6detail15normal_iteratorINS8_7pointerIiNS8_11hip_rocprim12par_nosync_tENS8_11use_defaultESE_EEEESG_ZNS1_13binary_searchIS3_S5_NSA_INS8_10device_ptrIiEEEESG_SG_NS1_16binary_search_opENS9_16wrapped_functionINS8_6system6detail7generic6detail18binary_search_lessEbEEEE10hipError_tPvRmT1_T2_T3_mmT4_T5_P12ihipStream_tbEUlRKiE_EEST_SX_SY_mSZ_S12_bEUlT_E_NS1_11comp_targetILNS1_3genE10ELNS1_11target_archE1200ELNS1_3gpuE4ELNS1_3repE0EEENS1_30default_config_static_selectorELNS0_4arch9wavefront6targetE1EEEvSW_, .Lfunc_end704-_ZN7rocprim17ROCPRIM_400000_NS6detail17trampoline_kernelINS0_14default_configENS1_29binary_search_config_selectorIiiEEZNS1_14transform_implILb0ES3_S5_N6thrust23THRUST_200600_302600_NS6detail15normal_iteratorINS8_7pointerIiNS8_11hip_rocprim12par_nosync_tENS8_11use_defaultESE_EEEESG_ZNS1_13binary_searchIS3_S5_NSA_INS8_10device_ptrIiEEEESG_SG_NS1_16binary_search_opENS9_16wrapped_functionINS8_6system6detail7generic6detail18binary_search_lessEbEEEE10hipError_tPvRmT1_T2_T3_mmT4_T5_P12ihipStream_tbEUlRKiE_EEST_SX_SY_mSZ_S12_bEUlT_E_NS1_11comp_targetILNS1_3genE10ELNS1_11target_archE1200ELNS1_3gpuE4ELNS1_3repE0EEENS1_30default_config_static_selectorELNS0_4arch9wavefront6targetE1EEEvSW_
                                        ; -- End function
	.set _ZN7rocprim17ROCPRIM_400000_NS6detail17trampoline_kernelINS0_14default_configENS1_29binary_search_config_selectorIiiEEZNS1_14transform_implILb0ES3_S5_N6thrust23THRUST_200600_302600_NS6detail15normal_iteratorINS8_7pointerIiNS8_11hip_rocprim12par_nosync_tENS8_11use_defaultESE_EEEESG_ZNS1_13binary_searchIS3_S5_NSA_INS8_10device_ptrIiEEEESG_SG_NS1_16binary_search_opENS9_16wrapped_functionINS8_6system6detail7generic6detail18binary_search_lessEbEEEE10hipError_tPvRmT1_T2_T3_mmT4_T5_P12ihipStream_tbEUlRKiE_EEST_SX_SY_mSZ_S12_bEUlT_E_NS1_11comp_targetILNS1_3genE10ELNS1_11target_archE1200ELNS1_3gpuE4ELNS1_3repE0EEENS1_30default_config_static_selectorELNS0_4arch9wavefront6targetE1EEEvSW_.num_vgpr, 0
	.set _ZN7rocprim17ROCPRIM_400000_NS6detail17trampoline_kernelINS0_14default_configENS1_29binary_search_config_selectorIiiEEZNS1_14transform_implILb0ES3_S5_N6thrust23THRUST_200600_302600_NS6detail15normal_iteratorINS8_7pointerIiNS8_11hip_rocprim12par_nosync_tENS8_11use_defaultESE_EEEESG_ZNS1_13binary_searchIS3_S5_NSA_INS8_10device_ptrIiEEEESG_SG_NS1_16binary_search_opENS9_16wrapped_functionINS8_6system6detail7generic6detail18binary_search_lessEbEEEE10hipError_tPvRmT1_T2_T3_mmT4_T5_P12ihipStream_tbEUlRKiE_EEST_SX_SY_mSZ_S12_bEUlT_E_NS1_11comp_targetILNS1_3genE10ELNS1_11target_archE1200ELNS1_3gpuE4ELNS1_3repE0EEENS1_30default_config_static_selectorELNS0_4arch9wavefront6targetE1EEEvSW_.num_agpr, 0
	.set _ZN7rocprim17ROCPRIM_400000_NS6detail17trampoline_kernelINS0_14default_configENS1_29binary_search_config_selectorIiiEEZNS1_14transform_implILb0ES3_S5_N6thrust23THRUST_200600_302600_NS6detail15normal_iteratorINS8_7pointerIiNS8_11hip_rocprim12par_nosync_tENS8_11use_defaultESE_EEEESG_ZNS1_13binary_searchIS3_S5_NSA_INS8_10device_ptrIiEEEESG_SG_NS1_16binary_search_opENS9_16wrapped_functionINS8_6system6detail7generic6detail18binary_search_lessEbEEEE10hipError_tPvRmT1_T2_T3_mmT4_T5_P12ihipStream_tbEUlRKiE_EEST_SX_SY_mSZ_S12_bEUlT_E_NS1_11comp_targetILNS1_3genE10ELNS1_11target_archE1200ELNS1_3gpuE4ELNS1_3repE0EEENS1_30default_config_static_selectorELNS0_4arch9wavefront6targetE1EEEvSW_.numbered_sgpr, 0
	.set _ZN7rocprim17ROCPRIM_400000_NS6detail17trampoline_kernelINS0_14default_configENS1_29binary_search_config_selectorIiiEEZNS1_14transform_implILb0ES3_S5_N6thrust23THRUST_200600_302600_NS6detail15normal_iteratorINS8_7pointerIiNS8_11hip_rocprim12par_nosync_tENS8_11use_defaultESE_EEEESG_ZNS1_13binary_searchIS3_S5_NSA_INS8_10device_ptrIiEEEESG_SG_NS1_16binary_search_opENS9_16wrapped_functionINS8_6system6detail7generic6detail18binary_search_lessEbEEEE10hipError_tPvRmT1_T2_T3_mmT4_T5_P12ihipStream_tbEUlRKiE_EEST_SX_SY_mSZ_S12_bEUlT_E_NS1_11comp_targetILNS1_3genE10ELNS1_11target_archE1200ELNS1_3gpuE4ELNS1_3repE0EEENS1_30default_config_static_selectorELNS0_4arch9wavefront6targetE1EEEvSW_.num_named_barrier, 0
	.set _ZN7rocprim17ROCPRIM_400000_NS6detail17trampoline_kernelINS0_14default_configENS1_29binary_search_config_selectorIiiEEZNS1_14transform_implILb0ES3_S5_N6thrust23THRUST_200600_302600_NS6detail15normal_iteratorINS8_7pointerIiNS8_11hip_rocprim12par_nosync_tENS8_11use_defaultESE_EEEESG_ZNS1_13binary_searchIS3_S5_NSA_INS8_10device_ptrIiEEEESG_SG_NS1_16binary_search_opENS9_16wrapped_functionINS8_6system6detail7generic6detail18binary_search_lessEbEEEE10hipError_tPvRmT1_T2_T3_mmT4_T5_P12ihipStream_tbEUlRKiE_EEST_SX_SY_mSZ_S12_bEUlT_E_NS1_11comp_targetILNS1_3genE10ELNS1_11target_archE1200ELNS1_3gpuE4ELNS1_3repE0EEENS1_30default_config_static_selectorELNS0_4arch9wavefront6targetE1EEEvSW_.private_seg_size, 0
	.set _ZN7rocprim17ROCPRIM_400000_NS6detail17trampoline_kernelINS0_14default_configENS1_29binary_search_config_selectorIiiEEZNS1_14transform_implILb0ES3_S5_N6thrust23THRUST_200600_302600_NS6detail15normal_iteratorINS8_7pointerIiNS8_11hip_rocprim12par_nosync_tENS8_11use_defaultESE_EEEESG_ZNS1_13binary_searchIS3_S5_NSA_INS8_10device_ptrIiEEEESG_SG_NS1_16binary_search_opENS9_16wrapped_functionINS8_6system6detail7generic6detail18binary_search_lessEbEEEE10hipError_tPvRmT1_T2_T3_mmT4_T5_P12ihipStream_tbEUlRKiE_EEST_SX_SY_mSZ_S12_bEUlT_E_NS1_11comp_targetILNS1_3genE10ELNS1_11target_archE1200ELNS1_3gpuE4ELNS1_3repE0EEENS1_30default_config_static_selectorELNS0_4arch9wavefront6targetE1EEEvSW_.uses_vcc, 0
	.set _ZN7rocprim17ROCPRIM_400000_NS6detail17trampoline_kernelINS0_14default_configENS1_29binary_search_config_selectorIiiEEZNS1_14transform_implILb0ES3_S5_N6thrust23THRUST_200600_302600_NS6detail15normal_iteratorINS8_7pointerIiNS8_11hip_rocprim12par_nosync_tENS8_11use_defaultESE_EEEESG_ZNS1_13binary_searchIS3_S5_NSA_INS8_10device_ptrIiEEEESG_SG_NS1_16binary_search_opENS9_16wrapped_functionINS8_6system6detail7generic6detail18binary_search_lessEbEEEE10hipError_tPvRmT1_T2_T3_mmT4_T5_P12ihipStream_tbEUlRKiE_EEST_SX_SY_mSZ_S12_bEUlT_E_NS1_11comp_targetILNS1_3genE10ELNS1_11target_archE1200ELNS1_3gpuE4ELNS1_3repE0EEENS1_30default_config_static_selectorELNS0_4arch9wavefront6targetE1EEEvSW_.uses_flat_scratch, 0
	.set _ZN7rocprim17ROCPRIM_400000_NS6detail17trampoline_kernelINS0_14default_configENS1_29binary_search_config_selectorIiiEEZNS1_14transform_implILb0ES3_S5_N6thrust23THRUST_200600_302600_NS6detail15normal_iteratorINS8_7pointerIiNS8_11hip_rocprim12par_nosync_tENS8_11use_defaultESE_EEEESG_ZNS1_13binary_searchIS3_S5_NSA_INS8_10device_ptrIiEEEESG_SG_NS1_16binary_search_opENS9_16wrapped_functionINS8_6system6detail7generic6detail18binary_search_lessEbEEEE10hipError_tPvRmT1_T2_T3_mmT4_T5_P12ihipStream_tbEUlRKiE_EEST_SX_SY_mSZ_S12_bEUlT_E_NS1_11comp_targetILNS1_3genE10ELNS1_11target_archE1200ELNS1_3gpuE4ELNS1_3repE0EEENS1_30default_config_static_selectorELNS0_4arch9wavefront6targetE1EEEvSW_.has_dyn_sized_stack, 0
	.set _ZN7rocprim17ROCPRIM_400000_NS6detail17trampoline_kernelINS0_14default_configENS1_29binary_search_config_selectorIiiEEZNS1_14transform_implILb0ES3_S5_N6thrust23THRUST_200600_302600_NS6detail15normal_iteratorINS8_7pointerIiNS8_11hip_rocprim12par_nosync_tENS8_11use_defaultESE_EEEESG_ZNS1_13binary_searchIS3_S5_NSA_INS8_10device_ptrIiEEEESG_SG_NS1_16binary_search_opENS9_16wrapped_functionINS8_6system6detail7generic6detail18binary_search_lessEbEEEE10hipError_tPvRmT1_T2_T3_mmT4_T5_P12ihipStream_tbEUlRKiE_EEST_SX_SY_mSZ_S12_bEUlT_E_NS1_11comp_targetILNS1_3genE10ELNS1_11target_archE1200ELNS1_3gpuE4ELNS1_3repE0EEENS1_30default_config_static_selectorELNS0_4arch9wavefront6targetE1EEEvSW_.has_recursion, 0
	.set _ZN7rocprim17ROCPRIM_400000_NS6detail17trampoline_kernelINS0_14default_configENS1_29binary_search_config_selectorIiiEEZNS1_14transform_implILb0ES3_S5_N6thrust23THRUST_200600_302600_NS6detail15normal_iteratorINS8_7pointerIiNS8_11hip_rocprim12par_nosync_tENS8_11use_defaultESE_EEEESG_ZNS1_13binary_searchIS3_S5_NSA_INS8_10device_ptrIiEEEESG_SG_NS1_16binary_search_opENS9_16wrapped_functionINS8_6system6detail7generic6detail18binary_search_lessEbEEEE10hipError_tPvRmT1_T2_T3_mmT4_T5_P12ihipStream_tbEUlRKiE_EEST_SX_SY_mSZ_S12_bEUlT_E_NS1_11comp_targetILNS1_3genE10ELNS1_11target_archE1200ELNS1_3gpuE4ELNS1_3repE0EEENS1_30default_config_static_selectorELNS0_4arch9wavefront6targetE1EEEvSW_.has_indirect_call, 0
	.section	.AMDGPU.csdata,"",@progbits
; Kernel info:
; codeLenInByte = 0
; TotalNumSgprs: 4
; NumVgprs: 0
; ScratchSize: 0
; MemoryBound: 0
; FloatMode: 240
; IeeeMode: 1
; LDSByteSize: 0 bytes/workgroup (compile time only)
; SGPRBlocks: 0
; VGPRBlocks: 0
; NumSGPRsForWavesPerEU: 4
; NumVGPRsForWavesPerEU: 1
; Occupancy: 10
; WaveLimiterHint : 0
; COMPUTE_PGM_RSRC2:SCRATCH_EN: 0
; COMPUTE_PGM_RSRC2:USER_SGPR: 6
; COMPUTE_PGM_RSRC2:TRAP_HANDLER: 0
; COMPUTE_PGM_RSRC2:TGID_X_EN: 1
; COMPUTE_PGM_RSRC2:TGID_Y_EN: 0
; COMPUTE_PGM_RSRC2:TGID_Z_EN: 0
; COMPUTE_PGM_RSRC2:TIDIG_COMP_CNT: 0
	.section	.text._ZN7rocprim17ROCPRIM_400000_NS6detail17trampoline_kernelINS0_14default_configENS1_29binary_search_config_selectorIiiEEZNS1_14transform_implILb0ES3_S5_N6thrust23THRUST_200600_302600_NS6detail15normal_iteratorINS8_7pointerIiNS8_11hip_rocprim12par_nosync_tENS8_11use_defaultESE_EEEESG_ZNS1_13binary_searchIS3_S5_NSA_INS8_10device_ptrIiEEEESG_SG_NS1_16binary_search_opENS9_16wrapped_functionINS8_6system6detail7generic6detail18binary_search_lessEbEEEE10hipError_tPvRmT1_T2_T3_mmT4_T5_P12ihipStream_tbEUlRKiE_EEST_SX_SY_mSZ_S12_bEUlT_E_NS1_11comp_targetILNS1_3genE9ELNS1_11target_archE1100ELNS1_3gpuE3ELNS1_3repE0EEENS1_30default_config_static_selectorELNS0_4arch9wavefront6targetE1EEEvSW_,"axG",@progbits,_ZN7rocprim17ROCPRIM_400000_NS6detail17trampoline_kernelINS0_14default_configENS1_29binary_search_config_selectorIiiEEZNS1_14transform_implILb0ES3_S5_N6thrust23THRUST_200600_302600_NS6detail15normal_iteratorINS8_7pointerIiNS8_11hip_rocprim12par_nosync_tENS8_11use_defaultESE_EEEESG_ZNS1_13binary_searchIS3_S5_NSA_INS8_10device_ptrIiEEEESG_SG_NS1_16binary_search_opENS9_16wrapped_functionINS8_6system6detail7generic6detail18binary_search_lessEbEEEE10hipError_tPvRmT1_T2_T3_mmT4_T5_P12ihipStream_tbEUlRKiE_EEST_SX_SY_mSZ_S12_bEUlT_E_NS1_11comp_targetILNS1_3genE9ELNS1_11target_archE1100ELNS1_3gpuE3ELNS1_3repE0EEENS1_30default_config_static_selectorELNS0_4arch9wavefront6targetE1EEEvSW_,comdat
	.protected	_ZN7rocprim17ROCPRIM_400000_NS6detail17trampoline_kernelINS0_14default_configENS1_29binary_search_config_selectorIiiEEZNS1_14transform_implILb0ES3_S5_N6thrust23THRUST_200600_302600_NS6detail15normal_iteratorINS8_7pointerIiNS8_11hip_rocprim12par_nosync_tENS8_11use_defaultESE_EEEESG_ZNS1_13binary_searchIS3_S5_NSA_INS8_10device_ptrIiEEEESG_SG_NS1_16binary_search_opENS9_16wrapped_functionINS8_6system6detail7generic6detail18binary_search_lessEbEEEE10hipError_tPvRmT1_T2_T3_mmT4_T5_P12ihipStream_tbEUlRKiE_EEST_SX_SY_mSZ_S12_bEUlT_E_NS1_11comp_targetILNS1_3genE9ELNS1_11target_archE1100ELNS1_3gpuE3ELNS1_3repE0EEENS1_30default_config_static_selectorELNS0_4arch9wavefront6targetE1EEEvSW_ ; -- Begin function _ZN7rocprim17ROCPRIM_400000_NS6detail17trampoline_kernelINS0_14default_configENS1_29binary_search_config_selectorIiiEEZNS1_14transform_implILb0ES3_S5_N6thrust23THRUST_200600_302600_NS6detail15normal_iteratorINS8_7pointerIiNS8_11hip_rocprim12par_nosync_tENS8_11use_defaultESE_EEEESG_ZNS1_13binary_searchIS3_S5_NSA_INS8_10device_ptrIiEEEESG_SG_NS1_16binary_search_opENS9_16wrapped_functionINS8_6system6detail7generic6detail18binary_search_lessEbEEEE10hipError_tPvRmT1_T2_T3_mmT4_T5_P12ihipStream_tbEUlRKiE_EEST_SX_SY_mSZ_S12_bEUlT_E_NS1_11comp_targetILNS1_3genE9ELNS1_11target_archE1100ELNS1_3gpuE3ELNS1_3repE0EEENS1_30default_config_static_selectorELNS0_4arch9wavefront6targetE1EEEvSW_
	.globl	_ZN7rocprim17ROCPRIM_400000_NS6detail17trampoline_kernelINS0_14default_configENS1_29binary_search_config_selectorIiiEEZNS1_14transform_implILb0ES3_S5_N6thrust23THRUST_200600_302600_NS6detail15normal_iteratorINS8_7pointerIiNS8_11hip_rocprim12par_nosync_tENS8_11use_defaultESE_EEEESG_ZNS1_13binary_searchIS3_S5_NSA_INS8_10device_ptrIiEEEESG_SG_NS1_16binary_search_opENS9_16wrapped_functionINS8_6system6detail7generic6detail18binary_search_lessEbEEEE10hipError_tPvRmT1_T2_T3_mmT4_T5_P12ihipStream_tbEUlRKiE_EEST_SX_SY_mSZ_S12_bEUlT_E_NS1_11comp_targetILNS1_3genE9ELNS1_11target_archE1100ELNS1_3gpuE3ELNS1_3repE0EEENS1_30default_config_static_selectorELNS0_4arch9wavefront6targetE1EEEvSW_
	.p2align	8
	.type	_ZN7rocprim17ROCPRIM_400000_NS6detail17trampoline_kernelINS0_14default_configENS1_29binary_search_config_selectorIiiEEZNS1_14transform_implILb0ES3_S5_N6thrust23THRUST_200600_302600_NS6detail15normal_iteratorINS8_7pointerIiNS8_11hip_rocprim12par_nosync_tENS8_11use_defaultESE_EEEESG_ZNS1_13binary_searchIS3_S5_NSA_INS8_10device_ptrIiEEEESG_SG_NS1_16binary_search_opENS9_16wrapped_functionINS8_6system6detail7generic6detail18binary_search_lessEbEEEE10hipError_tPvRmT1_T2_T3_mmT4_T5_P12ihipStream_tbEUlRKiE_EEST_SX_SY_mSZ_S12_bEUlT_E_NS1_11comp_targetILNS1_3genE9ELNS1_11target_archE1100ELNS1_3gpuE3ELNS1_3repE0EEENS1_30default_config_static_selectorELNS0_4arch9wavefront6targetE1EEEvSW_,@function
_ZN7rocprim17ROCPRIM_400000_NS6detail17trampoline_kernelINS0_14default_configENS1_29binary_search_config_selectorIiiEEZNS1_14transform_implILb0ES3_S5_N6thrust23THRUST_200600_302600_NS6detail15normal_iteratorINS8_7pointerIiNS8_11hip_rocprim12par_nosync_tENS8_11use_defaultESE_EEEESG_ZNS1_13binary_searchIS3_S5_NSA_INS8_10device_ptrIiEEEESG_SG_NS1_16binary_search_opENS9_16wrapped_functionINS8_6system6detail7generic6detail18binary_search_lessEbEEEE10hipError_tPvRmT1_T2_T3_mmT4_T5_P12ihipStream_tbEUlRKiE_EEST_SX_SY_mSZ_S12_bEUlT_E_NS1_11comp_targetILNS1_3genE9ELNS1_11target_archE1100ELNS1_3gpuE3ELNS1_3repE0EEENS1_30default_config_static_selectorELNS0_4arch9wavefront6targetE1EEEvSW_: ; @_ZN7rocprim17ROCPRIM_400000_NS6detail17trampoline_kernelINS0_14default_configENS1_29binary_search_config_selectorIiiEEZNS1_14transform_implILb0ES3_S5_N6thrust23THRUST_200600_302600_NS6detail15normal_iteratorINS8_7pointerIiNS8_11hip_rocprim12par_nosync_tENS8_11use_defaultESE_EEEESG_ZNS1_13binary_searchIS3_S5_NSA_INS8_10device_ptrIiEEEESG_SG_NS1_16binary_search_opENS9_16wrapped_functionINS8_6system6detail7generic6detail18binary_search_lessEbEEEE10hipError_tPvRmT1_T2_T3_mmT4_T5_P12ihipStream_tbEUlRKiE_EEST_SX_SY_mSZ_S12_bEUlT_E_NS1_11comp_targetILNS1_3genE9ELNS1_11target_archE1100ELNS1_3gpuE3ELNS1_3repE0EEENS1_30default_config_static_selectorELNS0_4arch9wavefront6targetE1EEEvSW_
; %bb.0:
	.section	.rodata,"a",@progbits
	.p2align	6, 0x0
	.amdhsa_kernel _ZN7rocprim17ROCPRIM_400000_NS6detail17trampoline_kernelINS0_14default_configENS1_29binary_search_config_selectorIiiEEZNS1_14transform_implILb0ES3_S5_N6thrust23THRUST_200600_302600_NS6detail15normal_iteratorINS8_7pointerIiNS8_11hip_rocprim12par_nosync_tENS8_11use_defaultESE_EEEESG_ZNS1_13binary_searchIS3_S5_NSA_INS8_10device_ptrIiEEEESG_SG_NS1_16binary_search_opENS9_16wrapped_functionINS8_6system6detail7generic6detail18binary_search_lessEbEEEE10hipError_tPvRmT1_T2_T3_mmT4_T5_P12ihipStream_tbEUlRKiE_EEST_SX_SY_mSZ_S12_bEUlT_E_NS1_11comp_targetILNS1_3genE9ELNS1_11target_archE1100ELNS1_3gpuE3ELNS1_3repE0EEENS1_30default_config_static_selectorELNS0_4arch9wavefront6targetE1EEEvSW_
		.amdhsa_group_segment_fixed_size 0
		.amdhsa_private_segment_fixed_size 0
		.amdhsa_kernarg_size 56
		.amdhsa_user_sgpr_count 6
		.amdhsa_user_sgpr_private_segment_buffer 1
		.amdhsa_user_sgpr_dispatch_ptr 0
		.amdhsa_user_sgpr_queue_ptr 0
		.amdhsa_user_sgpr_kernarg_segment_ptr 1
		.amdhsa_user_sgpr_dispatch_id 0
		.amdhsa_user_sgpr_flat_scratch_init 0
		.amdhsa_user_sgpr_private_segment_size 0
		.amdhsa_uses_dynamic_stack 0
		.amdhsa_system_sgpr_private_segment_wavefront_offset 0
		.amdhsa_system_sgpr_workgroup_id_x 1
		.amdhsa_system_sgpr_workgroup_id_y 0
		.amdhsa_system_sgpr_workgroup_id_z 0
		.amdhsa_system_sgpr_workgroup_info 0
		.amdhsa_system_vgpr_workitem_id 0
		.amdhsa_next_free_vgpr 1
		.amdhsa_next_free_sgpr 0
		.amdhsa_reserve_vcc 0
		.amdhsa_reserve_flat_scratch 0
		.amdhsa_float_round_mode_32 0
		.amdhsa_float_round_mode_16_64 0
		.amdhsa_float_denorm_mode_32 3
		.amdhsa_float_denorm_mode_16_64 3
		.amdhsa_dx10_clamp 1
		.amdhsa_ieee_mode 1
		.amdhsa_fp16_overflow 0
		.amdhsa_exception_fp_ieee_invalid_op 0
		.amdhsa_exception_fp_denorm_src 0
		.amdhsa_exception_fp_ieee_div_zero 0
		.amdhsa_exception_fp_ieee_overflow 0
		.amdhsa_exception_fp_ieee_underflow 0
		.amdhsa_exception_fp_ieee_inexact 0
		.amdhsa_exception_int_div_zero 0
	.end_amdhsa_kernel
	.section	.text._ZN7rocprim17ROCPRIM_400000_NS6detail17trampoline_kernelINS0_14default_configENS1_29binary_search_config_selectorIiiEEZNS1_14transform_implILb0ES3_S5_N6thrust23THRUST_200600_302600_NS6detail15normal_iteratorINS8_7pointerIiNS8_11hip_rocprim12par_nosync_tENS8_11use_defaultESE_EEEESG_ZNS1_13binary_searchIS3_S5_NSA_INS8_10device_ptrIiEEEESG_SG_NS1_16binary_search_opENS9_16wrapped_functionINS8_6system6detail7generic6detail18binary_search_lessEbEEEE10hipError_tPvRmT1_T2_T3_mmT4_T5_P12ihipStream_tbEUlRKiE_EEST_SX_SY_mSZ_S12_bEUlT_E_NS1_11comp_targetILNS1_3genE9ELNS1_11target_archE1100ELNS1_3gpuE3ELNS1_3repE0EEENS1_30default_config_static_selectorELNS0_4arch9wavefront6targetE1EEEvSW_,"axG",@progbits,_ZN7rocprim17ROCPRIM_400000_NS6detail17trampoline_kernelINS0_14default_configENS1_29binary_search_config_selectorIiiEEZNS1_14transform_implILb0ES3_S5_N6thrust23THRUST_200600_302600_NS6detail15normal_iteratorINS8_7pointerIiNS8_11hip_rocprim12par_nosync_tENS8_11use_defaultESE_EEEESG_ZNS1_13binary_searchIS3_S5_NSA_INS8_10device_ptrIiEEEESG_SG_NS1_16binary_search_opENS9_16wrapped_functionINS8_6system6detail7generic6detail18binary_search_lessEbEEEE10hipError_tPvRmT1_T2_T3_mmT4_T5_P12ihipStream_tbEUlRKiE_EEST_SX_SY_mSZ_S12_bEUlT_E_NS1_11comp_targetILNS1_3genE9ELNS1_11target_archE1100ELNS1_3gpuE3ELNS1_3repE0EEENS1_30default_config_static_selectorELNS0_4arch9wavefront6targetE1EEEvSW_,comdat
.Lfunc_end705:
	.size	_ZN7rocprim17ROCPRIM_400000_NS6detail17trampoline_kernelINS0_14default_configENS1_29binary_search_config_selectorIiiEEZNS1_14transform_implILb0ES3_S5_N6thrust23THRUST_200600_302600_NS6detail15normal_iteratorINS8_7pointerIiNS8_11hip_rocprim12par_nosync_tENS8_11use_defaultESE_EEEESG_ZNS1_13binary_searchIS3_S5_NSA_INS8_10device_ptrIiEEEESG_SG_NS1_16binary_search_opENS9_16wrapped_functionINS8_6system6detail7generic6detail18binary_search_lessEbEEEE10hipError_tPvRmT1_T2_T3_mmT4_T5_P12ihipStream_tbEUlRKiE_EEST_SX_SY_mSZ_S12_bEUlT_E_NS1_11comp_targetILNS1_3genE9ELNS1_11target_archE1100ELNS1_3gpuE3ELNS1_3repE0EEENS1_30default_config_static_selectorELNS0_4arch9wavefront6targetE1EEEvSW_, .Lfunc_end705-_ZN7rocprim17ROCPRIM_400000_NS6detail17trampoline_kernelINS0_14default_configENS1_29binary_search_config_selectorIiiEEZNS1_14transform_implILb0ES3_S5_N6thrust23THRUST_200600_302600_NS6detail15normal_iteratorINS8_7pointerIiNS8_11hip_rocprim12par_nosync_tENS8_11use_defaultESE_EEEESG_ZNS1_13binary_searchIS3_S5_NSA_INS8_10device_ptrIiEEEESG_SG_NS1_16binary_search_opENS9_16wrapped_functionINS8_6system6detail7generic6detail18binary_search_lessEbEEEE10hipError_tPvRmT1_T2_T3_mmT4_T5_P12ihipStream_tbEUlRKiE_EEST_SX_SY_mSZ_S12_bEUlT_E_NS1_11comp_targetILNS1_3genE9ELNS1_11target_archE1100ELNS1_3gpuE3ELNS1_3repE0EEENS1_30default_config_static_selectorELNS0_4arch9wavefront6targetE1EEEvSW_
                                        ; -- End function
	.set _ZN7rocprim17ROCPRIM_400000_NS6detail17trampoline_kernelINS0_14default_configENS1_29binary_search_config_selectorIiiEEZNS1_14transform_implILb0ES3_S5_N6thrust23THRUST_200600_302600_NS6detail15normal_iteratorINS8_7pointerIiNS8_11hip_rocprim12par_nosync_tENS8_11use_defaultESE_EEEESG_ZNS1_13binary_searchIS3_S5_NSA_INS8_10device_ptrIiEEEESG_SG_NS1_16binary_search_opENS9_16wrapped_functionINS8_6system6detail7generic6detail18binary_search_lessEbEEEE10hipError_tPvRmT1_T2_T3_mmT4_T5_P12ihipStream_tbEUlRKiE_EEST_SX_SY_mSZ_S12_bEUlT_E_NS1_11comp_targetILNS1_3genE9ELNS1_11target_archE1100ELNS1_3gpuE3ELNS1_3repE0EEENS1_30default_config_static_selectorELNS0_4arch9wavefront6targetE1EEEvSW_.num_vgpr, 0
	.set _ZN7rocprim17ROCPRIM_400000_NS6detail17trampoline_kernelINS0_14default_configENS1_29binary_search_config_selectorIiiEEZNS1_14transform_implILb0ES3_S5_N6thrust23THRUST_200600_302600_NS6detail15normal_iteratorINS8_7pointerIiNS8_11hip_rocprim12par_nosync_tENS8_11use_defaultESE_EEEESG_ZNS1_13binary_searchIS3_S5_NSA_INS8_10device_ptrIiEEEESG_SG_NS1_16binary_search_opENS9_16wrapped_functionINS8_6system6detail7generic6detail18binary_search_lessEbEEEE10hipError_tPvRmT1_T2_T3_mmT4_T5_P12ihipStream_tbEUlRKiE_EEST_SX_SY_mSZ_S12_bEUlT_E_NS1_11comp_targetILNS1_3genE9ELNS1_11target_archE1100ELNS1_3gpuE3ELNS1_3repE0EEENS1_30default_config_static_selectorELNS0_4arch9wavefront6targetE1EEEvSW_.num_agpr, 0
	.set _ZN7rocprim17ROCPRIM_400000_NS6detail17trampoline_kernelINS0_14default_configENS1_29binary_search_config_selectorIiiEEZNS1_14transform_implILb0ES3_S5_N6thrust23THRUST_200600_302600_NS6detail15normal_iteratorINS8_7pointerIiNS8_11hip_rocprim12par_nosync_tENS8_11use_defaultESE_EEEESG_ZNS1_13binary_searchIS3_S5_NSA_INS8_10device_ptrIiEEEESG_SG_NS1_16binary_search_opENS9_16wrapped_functionINS8_6system6detail7generic6detail18binary_search_lessEbEEEE10hipError_tPvRmT1_T2_T3_mmT4_T5_P12ihipStream_tbEUlRKiE_EEST_SX_SY_mSZ_S12_bEUlT_E_NS1_11comp_targetILNS1_3genE9ELNS1_11target_archE1100ELNS1_3gpuE3ELNS1_3repE0EEENS1_30default_config_static_selectorELNS0_4arch9wavefront6targetE1EEEvSW_.numbered_sgpr, 0
	.set _ZN7rocprim17ROCPRIM_400000_NS6detail17trampoline_kernelINS0_14default_configENS1_29binary_search_config_selectorIiiEEZNS1_14transform_implILb0ES3_S5_N6thrust23THRUST_200600_302600_NS6detail15normal_iteratorINS8_7pointerIiNS8_11hip_rocprim12par_nosync_tENS8_11use_defaultESE_EEEESG_ZNS1_13binary_searchIS3_S5_NSA_INS8_10device_ptrIiEEEESG_SG_NS1_16binary_search_opENS9_16wrapped_functionINS8_6system6detail7generic6detail18binary_search_lessEbEEEE10hipError_tPvRmT1_T2_T3_mmT4_T5_P12ihipStream_tbEUlRKiE_EEST_SX_SY_mSZ_S12_bEUlT_E_NS1_11comp_targetILNS1_3genE9ELNS1_11target_archE1100ELNS1_3gpuE3ELNS1_3repE0EEENS1_30default_config_static_selectorELNS0_4arch9wavefront6targetE1EEEvSW_.num_named_barrier, 0
	.set _ZN7rocprim17ROCPRIM_400000_NS6detail17trampoline_kernelINS0_14default_configENS1_29binary_search_config_selectorIiiEEZNS1_14transform_implILb0ES3_S5_N6thrust23THRUST_200600_302600_NS6detail15normal_iteratorINS8_7pointerIiNS8_11hip_rocprim12par_nosync_tENS8_11use_defaultESE_EEEESG_ZNS1_13binary_searchIS3_S5_NSA_INS8_10device_ptrIiEEEESG_SG_NS1_16binary_search_opENS9_16wrapped_functionINS8_6system6detail7generic6detail18binary_search_lessEbEEEE10hipError_tPvRmT1_T2_T3_mmT4_T5_P12ihipStream_tbEUlRKiE_EEST_SX_SY_mSZ_S12_bEUlT_E_NS1_11comp_targetILNS1_3genE9ELNS1_11target_archE1100ELNS1_3gpuE3ELNS1_3repE0EEENS1_30default_config_static_selectorELNS0_4arch9wavefront6targetE1EEEvSW_.private_seg_size, 0
	.set _ZN7rocprim17ROCPRIM_400000_NS6detail17trampoline_kernelINS0_14default_configENS1_29binary_search_config_selectorIiiEEZNS1_14transform_implILb0ES3_S5_N6thrust23THRUST_200600_302600_NS6detail15normal_iteratorINS8_7pointerIiNS8_11hip_rocprim12par_nosync_tENS8_11use_defaultESE_EEEESG_ZNS1_13binary_searchIS3_S5_NSA_INS8_10device_ptrIiEEEESG_SG_NS1_16binary_search_opENS9_16wrapped_functionINS8_6system6detail7generic6detail18binary_search_lessEbEEEE10hipError_tPvRmT1_T2_T3_mmT4_T5_P12ihipStream_tbEUlRKiE_EEST_SX_SY_mSZ_S12_bEUlT_E_NS1_11comp_targetILNS1_3genE9ELNS1_11target_archE1100ELNS1_3gpuE3ELNS1_3repE0EEENS1_30default_config_static_selectorELNS0_4arch9wavefront6targetE1EEEvSW_.uses_vcc, 0
	.set _ZN7rocprim17ROCPRIM_400000_NS6detail17trampoline_kernelINS0_14default_configENS1_29binary_search_config_selectorIiiEEZNS1_14transform_implILb0ES3_S5_N6thrust23THRUST_200600_302600_NS6detail15normal_iteratorINS8_7pointerIiNS8_11hip_rocprim12par_nosync_tENS8_11use_defaultESE_EEEESG_ZNS1_13binary_searchIS3_S5_NSA_INS8_10device_ptrIiEEEESG_SG_NS1_16binary_search_opENS9_16wrapped_functionINS8_6system6detail7generic6detail18binary_search_lessEbEEEE10hipError_tPvRmT1_T2_T3_mmT4_T5_P12ihipStream_tbEUlRKiE_EEST_SX_SY_mSZ_S12_bEUlT_E_NS1_11comp_targetILNS1_3genE9ELNS1_11target_archE1100ELNS1_3gpuE3ELNS1_3repE0EEENS1_30default_config_static_selectorELNS0_4arch9wavefront6targetE1EEEvSW_.uses_flat_scratch, 0
	.set _ZN7rocprim17ROCPRIM_400000_NS6detail17trampoline_kernelINS0_14default_configENS1_29binary_search_config_selectorIiiEEZNS1_14transform_implILb0ES3_S5_N6thrust23THRUST_200600_302600_NS6detail15normal_iteratorINS8_7pointerIiNS8_11hip_rocprim12par_nosync_tENS8_11use_defaultESE_EEEESG_ZNS1_13binary_searchIS3_S5_NSA_INS8_10device_ptrIiEEEESG_SG_NS1_16binary_search_opENS9_16wrapped_functionINS8_6system6detail7generic6detail18binary_search_lessEbEEEE10hipError_tPvRmT1_T2_T3_mmT4_T5_P12ihipStream_tbEUlRKiE_EEST_SX_SY_mSZ_S12_bEUlT_E_NS1_11comp_targetILNS1_3genE9ELNS1_11target_archE1100ELNS1_3gpuE3ELNS1_3repE0EEENS1_30default_config_static_selectorELNS0_4arch9wavefront6targetE1EEEvSW_.has_dyn_sized_stack, 0
	.set _ZN7rocprim17ROCPRIM_400000_NS6detail17trampoline_kernelINS0_14default_configENS1_29binary_search_config_selectorIiiEEZNS1_14transform_implILb0ES3_S5_N6thrust23THRUST_200600_302600_NS6detail15normal_iteratorINS8_7pointerIiNS8_11hip_rocprim12par_nosync_tENS8_11use_defaultESE_EEEESG_ZNS1_13binary_searchIS3_S5_NSA_INS8_10device_ptrIiEEEESG_SG_NS1_16binary_search_opENS9_16wrapped_functionINS8_6system6detail7generic6detail18binary_search_lessEbEEEE10hipError_tPvRmT1_T2_T3_mmT4_T5_P12ihipStream_tbEUlRKiE_EEST_SX_SY_mSZ_S12_bEUlT_E_NS1_11comp_targetILNS1_3genE9ELNS1_11target_archE1100ELNS1_3gpuE3ELNS1_3repE0EEENS1_30default_config_static_selectorELNS0_4arch9wavefront6targetE1EEEvSW_.has_recursion, 0
	.set _ZN7rocprim17ROCPRIM_400000_NS6detail17trampoline_kernelINS0_14default_configENS1_29binary_search_config_selectorIiiEEZNS1_14transform_implILb0ES3_S5_N6thrust23THRUST_200600_302600_NS6detail15normal_iteratorINS8_7pointerIiNS8_11hip_rocprim12par_nosync_tENS8_11use_defaultESE_EEEESG_ZNS1_13binary_searchIS3_S5_NSA_INS8_10device_ptrIiEEEESG_SG_NS1_16binary_search_opENS9_16wrapped_functionINS8_6system6detail7generic6detail18binary_search_lessEbEEEE10hipError_tPvRmT1_T2_T3_mmT4_T5_P12ihipStream_tbEUlRKiE_EEST_SX_SY_mSZ_S12_bEUlT_E_NS1_11comp_targetILNS1_3genE9ELNS1_11target_archE1100ELNS1_3gpuE3ELNS1_3repE0EEENS1_30default_config_static_selectorELNS0_4arch9wavefront6targetE1EEEvSW_.has_indirect_call, 0
	.section	.AMDGPU.csdata,"",@progbits
; Kernel info:
; codeLenInByte = 0
; TotalNumSgprs: 4
; NumVgprs: 0
; ScratchSize: 0
; MemoryBound: 0
; FloatMode: 240
; IeeeMode: 1
; LDSByteSize: 0 bytes/workgroup (compile time only)
; SGPRBlocks: 0
; VGPRBlocks: 0
; NumSGPRsForWavesPerEU: 4
; NumVGPRsForWavesPerEU: 1
; Occupancy: 10
; WaveLimiterHint : 0
; COMPUTE_PGM_RSRC2:SCRATCH_EN: 0
; COMPUTE_PGM_RSRC2:USER_SGPR: 6
; COMPUTE_PGM_RSRC2:TRAP_HANDLER: 0
; COMPUTE_PGM_RSRC2:TGID_X_EN: 1
; COMPUTE_PGM_RSRC2:TGID_Y_EN: 0
; COMPUTE_PGM_RSRC2:TGID_Z_EN: 0
; COMPUTE_PGM_RSRC2:TIDIG_COMP_CNT: 0
	.section	.text._ZN7rocprim17ROCPRIM_400000_NS6detail17trampoline_kernelINS0_14default_configENS1_29binary_search_config_selectorIiiEEZNS1_14transform_implILb0ES3_S5_N6thrust23THRUST_200600_302600_NS6detail15normal_iteratorINS8_7pointerIiNS8_11hip_rocprim12par_nosync_tENS8_11use_defaultESE_EEEESG_ZNS1_13binary_searchIS3_S5_NSA_INS8_10device_ptrIiEEEESG_SG_NS1_16binary_search_opENS9_16wrapped_functionINS8_6system6detail7generic6detail18binary_search_lessEbEEEE10hipError_tPvRmT1_T2_T3_mmT4_T5_P12ihipStream_tbEUlRKiE_EEST_SX_SY_mSZ_S12_bEUlT_E_NS1_11comp_targetILNS1_3genE8ELNS1_11target_archE1030ELNS1_3gpuE2ELNS1_3repE0EEENS1_30default_config_static_selectorELNS0_4arch9wavefront6targetE1EEEvSW_,"axG",@progbits,_ZN7rocprim17ROCPRIM_400000_NS6detail17trampoline_kernelINS0_14default_configENS1_29binary_search_config_selectorIiiEEZNS1_14transform_implILb0ES3_S5_N6thrust23THRUST_200600_302600_NS6detail15normal_iteratorINS8_7pointerIiNS8_11hip_rocprim12par_nosync_tENS8_11use_defaultESE_EEEESG_ZNS1_13binary_searchIS3_S5_NSA_INS8_10device_ptrIiEEEESG_SG_NS1_16binary_search_opENS9_16wrapped_functionINS8_6system6detail7generic6detail18binary_search_lessEbEEEE10hipError_tPvRmT1_T2_T3_mmT4_T5_P12ihipStream_tbEUlRKiE_EEST_SX_SY_mSZ_S12_bEUlT_E_NS1_11comp_targetILNS1_3genE8ELNS1_11target_archE1030ELNS1_3gpuE2ELNS1_3repE0EEENS1_30default_config_static_selectorELNS0_4arch9wavefront6targetE1EEEvSW_,comdat
	.protected	_ZN7rocprim17ROCPRIM_400000_NS6detail17trampoline_kernelINS0_14default_configENS1_29binary_search_config_selectorIiiEEZNS1_14transform_implILb0ES3_S5_N6thrust23THRUST_200600_302600_NS6detail15normal_iteratorINS8_7pointerIiNS8_11hip_rocprim12par_nosync_tENS8_11use_defaultESE_EEEESG_ZNS1_13binary_searchIS3_S5_NSA_INS8_10device_ptrIiEEEESG_SG_NS1_16binary_search_opENS9_16wrapped_functionINS8_6system6detail7generic6detail18binary_search_lessEbEEEE10hipError_tPvRmT1_T2_T3_mmT4_T5_P12ihipStream_tbEUlRKiE_EEST_SX_SY_mSZ_S12_bEUlT_E_NS1_11comp_targetILNS1_3genE8ELNS1_11target_archE1030ELNS1_3gpuE2ELNS1_3repE0EEENS1_30default_config_static_selectorELNS0_4arch9wavefront6targetE1EEEvSW_ ; -- Begin function _ZN7rocprim17ROCPRIM_400000_NS6detail17trampoline_kernelINS0_14default_configENS1_29binary_search_config_selectorIiiEEZNS1_14transform_implILb0ES3_S5_N6thrust23THRUST_200600_302600_NS6detail15normal_iteratorINS8_7pointerIiNS8_11hip_rocprim12par_nosync_tENS8_11use_defaultESE_EEEESG_ZNS1_13binary_searchIS3_S5_NSA_INS8_10device_ptrIiEEEESG_SG_NS1_16binary_search_opENS9_16wrapped_functionINS8_6system6detail7generic6detail18binary_search_lessEbEEEE10hipError_tPvRmT1_T2_T3_mmT4_T5_P12ihipStream_tbEUlRKiE_EEST_SX_SY_mSZ_S12_bEUlT_E_NS1_11comp_targetILNS1_3genE8ELNS1_11target_archE1030ELNS1_3gpuE2ELNS1_3repE0EEENS1_30default_config_static_selectorELNS0_4arch9wavefront6targetE1EEEvSW_
	.globl	_ZN7rocprim17ROCPRIM_400000_NS6detail17trampoline_kernelINS0_14default_configENS1_29binary_search_config_selectorIiiEEZNS1_14transform_implILb0ES3_S5_N6thrust23THRUST_200600_302600_NS6detail15normal_iteratorINS8_7pointerIiNS8_11hip_rocprim12par_nosync_tENS8_11use_defaultESE_EEEESG_ZNS1_13binary_searchIS3_S5_NSA_INS8_10device_ptrIiEEEESG_SG_NS1_16binary_search_opENS9_16wrapped_functionINS8_6system6detail7generic6detail18binary_search_lessEbEEEE10hipError_tPvRmT1_T2_T3_mmT4_T5_P12ihipStream_tbEUlRKiE_EEST_SX_SY_mSZ_S12_bEUlT_E_NS1_11comp_targetILNS1_3genE8ELNS1_11target_archE1030ELNS1_3gpuE2ELNS1_3repE0EEENS1_30default_config_static_selectorELNS0_4arch9wavefront6targetE1EEEvSW_
	.p2align	8
	.type	_ZN7rocprim17ROCPRIM_400000_NS6detail17trampoline_kernelINS0_14default_configENS1_29binary_search_config_selectorIiiEEZNS1_14transform_implILb0ES3_S5_N6thrust23THRUST_200600_302600_NS6detail15normal_iteratorINS8_7pointerIiNS8_11hip_rocprim12par_nosync_tENS8_11use_defaultESE_EEEESG_ZNS1_13binary_searchIS3_S5_NSA_INS8_10device_ptrIiEEEESG_SG_NS1_16binary_search_opENS9_16wrapped_functionINS8_6system6detail7generic6detail18binary_search_lessEbEEEE10hipError_tPvRmT1_T2_T3_mmT4_T5_P12ihipStream_tbEUlRKiE_EEST_SX_SY_mSZ_S12_bEUlT_E_NS1_11comp_targetILNS1_3genE8ELNS1_11target_archE1030ELNS1_3gpuE2ELNS1_3repE0EEENS1_30default_config_static_selectorELNS0_4arch9wavefront6targetE1EEEvSW_,@function
_ZN7rocprim17ROCPRIM_400000_NS6detail17trampoline_kernelINS0_14default_configENS1_29binary_search_config_selectorIiiEEZNS1_14transform_implILb0ES3_S5_N6thrust23THRUST_200600_302600_NS6detail15normal_iteratorINS8_7pointerIiNS8_11hip_rocprim12par_nosync_tENS8_11use_defaultESE_EEEESG_ZNS1_13binary_searchIS3_S5_NSA_INS8_10device_ptrIiEEEESG_SG_NS1_16binary_search_opENS9_16wrapped_functionINS8_6system6detail7generic6detail18binary_search_lessEbEEEE10hipError_tPvRmT1_T2_T3_mmT4_T5_P12ihipStream_tbEUlRKiE_EEST_SX_SY_mSZ_S12_bEUlT_E_NS1_11comp_targetILNS1_3genE8ELNS1_11target_archE1030ELNS1_3gpuE2ELNS1_3repE0EEENS1_30default_config_static_selectorELNS0_4arch9wavefront6targetE1EEEvSW_: ; @_ZN7rocprim17ROCPRIM_400000_NS6detail17trampoline_kernelINS0_14default_configENS1_29binary_search_config_selectorIiiEEZNS1_14transform_implILb0ES3_S5_N6thrust23THRUST_200600_302600_NS6detail15normal_iteratorINS8_7pointerIiNS8_11hip_rocprim12par_nosync_tENS8_11use_defaultESE_EEEESG_ZNS1_13binary_searchIS3_S5_NSA_INS8_10device_ptrIiEEEESG_SG_NS1_16binary_search_opENS9_16wrapped_functionINS8_6system6detail7generic6detail18binary_search_lessEbEEEE10hipError_tPvRmT1_T2_T3_mmT4_T5_P12ihipStream_tbEUlRKiE_EEST_SX_SY_mSZ_S12_bEUlT_E_NS1_11comp_targetILNS1_3genE8ELNS1_11target_archE1030ELNS1_3gpuE2ELNS1_3repE0EEENS1_30default_config_static_selectorELNS0_4arch9wavefront6targetE1EEEvSW_
; %bb.0:
	.section	.rodata,"a",@progbits
	.p2align	6, 0x0
	.amdhsa_kernel _ZN7rocprim17ROCPRIM_400000_NS6detail17trampoline_kernelINS0_14default_configENS1_29binary_search_config_selectorIiiEEZNS1_14transform_implILb0ES3_S5_N6thrust23THRUST_200600_302600_NS6detail15normal_iteratorINS8_7pointerIiNS8_11hip_rocprim12par_nosync_tENS8_11use_defaultESE_EEEESG_ZNS1_13binary_searchIS3_S5_NSA_INS8_10device_ptrIiEEEESG_SG_NS1_16binary_search_opENS9_16wrapped_functionINS8_6system6detail7generic6detail18binary_search_lessEbEEEE10hipError_tPvRmT1_T2_T3_mmT4_T5_P12ihipStream_tbEUlRKiE_EEST_SX_SY_mSZ_S12_bEUlT_E_NS1_11comp_targetILNS1_3genE8ELNS1_11target_archE1030ELNS1_3gpuE2ELNS1_3repE0EEENS1_30default_config_static_selectorELNS0_4arch9wavefront6targetE1EEEvSW_
		.amdhsa_group_segment_fixed_size 0
		.amdhsa_private_segment_fixed_size 0
		.amdhsa_kernarg_size 56
		.amdhsa_user_sgpr_count 6
		.amdhsa_user_sgpr_private_segment_buffer 1
		.amdhsa_user_sgpr_dispatch_ptr 0
		.amdhsa_user_sgpr_queue_ptr 0
		.amdhsa_user_sgpr_kernarg_segment_ptr 1
		.amdhsa_user_sgpr_dispatch_id 0
		.amdhsa_user_sgpr_flat_scratch_init 0
		.amdhsa_user_sgpr_private_segment_size 0
		.amdhsa_uses_dynamic_stack 0
		.amdhsa_system_sgpr_private_segment_wavefront_offset 0
		.amdhsa_system_sgpr_workgroup_id_x 1
		.amdhsa_system_sgpr_workgroup_id_y 0
		.amdhsa_system_sgpr_workgroup_id_z 0
		.amdhsa_system_sgpr_workgroup_info 0
		.amdhsa_system_vgpr_workitem_id 0
		.amdhsa_next_free_vgpr 1
		.amdhsa_next_free_sgpr 0
		.amdhsa_reserve_vcc 0
		.amdhsa_reserve_flat_scratch 0
		.amdhsa_float_round_mode_32 0
		.amdhsa_float_round_mode_16_64 0
		.amdhsa_float_denorm_mode_32 3
		.amdhsa_float_denorm_mode_16_64 3
		.amdhsa_dx10_clamp 1
		.amdhsa_ieee_mode 1
		.amdhsa_fp16_overflow 0
		.amdhsa_exception_fp_ieee_invalid_op 0
		.amdhsa_exception_fp_denorm_src 0
		.amdhsa_exception_fp_ieee_div_zero 0
		.amdhsa_exception_fp_ieee_overflow 0
		.amdhsa_exception_fp_ieee_underflow 0
		.amdhsa_exception_fp_ieee_inexact 0
		.amdhsa_exception_int_div_zero 0
	.end_amdhsa_kernel
	.section	.text._ZN7rocprim17ROCPRIM_400000_NS6detail17trampoline_kernelINS0_14default_configENS1_29binary_search_config_selectorIiiEEZNS1_14transform_implILb0ES3_S5_N6thrust23THRUST_200600_302600_NS6detail15normal_iteratorINS8_7pointerIiNS8_11hip_rocprim12par_nosync_tENS8_11use_defaultESE_EEEESG_ZNS1_13binary_searchIS3_S5_NSA_INS8_10device_ptrIiEEEESG_SG_NS1_16binary_search_opENS9_16wrapped_functionINS8_6system6detail7generic6detail18binary_search_lessEbEEEE10hipError_tPvRmT1_T2_T3_mmT4_T5_P12ihipStream_tbEUlRKiE_EEST_SX_SY_mSZ_S12_bEUlT_E_NS1_11comp_targetILNS1_3genE8ELNS1_11target_archE1030ELNS1_3gpuE2ELNS1_3repE0EEENS1_30default_config_static_selectorELNS0_4arch9wavefront6targetE1EEEvSW_,"axG",@progbits,_ZN7rocprim17ROCPRIM_400000_NS6detail17trampoline_kernelINS0_14default_configENS1_29binary_search_config_selectorIiiEEZNS1_14transform_implILb0ES3_S5_N6thrust23THRUST_200600_302600_NS6detail15normal_iteratorINS8_7pointerIiNS8_11hip_rocprim12par_nosync_tENS8_11use_defaultESE_EEEESG_ZNS1_13binary_searchIS3_S5_NSA_INS8_10device_ptrIiEEEESG_SG_NS1_16binary_search_opENS9_16wrapped_functionINS8_6system6detail7generic6detail18binary_search_lessEbEEEE10hipError_tPvRmT1_T2_T3_mmT4_T5_P12ihipStream_tbEUlRKiE_EEST_SX_SY_mSZ_S12_bEUlT_E_NS1_11comp_targetILNS1_3genE8ELNS1_11target_archE1030ELNS1_3gpuE2ELNS1_3repE0EEENS1_30default_config_static_selectorELNS0_4arch9wavefront6targetE1EEEvSW_,comdat
.Lfunc_end706:
	.size	_ZN7rocprim17ROCPRIM_400000_NS6detail17trampoline_kernelINS0_14default_configENS1_29binary_search_config_selectorIiiEEZNS1_14transform_implILb0ES3_S5_N6thrust23THRUST_200600_302600_NS6detail15normal_iteratorINS8_7pointerIiNS8_11hip_rocprim12par_nosync_tENS8_11use_defaultESE_EEEESG_ZNS1_13binary_searchIS3_S5_NSA_INS8_10device_ptrIiEEEESG_SG_NS1_16binary_search_opENS9_16wrapped_functionINS8_6system6detail7generic6detail18binary_search_lessEbEEEE10hipError_tPvRmT1_T2_T3_mmT4_T5_P12ihipStream_tbEUlRKiE_EEST_SX_SY_mSZ_S12_bEUlT_E_NS1_11comp_targetILNS1_3genE8ELNS1_11target_archE1030ELNS1_3gpuE2ELNS1_3repE0EEENS1_30default_config_static_selectorELNS0_4arch9wavefront6targetE1EEEvSW_, .Lfunc_end706-_ZN7rocprim17ROCPRIM_400000_NS6detail17trampoline_kernelINS0_14default_configENS1_29binary_search_config_selectorIiiEEZNS1_14transform_implILb0ES3_S5_N6thrust23THRUST_200600_302600_NS6detail15normal_iteratorINS8_7pointerIiNS8_11hip_rocprim12par_nosync_tENS8_11use_defaultESE_EEEESG_ZNS1_13binary_searchIS3_S5_NSA_INS8_10device_ptrIiEEEESG_SG_NS1_16binary_search_opENS9_16wrapped_functionINS8_6system6detail7generic6detail18binary_search_lessEbEEEE10hipError_tPvRmT1_T2_T3_mmT4_T5_P12ihipStream_tbEUlRKiE_EEST_SX_SY_mSZ_S12_bEUlT_E_NS1_11comp_targetILNS1_3genE8ELNS1_11target_archE1030ELNS1_3gpuE2ELNS1_3repE0EEENS1_30default_config_static_selectorELNS0_4arch9wavefront6targetE1EEEvSW_
                                        ; -- End function
	.set _ZN7rocprim17ROCPRIM_400000_NS6detail17trampoline_kernelINS0_14default_configENS1_29binary_search_config_selectorIiiEEZNS1_14transform_implILb0ES3_S5_N6thrust23THRUST_200600_302600_NS6detail15normal_iteratorINS8_7pointerIiNS8_11hip_rocprim12par_nosync_tENS8_11use_defaultESE_EEEESG_ZNS1_13binary_searchIS3_S5_NSA_INS8_10device_ptrIiEEEESG_SG_NS1_16binary_search_opENS9_16wrapped_functionINS8_6system6detail7generic6detail18binary_search_lessEbEEEE10hipError_tPvRmT1_T2_T3_mmT4_T5_P12ihipStream_tbEUlRKiE_EEST_SX_SY_mSZ_S12_bEUlT_E_NS1_11comp_targetILNS1_3genE8ELNS1_11target_archE1030ELNS1_3gpuE2ELNS1_3repE0EEENS1_30default_config_static_selectorELNS0_4arch9wavefront6targetE1EEEvSW_.num_vgpr, 0
	.set _ZN7rocprim17ROCPRIM_400000_NS6detail17trampoline_kernelINS0_14default_configENS1_29binary_search_config_selectorIiiEEZNS1_14transform_implILb0ES3_S5_N6thrust23THRUST_200600_302600_NS6detail15normal_iteratorINS8_7pointerIiNS8_11hip_rocprim12par_nosync_tENS8_11use_defaultESE_EEEESG_ZNS1_13binary_searchIS3_S5_NSA_INS8_10device_ptrIiEEEESG_SG_NS1_16binary_search_opENS9_16wrapped_functionINS8_6system6detail7generic6detail18binary_search_lessEbEEEE10hipError_tPvRmT1_T2_T3_mmT4_T5_P12ihipStream_tbEUlRKiE_EEST_SX_SY_mSZ_S12_bEUlT_E_NS1_11comp_targetILNS1_3genE8ELNS1_11target_archE1030ELNS1_3gpuE2ELNS1_3repE0EEENS1_30default_config_static_selectorELNS0_4arch9wavefront6targetE1EEEvSW_.num_agpr, 0
	.set _ZN7rocprim17ROCPRIM_400000_NS6detail17trampoline_kernelINS0_14default_configENS1_29binary_search_config_selectorIiiEEZNS1_14transform_implILb0ES3_S5_N6thrust23THRUST_200600_302600_NS6detail15normal_iteratorINS8_7pointerIiNS8_11hip_rocprim12par_nosync_tENS8_11use_defaultESE_EEEESG_ZNS1_13binary_searchIS3_S5_NSA_INS8_10device_ptrIiEEEESG_SG_NS1_16binary_search_opENS9_16wrapped_functionINS8_6system6detail7generic6detail18binary_search_lessEbEEEE10hipError_tPvRmT1_T2_T3_mmT4_T5_P12ihipStream_tbEUlRKiE_EEST_SX_SY_mSZ_S12_bEUlT_E_NS1_11comp_targetILNS1_3genE8ELNS1_11target_archE1030ELNS1_3gpuE2ELNS1_3repE0EEENS1_30default_config_static_selectorELNS0_4arch9wavefront6targetE1EEEvSW_.numbered_sgpr, 0
	.set _ZN7rocprim17ROCPRIM_400000_NS6detail17trampoline_kernelINS0_14default_configENS1_29binary_search_config_selectorIiiEEZNS1_14transform_implILb0ES3_S5_N6thrust23THRUST_200600_302600_NS6detail15normal_iteratorINS8_7pointerIiNS8_11hip_rocprim12par_nosync_tENS8_11use_defaultESE_EEEESG_ZNS1_13binary_searchIS3_S5_NSA_INS8_10device_ptrIiEEEESG_SG_NS1_16binary_search_opENS9_16wrapped_functionINS8_6system6detail7generic6detail18binary_search_lessEbEEEE10hipError_tPvRmT1_T2_T3_mmT4_T5_P12ihipStream_tbEUlRKiE_EEST_SX_SY_mSZ_S12_bEUlT_E_NS1_11comp_targetILNS1_3genE8ELNS1_11target_archE1030ELNS1_3gpuE2ELNS1_3repE0EEENS1_30default_config_static_selectorELNS0_4arch9wavefront6targetE1EEEvSW_.num_named_barrier, 0
	.set _ZN7rocprim17ROCPRIM_400000_NS6detail17trampoline_kernelINS0_14default_configENS1_29binary_search_config_selectorIiiEEZNS1_14transform_implILb0ES3_S5_N6thrust23THRUST_200600_302600_NS6detail15normal_iteratorINS8_7pointerIiNS8_11hip_rocprim12par_nosync_tENS8_11use_defaultESE_EEEESG_ZNS1_13binary_searchIS3_S5_NSA_INS8_10device_ptrIiEEEESG_SG_NS1_16binary_search_opENS9_16wrapped_functionINS8_6system6detail7generic6detail18binary_search_lessEbEEEE10hipError_tPvRmT1_T2_T3_mmT4_T5_P12ihipStream_tbEUlRKiE_EEST_SX_SY_mSZ_S12_bEUlT_E_NS1_11comp_targetILNS1_3genE8ELNS1_11target_archE1030ELNS1_3gpuE2ELNS1_3repE0EEENS1_30default_config_static_selectorELNS0_4arch9wavefront6targetE1EEEvSW_.private_seg_size, 0
	.set _ZN7rocprim17ROCPRIM_400000_NS6detail17trampoline_kernelINS0_14default_configENS1_29binary_search_config_selectorIiiEEZNS1_14transform_implILb0ES3_S5_N6thrust23THRUST_200600_302600_NS6detail15normal_iteratorINS8_7pointerIiNS8_11hip_rocprim12par_nosync_tENS8_11use_defaultESE_EEEESG_ZNS1_13binary_searchIS3_S5_NSA_INS8_10device_ptrIiEEEESG_SG_NS1_16binary_search_opENS9_16wrapped_functionINS8_6system6detail7generic6detail18binary_search_lessEbEEEE10hipError_tPvRmT1_T2_T3_mmT4_T5_P12ihipStream_tbEUlRKiE_EEST_SX_SY_mSZ_S12_bEUlT_E_NS1_11comp_targetILNS1_3genE8ELNS1_11target_archE1030ELNS1_3gpuE2ELNS1_3repE0EEENS1_30default_config_static_selectorELNS0_4arch9wavefront6targetE1EEEvSW_.uses_vcc, 0
	.set _ZN7rocprim17ROCPRIM_400000_NS6detail17trampoline_kernelINS0_14default_configENS1_29binary_search_config_selectorIiiEEZNS1_14transform_implILb0ES3_S5_N6thrust23THRUST_200600_302600_NS6detail15normal_iteratorINS8_7pointerIiNS8_11hip_rocprim12par_nosync_tENS8_11use_defaultESE_EEEESG_ZNS1_13binary_searchIS3_S5_NSA_INS8_10device_ptrIiEEEESG_SG_NS1_16binary_search_opENS9_16wrapped_functionINS8_6system6detail7generic6detail18binary_search_lessEbEEEE10hipError_tPvRmT1_T2_T3_mmT4_T5_P12ihipStream_tbEUlRKiE_EEST_SX_SY_mSZ_S12_bEUlT_E_NS1_11comp_targetILNS1_3genE8ELNS1_11target_archE1030ELNS1_3gpuE2ELNS1_3repE0EEENS1_30default_config_static_selectorELNS0_4arch9wavefront6targetE1EEEvSW_.uses_flat_scratch, 0
	.set _ZN7rocprim17ROCPRIM_400000_NS6detail17trampoline_kernelINS0_14default_configENS1_29binary_search_config_selectorIiiEEZNS1_14transform_implILb0ES3_S5_N6thrust23THRUST_200600_302600_NS6detail15normal_iteratorINS8_7pointerIiNS8_11hip_rocprim12par_nosync_tENS8_11use_defaultESE_EEEESG_ZNS1_13binary_searchIS3_S5_NSA_INS8_10device_ptrIiEEEESG_SG_NS1_16binary_search_opENS9_16wrapped_functionINS8_6system6detail7generic6detail18binary_search_lessEbEEEE10hipError_tPvRmT1_T2_T3_mmT4_T5_P12ihipStream_tbEUlRKiE_EEST_SX_SY_mSZ_S12_bEUlT_E_NS1_11comp_targetILNS1_3genE8ELNS1_11target_archE1030ELNS1_3gpuE2ELNS1_3repE0EEENS1_30default_config_static_selectorELNS0_4arch9wavefront6targetE1EEEvSW_.has_dyn_sized_stack, 0
	.set _ZN7rocprim17ROCPRIM_400000_NS6detail17trampoline_kernelINS0_14default_configENS1_29binary_search_config_selectorIiiEEZNS1_14transform_implILb0ES3_S5_N6thrust23THRUST_200600_302600_NS6detail15normal_iteratorINS8_7pointerIiNS8_11hip_rocprim12par_nosync_tENS8_11use_defaultESE_EEEESG_ZNS1_13binary_searchIS3_S5_NSA_INS8_10device_ptrIiEEEESG_SG_NS1_16binary_search_opENS9_16wrapped_functionINS8_6system6detail7generic6detail18binary_search_lessEbEEEE10hipError_tPvRmT1_T2_T3_mmT4_T5_P12ihipStream_tbEUlRKiE_EEST_SX_SY_mSZ_S12_bEUlT_E_NS1_11comp_targetILNS1_3genE8ELNS1_11target_archE1030ELNS1_3gpuE2ELNS1_3repE0EEENS1_30default_config_static_selectorELNS0_4arch9wavefront6targetE1EEEvSW_.has_recursion, 0
	.set _ZN7rocprim17ROCPRIM_400000_NS6detail17trampoline_kernelINS0_14default_configENS1_29binary_search_config_selectorIiiEEZNS1_14transform_implILb0ES3_S5_N6thrust23THRUST_200600_302600_NS6detail15normal_iteratorINS8_7pointerIiNS8_11hip_rocprim12par_nosync_tENS8_11use_defaultESE_EEEESG_ZNS1_13binary_searchIS3_S5_NSA_INS8_10device_ptrIiEEEESG_SG_NS1_16binary_search_opENS9_16wrapped_functionINS8_6system6detail7generic6detail18binary_search_lessEbEEEE10hipError_tPvRmT1_T2_T3_mmT4_T5_P12ihipStream_tbEUlRKiE_EEST_SX_SY_mSZ_S12_bEUlT_E_NS1_11comp_targetILNS1_3genE8ELNS1_11target_archE1030ELNS1_3gpuE2ELNS1_3repE0EEENS1_30default_config_static_selectorELNS0_4arch9wavefront6targetE1EEEvSW_.has_indirect_call, 0
	.section	.AMDGPU.csdata,"",@progbits
; Kernel info:
; codeLenInByte = 0
; TotalNumSgprs: 4
; NumVgprs: 0
; ScratchSize: 0
; MemoryBound: 0
; FloatMode: 240
; IeeeMode: 1
; LDSByteSize: 0 bytes/workgroup (compile time only)
; SGPRBlocks: 0
; VGPRBlocks: 0
; NumSGPRsForWavesPerEU: 4
; NumVGPRsForWavesPerEU: 1
; Occupancy: 10
; WaveLimiterHint : 0
; COMPUTE_PGM_RSRC2:SCRATCH_EN: 0
; COMPUTE_PGM_RSRC2:USER_SGPR: 6
; COMPUTE_PGM_RSRC2:TRAP_HANDLER: 0
; COMPUTE_PGM_RSRC2:TGID_X_EN: 1
; COMPUTE_PGM_RSRC2:TGID_Y_EN: 0
; COMPUTE_PGM_RSRC2:TGID_Z_EN: 0
; COMPUTE_PGM_RSRC2:TIDIG_COMP_CNT: 0
	.section	.text._ZN7rocprim17ROCPRIM_400000_NS6detail17trampoline_kernelINS0_14default_configENS1_29binary_search_config_selectorIiiEEZNS1_14transform_implILb0ES3_S5_N6thrust23THRUST_200600_302600_NS6detail15normal_iteratorINS8_7pointerIiNS8_11hip_rocprim5par_tENS8_11use_defaultESE_EEEESG_ZNS1_13binary_searchIS3_S5_NSA_INS8_10device_ptrIiEEEESG_SG_NS1_16binary_search_opENS9_16wrapped_functionINS8_6system6detail7generic6detail18binary_search_lessEbEEEE10hipError_tPvRmT1_T2_T3_mmT4_T5_P12ihipStream_tbEUlRKiE_EEST_SX_SY_mSZ_S12_bEUlT_E_NS1_11comp_targetILNS1_3genE0ELNS1_11target_archE4294967295ELNS1_3gpuE0ELNS1_3repE0EEENS1_30default_config_static_selectorELNS0_4arch9wavefront6targetE1EEEvSW_,"axG",@progbits,_ZN7rocprim17ROCPRIM_400000_NS6detail17trampoline_kernelINS0_14default_configENS1_29binary_search_config_selectorIiiEEZNS1_14transform_implILb0ES3_S5_N6thrust23THRUST_200600_302600_NS6detail15normal_iteratorINS8_7pointerIiNS8_11hip_rocprim5par_tENS8_11use_defaultESE_EEEESG_ZNS1_13binary_searchIS3_S5_NSA_INS8_10device_ptrIiEEEESG_SG_NS1_16binary_search_opENS9_16wrapped_functionINS8_6system6detail7generic6detail18binary_search_lessEbEEEE10hipError_tPvRmT1_T2_T3_mmT4_T5_P12ihipStream_tbEUlRKiE_EEST_SX_SY_mSZ_S12_bEUlT_E_NS1_11comp_targetILNS1_3genE0ELNS1_11target_archE4294967295ELNS1_3gpuE0ELNS1_3repE0EEENS1_30default_config_static_selectorELNS0_4arch9wavefront6targetE1EEEvSW_,comdat
	.protected	_ZN7rocprim17ROCPRIM_400000_NS6detail17trampoline_kernelINS0_14default_configENS1_29binary_search_config_selectorIiiEEZNS1_14transform_implILb0ES3_S5_N6thrust23THRUST_200600_302600_NS6detail15normal_iteratorINS8_7pointerIiNS8_11hip_rocprim5par_tENS8_11use_defaultESE_EEEESG_ZNS1_13binary_searchIS3_S5_NSA_INS8_10device_ptrIiEEEESG_SG_NS1_16binary_search_opENS9_16wrapped_functionINS8_6system6detail7generic6detail18binary_search_lessEbEEEE10hipError_tPvRmT1_T2_T3_mmT4_T5_P12ihipStream_tbEUlRKiE_EEST_SX_SY_mSZ_S12_bEUlT_E_NS1_11comp_targetILNS1_3genE0ELNS1_11target_archE4294967295ELNS1_3gpuE0ELNS1_3repE0EEENS1_30default_config_static_selectorELNS0_4arch9wavefront6targetE1EEEvSW_ ; -- Begin function _ZN7rocprim17ROCPRIM_400000_NS6detail17trampoline_kernelINS0_14default_configENS1_29binary_search_config_selectorIiiEEZNS1_14transform_implILb0ES3_S5_N6thrust23THRUST_200600_302600_NS6detail15normal_iteratorINS8_7pointerIiNS8_11hip_rocprim5par_tENS8_11use_defaultESE_EEEESG_ZNS1_13binary_searchIS3_S5_NSA_INS8_10device_ptrIiEEEESG_SG_NS1_16binary_search_opENS9_16wrapped_functionINS8_6system6detail7generic6detail18binary_search_lessEbEEEE10hipError_tPvRmT1_T2_T3_mmT4_T5_P12ihipStream_tbEUlRKiE_EEST_SX_SY_mSZ_S12_bEUlT_E_NS1_11comp_targetILNS1_3genE0ELNS1_11target_archE4294967295ELNS1_3gpuE0ELNS1_3repE0EEENS1_30default_config_static_selectorELNS0_4arch9wavefront6targetE1EEEvSW_
	.globl	_ZN7rocprim17ROCPRIM_400000_NS6detail17trampoline_kernelINS0_14default_configENS1_29binary_search_config_selectorIiiEEZNS1_14transform_implILb0ES3_S5_N6thrust23THRUST_200600_302600_NS6detail15normal_iteratorINS8_7pointerIiNS8_11hip_rocprim5par_tENS8_11use_defaultESE_EEEESG_ZNS1_13binary_searchIS3_S5_NSA_INS8_10device_ptrIiEEEESG_SG_NS1_16binary_search_opENS9_16wrapped_functionINS8_6system6detail7generic6detail18binary_search_lessEbEEEE10hipError_tPvRmT1_T2_T3_mmT4_T5_P12ihipStream_tbEUlRKiE_EEST_SX_SY_mSZ_S12_bEUlT_E_NS1_11comp_targetILNS1_3genE0ELNS1_11target_archE4294967295ELNS1_3gpuE0ELNS1_3repE0EEENS1_30default_config_static_selectorELNS0_4arch9wavefront6targetE1EEEvSW_
	.p2align	8
	.type	_ZN7rocprim17ROCPRIM_400000_NS6detail17trampoline_kernelINS0_14default_configENS1_29binary_search_config_selectorIiiEEZNS1_14transform_implILb0ES3_S5_N6thrust23THRUST_200600_302600_NS6detail15normal_iteratorINS8_7pointerIiNS8_11hip_rocprim5par_tENS8_11use_defaultESE_EEEESG_ZNS1_13binary_searchIS3_S5_NSA_INS8_10device_ptrIiEEEESG_SG_NS1_16binary_search_opENS9_16wrapped_functionINS8_6system6detail7generic6detail18binary_search_lessEbEEEE10hipError_tPvRmT1_T2_T3_mmT4_T5_P12ihipStream_tbEUlRKiE_EEST_SX_SY_mSZ_S12_bEUlT_E_NS1_11comp_targetILNS1_3genE0ELNS1_11target_archE4294967295ELNS1_3gpuE0ELNS1_3repE0EEENS1_30default_config_static_selectorELNS0_4arch9wavefront6targetE1EEEvSW_,@function
_ZN7rocprim17ROCPRIM_400000_NS6detail17trampoline_kernelINS0_14default_configENS1_29binary_search_config_selectorIiiEEZNS1_14transform_implILb0ES3_S5_N6thrust23THRUST_200600_302600_NS6detail15normal_iteratorINS8_7pointerIiNS8_11hip_rocprim5par_tENS8_11use_defaultESE_EEEESG_ZNS1_13binary_searchIS3_S5_NSA_INS8_10device_ptrIiEEEESG_SG_NS1_16binary_search_opENS9_16wrapped_functionINS8_6system6detail7generic6detail18binary_search_lessEbEEEE10hipError_tPvRmT1_T2_T3_mmT4_T5_P12ihipStream_tbEUlRKiE_EEST_SX_SY_mSZ_S12_bEUlT_E_NS1_11comp_targetILNS1_3genE0ELNS1_11target_archE4294967295ELNS1_3gpuE0ELNS1_3repE0EEENS1_30default_config_static_selectorELNS0_4arch9wavefront6targetE1EEEvSW_: ; @_ZN7rocprim17ROCPRIM_400000_NS6detail17trampoline_kernelINS0_14default_configENS1_29binary_search_config_selectorIiiEEZNS1_14transform_implILb0ES3_S5_N6thrust23THRUST_200600_302600_NS6detail15normal_iteratorINS8_7pointerIiNS8_11hip_rocprim5par_tENS8_11use_defaultESE_EEEESG_ZNS1_13binary_searchIS3_S5_NSA_INS8_10device_ptrIiEEEESG_SG_NS1_16binary_search_opENS9_16wrapped_functionINS8_6system6detail7generic6detail18binary_search_lessEbEEEE10hipError_tPvRmT1_T2_T3_mmT4_T5_P12ihipStream_tbEUlRKiE_EEST_SX_SY_mSZ_S12_bEUlT_E_NS1_11comp_targetILNS1_3genE0ELNS1_11target_archE4294967295ELNS1_3gpuE0ELNS1_3repE0EEENS1_30default_config_static_selectorELNS0_4arch9wavefront6targetE1EEEvSW_
; %bb.0:
	.section	.rodata,"a",@progbits
	.p2align	6, 0x0
	.amdhsa_kernel _ZN7rocprim17ROCPRIM_400000_NS6detail17trampoline_kernelINS0_14default_configENS1_29binary_search_config_selectorIiiEEZNS1_14transform_implILb0ES3_S5_N6thrust23THRUST_200600_302600_NS6detail15normal_iteratorINS8_7pointerIiNS8_11hip_rocprim5par_tENS8_11use_defaultESE_EEEESG_ZNS1_13binary_searchIS3_S5_NSA_INS8_10device_ptrIiEEEESG_SG_NS1_16binary_search_opENS9_16wrapped_functionINS8_6system6detail7generic6detail18binary_search_lessEbEEEE10hipError_tPvRmT1_T2_T3_mmT4_T5_P12ihipStream_tbEUlRKiE_EEST_SX_SY_mSZ_S12_bEUlT_E_NS1_11comp_targetILNS1_3genE0ELNS1_11target_archE4294967295ELNS1_3gpuE0ELNS1_3repE0EEENS1_30default_config_static_selectorELNS0_4arch9wavefront6targetE1EEEvSW_
		.amdhsa_group_segment_fixed_size 0
		.amdhsa_private_segment_fixed_size 0
		.amdhsa_kernarg_size 56
		.amdhsa_user_sgpr_count 6
		.amdhsa_user_sgpr_private_segment_buffer 1
		.amdhsa_user_sgpr_dispatch_ptr 0
		.amdhsa_user_sgpr_queue_ptr 0
		.amdhsa_user_sgpr_kernarg_segment_ptr 1
		.amdhsa_user_sgpr_dispatch_id 0
		.amdhsa_user_sgpr_flat_scratch_init 0
		.amdhsa_user_sgpr_private_segment_size 0
		.amdhsa_uses_dynamic_stack 0
		.amdhsa_system_sgpr_private_segment_wavefront_offset 0
		.amdhsa_system_sgpr_workgroup_id_x 1
		.amdhsa_system_sgpr_workgroup_id_y 0
		.amdhsa_system_sgpr_workgroup_id_z 0
		.amdhsa_system_sgpr_workgroup_info 0
		.amdhsa_system_vgpr_workitem_id 0
		.amdhsa_next_free_vgpr 1
		.amdhsa_next_free_sgpr 0
		.amdhsa_reserve_vcc 0
		.amdhsa_reserve_flat_scratch 0
		.amdhsa_float_round_mode_32 0
		.amdhsa_float_round_mode_16_64 0
		.amdhsa_float_denorm_mode_32 3
		.amdhsa_float_denorm_mode_16_64 3
		.amdhsa_dx10_clamp 1
		.amdhsa_ieee_mode 1
		.amdhsa_fp16_overflow 0
		.amdhsa_exception_fp_ieee_invalid_op 0
		.amdhsa_exception_fp_denorm_src 0
		.amdhsa_exception_fp_ieee_div_zero 0
		.amdhsa_exception_fp_ieee_overflow 0
		.amdhsa_exception_fp_ieee_underflow 0
		.amdhsa_exception_fp_ieee_inexact 0
		.amdhsa_exception_int_div_zero 0
	.end_amdhsa_kernel
	.section	.text._ZN7rocprim17ROCPRIM_400000_NS6detail17trampoline_kernelINS0_14default_configENS1_29binary_search_config_selectorIiiEEZNS1_14transform_implILb0ES3_S5_N6thrust23THRUST_200600_302600_NS6detail15normal_iteratorINS8_7pointerIiNS8_11hip_rocprim5par_tENS8_11use_defaultESE_EEEESG_ZNS1_13binary_searchIS3_S5_NSA_INS8_10device_ptrIiEEEESG_SG_NS1_16binary_search_opENS9_16wrapped_functionINS8_6system6detail7generic6detail18binary_search_lessEbEEEE10hipError_tPvRmT1_T2_T3_mmT4_T5_P12ihipStream_tbEUlRKiE_EEST_SX_SY_mSZ_S12_bEUlT_E_NS1_11comp_targetILNS1_3genE0ELNS1_11target_archE4294967295ELNS1_3gpuE0ELNS1_3repE0EEENS1_30default_config_static_selectorELNS0_4arch9wavefront6targetE1EEEvSW_,"axG",@progbits,_ZN7rocprim17ROCPRIM_400000_NS6detail17trampoline_kernelINS0_14default_configENS1_29binary_search_config_selectorIiiEEZNS1_14transform_implILb0ES3_S5_N6thrust23THRUST_200600_302600_NS6detail15normal_iteratorINS8_7pointerIiNS8_11hip_rocprim5par_tENS8_11use_defaultESE_EEEESG_ZNS1_13binary_searchIS3_S5_NSA_INS8_10device_ptrIiEEEESG_SG_NS1_16binary_search_opENS9_16wrapped_functionINS8_6system6detail7generic6detail18binary_search_lessEbEEEE10hipError_tPvRmT1_T2_T3_mmT4_T5_P12ihipStream_tbEUlRKiE_EEST_SX_SY_mSZ_S12_bEUlT_E_NS1_11comp_targetILNS1_3genE0ELNS1_11target_archE4294967295ELNS1_3gpuE0ELNS1_3repE0EEENS1_30default_config_static_selectorELNS0_4arch9wavefront6targetE1EEEvSW_,comdat
.Lfunc_end707:
	.size	_ZN7rocprim17ROCPRIM_400000_NS6detail17trampoline_kernelINS0_14default_configENS1_29binary_search_config_selectorIiiEEZNS1_14transform_implILb0ES3_S5_N6thrust23THRUST_200600_302600_NS6detail15normal_iteratorINS8_7pointerIiNS8_11hip_rocprim5par_tENS8_11use_defaultESE_EEEESG_ZNS1_13binary_searchIS3_S5_NSA_INS8_10device_ptrIiEEEESG_SG_NS1_16binary_search_opENS9_16wrapped_functionINS8_6system6detail7generic6detail18binary_search_lessEbEEEE10hipError_tPvRmT1_T2_T3_mmT4_T5_P12ihipStream_tbEUlRKiE_EEST_SX_SY_mSZ_S12_bEUlT_E_NS1_11comp_targetILNS1_3genE0ELNS1_11target_archE4294967295ELNS1_3gpuE0ELNS1_3repE0EEENS1_30default_config_static_selectorELNS0_4arch9wavefront6targetE1EEEvSW_, .Lfunc_end707-_ZN7rocprim17ROCPRIM_400000_NS6detail17trampoline_kernelINS0_14default_configENS1_29binary_search_config_selectorIiiEEZNS1_14transform_implILb0ES3_S5_N6thrust23THRUST_200600_302600_NS6detail15normal_iteratorINS8_7pointerIiNS8_11hip_rocprim5par_tENS8_11use_defaultESE_EEEESG_ZNS1_13binary_searchIS3_S5_NSA_INS8_10device_ptrIiEEEESG_SG_NS1_16binary_search_opENS9_16wrapped_functionINS8_6system6detail7generic6detail18binary_search_lessEbEEEE10hipError_tPvRmT1_T2_T3_mmT4_T5_P12ihipStream_tbEUlRKiE_EEST_SX_SY_mSZ_S12_bEUlT_E_NS1_11comp_targetILNS1_3genE0ELNS1_11target_archE4294967295ELNS1_3gpuE0ELNS1_3repE0EEENS1_30default_config_static_selectorELNS0_4arch9wavefront6targetE1EEEvSW_
                                        ; -- End function
	.set _ZN7rocprim17ROCPRIM_400000_NS6detail17trampoline_kernelINS0_14default_configENS1_29binary_search_config_selectorIiiEEZNS1_14transform_implILb0ES3_S5_N6thrust23THRUST_200600_302600_NS6detail15normal_iteratorINS8_7pointerIiNS8_11hip_rocprim5par_tENS8_11use_defaultESE_EEEESG_ZNS1_13binary_searchIS3_S5_NSA_INS8_10device_ptrIiEEEESG_SG_NS1_16binary_search_opENS9_16wrapped_functionINS8_6system6detail7generic6detail18binary_search_lessEbEEEE10hipError_tPvRmT1_T2_T3_mmT4_T5_P12ihipStream_tbEUlRKiE_EEST_SX_SY_mSZ_S12_bEUlT_E_NS1_11comp_targetILNS1_3genE0ELNS1_11target_archE4294967295ELNS1_3gpuE0ELNS1_3repE0EEENS1_30default_config_static_selectorELNS0_4arch9wavefront6targetE1EEEvSW_.num_vgpr, 0
	.set _ZN7rocprim17ROCPRIM_400000_NS6detail17trampoline_kernelINS0_14default_configENS1_29binary_search_config_selectorIiiEEZNS1_14transform_implILb0ES3_S5_N6thrust23THRUST_200600_302600_NS6detail15normal_iteratorINS8_7pointerIiNS8_11hip_rocprim5par_tENS8_11use_defaultESE_EEEESG_ZNS1_13binary_searchIS3_S5_NSA_INS8_10device_ptrIiEEEESG_SG_NS1_16binary_search_opENS9_16wrapped_functionINS8_6system6detail7generic6detail18binary_search_lessEbEEEE10hipError_tPvRmT1_T2_T3_mmT4_T5_P12ihipStream_tbEUlRKiE_EEST_SX_SY_mSZ_S12_bEUlT_E_NS1_11comp_targetILNS1_3genE0ELNS1_11target_archE4294967295ELNS1_3gpuE0ELNS1_3repE0EEENS1_30default_config_static_selectorELNS0_4arch9wavefront6targetE1EEEvSW_.num_agpr, 0
	.set _ZN7rocprim17ROCPRIM_400000_NS6detail17trampoline_kernelINS0_14default_configENS1_29binary_search_config_selectorIiiEEZNS1_14transform_implILb0ES3_S5_N6thrust23THRUST_200600_302600_NS6detail15normal_iteratorINS8_7pointerIiNS8_11hip_rocprim5par_tENS8_11use_defaultESE_EEEESG_ZNS1_13binary_searchIS3_S5_NSA_INS8_10device_ptrIiEEEESG_SG_NS1_16binary_search_opENS9_16wrapped_functionINS8_6system6detail7generic6detail18binary_search_lessEbEEEE10hipError_tPvRmT1_T2_T3_mmT4_T5_P12ihipStream_tbEUlRKiE_EEST_SX_SY_mSZ_S12_bEUlT_E_NS1_11comp_targetILNS1_3genE0ELNS1_11target_archE4294967295ELNS1_3gpuE0ELNS1_3repE0EEENS1_30default_config_static_selectorELNS0_4arch9wavefront6targetE1EEEvSW_.numbered_sgpr, 0
	.set _ZN7rocprim17ROCPRIM_400000_NS6detail17trampoline_kernelINS0_14default_configENS1_29binary_search_config_selectorIiiEEZNS1_14transform_implILb0ES3_S5_N6thrust23THRUST_200600_302600_NS6detail15normal_iteratorINS8_7pointerIiNS8_11hip_rocprim5par_tENS8_11use_defaultESE_EEEESG_ZNS1_13binary_searchIS3_S5_NSA_INS8_10device_ptrIiEEEESG_SG_NS1_16binary_search_opENS9_16wrapped_functionINS8_6system6detail7generic6detail18binary_search_lessEbEEEE10hipError_tPvRmT1_T2_T3_mmT4_T5_P12ihipStream_tbEUlRKiE_EEST_SX_SY_mSZ_S12_bEUlT_E_NS1_11comp_targetILNS1_3genE0ELNS1_11target_archE4294967295ELNS1_3gpuE0ELNS1_3repE0EEENS1_30default_config_static_selectorELNS0_4arch9wavefront6targetE1EEEvSW_.num_named_barrier, 0
	.set _ZN7rocprim17ROCPRIM_400000_NS6detail17trampoline_kernelINS0_14default_configENS1_29binary_search_config_selectorIiiEEZNS1_14transform_implILb0ES3_S5_N6thrust23THRUST_200600_302600_NS6detail15normal_iteratorINS8_7pointerIiNS8_11hip_rocprim5par_tENS8_11use_defaultESE_EEEESG_ZNS1_13binary_searchIS3_S5_NSA_INS8_10device_ptrIiEEEESG_SG_NS1_16binary_search_opENS9_16wrapped_functionINS8_6system6detail7generic6detail18binary_search_lessEbEEEE10hipError_tPvRmT1_T2_T3_mmT4_T5_P12ihipStream_tbEUlRKiE_EEST_SX_SY_mSZ_S12_bEUlT_E_NS1_11comp_targetILNS1_3genE0ELNS1_11target_archE4294967295ELNS1_3gpuE0ELNS1_3repE0EEENS1_30default_config_static_selectorELNS0_4arch9wavefront6targetE1EEEvSW_.private_seg_size, 0
	.set _ZN7rocprim17ROCPRIM_400000_NS6detail17trampoline_kernelINS0_14default_configENS1_29binary_search_config_selectorIiiEEZNS1_14transform_implILb0ES3_S5_N6thrust23THRUST_200600_302600_NS6detail15normal_iteratorINS8_7pointerIiNS8_11hip_rocprim5par_tENS8_11use_defaultESE_EEEESG_ZNS1_13binary_searchIS3_S5_NSA_INS8_10device_ptrIiEEEESG_SG_NS1_16binary_search_opENS9_16wrapped_functionINS8_6system6detail7generic6detail18binary_search_lessEbEEEE10hipError_tPvRmT1_T2_T3_mmT4_T5_P12ihipStream_tbEUlRKiE_EEST_SX_SY_mSZ_S12_bEUlT_E_NS1_11comp_targetILNS1_3genE0ELNS1_11target_archE4294967295ELNS1_3gpuE0ELNS1_3repE0EEENS1_30default_config_static_selectorELNS0_4arch9wavefront6targetE1EEEvSW_.uses_vcc, 0
	.set _ZN7rocprim17ROCPRIM_400000_NS6detail17trampoline_kernelINS0_14default_configENS1_29binary_search_config_selectorIiiEEZNS1_14transform_implILb0ES3_S5_N6thrust23THRUST_200600_302600_NS6detail15normal_iteratorINS8_7pointerIiNS8_11hip_rocprim5par_tENS8_11use_defaultESE_EEEESG_ZNS1_13binary_searchIS3_S5_NSA_INS8_10device_ptrIiEEEESG_SG_NS1_16binary_search_opENS9_16wrapped_functionINS8_6system6detail7generic6detail18binary_search_lessEbEEEE10hipError_tPvRmT1_T2_T3_mmT4_T5_P12ihipStream_tbEUlRKiE_EEST_SX_SY_mSZ_S12_bEUlT_E_NS1_11comp_targetILNS1_3genE0ELNS1_11target_archE4294967295ELNS1_3gpuE0ELNS1_3repE0EEENS1_30default_config_static_selectorELNS0_4arch9wavefront6targetE1EEEvSW_.uses_flat_scratch, 0
	.set _ZN7rocprim17ROCPRIM_400000_NS6detail17trampoline_kernelINS0_14default_configENS1_29binary_search_config_selectorIiiEEZNS1_14transform_implILb0ES3_S5_N6thrust23THRUST_200600_302600_NS6detail15normal_iteratorINS8_7pointerIiNS8_11hip_rocprim5par_tENS8_11use_defaultESE_EEEESG_ZNS1_13binary_searchIS3_S5_NSA_INS8_10device_ptrIiEEEESG_SG_NS1_16binary_search_opENS9_16wrapped_functionINS8_6system6detail7generic6detail18binary_search_lessEbEEEE10hipError_tPvRmT1_T2_T3_mmT4_T5_P12ihipStream_tbEUlRKiE_EEST_SX_SY_mSZ_S12_bEUlT_E_NS1_11comp_targetILNS1_3genE0ELNS1_11target_archE4294967295ELNS1_3gpuE0ELNS1_3repE0EEENS1_30default_config_static_selectorELNS0_4arch9wavefront6targetE1EEEvSW_.has_dyn_sized_stack, 0
	.set _ZN7rocprim17ROCPRIM_400000_NS6detail17trampoline_kernelINS0_14default_configENS1_29binary_search_config_selectorIiiEEZNS1_14transform_implILb0ES3_S5_N6thrust23THRUST_200600_302600_NS6detail15normal_iteratorINS8_7pointerIiNS8_11hip_rocprim5par_tENS8_11use_defaultESE_EEEESG_ZNS1_13binary_searchIS3_S5_NSA_INS8_10device_ptrIiEEEESG_SG_NS1_16binary_search_opENS9_16wrapped_functionINS8_6system6detail7generic6detail18binary_search_lessEbEEEE10hipError_tPvRmT1_T2_T3_mmT4_T5_P12ihipStream_tbEUlRKiE_EEST_SX_SY_mSZ_S12_bEUlT_E_NS1_11comp_targetILNS1_3genE0ELNS1_11target_archE4294967295ELNS1_3gpuE0ELNS1_3repE0EEENS1_30default_config_static_selectorELNS0_4arch9wavefront6targetE1EEEvSW_.has_recursion, 0
	.set _ZN7rocprim17ROCPRIM_400000_NS6detail17trampoline_kernelINS0_14default_configENS1_29binary_search_config_selectorIiiEEZNS1_14transform_implILb0ES3_S5_N6thrust23THRUST_200600_302600_NS6detail15normal_iteratorINS8_7pointerIiNS8_11hip_rocprim5par_tENS8_11use_defaultESE_EEEESG_ZNS1_13binary_searchIS3_S5_NSA_INS8_10device_ptrIiEEEESG_SG_NS1_16binary_search_opENS9_16wrapped_functionINS8_6system6detail7generic6detail18binary_search_lessEbEEEE10hipError_tPvRmT1_T2_T3_mmT4_T5_P12ihipStream_tbEUlRKiE_EEST_SX_SY_mSZ_S12_bEUlT_E_NS1_11comp_targetILNS1_3genE0ELNS1_11target_archE4294967295ELNS1_3gpuE0ELNS1_3repE0EEENS1_30default_config_static_selectorELNS0_4arch9wavefront6targetE1EEEvSW_.has_indirect_call, 0
	.section	.AMDGPU.csdata,"",@progbits
; Kernel info:
; codeLenInByte = 0
; TotalNumSgprs: 4
; NumVgprs: 0
; ScratchSize: 0
; MemoryBound: 0
; FloatMode: 240
; IeeeMode: 1
; LDSByteSize: 0 bytes/workgroup (compile time only)
; SGPRBlocks: 0
; VGPRBlocks: 0
; NumSGPRsForWavesPerEU: 4
; NumVGPRsForWavesPerEU: 1
; Occupancy: 10
; WaveLimiterHint : 0
; COMPUTE_PGM_RSRC2:SCRATCH_EN: 0
; COMPUTE_PGM_RSRC2:USER_SGPR: 6
; COMPUTE_PGM_RSRC2:TRAP_HANDLER: 0
; COMPUTE_PGM_RSRC2:TGID_X_EN: 1
; COMPUTE_PGM_RSRC2:TGID_Y_EN: 0
; COMPUTE_PGM_RSRC2:TGID_Z_EN: 0
; COMPUTE_PGM_RSRC2:TIDIG_COMP_CNT: 0
	.section	.text._ZN7rocprim17ROCPRIM_400000_NS6detail17trampoline_kernelINS0_14default_configENS1_29binary_search_config_selectorIiiEEZNS1_14transform_implILb0ES3_S5_N6thrust23THRUST_200600_302600_NS6detail15normal_iteratorINS8_7pointerIiNS8_11hip_rocprim5par_tENS8_11use_defaultESE_EEEESG_ZNS1_13binary_searchIS3_S5_NSA_INS8_10device_ptrIiEEEESG_SG_NS1_16binary_search_opENS9_16wrapped_functionINS8_6system6detail7generic6detail18binary_search_lessEbEEEE10hipError_tPvRmT1_T2_T3_mmT4_T5_P12ihipStream_tbEUlRKiE_EEST_SX_SY_mSZ_S12_bEUlT_E_NS1_11comp_targetILNS1_3genE5ELNS1_11target_archE942ELNS1_3gpuE9ELNS1_3repE0EEENS1_30default_config_static_selectorELNS0_4arch9wavefront6targetE1EEEvSW_,"axG",@progbits,_ZN7rocprim17ROCPRIM_400000_NS6detail17trampoline_kernelINS0_14default_configENS1_29binary_search_config_selectorIiiEEZNS1_14transform_implILb0ES3_S5_N6thrust23THRUST_200600_302600_NS6detail15normal_iteratorINS8_7pointerIiNS8_11hip_rocprim5par_tENS8_11use_defaultESE_EEEESG_ZNS1_13binary_searchIS3_S5_NSA_INS8_10device_ptrIiEEEESG_SG_NS1_16binary_search_opENS9_16wrapped_functionINS8_6system6detail7generic6detail18binary_search_lessEbEEEE10hipError_tPvRmT1_T2_T3_mmT4_T5_P12ihipStream_tbEUlRKiE_EEST_SX_SY_mSZ_S12_bEUlT_E_NS1_11comp_targetILNS1_3genE5ELNS1_11target_archE942ELNS1_3gpuE9ELNS1_3repE0EEENS1_30default_config_static_selectorELNS0_4arch9wavefront6targetE1EEEvSW_,comdat
	.protected	_ZN7rocprim17ROCPRIM_400000_NS6detail17trampoline_kernelINS0_14default_configENS1_29binary_search_config_selectorIiiEEZNS1_14transform_implILb0ES3_S5_N6thrust23THRUST_200600_302600_NS6detail15normal_iteratorINS8_7pointerIiNS8_11hip_rocprim5par_tENS8_11use_defaultESE_EEEESG_ZNS1_13binary_searchIS3_S5_NSA_INS8_10device_ptrIiEEEESG_SG_NS1_16binary_search_opENS9_16wrapped_functionINS8_6system6detail7generic6detail18binary_search_lessEbEEEE10hipError_tPvRmT1_T2_T3_mmT4_T5_P12ihipStream_tbEUlRKiE_EEST_SX_SY_mSZ_S12_bEUlT_E_NS1_11comp_targetILNS1_3genE5ELNS1_11target_archE942ELNS1_3gpuE9ELNS1_3repE0EEENS1_30default_config_static_selectorELNS0_4arch9wavefront6targetE1EEEvSW_ ; -- Begin function _ZN7rocprim17ROCPRIM_400000_NS6detail17trampoline_kernelINS0_14default_configENS1_29binary_search_config_selectorIiiEEZNS1_14transform_implILb0ES3_S5_N6thrust23THRUST_200600_302600_NS6detail15normal_iteratorINS8_7pointerIiNS8_11hip_rocprim5par_tENS8_11use_defaultESE_EEEESG_ZNS1_13binary_searchIS3_S5_NSA_INS8_10device_ptrIiEEEESG_SG_NS1_16binary_search_opENS9_16wrapped_functionINS8_6system6detail7generic6detail18binary_search_lessEbEEEE10hipError_tPvRmT1_T2_T3_mmT4_T5_P12ihipStream_tbEUlRKiE_EEST_SX_SY_mSZ_S12_bEUlT_E_NS1_11comp_targetILNS1_3genE5ELNS1_11target_archE942ELNS1_3gpuE9ELNS1_3repE0EEENS1_30default_config_static_selectorELNS0_4arch9wavefront6targetE1EEEvSW_
	.globl	_ZN7rocprim17ROCPRIM_400000_NS6detail17trampoline_kernelINS0_14default_configENS1_29binary_search_config_selectorIiiEEZNS1_14transform_implILb0ES3_S5_N6thrust23THRUST_200600_302600_NS6detail15normal_iteratorINS8_7pointerIiNS8_11hip_rocprim5par_tENS8_11use_defaultESE_EEEESG_ZNS1_13binary_searchIS3_S5_NSA_INS8_10device_ptrIiEEEESG_SG_NS1_16binary_search_opENS9_16wrapped_functionINS8_6system6detail7generic6detail18binary_search_lessEbEEEE10hipError_tPvRmT1_T2_T3_mmT4_T5_P12ihipStream_tbEUlRKiE_EEST_SX_SY_mSZ_S12_bEUlT_E_NS1_11comp_targetILNS1_3genE5ELNS1_11target_archE942ELNS1_3gpuE9ELNS1_3repE0EEENS1_30default_config_static_selectorELNS0_4arch9wavefront6targetE1EEEvSW_
	.p2align	8
	.type	_ZN7rocprim17ROCPRIM_400000_NS6detail17trampoline_kernelINS0_14default_configENS1_29binary_search_config_selectorIiiEEZNS1_14transform_implILb0ES3_S5_N6thrust23THRUST_200600_302600_NS6detail15normal_iteratorINS8_7pointerIiNS8_11hip_rocprim5par_tENS8_11use_defaultESE_EEEESG_ZNS1_13binary_searchIS3_S5_NSA_INS8_10device_ptrIiEEEESG_SG_NS1_16binary_search_opENS9_16wrapped_functionINS8_6system6detail7generic6detail18binary_search_lessEbEEEE10hipError_tPvRmT1_T2_T3_mmT4_T5_P12ihipStream_tbEUlRKiE_EEST_SX_SY_mSZ_S12_bEUlT_E_NS1_11comp_targetILNS1_3genE5ELNS1_11target_archE942ELNS1_3gpuE9ELNS1_3repE0EEENS1_30default_config_static_selectorELNS0_4arch9wavefront6targetE1EEEvSW_,@function
_ZN7rocprim17ROCPRIM_400000_NS6detail17trampoline_kernelINS0_14default_configENS1_29binary_search_config_selectorIiiEEZNS1_14transform_implILb0ES3_S5_N6thrust23THRUST_200600_302600_NS6detail15normal_iteratorINS8_7pointerIiNS8_11hip_rocprim5par_tENS8_11use_defaultESE_EEEESG_ZNS1_13binary_searchIS3_S5_NSA_INS8_10device_ptrIiEEEESG_SG_NS1_16binary_search_opENS9_16wrapped_functionINS8_6system6detail7generic6detail18binary_search_lessEbEEEE10hipError_tPvRmT1_T2_T3_mmT4_T5_P12ihipStream_tbEUlRKiE_EEST_SX_SY_mSZ_S12_bEUlT_E_NS1_11comp_targetILNS1_3genE5ELNS1_11target_archE942ELNS1_3gpuE9ELNS1_3repE0EEENS1_30default_config_static_selectorELNS0_4arch9wavefront6targetE1EEEvSW_: ; @_ZN7rocprim17ROCPRIM_400000_NS6detail17trampoline_kernelINS0_14default_configENS1_29binary_search_config_selectorIiiEEZNS1_14transform_implILb0ES3_S5_N6thrust23THRUST_200600_302600_NS6detail15normal_iteratorINS8_7pointerIiNS8_11hip_rocprim5par_tENS8_11use_defaultESE_EEEESG_ZNS1_13binary_searchIS3_S5_NSA_INS8_10device_ptrIiEEEESG_SG_NS1_16binary_search_opENS9_16wrapped_functionINS8_6system6detail7generic6detail18binary_search_lessEbEEEE10hipError_tPvRmT1_T2_T3_mmT4_T5_P12ihipStream_tbEUlRKiE_EEST_SX_SY_mSZ_S12_bEUlT_E_NS1_11comp_targetILNS1_3genE5ELNS1_11target_archE942ELNS1_3gpuE9ELNS1_3repE0EEENS1_30default_config_static_selectorELNS0_4arch9wavefront6targetE1EEEvSW_
; %bb.0:
	.section	.rodata,"a",@progbits
	.p2align	6, 0x0
	.amdhsa_kernel _ZN7rocprim17ROCPRIM_400000_NS6detail17trampoline_kernelINS0_14default_configENS1_29binary_search_config_selectorIiiEEZNS1_14transform_implILb0ES3_S5_N6thrust23THRUST_200600_302600_NS6detail15normal_iteratorINS8_7pointerIiNS8_11hip_rocprim5par_tENS8_11use_defaultESE_EEEESG_ZNS1_13binary_searchIS3_S5_NSA_INS8_10device_ptrIiEEEESG_SG_NS1_16binary_search_opENS9_16wrapped_functionINS8_6system6detail7generic6detail18binary_search_lessEbEEEE10hipError_tPvRmT1_T2_T3_mmT4_T5_P12ihipStream_tbEUlRKiE_EEST_SX_SY_mSZ_S12_bEUlT_E_NS1_11comp_targetILNS1_3genE5ELNS1_11target_archE942ELNS1_3gpuE9ELNS1_3repE0EEENS1_30default_config_static_selectorELNS0_4arch9wavefront6targetE1EEEvSW_
		.amdhsa_group_segment_fixed_size 0
		.amdhsa_private_segment_fixed_size 0
		.amdhsa_kernarg_size 56
		.amdhsa_user_sgpr_count 6
		.amdhsa_user_sgpr_private_segment_buffer 1
		.amdhsa_user_sgpr_dispatch_ptr 0
		.amdhsa_user_sgpr_queue_ptr 0
		.amdhsa_user_sgpr_kernarg_segment_ptr 1
		.amdhsa_user_sgpr_dispatch_id 0
		.amdhsa_user_sgpr_flat_scratch_init 0
		.amdhsa_user_sgpr_private_segment_size 0
		.amdhsa_uses_dynamic_stack 0
		.amdhsa_system_sgpr_private_segment_wavefront_offset 0
		.amdhsa_system_sgpr_workgroup_id_x 1
		.amdhsa_system_sgpr_workgroup_id_y 0
		.amdhsa_system_sgpr_workgroup_id_z 0
		.amdhsa_system_sgpr_workgroup_info 0
		.amdhsa_system_vgpr_workitem_id 0
		.amdhsa_next_free_vgpr 1
		.amdhsa_next_free_sgpr 0
		.amdhsa_reserve_vcc 0
		.amdhsa_reserve_flat_scratch 0
		.amdhsa_float_round_mode_32 0
		.amdhsa_float_round_mode_16_64 0
		.amdhsa_float_denorm_mode_32 3
		.amdhsa_float_denorm_mode_16_64 3
		.amdhsa_dx10_clamp 1
		.amdhsa_ieee_mode 1
		.amdhsa_fp16_overflow 0
		.amdhsa_exception_fp_ieee_invalid_op 0
		.amdhsa_exception_fp_denorm_src 0
		.amdhsa_exception_fp_ieee_div_zero 0
		.amdhsa_exception_fp_ieee_overflow 0
		.amdhsa_exception_fp_ieee_underflow 0
		.amdhsa_exception_fp_ieee_inexact 0
		.amdhsa_exception_int_div_zero 0
	.end_amdhsa_kernel
	.section	.text._ZN7rocprim17ROCPRIM_400000_NS6detail17trampoline_kernelINS0_14default_configENS1_29binary_search_config_selectorIiiEEZNS1_14transform_implILb0ES3_S5_N6thrust23THRUST_200600_302600_NS6detail15normal_iteratorINS8_7pointerIiNS8_11hip_rocprim5par_tENS8_11use_defaultESE_EEEESG_ZNS1_13binary_searchIS3_S5_NSA_INS8_10device_ptrIiEEEESG_SG_NS1_16binary_search_opENS9_16wrapped_functionINS8_6system6detail7generic6detail18binary_search_lessEbEEEE10hipError_tPvRmT1_T2_T3_mmT4_T5_P12ihipStream_tbEUlRKiE_EEST_SX_SY_mSZ_S12_bEUlT_E_NS1_11comp_targetILNS1_3genE5ELNS1_11target_archE942ELNS1_3gpuE9ELNS1_3repE0EEENS1_30default_config_static_selectorELNS0_4arch9wavefront6targetE1EEEvSW_,"axG",@progbits,_ZN7rocprim17ROCPRIM_400000_NS6detail17trampoline_kernelINS0_14default_configENS1_29binary_search_config_selectorIiiEEZNS1_14transform_implILb0ES3_S5_N6thrust23THRUST_200600_302600_NS6detail15normal_iteratorINS8_7pointerIiNS8_11hip_rocprim5par_tENS8_11use_defaultESE_EEEESG_ZNS1_13binary_searchIS3_S5_NSA_INS8_10device_ptrIiEEEESG_SG_NS1_16binary_search_opENS9_16wrapped_functionINS8_6system6detail7generic6detail18binary_search_lessEbEEEE10hipError_tPvRmT1_T2_T3_mmT4_T5_P12ihipStream_tbEUlRKiE_EEST_SX_SY_mSZ_S12_bEUlT_E_NS1_11comp_targetILNS1_3genE5ELNS1_11target_archE942ELNS1_3gpuE9ELNS1_3repE0EEENS1_30default_config_static_selectorELNS0_4arch9wavefront6targetE1EEEvSW_,comdat
.Lfunc_end708:
	.size	_ZN7rocprim17ROCPRIM_400000_NS6detail17trampoline_kernelINS0_14default_configENS1_29binary_search_config_selectorIiiEEZNS1_14transform_implILb0ES3_S5_N6thrust23THRUST_200600_302600_NS6detail15normal_iteratorINS8_7pointerIiNS8_11hip_rocprim5par_tENS8_11use_defaultESE_EEEESG_ZNS1_13binary_searchIS3_S5_NSA_INS8_10device_ptrIiEEEESG_SG_NS1_16binary_search_opENS9_16wrapped_functionINS8_6system6detail7generic6detail18binary_search_lessEbEEEE10hipError_tPvRmT1_T2_T3_mmT4_T5_P12ihipStream_tbEUlRKiE_EEST_SX_SY_mSZ_S12_bEUlT_E_NS1_11comp_targetILNS1_3genE5ELNS1_11target_archE942ELNS1_3gpuE9ELNS1_3repE0EEENS1_30default_config_static_selectorELNS0_4arch9wavefront6targetE1EEEvSW_, .Lfunc_end708-_ZN7rocprim17ROCPRIM_400000_NS6detail17trampoline_kernelINS0_14default_configENS1_29binary_search_config_selectorIiiEEZNS1_14transform_implILb0ES3_S5_N6thrust23THRUST_200600_302600_NS6detail15normal_iteratorINS8_7pointerIiNS8_11hip_rocprim5par_tENS8_11use_defaultESE_EEEESG_ZNS1_13binary_searchIS3_S5_NSA_INS8_10device_ptrIiEEEESG_SG_NS1_16binary_search_opENS9_16wrapped_functionINS8_6system6detail7generic6detail18binary_search_lessEbEEEE10hipError_tPvRmT1_T2_T3_mmT4_T5_P12ihipStream_tbEUlRKiE_EEST_SX_SY_mSZ_S12_bEUlT_E_NS1_11comp_targetILNS1_3genE5ELNS1_11target_archE942ELNS1_3gpuE9ELNS1_3repE0EEENS1_30default_config_static_selectorELNS0_4arch9wavefront6targetE1EEEvSW_
                                        ; -- End function
	.set _ZN7rocprim17ROCPRIM_400000_NS6detail17trampoline_kernelINS0_14default_configENS1_29binary_search_config_selectorIiiEEZNS1_14transform_implILb0ES3_S5_N6thrust23THRUST_200600_302600_NS6detail15normal_iteratorINS8_7pointerIiNS8_11hip_rocprim5par_tENS8_11use_defaultESE_EEEESG_ZNS1_13binary_searchIS3_S5_NSA_INS8_10device_ptrIiEEEESG_SG_NS1_16binary_search_opENS9_16wrapped_functionINS8_6system6detail7generic6detail18binary_search_lessEbEEEE10hipError_tPvRmT1_T2_T3_mmT4_T5_P12ihipStream_tbEUlRKiE_EEST_SX_SY_mSZ_S12_bEUlT_E_NS1_11comp_targetILNS1_3genE5ELNS1_11target_archE942ELNS1_3gpuE9ELNS1_3repE0EEENS1_30default_config_static_selectorELNS0_4arch9wavefront6targetE1EEEvSW_.num_vgpr, 0
	.set _ZN7rocprim17ROCPRIM_400000_NS6detail17trampoline_kernelINS0_14default_configENS1_29binary_search_config_selectorIiiEEZNS1_14transform_implILb0ES3_S5_N6thrust23THRUST_200600_302600_NS6detail15normal_iteratorINS8_7pointerIiNS8_11hip_rocprim5par_tENS8_11use_defaultESE_EEEESG_ZNS1_13binary_searchIS3_S5_NSA_INS8_10device_ptrIiEEEESG_SG_NS1_16binary_search_opENS9_16wrapped_functionINS8_6system6detail7generic6detail18binary_search_lessEbEEEE10hipError_tPvRmT1_T2_T3_mmT4_T5_P12ihipStream_tbEUlRKiE_EEST_SX_SY_mSZ_S12_bEUlT_E_NS1_11comp_targetILNS1_3genE5ELNS1_11target_archE942ELNS1_3gpuE9ELNS1_3repE0EEENS1_30default_config_static_selectorELNS0_4arch9wavefront6targetE1EEEvSW_.num_agpr, 0
	.set _ZN7rocprim17ROCPRIM_400000_NS6detail17trampoline_kernelINS0_14default_configENS1_29binary_search_config_selectorIiiEEZNS1_14transform_implILb0ES3_S5_N6thrust23THRUST_200600_302600_NS6detail15normal_iteratorINS8_7pointerIiNS8_11hip_rocprim5par_tENS8_11use_defaultESE_EEEESG_ZNS1_13binary_searchIS3_S5_NSA_INS8_10device_ptrIiEEEESG_SG_NS1_16binary_search_opENS9_16wrapped_functionINS8_6system6detail7generic6detail18binary_search_lessEbEEEE10hipError_tPvRmT1_T2_T3_mmT4_T5_P12ihipStream_tbEUlRKiE_EEST_SX_SY_mSZ_S12_bEUlT_E_NS1_11comp_targetILNS1_3genE5ELNS1_11target_archE942ELNS1_3gpuE9ELNS1_3repE0EEENS1_30default_config_static_selectorELNS0_4arch9wavefront6targetE1EEEvSW_.numbered_sgpr, 0
	.set _ZN7rocprim17ROCPRIM_400000_NS6detail17trampoline_kernelINS0_14default_configENS1_29binary_search_config_selectorIiiEEZNS1_14transform_implILb0ES3_S5_N6thrust23THRUST_200600_302600_NS6detail15normal_iteratorINS8_7pointerIiNS8_11hip_rocprim5par_tENS8_11use_defaultESE_EEEESG_ZNS1_13binary_searchIS3_S5_NSA_INS8_10device_ptrIiEEEESG_SG_NS1_16binary_search_opENS9_16wrapped_functionINS8_6system6detail7generic6detail18binary_search_lessEbEEEE10hipError_tPvRmT1_T2_T3_mmT4_T5_P12ihipStream_tbEUlRKiE_EEST_SX_SY_mSZ_S12_bEUlT_E_NS1_11comp_targetILNS1_3genE5ELNS1_11target_archE942ELNS1_3gpuE9ELNS1_3repE0EEENS1_30default_config_static_selectorELNS0_4arch9wavefront6targetE1EEEvSW_.num_named_barrier, 0
	.set _ZN7rocprim17ROCPRIM_400000_NS6detail17trampoline_kernelINS0_14default_configENS1_29binary_search_config_selectorIiiEEZNS1_14transform_implILb0ES3_S5_N6thrust23THRUST_200600_302600_NS6detail15normal_iteratorINS8_7pointerIiNS8_11hip_rocprim5par_tENS8_11use_defaultESE_EEEESG_ZNS1_13binary_searchIS3_S5_NSA_INS8_10device_ptrIiEEEESG_SG_NS1_16binary_search_opENS9_16wrapped_functionINS8_6system6detail7generic6detail18binary_search_lessEbEEEE10hipError_tPvRmT1_T2_T3_mmT4_T5_P12ihipStream_tbEUlRKiE_EEST_SX_SY_mSZ_S12_bEUlT_E_NS1_11comp_targetILNS1_3genE5ELNS1_11target_archE942ELNS1_3gpuE9ELNS1_3repE0EEENS1_30default_config_static_selectorELNS0_4arch9wavefront6targetE1EEEvSW_.private_seg_size, 0
	.set _ZN7rocprim17ROCPRIM_400000_NS6detail17trampoline_kernelINS0_14default_configENS1_29binary_search_config_selectorIiiEEZNS1_14transform_implILb0ES3_S5_N6thrust23THRUST_200600_302600_NS6detail15normal_iteratorINS8_7pointerIiNS8_11hip_rocprim5par_tENS8_11use_defaultESE_EEEESG_ZNS1_13binary_searchIS3_S5_NSA_INS8_10device_ptrIiEEEESG_SG_NS1_16binary_search_opENS9_16wrapped_functionINS8_6system6detail7generic6detail18binary_search_lessEbEEEE10hipError_tPvRmT1_T2_T3_mmT4_T5_P12ihipStream_tbEUlRKiE_EEST_SX_SY_mSZ_S12_bEUlT_E_NS1_11comp_targetILNS1_3genE5ELNS1_11target_archE942ELNS1_3gpuE9ELNS1_3repE0EEENS1_30default_config_static_selectorELNS0_4arch9wavefront6targetE1EEEvSW_.uses_vcc, 0
	.set _ZN7rocprim17ROCPRIM_400000_NS6detail17trampoline_kernelINS0_14default_configENS1_29binary_search_config_selectorIiiEEZNS1_14transform_implILb0ES3_S5_N6thrust23THRUST_200600_302600_NS6detail15normal_iteratorINS8_7pointerIiNS8_11hip_rocprim5par_tENS8_11use_defaultESE_EEEESG_ZNS1_13binary_searchIS3_S5_NSA_INS8_10device_ptrIiEEEESG_SG_NS1_16binary_search_opENS9_16wrapped_functionINS8_6system6detail7generic6detail18binary_search_lessEbEEEE10hipError_tPvRmT1_T2_T3_mmT4_T5_P12ihipStream_tbEUlRKiE_EEST_SX_SY_mSZ_S12_bEUlT_E_NS1_11comp_targetILNS1_3genE5ELNS1_11target_archE942ELNS1_3gpuE9ELNS1_3repE0EEENS1_30default_config_static_selectorELNS0_4arch9wavefront6targetE1EEEvSW_.uses_flat_scratch, 0
	.set _ZN7rocprim17ROCPRIM_400000_NS6detail17trampoline_kernelINS0_14default_configENS1_29binary_search_config_selectorIiiEEZNS1_14transform_implILb0ES3_S5_N6thrust23THRUST_200600_302600_NS6detail15normal_iteratorINS8_7pointerIiNS8_11hip_rocprim5par_tENS8_11use_defaultESE_EEEESG_ZNS1_13binary_searchIS3_S5_NSA_INS8_10device_ptrIiEEEESG_SG_NS1_16binary_search_opENS9_16wrapped_functionINS8_6system6detail7generic6detail18binary_search_lessEbEEEE10hipError_tPvRmT1_T2_T3_mmT4_T5_P12ihipStream_tbEUlRKiE_EEST_SX_SY_mSZ_S12_bEUlT_E_NS1_11comp_targetILNS1_3genE5ELNS1_11target_archE942ELNS1_3gpuE9ELNS1_3repE0EEENS1_30default_config_static_selectorELNS0_4arch9wavefront6targetE1EEEvSW_.has_dyn_sized_stack, 0
	.set _ZN7rocprim17ROCPRIM_400000_NS6detail17trampoline_kernelINS0_14default_configENS1_29binary_search_config_selectorIiiEEZNS1_14transform_implILb0ES3_S5_N6thrust23THRUST_200600_302600_NS6detail15normal_iteratorINS8_7pointerIiNS8_11hip_rocprim5par_tENS8_11use_defaultESE_EEEESG_ZNS1_13binary_searchIS3_S5_NSA_INS8_10device_ptrIiEEEESG_SG_NS1_16binary_search_opENS9_16wrapped_functionINS8_6system6detail7generic6detail18binary_search_lessEbEEEE10hipError_tPvRmT1_T2_T3_mmT4_T5_P12ihipStream_tbEUlRKiE_EEST_SX_SY_mSZ_S12_bEUlT_E_NS1_11comp_targetILNS1_3genE5ELNS1_11target_archE942ELNS1_3gpuE9ELNS1_3repE0EEENS1_30default_config_static_selectorELNS0_4arch9wavefront6targetE1EEEvSW_.has_recursion, 0
	.set _ZN7rocprim17ROCPRIM_400000_NS6detail17trampoline_kernelINS0_14default_configENS1_29binary_search_config_selectorIiiEEZNS1_14transform_implILb0ES3_S5_N6thrust23THRUST_200600_302600_NS6detail15normal_iteratorINS8_7pointerIiNS8_11hip_rocprim5par_tENS8_11use_defaultESE_EEEESG_ZNS1_13binary_searchIS3_S5_NSA_INS8_10device_ptrIiEEEESG_SG_NS1_16binary_search_opENS9_16wrapped_functionINS8_6system6detail7generic6detail18binary_search_lessEbEEEE10hipError_tPvRmT1_T2_T3_mmT4_T5_P12ihipStream_tbEUlRKiE_EEST_SX_SY_mSZ_S12_bEUlT_E_NS1_11comp_targetILNS1_3genE5ELNS1_11target_archE942ELNS1_3gpuE9ELNS1_3repE0EEENS1_30default_config_static_selectorELNS0_4arch9wavefront6targetE1EEEvSW_.has_indirect_call, 0
	.section	.AMDGPU.csdata,"",@progbits
; Kernel info:
; codeLenInByte = 0
; TotalNumSgprs: 4
; NumVgprs: 0
; ScratchSize: 0
; MemoryBound: 0
; FloatMode: 240
; IeeeMode: 1
; LDSByteSize: 0 bytes/workgroup (compile time only)
; SGPRBlocks: 0
; VGPRBlocks: 0
; NumSGPRsForWavesPerEU: 4
; NumVGPRsForWavesPerEU: 1
; Occupancy: 10
; WaveLimiterHint : 0
; COMPUTE_PGM_RSRC2:SCRATCH_EN: 0
; COMPUTE_PGM_RSRC2:USER_SGPR: 6
; COMPUTE_PGM_RSRC2:TRAP_HANDLER: 0
; COMPUTE_PGM_RSRC2:TGID_X_EN: 1
; COMPUTE_PGM_RSRC2:TGID_Y_EN: 0
; COMPUTE_PGM_RSRC2:TGID_Z_EN: 0
; COMPUTE_PGM_RSRC2:TIDIG_COMP_CNT: 0
	.section	.text._ZN7rocprim17ROCPRIM_400000_NS6detail17trampoline_kernelINS0_14default_configENS1_29binary_search_config_selectorIiiEEZNS1_14transform_implILb0ES3_S5_N6thrust23THRUST_200600_302600_NS6detail15normal_iteratorINS8_7pointerIiNS8_11hip_rocprim5par_tENS8_11use_defaultESE_EEEESG_ZNS1_13binary_searchIS3_S5_NSA_INS8_10device_ptrIiEEEESG_SG_NS1_16binary_search_opENS9_16wrapped_functionINS8_6system6detail7generic6detail18binary_search_lessEbEEEE10hipError_tPvRmT1_T2_T3_mmT4_T5_P12ihipStream_tbEUlRKiE_EEST_SX_SY_mSZ_S12_bEUlT_E_NS1_11comp_targetILNS1_3genE4ELNS1_11target_archE910ELNS1_3gpuE8ELNS1_3repE0EEENS1_30default_config_static_selectorELNS0_4arch9wavefront6targetE1EEEvSW_,"axG",@progbits,_ZN7rocprim17ROCPRIM_400000_NS6detail17trampoline_kernelINS0_14default_configENS1_29binary_search_config_selectorIiiEEZNS1_14transform_implILb0ES3_S5_N6thrust23THRUST_200600_302600_NS6detail15normal_iteratorINS8_7pointerIiNS8_11hip_rocprim5par_tENS8_11use_defaultESE_EEEESG_ZNS1_13binary_searchIS3_S5_NSA_INS8_10device_ptrIiEEEESG_SG_NS1_16binary_search_opENS9_16wrapped_functionINS8_6system6detail7generic6detail18binary_search_lessEbEEEE10hipError_tPvRmT1_T2_T3_mmT4_T5_P12ihipStream_tbEUlRKiE_EEST_SX_SY_mSZ_S12_bEUlT_E_NS1_11comp_targetILNS1_3genE4ELNS1_11target_archE910ELNS1_3gpuE8ELNS1_3repE0EEENS1_30default_config_static_selectorELNS0_4arch9wavefront6targetE1EEEvSW_,comdat
	.protected	_ZN7rocprim17ROCPRIM_400000_NS6detail17trampoline_kernelINS0_14default_configENS1_29binary_search_config_selectorIiiEEZNS1_14transform_implILb0ES3_S5_N6thrust23THRUST_200600_302600_NS6detail15normal_iteratorINS8_7pointerIiNS8_11hip_rocprim5par_tENS8_11use_defaultESE_EEEESG_ZNS1_13binary_searchIS3_S5_NSA_INS8_10device_ptrIiEEEESG_SG_NS1_16binary_search_opENS9_16wrapped_functionINS8_6system6detail7generic6detail18binary_search_lessEbEEEE10hipError_tPvRmT1_T2_T3_mmT4_T5_P12ihipStream_tbEUlRKiE_EEST_SX_SY_mSZ_S12_bEUlT_E_NS1_11comp_targetILNS1_3genE4ELNS1_11target_archE910ELNS1_3gpuE8ELNS1_3repE0EEENS1_30default_config_static_selectorELNS0_4arch9wavefront6targetE1EEEvSW_ ; -- Begin function _ZN7rocprim17ROCPRIM_400000_NS6detail17trampoline_kernelINS0_14default_configENS1_29binary_search_config_selectorIiiEEZNS1_14transform_implILb0ES3_S5_N6thrust23THRUST_200600_302600_NS6detail15normal_iteratorINS8_7pointerIiNS8_11hip_rocprim5par_tENS8_11use_defaultESE_EEEESG_ZNS1_13binary_searchIS3_S5_NSA_INS8_10device_ptrIiEEEESG_SG_NS1_16binary_search_opENS9_16wrapped_functionINS8_6system6detail7generic6detail18binary_search_lessEbEEEE10hipError_tPvRmT1_T2_T3_mmT4_T5_P12ihipStream_tbEUlRKiE_EEST_SX_SY_mSZ_S12_bEUlT_E_NS1_11comp_targetILNS1_3genE4ELNS1_11target_archE910ELNS1_3gpuE8ELNS1_3repE0EEENS1_30default_config_static_selectorELNS0_4arch9wavefront6targetE1EEEvSW_
	.globl	_ZN7rocprim17ROCPRIM_400000_NS6detail17trampoline_kernelINS0_14default_configENS1_29binary_search_config_selectorIiiEEZNS1_14transform_implILb0ES3_S5_N6thrust23THRUST_200600_302600_NS6detail15normal_iteratorINS8_7pointerIiNS8_11hip_rocprim5par_tENS8_11use_defaultESE_EEEESG_ZNS1_13binary_searchIS3_S5_NSA_INS8_10device_ptrIiEEEESG_SG_NS1_16binary_search_opENS9_16wrapped_functionINS8_6system6detail7generic6detail18binary_search_lessEbEEEE10hipError_tPvRmT1_T2_T3_mmT4_T5_P12ihipStream_tbEUlRKiE_EEST_SX_SY_mSZ_S12_bEUlT_E_NS1_11comp_targetILNS1_3genE4ELNS1_11target_archE910ELNS1_3gpuE8ELNS1_3repE0EEENS1_30default_config_static_selectorELNS0_4arch9wavefront6targetE1EEEvSW_
	.p2align	8
	.type	_ZN7rocprim17ROCPRIM_400000_NS6detail17trampoline_kernelINS0_14default_configENS1_29binary_search_config_selectorIiiEEZNS1_14transform_implILb0ES3_S5_N6thrust23THRUST_200600_302600_NS6detail15normal_iteratorINS8_7pointerIiNS8_11hip_rocprim5par_tENS8_11use_defaultESE_EEEESG_ZNS1_13binary_searchIS3_S5_NSA_INS8_10device_ptrIiEEEESG_SG_NS1_16binary_search_opENS9_16wrapped_functionINS8_6system6detail7generic6detail18binary_search_lessEbEEEE10hipError_tPvRmT1_T2_T3_mmT4_T5_P12ihipStream_tbEUlRKiE_EEST_SX_SY_mSZ_S12_bEUlT_E_NS1_11comp_targetILNS1_3genE4ELNS1_11target_archE910ELNS1_3gpuE8ELNS1_3repE0EEENS1_30default_config_static_selectorELNS0_4arch9wavefront6targetE1EEEvSW_,@function
_ZN7rocprim17ROCPRIM_400000_NS6detail17trampoline_kernelINS0_14default_configENS1_29binary_search_config_selectorIiiEEZNS1_14transform_implILb0ES3_S5_N6thrust23THRUST_200600_302600_NS6detail15normal_iteratorINS8_7pointerIiNS8_11hip_rocprim5par_tENS8_11use_defaultESE_EEEESG_ZNS1_13binary_searchIS3_S5_NSA_INS8_10device_ptrIiEEEESG_SG_NS1_16binary_search_opENS9_16wrapped_functionINS8_6system6detail7generic6detail18binary_search_lessEbEEEE10hipError_tPvRmT1_T2_T3_mmT4_T5_P12ihipStream_tbEUlRKiE_EEST_SX_SY_mSZ_S12_bEUlT_E_NS1_11comp_targetILNS1_3genE4ELNS1_11target_archE910ELNS1_3gpuE8ELNS1_3repE0EEENS1_30default_config_static_selectorELNS0_4arch9wavefront6targetE1EEEvSW_: ; @_ZN7rocprim17ROCPRIM_400000_NS6detail17trampoline_kernelINS0_14default_configENS1_29binary_search_config_selectorIiiEEZNS1_14transform_implILb0ES3_S5_N6thrust23THRUST_200600_302600_NS6detail15normal_iteratorINS8_7pointerIiNS8_11hip_rocprim5par_tENS8_11use_defaultESE_EEEESG_ZNS1_13binary_searchIS3_S5_NSA_INS8_10device_ptrIiEEEESG_SG_NS1_16binary_search_opENS9_16wrapped_functionINS8_6system6detail7generic6detail18binary_search_lessEbEEEE10hipError_tPvRmT1_T2_T3_mmT4_T5_P12ihipStream_tbEUlRKiE_EEST_SX_SY_mSZ_S12_bEUlT_E_NS1_11comp_targetILNS1_3genE4ELNS1_11target_archE910ELNS1_3gpuE8ELNS1_3repE0EEENS1_30default_config_static_selectorELNS0_4arch9wavefront6targetE1EEEvSW_
; %bb.0:
	.section	.rodata,"a",@progbits
	.p2align	6, 0x0
	.amdhsa_kernel _ZN7rocprim17ROCPRIM_400000_NS6detail17trampoline_kernelINS0_14default_configENS1_29binary_search_config_selectorIiiEEZNS1_14transform_implILb0ES3_S5_N6thrust23THRUST_200600_302600_NS6detail15normal_iteratorINS8_7pointerIiNS8_11hip_rocprim5par_tENS8_11use_defaultESE_EEEESG_ZNS1_13binary_searchIS3_S5_NSA_INS8_10device_ptrIiEEEESG_SG_NS1_16binary_search_opENS9_16wrapped_functionINS8_6system6detail7generic6detail18binary_search_lessEbEEEE10hipError_tPvRmT1_T2_T3_mmT4_T5_P12ihipStream_tbEUlRKiE_EEST_SX_SY_mSZ_S12_bEUlT_E_NS1_11comp_targetILNS1_3genE4ELNS1_11target_archE910ELNS1_3gpuE8ELNS1_3repE0EEENS1_30default_config_static_selectorELNS0_4arch9wavefront6targetE1EEEvSW_
		.amdhsa_group_segment_fixed_size 0
		.amdhsa_private_segment_fixed_size 0
		.amdhsa_kernarg_size 56
		.amdhsa_user_sgpr_count 6
		.amdhsa_user_sgpr_private_segment_buffer 1
		.amdhsa_user_sgpr_dispatch_ptr 0
		.amdhsa_user_sgpr_queue_ptr 0
		.amdhsa_user_sgpr_kernarg_segment_ptr 1
		.amdhsa_user_sgpr_dispatch_id 0
		.amdhsa_user_sgpr_flat_scratch_init 0
		.amdhsa_user_sgpr_private_segment_size 0
		.amdhsa_uses_dynamic_stack 0
		.amdhsa_system_sgpr_private_segment_wavefront_offset 0
		.amdhsa_system_sgpr_workgroup_id_x 1
		.amdhsa_system_sgpr_workgroup_id_y 0
		.amdhsa_system_sgpr_workgroup_id_z 0
		.amdhsa_system_sgpr_workgroup_info 0
		.amdhsa_system_vgpr_workitem_id 0
		.amdhsa_next_free_vgpr 1
		.amdhsa_next_free_sgpr 0
		.amdhsa_reserve_vcc 0
		.amdhsa_reserve_flat_scratch 0
		.amdhsa_float_round_mode_32 0
		.amdhsa_float_round_mode_16_64 0
		.amdhsa_float_denorm_mode_32 3
		.amdhsa_float_denorm_mode_16_64 3
		.amdhsa_dx10_clamp 1
		.amdhsa_ieee_mode 1
		.amdhsa_fp16_overflow 0
		.amdhsa_exception_fp_ieee_invalid_op 0
		.amdhsa_exception_fp_denorm_src 0
		.amdhsa_exception_fp_ieee_div_zero 0
		.amdhsa_exception_fp_ieee_overflow 0
		.amdhsa_exception_fp_ieee_underflow 0
		.amdhsa_exception_fp_ieee_inexact 0
		.amdhsa_exception_int_div_zero 0
	.end_amdhsa_kernel
	.section	.text._ZN7rocprim17ROCPRIM_400000_NS6detail17trampoline_kernelINS0_14default_configENS1_29binary_search_config_selectorIiiEEZNS1_14transform_implILb0ES3_S5_N6thrust23THRUST_200600_302600_NS6detail15normal_iteratorINS8_7pointerIiNS8_11hip_rocprim5par_tENS8_11use_defaultESE_EEEESG_ZNS1_13binary_searchIS3_S5_NSA_INS8_10device_ptrIiEEEESG_SG_NS1_16binary_search_opENS9_16wrapped_functionINS8_6system6detail7generic6detail18binary_search_lessEbEEEE10hipError_tPvRmT1_T2_T3_mmT4_T5_P12ihipStream_tbEUlRKiE_EEST_SX_SY_mSZ_S12_bEUlT_E_NS1_11comp_targetILNS1_3genE4ELNS1_11target_archE910ELNS1_3gpuE8ELNS1_3repE0EEENS1_30default_config_static_selectorELNS0_4arch9wavefront6targetE1EEEvSW_,"axG",@progbits,_ZN7rocprim17ROCPRIM_400000_NS6detail17trampoline_kernelINS0_14default_configENS1_29binary_search_config_selectorIiiEEZNS1_14transform_implILb0ES3_S5_N6thrust23THRUST_200600_302600_NS6detail15normal_iteratorINS8_7pointerIiNS8_11hip_rocprim5par_tENS8_11use_defaultESE_EEEESG_ZNS1_13binary_searchIS3_S5_NSA_INS8_10device_ptrIiEEEESG_SG_NS1_16binary_search_opENS9_16wrapped_functionINS8_6system6detail7generic6detail18binary_search_lessEbEEEE10hipError_tPvRmT1_T2_T3_mmT4_T5_P12ihipStream_tbEUlRKiE_EEST_SX_SY_mSZ_S12_bEUlT_E_NS1_11comp_targetILNS1_3genE4ELNS1_11target_archE910ELNS1_3gpuE8ELNS1_3repE0EEENS1_30default_config_static_selectorELNS0_4arch9wavefront6targetE1EEEvSW_,comdat
.Lfunc_end709:
	.size	_ZN7rocprim17ROCPRIM_400000_NS6detail17trampoline_kernelINS0_14default_configENS1_29binary_search_config_selectorIiiEEZNS1_14transform_implILb0ES3_S5_N6thrust23THRUST_200600_302600_NS6detail15normal_iteratorINS8_7pointerIiNS8_11hip_rocprim5par_tENS8_11use_defaultESE_EEEESG_ZNS1_13binary_searchIS3_S5_NSA_INS8_10device_ptrIiEEEESG_SG_NS1_16binary_search_opENS9_16wrapped_functionINS8_6system6detail7generic6detail18binary_search_lessEbEEEE10hipError_tPvRmT1_T2_T3_mmT4_T5_P12ihipStream_tbEUlRKiE_EEST_SX_SY_mSZ_S12_bEUlT_E_NS1_11comp_targetILNS1_3genE4ELNS1_11target_archE910ELNS1_3gpuE8ELNS1_3repE0EEENS1_30default_config_static_selectorELNS0_4arch9wavefront6targetE1EEEvSW_, .Lfunc_end709-_ZN7rocprim17ROCPRIM_400000_NS6detail17trampoline_kernelINS0_14default_configENS1_29binary_search_config_selectorIiiEEZNS1_14transform_implILb0ES3_S5_N6thrust23THRUST_200600_302600_NS6detail15normal_iteratorINS8_7pointerIiNS8_11hip_rocprim5par_tENS8_11use_defaultESE_EEEESG_ZNS1_13binary_searchIS3_S5_NSA_INS8_10device_ptrIiEEEESG_SG_NS1_16binary_search_opENS9_16wrapped_functionINS8_6system6detail7generic6detail18binary_search_lessEbEEEE10hipError_tPvRmT1_T2_T3_mmT4_T5_P12ihipStream_tbEUlRKiE_EEST_SX_SY_mSZ_S12_bEUlT_E_NS1_11comp_targetILNS1_3genE4ELNS1_11target_archE910ELNS1_3gpuE8ELNS1_3repE0EEENS1_30default_config_static_selectorELNS0_4arch9wavefront6targetE1EEEvSW_
                                        ; -- End function
	.set _ZN7rocprim17ROCPRIM_400000_NS6detail17trampoline_kernelINS0_14default_configENS1_29binary_search_config_selectorIiiEEZNS1_14transform_implILb0ES3_S5_N6thrust23THRUST_200600_302600_NS6detail15normal_iteratorINS8_7pointerIiNS8_11hip_rocprim5par_tENS8_11use_defaultESE_EEEESG_ZNS1_13binary_searchIS3_S5_NSA_INS8_10device_ptrIiEEEESG_SG_NS1_16binary_search_opENS9_16wrapped_functionINS8_6system6detail7generic6detail18binary_search_lessEbEEEE10hipError_tPvRmT1_T2_T3_mmT4_T5_P12ihipStream_tbEUlRKiE_EEST_SX_SY_mSZ_S12_bEUlT_E_NS1_11comp_targetILNS1_3genE4ELNS1_11target_archE910ELNS1_3gpuE8ELNS1_3repE0EEENS1_30default_config_static_selectorELNS0_4arch9wavefront6targetE1EEEvSW_.num_vgpr, 0
	.set _ZN7rocprim17ROCPRIM_400000_NS6detail17trampoline_kernelINS0_14default_configENS1_29binary_search_config_selectorIiiEEZNS1_14transform_implILb0ES3_S5_N6thrust23THRUST_200600_302600_NS6detail15normal_iteratorINS8_7pointerIiNS8_11hip_rocprim5par_tENS8_11use_defaultESE_EEEESG_ZNS1_13binary_searchIS3_S5_NSA_INS8_10device_ptrIiEEEESG_SG_NS1_16binary_search_opENS9_16wrapped_functionINS8_6system6detail7generic6detail18binary_search_lessEbEEEE10hipError_tPvRmT1_T2_T3_mmT4_T5_P12ihipStream_tbEUlRKiE_EEST_SX_SY_mSZ_S12_bEUlT_E_NS1_11comp_targetILNS1_3genE4ELNS1_11target_archE910ELNS1_3gpuE8ELNS1_3repE0EEENS1_30default_config_static_selectorELNS0_4arch9wavefront6targetE1EEEvSW_.num_agpr, 0
	.set _ZN7rocprim17ROCPRIM_400000_NS6detail17trampoline_kernelINS0_14default_configENS1_29binary_search_config_selectorIiiEEZNS1_14transform_implILb0ES3_S5_N6thrust23THRUST_200600_302600_NS6detail15normal_iteratorINS8_7pointerIiNS8_11hip_rocprim5par_tENS8_11use_defaultESE_EEEESG_ZNS1_13binary_searchIS3_S5_NSA_INS8_10device_ptrIiEEEESG_SG_NS1_16binary_search_opENS9_16wrapped_functionINS8_6system6detail7generic6detail18binary_search_lessEbEEEE10hipError_tPvRmT1_T2_T3_mmT4_T5_P12ihipStream_tbEUlRKiE_EEST_SX_SY_mSZ_S12_bEUlT_E_NS1_11comp_targetILNS1_3genE4ELNS1_11target_archE910ELNS1_3gpuE8ELNS1_3repE0EEENS1_30default_config_static_selectorELNS0_4arch9wavefront6targetE1EEEvSW_.numbered_sgpr, 0
	.set _ZN7rocprim17ROCPRIM_400000_NS6detail17trampoline_kernelINS0_14default_configENS1_29binary_search_config_selectorIiiEEZNS1_14transform_implILb0ES3_S5_N6thrust23THRUST_200600_302600_NS6detail15normal_iteratorINS8_7pointerIiNS8_11hip_rocprim5par_tENS8_11use_defaultESE_EEEESG_ZNS1_13binary_searchIS3_S5_NSA_INS8_10device_ptrIiEEEESG_SG_NS1_16binary_search_opENS9_16wrapped_functionINS8_6system6detail7generic6detail18binary_search_lessEbEEEE10hipError_tPvRmT1_T2_T3_mmT4_T5_P12ihipStream_tbEUlRKiE_EEST_SX_SY_mSZ_S12_bEUlT_E_NS1_11comp_targetILNS1_3genE4ELNS1_11target_archE910ELNS1_3gpuE8ELNS1_3repE0EEENS1_30default_config_static_selectorELNS0_4arch9wavefront6targetE1EEEvSW_.num_named_barrier, 0
	.set _ZN7rocprim17ROCPRIM_400000_NS6detail17trampoline_kernelINS0_14default_configENS1_29binary_search_config_selectorIiiEEZNS1_14transform_implILb0ES3_S5_N6thrust23THRUST_200600_302600_NS6detail15normal_iteratorINS8_7pointerIiNS8_11hip_rocprim5par_tENS8_11use_defaultESE_EEEESG_ZNS1_13binary_searchIS3_S5_NSA_INS8_10device_ptrIiEEEESG_SG_NS1_16binary_search_opENS9_16wrapped_functionINS8_6system6detail7generic6detail18binary_search_lessEbEEEE10hipError_tPvRmT1_T2_T3_mmT4_T5_P12ihipStream_tbEUlRKiE_EEST_SX_SY_mSZ_S12_bEUlT_E_NS1_11comp_targetILNS1_3genE4ELNS1_11target_archE910ELNS1_3gpuE8ELNS1_3repE0EEENS1_30default_config_static_selectorELNS0_4arch9wavefront6targetE1EEEvSW_.private_seg_size, 0
	.set _ZN7rocprim17ROCPRIM_400000_NS6detail17trampoline_kernelINS0_14default_configENS1_29binary_search_config_selectorIiiEEZNS1_14transform_implILb0ES3_S5_N6thrust23THRUST_200600_302600_NS6detail15normal_iteratorINS8_7pointerIiNS8_11hip_rocprim5par_tENS8_11use_defaultESE_EEEESG_ZNS1_13binary_searchIS3_S5_NSA_INS8_10device_ptrIiEEEESG_SG_NS1_16binary_search_opENS9_16wrapped_functionINS8_6system6detail7generic6detail18binary_search_lessEbEEEE10hipError_tPvRmT1_T2_T3_mmT4_T5_P12ihipStream_tbEUlRKiE_EEST_SX_SY_mSZ_S12_bEUlT_E_NS1_11comp_targetILNS1_3genE4ELNS1_11target_archE910ELNS1_3gpuE8ELNS1_3repE0EEENS1_30default_config_static_selectorELNS0_4arch9wavefront6targetE1EEEvSW_.uses_vcc, 0
	.set _ZN7rocprim17ROCPRIM_400000_NS6detail17trampoline_kernelINS0_14default_configENS1_29binary_search_config_selectorIiiEEZNS1_14transform_implILb0ES3_S5_N6thrust23THRUST_200600_302600_NS6detail15normal_iteratorINS8_7pointerIiNS8_11hip_rocprim5par_tENS8_11use_defaultESE_EEEESG_ZNS1_13binary_searchIS3_S5_NSA_INS8_10device_ptrIiEEEESG_SG_NS1_16binary_search_opENS9_16wrapped_functionINS8_6system6detail7generic6detail18binary_search_lessEbEEEE10hipError_tPvRmT1_T2_T3_mmT4_T5_P12ihipStream_tbEUlRKiE_EEST_SX_SY_mSZ_S12_bEUlT_E_NS1_11comp_targetILNS1_3genE4ELNS1_11target_archE910ELNS1_3gpuE8ELNS1_3repE0EEENS1_30default_config_static_selectorELNS0_4arch9wavefront6targetE1EEEvSW_.uses_flat_scratch, 0
	.set _ZN7rocprim17ROCPRIM_400000_NS6detail17trampoline_kernelINS0_14default_configENS1_29binary_search_config_selectorIiiEEZNS1_14transform_implILb0ES3_S5_N6thrust23THRUST_200600_302600_NS6detail15normal_iteratorINS8_7pointerIiNS8_11hip_rocprim5par_tENS8_11use_defaultESE_EEEESG_ZNS1_13binary_searchIS3_S5_NSA_INS8_10device_ptrIiEEEESG_SG_NS1_16binary_search_opENS9_16wrapped_functionINS8_6system6detail7generic6detail18binary_search_lessEbEEEE10hipError_tPvRmT1_T2_T3_mmT4_T5_P12ihipStream_tbEUlRKiE_EEST_SX_SY_mSZ_S12_bEUlT_E_NS1_11comp_targetILNS1_3genE4ELNS1_11target_archE910ELNS1_3gpuE8ELNS1_3repE0EEENS1_30default_config_static_selectorELNS0_4arch9wavefront6targetE1EEEvSW_.has_dyn_sized_stack, 0
	.set _ZN7rocprim17ROCPRIM_400000_NS6detail17trampoline_kernelINS0_14default_configENS1_29binary_search_config_selectorIiiEEZNS1_14transform_implILb0ES3_S5_N6thrust23THRUST_200600_302600_NS6detail15normal_iteratorINS8_7pointerIiNS8_11hip_rocprim5par_tENS8_11use_defaultESE_EEEESG_ZNS1_13binary_searchIS3_S5_NSA_INS8_10device_ptrIiEEEESG_SG_NS1_16binary_search_opENS9_16wrapped_functionINS8_6system6detail7generic6detail18binary_search_lessEbEEEE10hipError_tPvRmT1_T2_T3_mmT4_T5_P12ihipStream_tbEUlRKiE_EEST_SX_SY_mSZ_S12_bEUlT_E_NS1_11comp_targetILNS1_3genE4ELNS1_11target_archE910ELNS1_3gpuE8ELNS1_3repE0EEENS1_30default_config_static_selectorELNS0_4arch9wavefront6targetE1EEEvSW_.has_recursion, 0
	.set _ZN7rocprim17ROCPRIM_400000_NS6detail17trampoline_kernelINS0_14default_configENS1_29binary_search_config_selectorIiiEEZNS1_14transform_implILb0ES3_S5_N6thrust23THRUST_200600_302600_NS6detail15normal_iteratorINS8_7pointerIiNS8_11hip_rocprim5par_tENS8_11use_defaultESE_EEEESG_ZNS1_13binary_searchIS3_S5_NSA_INS8_10device_ptrIiEEEESG_SG_NS1_16binary_search_opENS9_16wrapped_functionINS8_6system6detail7generic6detail18binary_search_lessEbEEEE10hipError_tPvRmT1_T2_T3_mmT4_T5_P12ihipStream_tbEUlRKiE_EEST_SX_SY_mSZ_S12_bEUlT_E_NS1_11comp_targetILNS1_3genE4ELNS1_11target_archE910ELNS1_3gpuE8ELNS1_3repE0EEENS1_30default_config_static_selectorELNS0_4arch9wavefront6targetE1EEEvSW_.has_indirect_call, 0
	.section	.AMDGPU.csdata,"",@progbits
; Kernel info:
; codeLenInByte = 0
; TotalNumSgprs: 4
; NumVgprs: 0
; ScratchSize: 0
; MemoryBound: 0
; FloatMode: 240
; IeeeMode: 1
; LDSByteSize: 0 bytes/workgroup (compile time only)
; SGPRBlocks: 0
; VGPRBlocks: 0
; NumSGPRsForWavesPerEU: 4
; NumVGPRsForWavesPerEU: 1
; Occupancy: 10
; WaveLimiterHint : 0
; COMPUTE_PGM_RSRC2:SCRATCH_EN: 0
; COMPUTE_PGM_RSRC2:USER_SGPR: 6
; COMPUTE_PGM_RSRC2:TRAP_HANDLER: 0
; COMPUTE_PGM_RSRC2:TGID_X_EN: 1
; COMPUTE_PGM_RSRC2:TGID_Y_EN: 0
; COMPUTE_PGM_RSRC2:TGID_Z_EN: 0
; COMPUTE_PGM_RSRC2:TIDIG_COMP_CNT: 0
	.section	.text._ZN7rocprim17ROCPRIM_400000_NS6detail17trampoline_kernelINS0_14default_configENS1_29binary_search_config_selectorIiiEEZNS1_14transform_implILb0ES3_S5_N6thrust23THRUST_200600_302600_NS6detail15normal_iteratorINS8_7pointerIiNS8_11hip_rocprim5par_tENS8_11use_defaultESE_EEEESG_ZNS1_13binary_searchIS3_S5_NSA_INS8_10device_ptrIiEEEESG_SG_NS1_16binary_search_opENS9_16wrapped_functionINS8_6system6detail7generic6detail18binary_search_lessEbEEEE10hipError_tPvRmT1_T2_T3_mmT4_T5_P12ihipStream_tbEUlRKiE_EEST_SX_SY_mSZ_S12_bEUlT_E_NS1_11comp_targetILNS1_3genE3ELNS1_11target_archE908ELNS1_3gpuE7ELNS1_3repE0EEENS1_30default_config_static_selectorELNS0_4arch9wavefront6targetE1EEEvSW_,"axG",@progbits,_ZN7rocprim17ROCPRIM_400000_NS6detail17trampoline_kernelINS0_14default_configENS1_29binary_search_config_selectorIiiEEZNS1_14transform_implILb0ES3_S5_N6thrust23THRUST_200600_302600_NS6detail15normal_iteratorINS8_7pointerIiNS8_11hip_rocprim5par_tENS8_11use_defaultESE_EEEESG_ZNS1_13binary_searchIS3_S5_NSA_INS8_10device_ptrIiEEEESG_SG_NS1_16binary_search_opENS9_16wrapped_functionINS8_6system6detail7generic6detail18binary_search_lessEbEEEE10hipError_tPvRmT1_T2_T3_mmT4_T5_P12ihipStream_tbEUlRKiE_EEST_SX_SY_mSZ_S12_bEUlT_E_NS1_11comp_targetILNS1_3genE3ELNS1_11target_archE908ELNS1_3gpuE7ELNS1_3repE0EEENS1_30default_config_static_selectorELNS0_4arch9wavefront6targetE1EEEvSW_,comdat
	.protected	_ZN7rocprim17ROCPRIM_400000_NS6detail17trampoline_kernelINS0_14default_configENS1_29binary_search_config_selectorIiiEEZNS1_14transform_implILb0ES3_S5_N6thrust23THRUST_200600_302600_NS6detail15normal_iteratorINS8_7pointerIiNS8_11hip_rocprim5par_tENS8_11use_defaultESE_EEEESG_ZNS1_13binary_searchIS3_S5_NSA_INS8_10device_ptrIiEEEESG_SG_NS1_16binary_search_opENS9_16wrapped_functionINS8_6system6detail7generic6detail18binary_search_lessEbEEEE10hipError_tPvRmT1_T2_T3_mmT4_T5_P12ihipStream_tbEUlRKiE_EEST_SX_SY_mSZ_S12_bEUlT_E_NS1_11comp_targetILNS1_3genE3ELNS1_11target_archE908ELNS1_3gpuE7ELNS1_3repE0EEENS1_30default_config_static_selectorELNS0_4arch9wavefront6targetE1EEEvSW_ ; -- Begin function _ZN7rocprim17ROCPRIM_400000_NS6detail17trampoline_kernelINS0_14default_configENS1_29binary_search_config_selectorIiiEEZNS1_14transform_implILb0ES3_S5_N6thrust23THRUST_200600_302600_NS6detail15normal_iteratorINS8_7pointerIiNS8_11hip_rocprim5par_tENS8_11use_defaultESE_EEEESG_ZNS1_13binary_searchIS3_S5_NSA_INS8_10device_ptrIiEEEESG_SG_NS1_16binary_search_opENS9_16wrapped_functionINS8_6system6detail7generic6detail18binary_search_lessEbEEEE10hipError_tPvRmT1_T2_T3_mmT4_T5_P12ihipStream_tbEUlRKiE_EEST_SX_SY_mSZ_S12_bEUlT_E_NS1_11comp_targetILNS1_3genE3ELNS1_11target_archE908ELNS1_3gpuE7ELNS1_3repE0EEENS1_30default_config_static_selectorELNS0_4arch9wavefront6targetE1EEEvSW_
	.globl	_ZN7rocprim17ROCPRIM_400000_NS6detail17trampoline_kernelINS0_14default_configENS1_29binary_search_config_selectorIiiEEZNS1_14transform_implILb0ES3_S5_N6thrust23THRUST_200600_302600_NS6detail15normal_iteratorINS8_7pointerIiNS8_11hip_rocprim5par_tENS8_11use_defaultESE_EEEESG_ZNS1_13binary_searchIS3_S5_NSA_INS8_10device_ptrIiEEEESG_SG_NS1_16binary_search_opENS9_16wrapped_functionINS8_6system6detail7generic6detail18binary_search_lessEbEEEE10hipError_tPvRmT1_T2_T3_mmT4_T5_P12ihipStream_tbEUlRKiE_EEST_SX_SY_mSZ_S12_bEUlT_E_NS1_11comp_targetILNS1_3genE3ELNS1_11target_archE908ELNS1_3gpuE7ELNS1_3repE0EEENS1_30default_config_static_selectorELNS0_4arch9wavefront6targetE1EEEvSW_
	.p2align	8
	.type	_ZN7rocprim17ROCPRIM_400000_NS6detail17trampoline_kernelINS0_14default_configENS1_29binary_search_config_selectorIiiEEZNS1_14transform_implILb0ES3_S5_N6thrust23THRUST_200600_302600_NS6detail15normal_iteratorINS8_7pointerIiNS8_11hip_rocprim5par_tENS8_11use_defaultESE_EEEESG_ZNS1_13binary_searchIS3_S5_NSA_INS8_10device_ptrIiEEEESG_SG_NS1_16binary_search_opENS9_16wrapped_functionINS8_6system6detail7generic6detail18binary_search_lessEbEEEE10hipError_tPvRmT1_T2_T3_mmT4_T5_P12ihipStream_tbEUlRKiE_EEST_SX_SY_mSZ_S12_bEUlT_E_NS1_11comp_targetILNS1_3genE3ELNS1_11target_archE908ELNS1_3gpuE7ELNS1_3repE0EEENS1_30default_config_static_selectorELNS0_4arch9wavefront6targetE1EEEvSW_,@function
_ZN7rocprim17ROCPRIM_400000_NS6detail17trampoline_kernelINS0_14default_configENS1_29binary_search_config_selectorIiiEEZNS1_14transform_implILb0ES3_S5_N6thrust23THRUST_200600_302600_NS6detail15normal_iteratorINS8_7pointerIiNS8_11hip_rocprim5par_tENS8_11use_defaultESE_EEEESG_ZNS1_13binary_searchIS3_S5_NSA_INS8_10device_ptrIiEEEESG_SG_NS1_16binary_search_opENS9_16wrapped_functionINS8_6system6detail7generic6detail18binary_search_lessEbEEEE10hipError_tPvRmT1_T2_T3_mmT4_T5_P12ihipStream_tbEUlRKiE_EEST_SX_SY_mSZ_S12_bEUlT_E_NS1_11comp_targetILNS1_3genE3ELNS1_11target_archE908ELNS1_3gpuE7ELNS1_3repE0EEENS1_30default_config_static_selectorELNS0_4arch9wavefront6targetE1EEEvSW_: ; @_ZN7rocprim17ROCPRIM_400000_NS6detail17trampoline_kernelINS0_14default_configENS1_29binary_search_config_selectorIiiEEZNS1_14transform_implILb0ES3_S5_N6thrust23THRUST_200600_302600_NS6detail15normal_iteratorINS8_7pointerIiNS8_11hip_rocprim5par_tENS8_11use_defaultESE_EEEESG_ZNS1_13binary_searchIS3_S5_NSA_INS8_10device_ptrIiEEEESG_SG_NS1_16binary_search_opENS9_16wrapped_functionINS8_6system6detail7generic6detail18binary_search_lessEbEEEE10hipError_tPvRmT1_T2_T3_mmT4_T5_P12ihipStream_tbEUlRKiE_EEST_SX_SY_mSZ_S12_bEUlT_E_NS1_11comp_targetILNS1_3genE3ELNS1_11target_archE908ELNS1_3gpuE7ELNS1_3repE0EEENS1_30default_config_static_selectorELNS0_4arch9wavefront6targetE1EEEvSW_
; %bb.0:
	.section	.rodata,"a",@progbits
	.p2align	6, 0x0
	.amdhsa_kernel _ZN7rocprim17ROCPRIM_400000_NS6detail17trampoline_kernelINS0_14default_configENS1_29binary_search_config_selectorIiiEEZNS1_14transform_implILb0ES3_S5_N6thrust23THRUST_200600_302600_NS6detail15normal_iteratorINS8_7pointerIiNS8_11hip_rocprim5par_tENS8_11use_defaultESE_EEEESG_ZNS1_13binary_searchIS3_S5_NSA_INS8_10device_ptrIiEEEESG_SG_NS1_16binary_search_opENS9_16wrapped_functionINS8_6system6detail7generic6detail18binary_search_lessEbEEEE10hipError_tPvRmT1_T2_T3_mmT4_T5_P12ihipStream_tbEUlRKiE_EEST_SX_SY_mSZ_S12_bEUlT_E_NS1_11comp_targetILNS1_3genE3ELNS1_11target_archE908ELNS1_3gpuE7ELNS1_3repE0EEENS1_30default_config_static_selectorELNS0_4arch9wavefront6targetE1EEEvSW_
		.amdhsa_group_segment_fixed_size 0
		.amdhsa_private_segment_fixed_size 0
		.amdhsa_kernarg_size 56
		.amdhsa_user_sgpr_count 6
		.amdhsa_user_sgpr_private_segment_buffer 1
		.amdhsa_user_sgpr_dispatch_ptr 0
		.amdhsa_user_sgpr_queue_ptr 0
		.amdhsa_user_sgpr_kernarg_segment_ptr 1
		.amdhsa_user_sgpr_dispatch_id 0
		.amdhsa_user_sgpr_flat_scratch_init 0
		.amdhsa_user_sgpr_private_segment_size 0
		.amdhsa_uses_dynamic_stack 0
		.amdhsa_system_sgpr_private_segment_wavefront_offset 0
		.amdhsa_system_sgpr_workgroup_id_x 1
		.amdhsa_system_sgpr_workgroup_id_y 0
		.amdhsa_system_sgpr_workgroup_id_z 0
		.amdhsa_system_sgpr_workgroup_info 0
		.amdhsa_system_vgpr_workitem_id 0
		.amdhsa_next_free_vgpr 1
		.amdhsa_next_free_sgpr 0
		.amdhsa_reserve_vcc 0
		.amdhsa_reserve_flat_scratch 0
		.amdhsa_float_round_mode_32 0
		.amdhsa_float_round_mode_16_64 0
		.amdhsa_float_denorm_mode_32 3
		.amdhsa_float_denorm_mode_16_64 3
		.amdhsa_dx10_clamp 1
		.amdhsa_ieee_mode 1
		.amdhsa_fp16_overflow 0
		.amdhsa_exception_fp_ieee_invalid_op 0
		.amdhsa_exception_fp_denorm_src 0
		.amdhsa_exception_fp_ieee_div_zero 0
		.amdhsa_exception_fp_ieee_overflow 0
		.amdhsa_exception_fp_ieee_underflow 0
		.amdhsa_exception_fp_ieee_inexact 0
		.amdhsa_exception_int_div_zero 0
	.end_amdhsa_kernel
	.section	.text._ZN7rocprim17ROCPRIM_400000_NS6detail17trampoline_kernelINS0_14default_configENS1_29binary_search_config_selectorIiiEEZNS1_14transform_implILb0ES3_S5_N6thrust23THRUST_200600_302600_NS6detail15normal_iteratorINS8_7pointerIiNS8_11hip_rocprim5par_tENS8_11use_defaultESE_EEEESG_ZNS1_13binary_searchIS3_S5_NSA_INS8_10device_ptrIiEEEESG_SG_NS1_16binary_search_opENS9_16wrapped_functionINS8_6system6detail7generic6detail18binary_search_lessEbEEEE10hipError_tPvRmT1_T2_T3_mmT4_T5_P12ihipStream_tbEUlRKiE_EEST_SX_SY_mSZ_S12_bEUlT_E_NS1_11comp_targetILNS1_3genE3ELNS1_11target_archE908ELNS1_3gpuE7ELNS1_3repE0EEENS1_30default_config_static_selectorELNS0_4arch9wavefront6targetE1EEEvSW_,"axG",@progbits,_ZN7rocprim17ROCPRIM_400000_NS6detail17trampoline_kernelINS0_14default_configENS1_29binary_search_config_selectorIiiEEZNS1_14transform_implILb0ES3_S5_N6thrust23THRUST_200600_302600_NS6detail15normal_iteratorINS8_7pointerIiNS8_11hip_rocprim5par_tENS8_11use_defaultESE_EEEESG_ZNS1_13binary_searchIS3_S5_NSA_INS8_10device_ptrIiEEEESG_SG_NS1_16binary_search_opENS9_16wrapped_functionINS8_6system6detail7generic6detail18binary_search_lessEbEEEE10hipError_tPvRmT1_T2_T3_mmT4_T5_P12ihipStream_tbEUlRKiE_EEST_SX_SY_mSZ_S12_bEUlT_E_NS1_11comp_targetILNS1_3genE3ELNS1_11target_archE908ELNS1_3gpuE7ELNS1_3repE0EEENS1_30default_config_static_selectorELNS0_4arch9wavefront6targetE1EEEvSW_,comdat
.Lfunc_end710:
	.size	_ZN7rocprim17ROCPRIM_400000_NS6detail17trampoline_kernelINS0_14default_configENS1_29binary_search_config_selectorIiiEEZNS1_14transform_implILb0ES3_S5_N6thrust23THRUST_200600_302600_NS6detail15normal_iteratorINS8_7pointerIiNS8_11hip_rocprim5par_tENS8_11use_defaultESE_EEEESG_ZNS1_13binary_searchIS3_S5_NSA_INS8_10device_ptrIiEEEESG_SG_NS1_16binary_search_opENS9_16wrapped_functionINS8_6system6detail7generic6detail18binary_search_lessEbEEEE10hipError_tPvRmT1_T2_T3_mmT4_T5_P12ihipStream_tbEUlRKiE_EEST_SX_SY_mSZ_S12_bEUlT_E_NS1_11comp_targetILNS1_3genE3ELNS1_11target_archE908ELNS1_3gpuE7ELNS1_3repE0EEENS1_30default_config_static_selectorELNS0_4arch9wavefront6targetE1EEEvSW_, .Lfunc_end710-_ZN7rocprim17ROCPRIM_400000_NS6detail17trampoline_kernelINS0_14default_configENS1_29binary_search_config_selectorIiiEEZNS1_14transform_implILb0ES3_S5_N6thrust23THRUST_200600_302600_NS6detail15normal_iteratorINS8_7pointerIiNS8_11hip_rocprim5par_tENS8_11use_defaultESE_EEEESG_ZNS1_13binary_searchIS3_S5_NSA_INS8_10device_ptrIiEEEESG_SG_NS1_16binary_search_opENS9_16wrapped_functionINS8_6system6detail7generic6detail18binary_search_lessEbEEEE10hipError_tPvRmT1_T2_T3_mmT4_T5_P12ihipStream_tbEUlRKiE_EEST_SX_SY_mSZ_S12_bEUlT_E_NS1_11comp_targetILNS1_3genE3ELNS1_11target_archE908ELNS1_3gpuE7ELNS1_3repE0EEENS1_30default_config_static_selectorELNS0_4arch9wavefront6targetE1EEEvSW_
                                        ; -- End function
	.set _ZN7rocprim17ROCPRIM_400000_NS6detail17trampoline_kernelINS0_14default_configENS1_29binary_search_config_selectorIiiEEZNS1_14transform_implILb0ES3_S5_N6thrust23THRUST_200600_302600_NS6detail15normal_iteratorINS8_7pointerIiNS8_11hip_rocprim5par_tENS8_11use_defaultESE_EEEESG_ZNS1_13binary_searchIS3_S5_NSA_INS8_10device_ptrIiEEEESG_SG_NS1_16binary_search_opENS9_16wrapped_functionINS8_6system6detail7generic6detail18binary_search_lessEbEEEE10hipError_tPvRmT1_T2_T3_mmT4_T5_P12ihipStream_tbEUlRKiE_EEST_SX_SY_mSZ_S12_bEUlT_E_NS1_11comp_targetILNS1_3genE3ELNS1_11target_archE908ELNS1_3gpuE7ELNS1_3repE0EEENS1_30default_config_static_selectorELNS0_4arch9wavefront6targetE1EEEvSW_.num_vgpr, 0
	.set _ZN7rocprim17ROCPRIM_400000_NS6detail17trampoline_kernelINS0_14default_configENS1_29binary_search_config_selectorIiiEEZNS1_14transform_implILb0ES3_S5_N6thrust23THRUST_200600_302600_NS6detail15normal_iteratorINS8_7pointerIiNS8_11hip_rocprim5par_tENS8_11use_defaultESE_EEEESG_ZNS1_13binary_searchIS3_S5_NSA_INS8_10device_ptrIiEEEESG_SG_NS1_16binary_search_opENS9_16wrapped_functionINS8_6system6detail7generic6detail18binary_search_lessEbEEEE10hipError_tPvRmT1_T2_T3_mmT4_T5_P12ihipStream_tbEUlRKiE_EEST_SX_SY_mSZ_S12_bEUlT_E_NS1_11comp_targetILNS1_3genE3ELNS1_11target_archE908ELNS1_3gpuE7ELNS1_3repE0EEENS1_30default_config_static_selectorELNS0_4arch9wavefront6targetE1EEEvSW_.num_agpr, 0
	.set _ZN7rocprim17ROCPRIM_400000_NS6detail17trampoline_kernelINS0_14default_configENS1_29binary_search_config_selectorIiiEEZNS1_14transform_implILb0ES3_S5_N6thrust23THRUST_200600_302600_NS6detail15normal_iteratorINS8_7pointerIiNS8_11hip_rocprim5par_tENS8_11use_defaultESE_EEEESG_ZNS1_13binary_searchIS3_S5_NSA_INS8_10device_ptrIiEEEESG_SG_NS1_16binary_search_opENS9_16wrapped_functionINS8_6system6detail7generic6detail18binary_search_lessEbEEEE10hipError_tPvRmT1_T2_T3_mmT4_T5_P12ihipStream_tbEUlRKiE_EEST_SX_SY_mSZ_S12_bEUlT_E_NS1_11comp_targetILNS1_3genE3ELNS1_11target_archE908ELNS1_3gpuE7ELNS1_3repE0EEENS1_30default_config_static_selectorELNS0_4arch9wavefront6targetE1EEEvSW_.numbered_sgpr, 0
	.set _ZN7rocprim17ROCPRIM_400000_NS6detail17trampoline_kernelINS0_14default_configENS1_29binary_search_config_selectorIiiEEZNS1_14transform_implILb0ES3_S5_N6thrust23THRUST_200600_302600_NS6detail15normal_iteratorINS8_7pointerIiNS8_11hip_rocprim5par_tENS8_11use_defaultESE_EEEESG_ZNS1_13binary_searchIS3_S5_NSA_INS8_10device_ptrIiEEEESG_SG_NS1_16binary_search_opENS9_16wrapped_functionINS8_6system6detail7generic6detail18binary_search_lessEbEEEE10hipError_tPvRmT1_T2_T3_mmT4_T5_P12ihipStream_tbEUlRKiE_EEST_SX_SY_mSZ_S12_bEUlT_E_NS1_11comp_targetILNS1_3genE3ELNS1_11target_archE908ELNS1_3gpuE7ELNS1_3repE0EEENS1_30default_config_static_selectorELNS0_4arch9wavefront6targetE1EEEvSW_.num_named_barrier, 0
	.set _ZN7rocprim17ROCPRIM_400000_NS6detail17trampoline_kernelINS0_14default_configENS1_29binary_search_config_selectorIiiEEZNS1_14transform_implILb0ES3_S5_N6thrust23THRUST_200600_302600_NS6detail15normal_iteratorINS8_7pointerIiNS8_11hip_rocprim5par_tENS8_11use_defaultESE_EEEESG_ZNS1_13binary_searchIS3_S5_NSA_INS8_10device_ptrIiEEEESG_SG_NS1_16binary_search_opENS9_16wrapped_functionINS8_6system6detail7generic6detail18binary_search_lessEbEEEE10hipError_tPvRmT1_T2_T3_mmT4_T5_P12ihipStream_tbEUlRKiE_EEST_SX_SY_mSZ_S12_bEUlT_E_NS1_11comp_targetILNS1_3genE3ELNS1_11target_archE908ELNS1_3gpuE7ELNS1_3repE0EEENS1_30default_config_static_selectorELNS0_4arch9wavefront6targetE1EEEvSW_.private_seg_size, 0
	.set _ZN7rocprim17ROCPRIM_400000_NS6detail17trampoline_kernelINS0_14default_configENS1_29binary_search_config_selectorIiiEEZNS1_14transform_implILb0ES3_S5_N6thrust23THRUST_200600_302600_NS6detail15normal_iteratorINS8_7pointerIiNS8_11hip_rocprim5par_tENS8_11use_defaultESE_EEEESG_ZNS1_13binary_searchIS3_S5_NSA_INS8_10device_ptrIiEEEESG_SG_NS1_16binary_search_opENS9_16wrapped_functionINS8_6system6detail7generic6detail18binary_search_lessEbEEEE10hipError_tPvRmT1_T2_T3_mmT4_T5_P12ihipStream_tbEUlRKiE_EEST_SX_SY_mSZ_S12_bEUlT_E_NS1_11comp_targetILNS1_3genE3ELNS1_11target_archE908ELNS1_3gpuE7ELNS1_3repE0EEENS1_30default_config_static_selectorELNS0_4arch9wavefront6targetE1EEEvSW_.uses_vcc, 0
	.set _ZN7rocprim17ROCPRIM_400000_NS6detail17trampoline_kernelINS0_14default_configENS1_29binary_search_config_selectorIiiEEZNS1_14transform_implILb0ES3_S5_N6thrust23THRUST_200600_302600_NS6detail15normal_iteratorINS8_7pointerIiNS8_11hip_rocprim5par_tENS8_11use_defaultESE_EEEESG_ZNS1_13binary_searchIS3_S5_NSA_INS8_10device_ptrIiEEEESG_SG_NS1_16binary_search_opENS9_16wrapped_functionINS8_6system6detail7generic6detail18binary_search_lessEbEEEE10hipError_tPvRmT1_T2_T3_mmT4_T5_P12ihipStream_tbEUlRKiE_EEST_SX_SY_mSZ_S12_bEUlT_E_NS1_11comp_targetILNS1_3genE3ELNS1_11target_archE908ELNS1_3gpuE7ELNS1_3repE0EEENS1_30default_config_static_selectorELNS0_4arch9wavefront6targetE1EEEvSW_.uses_flat_scratch, 0
	.set _ZN7rocprim17ROCPRIM_400000_NS6detail17trampoline_kernelINS0_14default_configENS1_29binary_search_config_selectorIiiEEZNS1_14transform_implILb0ES3_S5_N6thrust23THRUST_200600_302600_NS6detail15normal_iteratorINS8_7pointerIiNS8_11hip_rocprim5par_tENS8_11use_defaultESE_EEEESG_ZNS1_13binary_searchIS3_S5_NSA_INS8_10device_ptrIiEEEESG_SG_NS1_16binary_search_opENS9_16wrapped_functionINS8_6system6detail7generic6detail18binary_search_lessEbEEEE10hipError_tPvRmT1_T2_T3_mmT4_T5_P12ihipStream_tbEUlRKiE_EEST_SX_SY_mSZ_S12_bEUlT_E_NS1_11comp_targetILNS1_3genE3ELNS1_11target_archE908ELNS1_3gpuE7ELNS1_3repE0EEENS1_30default_config_static_selectorELNS0_4arch9wavefront6targetE1EEEvSW_.has_dyn_sized_stack, 0
	.set _ZN7rocprim17ROCPRIM_400000_NS6detail17trampoline_kernelINS0_14default_configENS1_29binary_search_config_selectorIiiEEZNS1_14transform_implILb0ES3_S5_N6thrust23THRUST_200600_302600_NS6detail15normal_iteratorINS8_7pointerIiNS8_11hip_rocprim5par_tENS8_11use_defaultESE_EEEESG_ZNS1_13binary_searchIS3_S5_NSA_INS8_10device_ptrIiEEEESG_SG_NS1_16binary_search_opENS9_16wrapped_functionINS8_6system6detail7generic6detail18binary_search_lessEbEEEE10hipError_tPvRmT1_T2_T3_mmT4_T5_P12ihipStream_tbEUlRKiE_EEST_SX_SY_mSZ_S12_bEUlT_E_NS1_11comp_targetILNS1_3genE3ELNS1_11target_archE908ELNS1_3gpuE7ELNS1_3repE0EEENS1_30default_config_static_selectorELNS0_4arch9wavefront6targetE1EEEvSW_.has_recursion, 0
	.set _ZN7rocprim17ROCPRIM_400000_NS6detail17trampoline_kernelINS0_14default_configENS1_29binary_search_config_selectorIiiEEZNS1_14transform_implILb0ES3_S5_N6thrust23THRUST_200600_302600_NS6detail15normal_iteratorINS8_7pointerIiNS8_11hip_rocprim5par_tENS8_11use_defaultESE_EEEESG_ZNS1_13binary_searchIS3_S5_NSA_INS8_10device_ptrIiEEEESG_SG_NS1_16binary_search_opENS9_16wrapped_functionINS8_6system6detail7generic6detail18binary_search_lessEbEEEE10hipError_tPvRmT1_T2_T3_mmT4_T5_P12ihipStream_tbEUlRKiE_EEST_SX_SY_mSZ_S12_bEUlT_E_NS1_11comp_targetILNS1_3genE3ELNS1_11target_archE908ELNS1_3gpuE7ELNS1_3repE0EEENS1_30default_config_static_selectorELNS0_4arch9wavefront6targetE1EEEvSW_.has_indirect_call, 0
	.section	.AMDGPU.csdata,"",@progbits
; Kernel info:
; codeLenInByte = 0
; TotalNumSgprs: 4
; NumVgprs: 0
; ScratchSize: 0
; MemoryBound: 0
; FloatMode: 240
; IeeeMode: 1
; LDSByteSize: 0 bytes/workgroup (compile time only)
; SGPRBlocks: 0
; VGPRBlocks: 0
; NumSGPRsForWavesPerEU: 4
; NumVGPRsForWavesPerEU: 1
; Occupancy: 10
; WaveLimiterHint : 0
; COMPUTE_PGM_RSRC2:SCRATCH_EN: 0
; COMPUTE_PGM_RSRC2:USER_SGPR: 6
; COMPUTE_PGM_RSRC2:TRAP_HANDLER: 0
; COMPUTE_PGM_RSRC2:TGID_X_EN: 1
; COMPUTE_PGM_RSRC2:TGID_Y_EN: 0
; COMPUTE_PGM_RSRC2:TGID_Z_EN: 0
; COMPUTE_PGM_RSRC2:TIDIG_COMP_CNT: 0
	.section	.text._ZN7rocprim17ROCPRIM_400000_NS6detail17trampoline_kernelINS0_14default_configENS1_29binary_search_config_selectorIiiEEZNS1_14transform_implILb0ES3_S5_N6thrust23THRUST_200600_302600_NS6detail15normal_iteratorINS8_7pointerIiNS8_11hip_rocprim5par_tENS8_11use_defaultESE_EEEESG_ZNS1_13binary_searchIS3_S5_NSA_INS8_10device_ptrIiEEEESG_SG_NS1_16binary_search_opENS9_16wrapped_functionINS8_6system6detail7generic6detail18binary_search_lessEbEEEE10hipError_tPvRmT1_T2_T3_mmT4_T5_P12ihipStream_tbEUlRKiE_EEST_SX_SY_mSZ_S12_bEUlT_E_NS1_11comp_targetILNS1_3genE2ELNS1_11target_archE906ELNS1_3gpuE6ELNS1_3repE0EEENS1_30default_config_static_selectorELNS0_4arch9wavefront6targetE1EEEvSW_,"axG",@progbits,_ZN7rocprim17ROCPRIM_400000_NS6detail17trampoline_kernelINS0_14default_configENS1_29binary_search_config_selectorIiiEEZNS1_14transform_implILb0ES3_S5_N6thrust23THRUST_200600_302600_NS6detail15normal_iteratorINS8_7pointerIiNS8_11hip_rocprim5par_tENS8_11use_defaultESE_EEEESG_ZNS1_13binary_searchIS3_S5_NSA_INS8_10device_ptrIiEEEESG_SG_NS1_16binary_search_opENS9_16wrapped_functionINS8_6system6detail7generic6detail18binary_search_lessEbEEEE10hipError_tPvRmT1_T2_T3_mmT4_T5_P12ihipStream_tbEUlRKiE_EEST_SX_SY_mSZ_S12_bEUlT_E_NS1_11comp_targetILNS1_3genE2ELNS1_11target_archE906ELNS1_3gpuE6ELNS1_3repE0EEENS1_30default_config_static_selectorELNS0_4arch9wavefront6targetE1EEEvSW_,comdat
	.protected	_ZN7rocprim17ROCPRIM_400000_NS6detail17trampoline_kernelINS0_14default_configENS1_29binary_search_config_selectorIiiEEZNS1_14transform_implILb0ES3_S5_N6thrust23THRUST_200600_302600_NS6detail15normal_iteratorINS8_7pointerIiNS8_11hip_rocprim5par_tENS8_11use_defaultESE_EEEESG_ZNS1_13binary_searchIS3_S5_NSA_INS8_10device_ptrIiEEEESG_SG_NS1_16binary_search_opENS9_16wrapped_functionINS8_6system6detail7generic6detail18binary_search_lessEbEEEE10hipError_tPvRmT1_T2_T3_mmT4_T5_P12ihipStream_tbEUlRKiE_EEST_SX_SY_mSZ_S12_bEUlT_E_NS1_11comp_targetILNS1_3genE2ELNS1_11target_archE906ELNS1_3gpuE6ELNS1_3repE0EEENS1_30default_config_static_selectorELNS0_4arch9wavefront6targetE1EEEvSW_ ; -- Begin function _ZN7rocprim17ROCPRIM_400000_NS6detail17trampoline_kernelINS0_14default_configENS1_29binary_search_config_selectorIiiEEZNS1_14transform_implILb0ES3_S5_N6thrust23THRUST_200600_302600_NS6detail15normal_iteratorINS8_7pointerIiNS8_11hip_rocprim5par_tENS8_11use_defaultESE_EEEESG_ZNS1_13binary_searchIS3_S5_NSA_INS8_10device_ptrIiEEEESG_SG_NS1_16binary_search_opENS9_16wrapped_functionINS8_6system6detail7generic6detail18binary_search_lessEbEEEE10hipError_tPvRmT1_T2_T3_mmT4_T5_P12ihipStream_tbEUlRKiE_EEST_SX_SY_mSZ_S12_bEUlT_E_NS1_11comp_targetILNS1_3genE2ELNS1_11target_archE906ELNS1_3gpuE6ELNS1_3repE0EEENS1_30default_config_static_selectorELNS0_4arch9wavefront6targetE1EEEvSW_
	.globl	_ZN7rocprim17ROCPRIM_400000_NS6detail17trampoline_kernelINS0_14default_configENS1_29binary_search_config_selectorIiiEEZNS1_14transform_implILb0ES3_S5_N6thrust23THRUST_200600_302600_NS6detail15normal_iteratorINS8_7pointerIiNS8_11hip_rocprim5par_tENS8_11use_defaultESE_EEEESG_ZNS1_13binary_searchIS3_S5_NSA_INS8_10device_ptrIiEEEESG_SG_NS1_16binary_search_opENS9_16wrapped_functionINS8_6system6detail7generic6detail18binary_search_lessEbEEEE10hipError_tPvRmT1_T2_T3_mmT4_T5_P12ihipStream_tbEUlRKiE_EEST_SX_SY_mSZ_S12_bEUlT_E_NS1_11comp_targetILNS1_3genE2ELNS1_11target_archE906ELNS1_3gpuE6ELNS1_3repE0EEENS1_30default_config_static_selectorELNS0_4arch9wavefront6targetE1EEEvSW_
	.p2align	8
	.type	_ZN7rocprim17ROCPRIM_400000_NS6detail17trampoline_kernelINS0_14default_configENS1_29binary_search_config_selectorIiiEEZNS1_14transform_implILb0ES3_S5_N6thrust23THRUST_200600_302600_NS6detail15normal_iteratorINS8_7pointerIiNS8_11hip_rocprim5par_tENS8_11use_defaultESE_EEEESG_ZNS1_13binary_searchIS3_S5_NSA_INS8_10device_ptrIiEEEESG_SG_NS1_16binary_search_opENS9_16wrapped_functionINS8_6system6detail7generic6detail18binary_search_lessEbEEEE10hipError_tPvRmT1_T2_T3_mmT4_T5_P12ihipStream_tbEUlRKiE_EEST_SX_SY_mSZ_S12_bEUlT_E_NS1_11comp_targetILNS1_3genE2ELNS1_11target_archE906ELNS1_3gpuE6ELNS1_3repE0EEENS1_30default_config_static_selectorELNS0_4arch9wavefront6targetE1EEEvSW_,@function
_ZN7rocprim17ROCPRIM_400000_NS6detail17trampoline_kernelINS0_14default_configENS1_29binary_search_config_selectorIiiEEZNS1_14transform_implILb0ES3_S5_N6thrust23THRUST_200600_302600_NS6detail15normal_iteratorINS8_7pointerIiNS8_11hip_rocprim5par_tENS8_11use_defaultESE_EEEESG_ZNS1_13binary_searchIS3_S5_NSA_INS8_10device_ptrIiEEEESG_SG_NS1_16binary_search_opENS9_16wrapped_functionINS8_6system6detail7generic6detail18binary_search_lessEbEEEE10hipError_tPvRmT1_T2_T3_mmT4_T5_P12ihipStream_tbEUlRKiE_EEST_SX_SY_mSZ_S12_bEUlT_E_NS1_11comp_targetILNS1_3genE2ELNS1_11target_archE906ELNS1_3gpuE6ELNS1_3repE0EEENS1_30default_config_static_selectorELNS0_4arch9wavefront6targetE1EEEvSW_: ; @_ZN7rocprim17ROCPRIM_400000_NS6detail17trampoline_kernelINS0_14default_configENS1_29binary_search_config_selectorIiiEEZNS1_14transform_implILb0ES3_S5_N6thrust23THRUST_200600_302600_NS6detail15normal_iteratorINS8_7pointerIiNS8_11hip_rocprim5par_tENS8_11use_defaultESE_EEEESG_ZNS1_13binary_searchIS3_S5_NSA_INS8_10device_ptrIiEEEESG_SG_NS1_16binary_search_opENS9_16wrapped_functionINS8_6system6detail7generic6detail18binary_search_lessEbEEEE10hipError_tPvRmT1_T2_T3_mmT4_T5_P12ihipStream_tbEUlRKiE_EEST_SX_SY_mSZ_S12_bEUlT_E_NS1_11comp_targetILNS1_3genE2ELNS1_11target_archE906ELNS1_3gpuE6ELNS1_3repE0EEENS1_30default_config_static_selectorELNS0_4arch9wavefront6targetE1EEEvSW_
; %bb.0:
	s_load_dwordx4 s[12:15], s[4:5], 0x0
	s_load_dwordx4 s[8:11], s[4:5], 0x18
	s_load_dwordx2 s[0:1], s[4:5], 0x28
	s_load_dword s7, s[4:5], 0x38
	s_waitcnt lgkmcnt(0)
	s_lshl_b64 s[2:3], s[14:15], 2
	s_add_u32 s18, s12, s2
	s_addc_u32 s19, s13, s3
	s_lshl_b32 s12, s6, 8
	s_add_i32 s7, s7, -1
	s_cmp_lg_u32 s6, s7
	s_mov_b32 s13, 0
	s_cbranch_scc0 .LBB711_6
; %bb.1:
	s_lshl_b64 s[6:7], s[12:13], 2
	s_add_u32 s6, s18, s6
	s_addc_u32 s7, s19, s7
	v_lshlrev_b32_e32 v1, 2, v0
	v_mov_b32_e32 v2, s7
	v_add_co_u32_e32 v1, vcc, s6, v1
	v_addc_co_u32_e32 v2, vcc, 0, v2, vcc
	flat_load_dword v6, v[1:2]
	v_mov_b32_e32 v2, 0
	v_mov_b32_e32 v1, 0
	s_cmp_eq_u64 s[0:1], 0
	s_mov_b64 s[6:7], 0
	v_mov_b32_e32 v3, 0
	s_cbranch_scc1 .LBB711_5
; %bb.2:
	v_mov_b32_e32 v5, s1
	v_mov_b32_e32 v4, s0
	;; [unrolled: 1-line block ×3, first 2 shown]
.LBB711_3:                              ; =>This Inner Loop Header: Depth=1
	v_sub_co_u32_e32 v8, vcc, v4, v2
	v_subb_co_u32_e32 v9, vcc, v5, v3, vcc
	v_lshrrev_b64 v[10:11], 1, v[8:9]
	v_lshrrev_b64 v[8:9], 6, v[8:9]
	v_add_co_u32_e32 v10, vcc, v10, v2
	v_addc_co_u32_e32 v11, vcc, v11, v3, vcc
	v_add_co_u32_e32 v8, vcc, v10, v8
	v_addc_co_u32_e32 v9, vcc, v11, v9, vcc
	v_lshlrev_b64 v[10:11], 2, v[8:9]
	v_add_co_u32_e32 v10, vcc, s10, v10
	v_addc_co_u32_e32 v11, vcc, v7, v11, vcc
	global_load_dword v10, v[10:11], off
	v_add_co_u32_e32 v11, vcc, 1, v8
	v_addc_co_u32_e32 v12, vcc, 0, v9, vcc
	s_waitcnt vmcnt(0) lgkmcnt(0)
	v_cmp_lt_i32_e32 vcc, v10, v6
	v_cndmask_b32_e32 v5, v9, v5, vcc
	v_cndmask_b32_e32 v4, v8, v4, vcc
	;; [unrolled: 1-line block ×4, first 2 shown]
	v_cmp_ge_u64_e32 vcc, v[2:3], v[4:5]
	s_or_b64 s[6:7], vcc, s[6:7]
	s_andn2_b64 exec, exec, s[6:7]
	s_cbranch_execnz .LBB711_3
; %bb.4:
	s_or_b64 exec, exec, s[6:7]
.LBB711_5:
	v_cmp_eq_u64_e64 s[6:7], s[0:1], v[2:3]
	v_cmp_ne_u64_e64 s[14:15], s[0:1], v[2:3]
	s_branch .LBB711_14
.LBB711_6:
	s_mov_b64 s[14:15], 0
	s_mov_b64 s[6:7], 0
                                        ; implicit-def: $vgpr6
                                        ; implicit-def: $vgpr2_vgpr3
	s_cbranch_execz .LBB711_14
; %bb.7:
	s_load_dword s4, s[4:5], 0x10
                                        ; implicit-def: $vgpr6
                                        ; implicit-def: $vgpr2_vgpr3
	s_waitcnt lgkmcnt(0)
	s_sub_i32 s4, s4, s12
	v_cmp_gt_u32_e32 vcc, s4, v0
	s_and_saveexec_b64 s[4:5], vcc
	s_cbranch_execz .LBB711_13
; %bb.8:
	s_lshl_b64 s[16:17], s[12:13], 2
	s_add_u32 s16, s18, s16
	s_addc_u32 s17, s19, s17
	v_lshlrev_b32_e32 v1, 2, v0
	v_mov_b32_e32 v2, s17
	v_add_co_u32_e32 v1, vcc, s16, v1
	v_addc_co_u32_e32 v2, vcc, 0, v2, vcc
	s_waitcnt vmcnt(0)
	flat_load_dword v6, v[1:2]
	v_mov_b32_e32 v2, 0
	v_mov_b32_e32 v1, 0
	s_cmp_eq_u64 s[0:1], 0
	s_mov_b64 s[16:17], 0
	v_mov_b32_e32 v3, 0
	s_cbranch_scc1 .LBB711_12
; %bb.9:
	v_mov_b32_e32 v5, s1
	v_mov_b32_e32 v4, s0
	;; [unrolled: 1-line block ×3, first 2 shown]
.LBB711_10:                             ; =>This Inner Loop Header: Depth=1
	v_sub_co_u32_e32 v8, vcc, v4, v2
	v_subb_co_u32_e32 v9, vcc, v5, v3, vcc
	v_lshrrev_b64 v[10:11], 1, v[8:9]
	v_lshrrev_b64 v[8:9], 6, v[8:9]
	v_add_co_u32_e32 v10, vcc, v10, v2
	v_addc_co_u32_e32 v11, vcc, v11, v3, vcc
	v_add_co_u32_e32 v8, vcc, v10, v8
	v_addc_co_u32_e32 v9, vcc, v11, v9, vcc
	v_lshlrev_b64 v[10:11], 2, v[8:9]
	v_add_co_u32_e32 v10, vcc, s10, v10
	v_addc_co_u32_e32 v11, vcc, v7, v11, vcc
	global_load_dword v10, v[10:11], off
	v_add_co_u32_e32 v11, vcc, 1, v8
	v_addc_co_u32_e32 v12, vcc, 0, v9, vcc
	s_waitcnt vmcnt(0) lgkmcnt(0)
	v_cmp_lt_i32_e32 vcc, v10, v6
	v_cndmask_b32_e32 v5, v9, v5, vcc
	v_cndmask_b32_e32 v4, v8, v4, vcc
	;; [unrolled: 1-line block ×4, first 2 shown]
	v_cmp_ge_u64_e32 vcc, v[2:3], v[4:5]
	s_or_b64 s[16:17], vcc, s[16:17]
	s_andn2_b64 exec, exec, s[16:17]
	s_cbranch_execnz .LBB711_10
; %bb.11:
	s_or_b64 exec, exec, s[16:17]
.LBB711_12:
	v_cmp_eq_u64_e32 vcc, s[0:1], v[2:3]
	v_cmp_ne_u64_e64 s[0:1], s[0:1], v[2:3]
	s_andn2_b64 s[6:7], s[6:7], exec
	s_and_b64 s[16:17], vcc, exec
	s_andn2_b64 s[14:15], s[14:15], exec
	s_and_b64 s[0:1], s[0:1], exec
	s_or_b64 s[6:7], s[6:7], s[16:17]
	s_or_b64 s[14:15], s[14:15], s[0:1]
.LBB711_13:
	s_or_b64 exec, exec, s[4:5]
.LBB711_14:
	v_mov_b32_e32 v4, 0
	s_and_saveexec_b64 s[0:1], s[14:15]
	s_cbranch_execnz .LBB711_17
; %bb.15:
	s_or_b64 exec, exec, s[0:1]
	s_and_saveexec_b64 s[0:1], s[6:7]
	s_cbranch_execnz .LBB711_18
.LBB711_16:
	s_endpgm
.LBB711_17:
	v_lshlrev_b64 v[2:3], 2, v[2:3]
	v_mov_b32_e32 v4, s11
	v_add_co_u32_e32 v2, vcc, s10, v2
	v_addc_co_u32_e32 v3, vcc, v4, v3, vcc
	global_load_dword v2, v[2:3], off
	s_or_b64 s[6:7], s[6:7], exec
	s_waitcnt vmcnt(0) lgkmcnt(0)
	v_cmp_ge_i32_e32 vcc, v6, v2
	v_cndmask_b32_e64 v4, 0, 1, vcc
	s_or_b64 exec, exec, s[0:1]
	s_and_saveexec_b64 s[0:1], s[6:7]
	s_cbranch_execz .LBB711_16
.LBB711_18:
	s_add_u32 s2, s8, s2
	s_addc_u32 s3, s9, s3
	s_lshl_b64 s[0:1], s[12:13], 2
	s_add_u32 s0, s2, s0
	v_lshlrev_b64 v[0:1], 2, v[0:1]
	s_addc_u32 s1, s3, s1
	v_mov_b32_e32 v2, s1
	v_add_co_u32_e32 v0, vcc, s0, v0
	v_addc_co_u32_e32 v1, vcc, v2, v1, vcc
	flat_store_dword v[0:1], v4
	s_endpgm
	.section	.rodata,"a",@progbits
	.p2align	6, 0x0
	.amdhsa_kernel _ZN7rocprim17ROCPRIM_400000_NS6detail17trampoline_kernelINS0_14default_configENS1_29binary_search_config_selectorIiiEEZNS1_14transform_implILb0ES3_S5_N6thrust23THRUST_200600_302600_NS6detail15normal_iteratorINS8_7pointerIiNS8_11hip_rocprim5par_tENS8_11use_defaultESE_EEEESG_ZNS1_13binary_searchIS3_S5_NSA_INS8_10device_ptrIiEEEESG_SG_NS1_16binary_search_opENS9_16wrapped_functionINS8_6system6detail7generic6detail18binary_search_lessEbEEEE10hipError_tPvRmT1_T2_T3_mmT4_T5_P12ihipStream_tbEUlRKiE_EEST_SX_SY_mSZ_S12_bEUlT_E_NS1_11comp_targetILNS1_3genE2ELNS1_11target_archE906ELNS1_3gpuE6ELNS1_3repE0EEENS1_30default_config_static_selectorELNS0_4arch9wavefront6targetE1EEEvSW_
		.amdhsa_group_segment_fixed_size 0
		.amdhsa_private_segment_fixed_size 0
		.amdhsa_kernarg_size 312
		.amdhsa_user_sgpr_count 6
		.amdhsa_user_sgpr_private_segment_buffer 1
		.amdhsa_user_sgpr_dispatch_ptr 0
		.amdhsa_user_sgpr_queue_ptr 0
		.amdhsa_user_sgpr_kernarg_segment_ptr 1
		.amdhsa_user_sgpr_dispatch_id 0
		.amdhsa_user_sgpr_flat_scratch_init 0
		.amdhsa_user_sgpr_private_segment_size 0
		.amdhsa_uses_dynamic_stack 0
		.amdhsa_system_sgpr_private_segment_wavefront_offset 0
		.amdhsa_system_sgpr_workgroup_id_x 1
		.amdhsa_system_sgpr_workgroup_id_y 0
		.amdhsa_system_sgpr_workgroup_id_z 0
		.amdhsa_system_sgpr_workgroup_info 0
		.amdhsa_system_vgpr_workitem_id 0
		.amdhsa_next_free_vgpr 13
		.amdhsa_next_free_sgpr 20
		.amdhsa_reserve_vcc 1
		.amdhsa_reserve_flat_scratch 0
		.amdhsa_float_round_mode_32 0
		.amdhsa_float_round_mode_16_64 0
		.amdhsa_float_denorm_mode_32 3
		.amdhsa_float_denorm_mode_16_64 3
		.amdhsa_dx10_clamp 1
		.amdhsa_ieee_mode 1
		.amdhsa_fp16_overflow 0
		.amdhsa_exception_fp_ieee_invalid_op 0
		.amdhsa_exception_fp_denorm_src 0
		.amdhsa_exception_fp_ieee_div_zero 0
		.amdhsa_exception_fp_ieee_overflow 0
		.amdhsa_exception_fp_ieee_underflow 0
		.amdhsa_exception_fp_ieee_inexact 0
		.amdhsa_exception_int_div_zero 0
	.end_amdhsa_kernel
	.section	.text._ZN7rocprim17ROCPRIM_400000_NS6detail17trampoline_kernelINS0_14default_configENS1_29binary_search_config_selectorIiiEEZNS1_14transform_implILb0ES3_S5_N6thrust23THRUST_200600_302600_NS6detail15normal_iteratorINS8_7pointerIiNS8_11hip_rocprim5par_tENS8_11use_defaultESE_EEEESG_ZNS1_13binary_searchIS3_S5_NSA_INS8_10device_ptrIiEEEESG_SG_NS1_16binary_search_opENS9_16wrapped_functionINS8_6system6detail7generic6detail18binary_search_lessEbEEEE10hipError_tPvRmT1_T2_T3_mmT4_T5_P12ihipStream_tbEUlRKiE_EEST_SX_SY_mSZ_S12_bEUlT_E_NS1_11comp_targetILNS1_3genE2ELNS1_11target_archE906ELNS1_3gpuE6ELNS1_3repE0EEENS1_30default_config_static_selectorELNS0_4arch9wavefront6targetE1EEEvSW_,"axG",@progbits,_ZN7rocprim17ROCPRIM_400000_NS6detail17trampoline_kernelINS0_14default_configENS1_29binary_search_config_selectorIiiEEZNS1_14transform_implILb0ES3_S5_N6thrust23THRUST_200600_302600_NS6detail15normal_iteratorINS8_7pointerIiNS8_11hip_rocprim5par_tENS8_11use_defaultESE_EEEESG_ZNS1_13binary_searchIS3_S5_NSA_INS8_10device_ptrIiEEEESG_SG_NS1_16binary_search_opENS9_16wrapped_functionINS8_6system6detail7generic6detail18binary_search_lessEbEEEE10hipError_tPvRmT1_T2_T3_mmT4_T5_P12ihipStream_tbEUlRKiE_EEST_SX_SY_mSZ_S12_bEUlT_E_NS1_11comp_targetILNS1_3genE2ELNS1_11target_archE906ELNS1_3gpuE6ELNS1_3repE0EEENS1_30default_config_static_selectorELNS0_4arch9wavefront6targetE1EEEvSW_,comdat
.Lfunc_end711:
	.size	_ZN7rocprim17ROCPRIM_400000_NS6detail17trampoline_kernelINS0_14default_configENS1_29binary_search_config_selectorIiiEEZNS1_14transform_implILb0ES3_S5_N6thrust23THRUST_200600_302600_NS6detail15normal_iteratorINS8_7pointerIiNS8_11hip_rocprim5par_tENS8_11use_defaultESE_EEEESG_ZNS1_13binary_searchIS3_S5_NSA_INS8_10device_ptrIiEEEESG_SG_NS1_16binary_search_opENS9_16wrapped_functionINS8_6system6detail7generic6detail18binary_search_lessEbEEEE10hipError_tPvRmT1_T2_T3_mmT4_T5_P12ihipStream_tbEUlRKiE_EEST_SX_SY_mSZ_S12_bEUlT_E_NS1_11comp_targetILNS1_3genE2ELNS1_11target_archE906ELNS1_3gpuE6ELNS1_3repE0EEENS1_30default_config_static_selectorELNS0_4arch9wavefront6targetE1EEEvSW_, .Lfunc_end711-_ZN7rocprim17ROCPRIM_400000_NS6detail17trampoline_kernelINS0_14default_configENS1_29binary_search_config_selectorIiiEEZNS1_14transform_implILb0ES3_S5_N6thrust23THRUST_200600_302600_NS6detail15normal_iteratorINS8_7pointerIiNS8_11hip_rocprim5par_tENS8_11use_defaultESE_EEEESG_ZNS1_13binary_searchIS3_S5_NSA_INS8_10device_ptrIiEEEESG_SG_NS1_16binary_search_opENS9_16wrapped_functionINS8_6system6detail7generic6detail18binary_search_lessEbEEEE10hipError_tPvRmT1_T2_T3_mmT4_T5_P12ihipStream_tbEUlRKiE_EEST_SX_SY_mSZ_S12_bEUlT_E_NS1_11comp_targetILNS1_3genE2ELNS1_11target_archE906ELNS1_3gpuE6ELNS1_3repE0EEENS1_30default_config_static_selectorELNS0_4arch9wavefront6targetE1EEEvSW_
                                        ; -- End function
	.set _ZN7rocprim17ROCPRIM_400000_NS6detail17trampoline_kernelINS0_14default_configENS1_29binary_search_config_selectorIiiEEZNS1_14transform_implILb0ES3_S5_N6thrust23THRUST_200600_302600_NS6detail15normal_iteratorINS8_7pointerIiNS8_11hip_rocprim5par_tENS8_11use_defaultESE_EEEESG_ZNS1_13binary_searchIS3_S5_NSA_INS8_10device_ptrIiEEEESG_SG_NS1_16binary_search_opENS9_16wrapped_functionINS8_6system6detail7generic6detail18binary_search_lessEbEEEE10hipError_tPvRmT1_T2_T3_mmT4_T5_P12ihipStream_tbEUlRKiE_EEST_SX_SY_mSZ_S12_bEUlT_E_NS1_11comp_targetILNS1_3genE2ELNS1_11target_archE906ELNS1_3gpuE6ELNS1_3repE0EEENS1_30default_config_static_selectorELNS0_4arch9wavefront6targetE1EEEvSW_.num_vgpr, 13
	.set _ZN7rocprim17ROCPRIM_400000_NS6detail17trampoline_kernelINS0_14default_configENS1_29binary_search_config_selectorIiiEEZNS1_14transform_implILb0ES3_S5_N6thrust23THRUST_200600_302600_NS6detail15normal_iteratorINS8_7pointerIiNS8_11hip_rocprim5par_tENS8_11use_defaultESE_EEEESG_ZNS1_13binary_searchIS3_S5_NSA_INS8_10device_ptrIiEEEESG_SG_NS1_16binary_search_opENS9_16wrapped_functionINS8_6system6detail7generic6detail18binary_search_lessEbEEEE10hipError_tPvRmT1_T2_T3_mmT4_T5_P12ihipStream_tbEUlRKiE_EEST_SX_SY_mSZ_S12_bEUlT_E_NS1_11comp_targetILNS1_3genE2ELNS1_11target_archE906ELNS1_3gpuE6ELNS1_3repE0EEENS1_30default_config_static_selectorELNS0_4arch9wavefront6targetE1EEEvSW_.num_agpr, 0
	.set _ZN7rocprim17ROCPRIM_400000_NS6detail17trampoline_kernelINS0_14default_configENS1_29binary_search_config_selectorIiiEEZNS1_14transform_implILb0ES3_S5_N6thrust23THRUST_200600_302600_NS6detail15normal_iteratorINS8_7pointerIiNS8_11hip_rocprim5par_tENS8_11use_defaultESE_EEEESG_ZNS1_13binary_searchIS3_S5_NSA_INS8_10device_ptrIiEEEESG_SG_NS1_16binary_search_opENS9_16wrapped_functionINS8_6system6detail7generic6detail18binary_search_lessEbEEEE10hipError_tPvRmT1_T2_T3_mmT4_T5_P12ihipStream_tbEUlRKiE_EEST_SX_SY_mSZ_S12_bEUlT_E_NS1_11comp_targetILNS1_3genE2ELNS1_11target_archE906ELNS1_3gpuE6ELNS1_3repE0EEENS1_30default_config_static_selectorELNS0_4arch9wavefront6targetE1EEEvSW_.numbered_sgpr, 20
	.set _ZN7rocprim17ROCPRIM_400000_NS6detail17trampoline_kernelINS0_14default_configENS1_29binary_search_config_selectorIiiEEZNS1_14transform_implILb0ES3_S5_N6thrust23THRUST_200600_302600_NS6detail15normal_iteratorINS8_7pointerIiNS8_11hip_rocprim5par_tENS8_11use_defaultESE_EEEESG_ZNS1_13binary_searchIS3_S5_NSA_INS8_10device_ptrIiEEEESG_SG_NS1_16binary_search_opENS9_16wrapped_functionINS8_6system6detail7generic6detail18binary_search_lessEbEEEE10hipError_tPvRmT1_T2_T3_mmT4_T5_P12ihipStream_tbEUlRKiE_EEST_SX_SY_mSZ_S12_bEUlT_E_NS1_11comp_targetILNS1_3genE2ELNS1_11target_archE906ELNS1_3gpuE6ELNS1_3repE0EEENS1_30default_config_static_selectorELNS0_4arch9wavefront6targetE1EEEvSW_.num_named_barrier, 0
	.set _ZN7rocprim17ROCPRIM_400000_NS6detail17trampoline_kernelINS0_14default_configENS1_29binary_search_config_selectorIiiEEZNS1_14transform_implILb0ES3_S5_N6thrust23THRUST_200600_302600_NS6detail15normal_iteratorINS8_7pointerIiNS8_11hip_rocprim5par_tENS8_11use_defaultESE_EEEESG_ZNS1_13binary_searchIS3_S5_NSA_INS8_10device_ptrIiEEEESG_SG_NS1_16binary_search_opENS9_16wrapped_functionINS8_6system6detail7generic6detail18binary_search_lessEbEEEE10hipError_tPvRmT1_T2_T3_mmT4_T5_P12ihipStream_tbEUlRKiE_EEST_SX_SY_mSZ_S12_bEUlT_E_NS1_11comp_targetILNS1_3genE2ELNS1_11target_archE906ELNS1_3gpuE6ELNS1_3repE0EEENS1_30default_config_static_selectorELNS0_4arch9wavefront6targetE1EEEvSW_.private_seg_size, 0
	.set _ZN7rocprim17ROCPRIM_400000_NS6detail17trampoline_kernelINS0_14default_configENS1_29binary_search_config_selectorIiiEEZNS1_14transform_implILb0ES3_S5_N6thrust23THRUST_200600_302600_NS6detail15normal_iteratorINS8_7pointerIiNS8_11hip_rocprim5par_tENS8_11use_defaultESE_EEEESG_ZNS1_13binary_searchIS3_S5_NSA_INS8_10device_ptrIiEEEESG_SG_NS1_16binary_search_opENS9_16wrapped_functionINS8_6system6detail7generic6detail18binary_search_lessEbEEEE10hipError_tPvRmT1_T2_T3_mmT4_T5_P12ihipStream_tbEUlRKiE_EEST_SX_SY_mSZ_S12_bEUlT_E_NS1_11comp_targetILNS1_3genE2ELNS1_11target_archE906ELNS1_3gpuE6ELNS1_3repE0EEENS1_30default_config_static_selectorELNS0_4arch9wavefront6targetE1EEEvSW_.uses_vcc, 1
	.set _ZN7rocprim17ROCPRIM_400000_NS6detail17trampoline_kernelINS0_14default_configENS1_29binary_search_config_selectorIiiEEZNS1_14transform_implILb0ES3_S5_N6thrust23THRUST_200600_302600_NS6detail15normal_iteratorINS8_7pointerIiNS8_11hip_rocprim5par_tENS8_11use_defaultESE_EEEESG_ZNS1_13binary_searchIS3_S5_NSA_INS8_10device_ptrIiEEEESG_SG_NS1_16binary_search_opENS9_16wrapped_functionINS8_6system6detail7generic6detail18binary_search_lessEbEEEE10hipError_tPvRmT1_T2_T3_mmT4_T5_P12ihipStream_tbEUlRKiE_EEST_SX_SY_mSZ_S12_bEUlT_E_NS1_11comp_targetILNS1_3genE2ELNS1_11target_archE906ELNS1_3gpuE6ELNS1_3repE0EEENS1_30default_config_static_selectorELNS0_4arch9wavefront6targetE1EEEvSW_.uses_flat_scratch, 0
	.set _ZN7rocprim17ROCPRIM_400000_NS6detail17trampoline_kernelINS0_14default_configENS1_29binary_search_config_selectorIiiEEZNS1_14transform_implILb0ES3_S5_N6thrust23THRUST_200600_302600_NS6detail15normal_iteratorINS8_7pointerIiNS8_11hip_rocprim5par_tENS8_11use_defaultESE_EEEESG_ZNS1_13binary_searchIS3_S5_NSA_INS8_10device_ptrIiEEEESG_SG_NS1_16binary_search_opENS9_16wrapped_functionINS8_6system6detail7generic6detail18binary_search_lessEbEEEE10hipError_tPvRmT1_T2_T3_mmT4_T5_P12ihipStream_tbEUlRKiE_EEST_SX_SY_mSZ_S12_bEUlT_E_NS1_11comp_targetILNS1_3genE2ELNS1_11target_archE906ELNS1_3gpuE6ELNS1_3repE0EEENS1_30default_config_static_selectorELNS0_4arch9wavefront6targetE1EEEvSW_.has_dyn_sized_stack, 0
	.set _ZN7rocprim17ROCPRIM_400000_NS6detail17trampoline_kernelINS0_14default_configENS1_29binary_search_config_selectorIiiEEZNS1_14transform_implILb0ES3_S5_N6thrust23THRUST_200600_302600_NS6detail15normal_iteratorINS8_7pointerIiNS8_11hip_rocprim5par_tENS8_11use_defaultESE_EEEESG_ZNS1_13binary_searchIS3_S5_NSA_INS8_10device_ptrIiEEEESG_SG_NS1_16binary_search_opENS9_16wrapped_functionINS8_6system6detail7generic6detail18binary_search_lessEbEEEE10hipError_tPvRmT1_T2_T3_mmT4_T5_P12ihipStream_tbEUlRKiE_EEST_SX_SY_mSZ_S12_bEUlT_E_NS1_11comp_targetILNS1_3genE2ELNS1_11target_archE906ELNS1_3gpuE6ELNS1_3repE0EEENS1_30default_config_static_selectorELNS0_4arch9wavefront6targetE1EEEvSW_.has_recursion, 0
	.set _ZN7rocprim17ROCPRIM_400000_NS6detail17trampoline_kernelINS0_14default_configENS1_29binary_search_config_selectorIiiEEZNS1_14transform_implILb0ES3_S5_N6thrust23THRUST_200600_302600_NS6detail15normal_iteratorINS8_7pointerIiNS8_11hip_rocprim5par_tENS8_11use_defaultESE_EEEESG_ZNS1_13binary_searchIS3_S5_NSA_INS8_10device_ptrIiEEEESG_SG_NS1_16binary_search_opENS9_16wrapped_functionINS8_6system6detail7generic6detail18binary_search_lessEbEEEE10hipError_tPvRmT1_T2_T3_mmT4_T5_P12ihipStream_tbEUlRKiE_EEST_SX_SY_mSZ_S12_bEUlT_E_NS1_11comp_targetILNS1_3genE2ELNS1_11target_archE906ELNS1_3gpuE6ELNS1_3repE0EEENS1_30default_config_static_selectorELNS0_4arch9wavefront6targetE1EEEvSW_.has_indirect_call, 0
	.section	.AMDGPU.csdata,"",@progbits
; Kernel info:
; codeLenInByte = 688
; TotalNumSgprs: 24
; NumVgprs: 13
; ScratchSize: 0
; MemoryBound: 0
; FloatMode: 240
; IeeeMode: 1
; LDSByteSize: 0 bytes/workgroup (compile time only)
; SGPRBlocks: 2
; VGPRBlocks: 3
; NumSGPRsForWavesPerEU: 24
; NumVGPRsForWavesPerEU: 13
; Occupancy: 10
; WaveLimiterHint : 0
; COMPUTE_PGM_RSRC2:SCRATCH_EN: 0
; COMPUTE_PGM_RSRC2:USER_SGPR: 6
; COMPUTE_PGM_RSRC2:TRAP_HANDLER: 0
; COMPUTE_PGM_RSRC2:TGID_X_EN: 1
; COMPUTE_PGM_RSRC2:TGID_Y_EN: 0
; COMPUTE_PGM_RSRC2:TGID_Z_EN: 0
; COMPUTE_PGM_RSRC2:TIDIG_COMP_CNT: 0
	.section	.text._ZN7rocprim17ROCPRIM_400000_NS6detail17trampoline_kernelINS0_14default_configENS1_29binary_search_config_selectorIiiEEZNS1_14transform_implILb0ES3_S5_N6thrust23THRUST_200600_302600_NS6detail15normal_iteratorINS8_7pointerIiNS8_11hip_rocprim5par_tENS8_11use_defaultESE_EEEESG_ZNS1_13binary_searchIS3_S5_NSA_INS8_10device_ptrIiEEEESG_SG_NS1_16binary_search_opENS9_16wrapped_functionINS8_6system6detail7generic6detail18binary_search_lessEbEEEE10hipError_tPvRmT1_T2_T3_mmT4_T5_P12ihipStream_tbEUlRKiE_EEST_SX_SY_mSZ_S12_bEUlT_E_NS1_11comp_targetILNS1_3genE10ELNS1_11target_archE1201ELNS1_3gpuE5ELNS1_3repE0EEENS1_30default_config_static_selectorELNS0_4arch9wavefront6targetE1EEEvSW_,"axG",@progbits,_ZN7rocprim17ROCPRIM_400000_NS6detail17trampoline_kernelINS0_14default_configENS1_29binary_search_config_selectorIiiEEZNS1_14transform_implILb0ES3_S5_N6thrust23THRUST_200600_302600_NS6detail15normal_iteratorINS8_7pointerIiNS8_11hip_rocprim5par_tENS8_11use_defaultESE_EEEESG_ZNS1_13binary_searchIS3_S5_NSA_INS8_10device_ptrIiEEEESG_SG_NS1_16binary_search_opENS9_16wrapped_functionINS8_6system6detail7generic6detail18binary_search_lessEbEEEE10hipError_tPvRmT1_T2_T3_mmT4_T5_P12ihipStream_tbEUlRKiE_EEST_SX_SY_mSZ_S12_bEUlT_E_NS1_11comp_targetILNS1_3genE10ELNS1_11target_archE1201ELNS1_3gpuE5ELNS1_3repE0EEENS1_30default_config_static_selectorELNS0_4arch9wavefront6targetE1EEEvSW_,comdat
	.protected	_ZN7rocprim17ROCPRIM_400000_NS6detail17trampoline_kernelINS0_14default_configENS1_29binary_search_config_selectorIiiEEZNS1_14transform_implILb0ES3_S5_N6thrust23THRUST_200600_302600_NS6detail15normal_iteratorINS8_7pointerIiNS8_11hip_rocprim5par_tENS8_11use_defaultESE_EEEESG_ZNS1_13binary_searchIS3_S5_NSA_INS8_10device_ptrIiEEEESG_SG_NS1_16binary_search_opENS9_16wrapped_functionINS8_6system6detail7generic6detail18binary_search_lessEbEEEE10hipError_tPvRmT1_T2_T3_mmT4_T5_P12ihipStream_tbEUlRKiE_EEST_SX_SY_mSZ_S12_bEUlT_E_NS1_11comp_targetILNS1_3genE10ELNS1_11target_archE1201ELNS1_3gpuE5ELNS1_3repE0EEENS1_30default_config_static_selectorELNS0_4arch9wavefront6targetE1EEEvSW_ ; -- Begin function _ZN7rocprim17ROCPRIM_400000_NS6detail17trampoline_kernelINS0_14default_configENS1_29binary_search_config_selectorIiiEEZNS1_14transform_implILb0ES3_S5_N6thrust23THRUST_200600_302600_NS6detail15normal_iteratorINS8_7pointerIiNS8_11hip_rocprim5par_tENS8_11use_defaultESE_EEEESG_ZNS1_13binary_searchIS3_S5_NSA_INS8_10device_ptrIiEEEESG_SG_NS1_16binary_search_opENS9_16wrapped_functionINS8_6system6detail7generic6detail18binary_search_lessEbEEEE10hipError_tPvRmT1_T2_T3_mmT4_T5_P12ihipStream_tbEUlRKiE_EEST_SX_SY_mSZ_S12_bEUlT_E_NS1_11comp_targetILNS1_3genE10ELNS1_11target_archE1201ELNS1_3gpuE5ELNS1_3repE0EEENS1_30default_config_static_selectorELNS0_4arch9wavefront6targetE1EEEvSW_
	.globl	_ZN7rocprim17ROCPRIM_400000_NS6detail17trampoline_kernelINS0_14default_configENS1_29binary_search_config_selectorIiiEEZNS1_14transform_implILb0ES3_S5_N6thrust23THRUST_200600_302600_NS6detail15normal_iteratorINS8_7pointerIiNS8_11hip_rocprim5par_tENS8_11use_defaultESE_EEEESG_ZNS1_13binary_searchIS3_S5_NSA_INS8_10device_ptrIiEEEESG_SG_NS1_16binary_search_opENS9_16wrapped_functionINS8_6system6detail7generic6detail18binary_search_lessEbEEEE10hipError_tPvRmT1_T2_T3_mmT4_T5_P12ihipStream_tbEUlRKiE_EEST_SX_SY_mSZ_S12_bEUlT_E_NS1_11comp_targetILNS1_3genE10ELNS1_11target_archE1201ELNS1_3gpuE5ELNS1_3repE0EEENS1_30default_config_static_selectorELNS0_4arch9wavefront6targetE1EEEvSW_
	.p2align	8
	.type	_ZN7rocprim17ROCPRIM_400000_NS6detail17trampoline_kernelINS0_14default_configENS1_29binary_search_config_selectorIiiEEZNS1_14transform_implILb0ES3_S5_N6thrust23THRUST_200600_302600_NS6detail15normal_iteratorINS8_7pointerIiNS8_11hip_rocprim5par_tENS8_11use_defaultESE_EEEESG_ZNS1_13binary_searchIS3_S5_NSA_INS8_10device_ptrIiEEEESG_SG_NS1_16binary_search_opENS9_16wrapped_functionINS8_6system6detail7generic6detail18binary_search_lessEbEEEE10hipError_tPvRmT1_T2_T3_mmT4_T5_P12ihipStream_tbEUlRKiE_EEST_SX_SY_mSZ_S12_bEUlT_E_NS1_11comp_targetILNS1_3genE10ELNS1_11target_archE1201ELNS1_3gpuE5ELNS1_3repE0EEENS1_30default_config_static_selectorELNS0_4arch9wavefront6targetE1EEEvSW_,@function
_ZN7rocprim17ROCPRIM_400000_NS6detail17trampoline_kernelINS0_14default_configENS1_29binary_search_config_selectorIiiEEZNS1_14transform_implILb0ES3_S5_N6thrust23THRUST_200600_302600_NS6detail15normal_iteratorINS8_7pointerIiNS8_11hip_rocprim5par_tENS8_11use_defaultESE_EEEESG_ZNS1_13binary_searchIS3_S5_NSA_INS8_10device_ptrIiEEEESG_SG_NS1_16binary_search_opENS9_16wrapped_functionINS8_6system6detail7generic6detail18binary_search_lessEbEEEE10hipError_tPvRmT1_T2_T3_mmT4_T5_P12ihipStream_tbEUlRKiE_EEST_SX_SY_mSZ_S12_bEUlT_E_NS1_11comp_targetILNS1_3genE10ELNS1_11target_archE1201ELNS1_3gpuE5ELNS1_3repE0EEENS1_30default_config_static_selectorELNS0_4arch9wavefront6targetE1EEEvSW_: ; @_ZN7rocprim17ROCPRIM_400000_NS6detail17trampoline_kernelINS0_14default_configENS1_29binary_search_config_selectorIiiEEZNS1_14transform_implILb0ES3_S5_N6thrust23THRUST_200600_302600_NS6detail15normal_iteratorINS8_7pointerIiNS8_11hip_rocprim5par_tENS8_11use_defaultESE_EEEESG_ZNS1_13binary_searchIS3_S5_NSA_INS8_10device_ptrIiEEEESG_SG_NS1_16binary_search_opENS9_16wrapped_functionINS8_6system6detail7generic6detail18binary_search_lessEbEEEE10hipError_tPvRmT1_T2_T3_mmT4_T5_P12ihipStream_tbEUlRKiE_EEST_SX_SY_mSZ_S12_bEUlT_E_NS1_11comp_targetILNS1_3genE10ELNS1_11target_archE1201ELNS1_3gpuE5ELNS1_3repE0EEENS1_30default_config_static_selectorELNS0_4arch9wavefront6targetE1EEEvSW_
; %bb.0:
	.section	.rodata,"a",@progbits
	.p2align	6, 0x0
	.amdhsa_kernel _ZN7rocprim17ROCPRIM_400000_NS6detail17trampoline_kernelINS0_14default_configENS1_29binary_search_config_selectorIiiEEZNS1_14transform_implILb0ES3_S5_N6thrust23THRUST_200600_302600_NS6detail15normal_iteratorINS8_7pointerIiNS8_11hip_rocprim5par_tENS8_11use_defaultESE_EEEESG_ZNS1_13binary_searchIS3_S5_NSA_INS8_10device_ptrIiEEEESG_SG_NS1_16binary_search_opENS9_16wrapped_functionINS8_6system6detail7generic6detail18binary_search_lessEbEEEE10hipError_tPvRmT1_T2_T3_mmT4_T5_P12ihipStream_tbEUlRKiE_EEST_SX_SY_mSZ_S12_bEUlT_E_NS1_11comp_targetILNS1_3genE10ELNS1_11target_archE1201ELNS1_3gpuE5ELNS1_3repE0EEENS1_30default_config_static_selectorELNS0_4arch9wavefront6targetE1EEEvSW_
		.amdhsa_group_segment_fixed_size 0
		.amdhsa_private_segment_fixed_size 0
		.amdhsa_kernarg_size 56
		.amdhsa_user_sgpr_count 6
		.amdhsa_user_sgpr_private_segment_buffer 1
		.amdhsa_user_sgpr_dispatch_ptr 0
		.amdhsa_user_sgpr_queue_ptr 0
		.amdhsa_user_sgpr_kernarg_segment_ptr 1
		.amdhsa_user_sgpr_dispatch_id 0
		.amdhsa_user_sgpr_flat_scratch_init 0
		.amdhsa_user_sgpr_private_segment_size 0
		.amdhsa_uses_dynamic_stack 0
		.amdhsa_system_sgpr_private_segment_wavefront_offset 0
		.amdhsa_system_sgpr_workgroup_id_x 1
		.amdhsa_system_sgpr_workgroup_id_y 0
		.amdhsa_system_sgpr_workgroup_id_z 0
		.amdhsa_system_sgpr_workgroup_info 0
		.amdhsa_system_vgpr_workitem_id 0
		.amdhsa_next_free_vgpr 1
		.amdhsa_next_free_sgpr 0
		.amdhsa_reserve_vcc 0
		.amdhsa_reserve_flat_scratch 0
		.amdhsa_float_round_mode_32 0
		.amdhsa_float_round_mode_16_64 0
		.amdhsa_float_denorm_mode_32 3
		.amdhsa_float_denorm_mode_16_64 3
		.amdhsa_dx10_clamp 1
		.amdhsa_ieee_mode 1
		.amdhsa_fp16_overflow 0
		.amdhsa_exception_fp_ieee_invalid_op 0
		.amdhsa_exception_fp_denorm_src 0
		.amdhsa_exception_fp_ieee_div_zero 0
		.amdhsa_exception_fp_ieee_overflow 0
		.amdhsa_exception_fp_ieee_underflow 0
		.amdhsa_exception_fp_ieee_inexact 0
		.amdhsa_exception_int_div_zero 0
	.end_amdhsa_kernel
	.section	.text._ZN7rocprim17ROCPRIM_400000_NS6detail17trampoline_kernelINS0_14default_configENS1_29binary_search_config_selectorIiiEEZNS1_14transform_implILb0ES3_S5_N6thrust23THRUST_200600_302600_NS6detail15normal_iteratorINS8_7pointerIiNS8_11hip_rocprim5par_tENS8_11use_defaultESE_EEEESG_ZNS1_13binary_searchIS3_S5_NSA_INS8_10device_ptrIiEEEESG_SG_NS1_16binary_search_opENS9_16wrapped_functionINS8_6system6detail7generic6detail18binary_search_lessEbEEEE10hipError_tPvRmT1_T2_T3_mmT4_T5_P12ihipStream_tbEUlRKiE_EEST_SX_SY_mSZ_S12_bEUlT_E_NS1_11comp_targetILNS1_3genE10ELNS1_11target_archE1201ELNS1_3gpuE5ELNS1_3repE0EEENS1_30default_config_static_selectorELNS0_4arch9wavefront6targetE1EEEvSW_,"axG",@progbits,_ZN7rocprim17ROCPRIM_400000_NS6detail17trampoline_kernelINS0_14default_configENS1_29binary_search_config_selectorIiiEEZNS1_14transform_implILb0ES3_S5_N6thrust23THRUST_200600_302600_NS6detail15normal_iteratorINS8_7pointerIiNS8_11hip_rocprim5par_tENS8_11use_defaultESE_EEEESG_ZNS1_13binary_searchIS3_S5_NSA_INS8_10device_ptrIiEEEESG_SG_NS1_16binary_search_opENS9_16wrapped_functionINS8_6system6detail7generic6detail18binary_search_lessEbEEEE10hipError_tPvRmT1_T2_T3_mmT4_T5_P12ihipStream_tbEUlRKiE_EEST_SX_SY_mSZ_S12_bEUlT_E_NS1_11comp_targetILNS1_3genE10ELNS1_11target_archE1201ELNS1_3gpuE5ELNS1_3repE0EEENS1_30default_config_static_selectorELNS0_4arch9wavefront6targetE1EEEvSW_,comdat
.Lfunc_end712:
	.size	_ZN7rocprim17ROCPRIM_400000_NS6detail17trampoline_kernelINS0_14default_configENS1_29binary_search_config_selectorIiiEEZNS1_14transform_implILb0ES3_S5_N6thrust23THRUST_200600_302600_NS6detail15normal_iteratorINS8_7pointerIiNS8_11hip_rocprim5par_tENS8_11use_defaultESE_EEEESG_ZNS1_13binary_searchIS3_S5_NSA_INS8_10device_ptrIiEEEESG_SG_NS1_16binary_search_opENS9_16wrapped_functionINS8_6system6detail7generic6detail18binary_search_lessEbEEEE10hipError_tPvRmT1_T2_T3_mmT4_T5_P12ihipStream_tbEUlRKiE_EEST_SX_SY_mSZ_S12_bEUlT_E_NS1_11comp_targetILNS1_3genE10ELNS1_11target_archE1201ELNS1_3gpuE5ELNS1_3repE0EEENS1_30default_config_static_selectorELNS0_4arch9wavefront6targetE1EEEvSW_, .Lfunc_end712-_ZN7rocprim17ROCPRIM_400000_NS6detail17trampoline_kernelINS0_14default_configENS1_29binary_search_config_selectorIiiEEZNS1_14transform_implILb0ES3_S5_N6thrust23THRUST_200600_302600_NS6detail15normal_iteratorINS8_7pointerIiNS8_11hip_rocprim5par_tENS8_11use_defaultESE_EEEESG_ZNS1_13binary_searchIS3_S5_NSA_INS8_10device_ptrIiEEEESG_SG_NS1_16binary_search_opENS9_16wrapped_functionINS8_6system6detail7generic6detail18binary_search_lessEbEEEE10hipError_tPvRmT1_T2_T3_mmT4_T5_P12ihipStream_tbEUlRKiE_EEST_SX_SY_mSZ_S12_bEUlT_E_NS1_11comp_targetILNS1_3genE10ELNS1_11target_archE1201ELNS1_3gpuE5ELNS1_3repE0EEENS1_30default_config_static_selectorELNS0_4arch9wavefront6targetE1EEEvSW_
                                        ; -- End function
	.set _ZN7rocprim17ROCPRIM_400000_NS6detail17trampoline_kernelINS0_14default_configENS1_29binary_search_config_selectorIiiEEZNS1_14transform_implILb0ES3_S5_N6thrust23THRUST_200600_302600_NS6detail15normal_iteratorINS8_7pointerIiNS8_11hip_rocprim5par_tENS8_11use_defaultESE_EEEESG_ZNS1_13binary_searchIS3_S5_NSA_INS8_10device_ptrIiEEEESG_SG_NS1_16binary_search_opENS9_16wrapped_functionINS8_6system6detail7generic6detail18binary_search_lessEbEEEE10hipError_tPvRmT1_T2_T3_mmT4_T5_P12ihipStream_tbEUlRKiE_EEST_SX_SY_mSZ_S12_bEUlT_E_NS1_11comp_targetILNS1_3genE10ELNS1_11target_archE1201ELNS1_3gpuE5ELNS1_3repE0EEENS1_30default_config_static_selectorELNS0_4arch9wavefront6targetE1EEEvSW_.num_vgpr, 0
	.set _ZN7rocprim17ROCPRIM_400000_NS6detail17trampoline_kernelINS0_14default_configENS1_29binary_search_config_selectorIiiEEZNS1_14transform_implILb0ES3_S5_N6thrust23THRUST_200600_302600_NS6detail15normal_iteratorINS8_7pointerIiNS8_11hip_rocprim5par_tENS8_11use_defaultESE_EEEESG_ZNS1_13binary_searchIS3_S5_NSA_INS8_10device_ptrIiEEEESG_SG_NS1_16binary_search_opENS9_16wrapped_functionINS8_6system6detail7generic6detail18binary_search_lessEbEEEE10hipError_tPvRmT1_T2_T3_mmT4_T5_P12ihipStream_tbEUlRKiE_EEST_SX_SY_mSZ_S12_bEUlT_E_NS1_11comp_targetILNS1_3genE10ELNS1_11target_archE1201ELNS1_3gpuE5ELNS1_3repE0EEENS1_30default_config_static_selectorELNS0_4arch9wavefront6targetE1EEEvSW_.num_agpr, 0
	.set _ZN7rocprim17ROCPRIM_400000_NS6detail17trampoline_kernelINS0_14default_configENS1_29binary_search_config_selectorIiiEEZNS1_14transform_implILb0ES3_S5_N6thrust23THRUST_200600_302600_NS6detail15normal_iteratorINS8_7pointerIiNS8_11hip_rocprim5par_tENS8_11use_defaultESE_EEEESG_ZNS1_13binary_searchIS3_S5_NSA_INS8_10device_ptrIiEEEESG_SG_NS1_16binary_search_opENS9_16wrapped_functionINS8_6system6detail7generic6detail18binary_search_lessEbEEEE10hipError_tPvRmT1_T2_T3_mmT4_T5_P12ihipStream_tbEUlRKiE_EEST_SX_SY_mSZ_S12_bEUlT_E_NS1_11comp_targetILNS1_3genE10ELNS1_11target_archE1201ELNS1_3gpuE5ELNS1_3repE0EEENS1_30default_config_static_selectorELNS0_4arch9wavefront6targetE1EEEvSW_.numbered_sgpr, 0
	.set _ZN7rocprim17ROCPRIM_400000_NS6detail17trampoline_kernelINS0_14default_configENS1_29binary_search_config_selectorIiiEEZNS1_14transform_implILb0ES3_S5_N6thrust23THRUST_200600_302600_NS6detail15normal_iteratorINS8_7pointerIiNS8_11hip_rocprim5par_tENS8_11use_defaultESE_EEEESG_ZNS1_13binary_searchIS3_S5_NSA_INS8_10device_ptrIiEEEESG_SG_NS1_16binary_search_opENS9_16wrapped_functionINS8_6system6detail7generic6detail18binary_search_lessEbEEEE10hipError_tPvRmT1_T2_T3_mmT4_T5_P12ihipStream_tbEUlRKiE_EEST_SX_SY_mSZ_S12_bEUlT_E_NS1_11comp_targetILNS1_3genE10ELNS1_11target_archE1201ELNS1_3gpuE5ELNS1_3repE0EEENS1_30default_config_static_selectorELNS0_4arch9wavefront6targetE1EEEvSW_.num_named_barrier, 0
	.set _ZN7rocprim17ROCPRIM_400000_NS6detail17trampoline_kernelINS0_14default_configENS1_29binary_search_config_selectorIiiEEZNS1_14transform_implILb0ES3_S5_N6thrust23THRUST_200600_302600_NS6detail15normal_iteratorINS8_7pointerIiNS8_11hip_rocprim5par_tENS8_11use_defaultESE_EEEESG_ZNS1_13binary_searchIS3_S5_NSA_INS8_10device_ptrIiEEEESG_SG_NS1_16binary_search_opENS9_16wrapped_functionINS8_6system6detail7generic6detail18binary_search_lessEbEEEE10hipError_tPvRmT1_T2_T3_mmT4_T5_P12ihipStream_tbEUlRKiE_EEST_SX_SY_mSZ_S12_bEUlT_E_NS1_11comp_targetILNS1_3genE10ELNS1_11target_archE1201ELNS1_3gpuE5ELNS1_3repE0EEENS1_30default_config_static_selectorELNS0_4arch9wavefront6targetE1EEEvSW_.private_seg_size, 0
	.set _ZN7rocprim17ROCPRIM_400000_NS6detail17trampoline_kernelINS0_14default_configENS1_29binary_search_config_selectorIiiEEZNS1_14transform_implILb0ES3_S5_N6thrust23THRUST_200600_302600_NS6detail15normal_iteratorINS8_7pointerIiNS8_11hip_rocprim5par_tENS8_11use_defaultESE_EEEESG_ZNS1_13binary_searchIS3_S5_NSA_INS8_10device_ptrIiEEEESG_SG_NS1_16binary_search_opENS9_16wrapped_functionINS8_6system6detail7generic6detail18binary_search_lessEbEEEE10hipError_tPvRmT1_T2_T3_mmT4_T5_P12ihipStream_tbEUlRKiE_EEST_SX_SY_mSZ_S12_bEUlT_E_NS1_11comp_targetILNS1_3genE10ELNS1_11target_archE1201ELNS1_3gpuE5ELNS1_3repE0EEENS1_30default_config_static_selectorELNS0_4arch9wavefront6targetE1EEEvSW_.uses_vcc, 0
	.set _ZN7rocprim17ROCPRIM_400000_NS6detail17trampoline_kernelINS0_14default_configENS1_29binary_search_config_selectorIiiEEZNS1_14transform_implILb0ES3_S5_N6thrust23THRUST_200600_302600_NS6detail15normal_iteratorINS8_7pointerIiNS8_11hip_rocprim5par_tENS8_11use_defaultESE_EEEESG_ZNS1_13binary_searchIS3_S5_NSA_INS8_10device_ptrIiEEEESG_SG_NS1_16binary_search_opENS9_16wrapped_functionINS8_6system6detail7generic6detail18binary_search_lessEbEEEE10hipError_tPvRmT1_T2_T3_mmT4_T5_P12ihipStream_tbEUlRKiE_EEST_SX_SY_mSZ_S12_bEUlT_E_NS1_11comp_targetILNS1_3genE10ELNS1_11target_archE1201ELNS1_3gpuE5ELNS1_3repE0EEENS1_30default_config_static_selectorELNS0_4arch9wavefront6targetE1EEEvSW_.uses_flat_scratch, 0
	.set _ZN7rocprim17ROCPRIM_400000_NS6detail17trampoline_kernelINS0_14default_configENS1_29binary_search_config_selectorIiiEEZNS1_14transform_implILb0ES3_S5_N6thrust23THRUST_200600_302600_NS6detail15normal_iteratorINS8_7pointerIiNS8_11hip_rocprim5par_tENS8_11use_defaultESE_EEEESG_ZNS1_13binary_searchIS3_S5_NSA_INS8_10device_ptrIiEEEESG_SG_NS1_16binary_search_opENS9_16wrapped_functionINS8_6system6detail7generic6detail18binary_search_lessEbEEEE10hipError_tPvRmT1_T2_T3_mmT4_T5_P12ihipStream_tbEUlRKiE_EEST_SX_SY_mSZ_S12_bEUlT_E_NS1_11comp_targetILNS1_3genE10ELNS1_11target_archE1201ELNS1_3gpuE5ELNS1_3repE0EEENS1_30default_config_static_selectorELNS0_4arch9wavefront6targetE1EEEvSW_.has_dyn_sized_stack, 0
	.set _ZN7rocprim17ROCPRIM_400000_NS6detail17trampoline_kernelINS0_14default_configENS1_29binary_search_config_selectorIiiEEZNS1_14transform_implILb0ES3_S5_N6thrust23THRUST_200600_302600_NS6detail15normal_iteratorINS8_7pointerIiNS8_11hip_rocprim5par_tENS8_11use_defaultESE_EEEESG_ZNS1_13binary_searchIS3_S5_NSA_INS8_10device_ptrIiEEEESG_SG_NS1_16binary_search_opENS9_16wrapped_functionINS8_6system6detail7generic6detail18binary_search_lessEbEEEE10hipError_tPvRmT1_T2_T3_mmT4_T5_P12ihipStream_tbEUlRKiE_EEST_SX_SY_mSZ_S12_bEUlT_E_NS1_11comp_targetILNS1_3genE10ELNS1_11target_archE1201ELNS1_3gpuE5ELNS1_3repE0EEENS1_30default_config_static_selectorELNS0_4arch9wavefront6targetE1EEEvSW_.has_recursion, 0
	.set _ZN7rocprim17ROCPRIM_400000_NS6detail17trampoline_kernelINS0_14default_configENS1_29binary_search_config_selectorIiiEEZNS1_14transform_implILb0ES3_S5_N6thrust23THRUST_200600_302600_NS6detail15normal_iteratorINS8_7pointerIiNS8_11hip_rocprim5par_tENS8_11use_defaultESE_EEEESG_ZNS1_13binary_searchIS3_S5_NSA_INS8_10device_ptrIiEEEESG_SG_NS1_16binary_search_opENS9_16wrapped_functionINS8_6system6detail7generic6detail18binary_search_lessEbEEEE10hipError_tPvRmT1_T2_T3_mmT4_T5_P12ihipStream_tbEUlRKiE_EEST_SX_SY_mSZ_S12_bEUlT_E_NS1_11comp_targetILNS1_3genE10ELNS1_11target_archE1201ELNS1_3gpuE5ELNS1_3repE0EEENS1_30default_config_static_selectorELNS0_4arch9wavefront6targetE1EEEvSW_.has_indirect_call, 0
	.section	.AMDGPU.csdata,"",@progbits
; Kernel info:
; codeLenInByte = 0
; TotalNumSgprs: 4
; NumVgprs: 0
; ScratchSize: 0
; MemoryBound: 0
; FloatMode: 240
; IeeeMode: 1
; LDSByteSize: 0 bytes/workgroup (compile time only)
; SGPRBlocks: 0
; VGPRBlocks: 0
; NumSGPRsForWavesPerEU: 4
; NumVGPRsForWavesPerEU: 1
; Occupancy: 10
; WaveLimiterHint : 0
; COMPUTE_PGM_RSRC2:SCRATCH_EN: 0
; COMPUTE_PGM_RSRC2:USER_SGPR: 6
; COMPUTE_PGM_RSRC2:TRAP_HANDLER: 0
; COMPUTE_PGM_RSRC2:TGID_X_EN: 1
; COMPUTE_PGM_RSRC2:TGID_Y_EN: 0
; COMPUTE_PGM_RSRC2:TGID_Z_EN: 0
; COMPUTE_PGM_RSRC2:TIDIG_COMP_CNT: 0
	.section	.text._ZN7rocprim17ROCPRIM_400000_NS6detail17trampoline_kernelINS0_14default_configENS1_29binary_search_config_selectorIiiEEZNS1_14transform_implILb0ES3_S5_N6thrust23THRUST_200600_302600_NS6detail15normal_iteratorINS8_7pointerIiNS8_11hip_rocprim5par_tENS8_11use_defaultESE_EEEESG_ZNS1_13binary_searchIS3_S5_NSA_INS8_10device_ptrIiEEEESG_SG_NS1_16binary_search_opENS9_16wrapped_functionINS8_6system6detail7generic6detail18binary_search_lessEbEEEE10hipError_tPvRmT1_T2_T3_mmT4_T5_P12ihipStream_tbEUlRKiE_EEST_SX_SY_mSZ_S12_bEUlT_E_NS1_11comp_targetILNS1_3genE10ELNS1_11target_archE1200ELNS1_3gpuE4ELNS1_3repE0EEENS1_30default_config_static_selectorELNS0_4arch9wavefront6targetE1EEEvSW_,"axG",@progbits,_ZN7rocprim17ROCPRIM_400000_NS6detail17trampoline_kernelINS0_14default_configENS1_29binary_search_config_selectorIiiEEZNS1_14transform_implILb0ES3_S5_N6thrust23THRUST_200600_302600_NS6detail15normal_iteratorINS8_7pointerIiNS8_11hip_rocprim5par_tENS8_11use_defaultESE_EEEESG_ZNS1_13binary_searchIS3_S5_NSA_INS8_10device_ptrIiEEEESG_SG_NS1_16binary_search_opENS9_16wrapped_functionINS8_6system6detail7generic6detail18binary_search_lessEbEEEE10hipError_tPvRmT1_T2_T3_mmT4_T5_P12ihipStream_tbEUlRKiE_EEST_SX_SY_mSZ_S12_bEUlT_E_NS1_11comp_targetILNS1_3genE10ELNS1_11target_archE1200ELNS1_3gpuE4ELNS1_3repE0EEENS1_30default_config_static_selectorELNS0_4arch9wavefront6targetE1EEEvSW_,comdat
	.protected	_ZN7rocprim17ROCPRIM_400000_NS6detail17trampoline_kernelINS0_14default_configENS1_29binary_search_config_selectorIiiEEZNS1_14transform_implILb0ES3_S5_N6thrust23THRUST_200600_302600_NS6detail15normal_iteratorINS8_7pointerIiNS8_11hip_rocprim5par_tENS8_11use_defaultESE_EEEESG_ZNS1_13binary_searchIS3_S5_NSA_INS8_10device_ptrIiEEEESG_SG_NS1_16binary_search_opENS9_16wrapped_functionINS8_6system6detail7generic6detail18binary_search_lessEbEEEE10hipError_tPvRmT1_T2_T3_mmT4_T5_P12ihipStream_tbEUlRKiE_EEST_SX_SY_mSZ_S12_bEUlT_E_NS1_11comp_targetILNS1_3genE10ELNS1_11target_archE1200ELNS1_3gpuE4ELNS1_3repE0EEENS1_30default_config_static_selectorELNS0_4arch9wavefront6targetE1EEEvSW_ ; -- Begin function _ZN7rocprim17ROCPRIM_400000_NS6detail17trampoline_kernelINS0_14default_configENS1_29binary_search_config_selectorIiiEEZNS1_14transform_implILb0ES3_S5_N6thrust23THRUST_200600_302600_NS6detail15normal_iteratorINS8_7pointerIiNS8_11hip_rocprim5par_tENS8_11use_defaultESE_EEEESG_ZNS1_13binary_searchIS3_S5_NSA_INS8_10device_ptrIiEEEESG_SG_NS1_16binary_search_opENS9_16wrapped_functionINS8_6system6detail7generic6detail18binary_search_lessEbEEEE10hipError_tPvRmT1_T2_T3_mmT4_T5_P12ihipStream_tbEUlRKiE_EEST_SX_SY_mSZ_S12_bEUlT_E_NS1_11comp_targetILNS1_3genE10ELNS1_11target_archE1200ELNS1_3gpuE4ELNS1_3repE0EEENS1_30default_config_static_selectorELNS0_4arch9wavefront6targetE1EEEvSW_
	.globl	_ZN7rocprim17ROCPRIM_400000_NS6detail17trampoline_kernelINS0_14default_configENS1_29binary_search_config_selectorIiiEEZNS1_14transform_implILb0ES3_S5_N6thrust23THRUST_200600_302600_NS6detail15normal_iteratorINS8_7pointerIiNS8_11hip_rocprim5par_tENS8_11use_defaultESE_EEEESG_ZNS1_13binary_searchIS3_S5_NSA_INS8_10device_ptrIiEEEESG_SG_NS1_16binary_search_opENS9_16wrapped_functionINS8_6system6detail7generic6detail18binary_search_lessEbEEEE10hipError_tPvRmT1_T2_T3_mmT4_T5_P12ihipStream_tbEUlRKiE_EEST_SX_SY_mSZ_S12_bEUlT_E_NS1_11comp_targetILNS1_3genE10ELNS1_11target_archE1200ELNS1_3gpuE4ELNS1_3repE0EEENS1_30default_config_static_selectorELNS0_4arch9wavefront6targetE1EEEvSW_
	.p2align	8
	.type	_ZN7rocprim17ROCPRIM_400000_NS6detail17trampoline_kernelINS0_14default_configENS1_29binary_search_config_selectorIiiEEZNS1_14transform_implILb0ES3_S5_N6thrust23THRUST_200600_302600_NS6detail15normal_iteratorINS8_7pointerIiNS8_11hip_rocprim5par_tENS8_11use_defaultESE_EEEESG_ZNS1_13binary_searchIS3_S5_NSA_INS8_10device_ptrIiEEEESG_SG_NS1_16binary_search_opENS9_16wrapped_functionINS8_6system6detail7generic6detail18binary_search_lessEbEEEE10hipError_tPvRmT1_T2_T3_mmT4_T5_P12ihipStream_tbEUlRKiE_EEST_SX_SY_mSZ_S12_bEUlT_E_NS1_11comp_targetILNS1_3genE10ELNS1_11target_archE1200ELNS1_3gpuE4ELNS1_3repE0EEENS1_30default_config_static_selectorELNS0_4arch9wavefront6targetE1EEEvSW_,@function
_ZN7rocprim17ROCPRIM_400000_NS6detail17trampoline_kernelINS0_14default_configENS1_29binary_search_config_selectorIiiEEZNS1_14transform_implILb0ES3_S5_N6thrust23THRUST_200600_302600_NS6detail15normal_iteratorINS8_7pointerIiNS8_11hip_rocprim5par_tENS8_11use_defaultESE_EEEESG_ZNS1_13binary_searchIS3_S5_NSA_INS8_10device_ptrIiEEEESG_SG_NS1_16binary_search_opENS9_16wrapped_functionINS8_6system6detail7generic6detail18binary_search_lessEbEEEE10hipError_tPvRmT1_T2_T3_mmT4_T5_P12ihipStream_tbEUlRKiE_EEST_SX_SY_mSZ_S12_bEUlT_E_NS1_11comp_targetILNS1_3genE10ELNS1_11target_archE1200ELNS1_3gpuE4ELNS1_3repE0EEENS1_30default_config_static_selectorELNS0_4arch9wavefront6targetE1EEEvSW_: ; @_ZN7rocprim17ROCPRIM_400000_NS6detail17trampoline_kernelINS0_14default_configENS1_29binary_search_config_selectorIiiEEZNS1_14transform_implILb0ES3_S5_N6thrust23THRUST_200600_302600_NS6detail15normal_iteratorINS8_7pointerIiNS8_11hip_rocprim5par_tENS8_11use_defaultESE_EEEESG_ZNS1_13binary_searchIS3_S5_NSA_INS8_10device_ptrIiEEEESG_SG_NS1_16binary_search_opENS9_16wrapped_functionINS8_6system6detail7generic6detail18binary_search_lessEbEEEE10hipError_tPvRmT1_T2_T3_mmT4_T5_P12ihipStream_tbEUlRKiE_EEST_SX_SY_mSZ_S12_bEUlT_E_NS1_11comp_targetILNS1_3genE10ELNS1_11target_archE1200ELNS1_3gpuE4ELNS1_3repE0EEENS1_30default_config_static_selectorELNS0_4arch9wavefront6targetE1EEEvSW_
; %bb.0:
	.section	.rodata,"a",@progbits
	.p2align	6, 0x0
	.amdhsa_kernel _ZN7rocprim17ROCPRIM_400000_NS6detail17trampoline_kernelINS0_14default_configENS1_29binary_search_config_selectorIiiEEZNS1_14transform_implILb0ES3_S5_N6thrust23THRUST_200600_302600_NS6detail15normal_iteratorINS8_7pointerIiNS8_11hip_rocprim5par_tENS8_11use_defaultESE_EEEESG_ZNS1_13binary_searchIS3_S5_NSA_INS8_10device_ptrIiEEEESG_SG_NS1_16binary_search_opENS9_16wrapped_functionINS8_6system6detail7generic6detail18binary_search_lessEbEEEE10hipError_tPvRmT1_T2_T3_mmT4_T5_P12ihipStream_tbEUlRKiE_EEST_SX_SY_mSZ_S12_bEUlT_E_NS1_11comp_targetILNS1_3genE10ELNS1_11target_archE1200ELNS1_3gpuE4ELNS1_3repE0EEENS1_30default_config_static_selectorELNS0_4arch9wavefront6targetE1EEEvSW_
		.amdhsa_group_segment_fixed_size 0
		.amdhsa_private_segment_fixed_size 0
		.amdhsa_kernarg_size 56
		.amdhsa_user_sgpr_count 6
		.amdhsa_user_sgpr_private_segment_buffer 1
		.amdhsa_user_sgpr_dispatch_ptr 0
		.amdhsa_user_sgpr_queue_ptr 0
		.amdhsa_user_sgpr_kernarg_segment_ptr 1
		.amdhsa_user_sgpr_dispatch_id 0
		.amdhsa_user_sgpr_flat_scratch_init 0
		.amdhsa_user_sgpr_private_segment_size 0
		.amdhsa_uses_dynamic_stack 0
		.amdhsa_system_sgpr_private_segment_wavefront_offset 0
		.amdhsa_system_sgpr_workgroup_id_x 1
		.amdhsa_system_sgpr_workgroup_id_y 0
		.amdhsa_system_sgpr_workgroup_id_z 0
		.amdhsa_system_sgpr_workgroup_info 0
		.amdhsa_system_vgpr_workitem_id 0
		.amdhsa_next_free_vgpr 1
		.amdhsa_next_free_sgpr 0
		.amdhsa_reserve_vcc 0
		.amdhsa_reserve_flat_scratch 0
		.amdhsa_float_round_mode_32 0
		.amdhsa_float_round_mode_16_64 0
		.amdhsa_float_denorm_mode_32 3
		.amdhsa_float_denorm_mode_16_64 3
		.amdhsa_dx10_clamp 1
		.amdhsa_ieee_mode 1
		.amdhsa_fp16_overflow 0
		.amdhsa_exception_fp_ieee_invalid_op 0
		.amdhsa_exception_fp_denorm_src 0
		.amdhsa_exception_fp_ieee_div_zero 0
		.amdhsa_exception_fp_ieee_overflow 0
		.amdhsa_exception_fp_ieee_underflow 0
		.amdhsa_exception_fp_ieee_inexact 0
		.amdhsa_exception_int_div_zero 0
	.end_amdhsa_kernel
	.section	.text._ZN7rocprim17ROCPRIM_400000_NS6detail17trampoline_kernelINS0_14default_configENS1_29binary_search_config_selectorIiiEEZNS1_14transform_implILb0ES3_S5_N6thrust23THRUST_200600_302600_NS6detail15normal_iteratorINS8_7pointerIiNS8_11hip_rocprim5par_tENS8_11use_defaultESE_EEEESG_ZNS1_13binary_searchIS3_S5_NSA_INS8_10device_ptrIiEEEESG_SG_NS1_16binary_search_opENS9_16wrapped_functionINS8_6system6detail7generic6detail18binary_search_lessEbEEEE10hipError_tPvRmT1_T2_T3_mmT4_T5_P12ihipStream_tbEUlRKiE_EEST_SX_SY_mSZ_S12_bEUlT_E_NS1_11comp_targetILNS1_3genE10ELNS1_11target_archE1200ELNS1_3gpuE4ELNS1_3repE0EEENS1_30default_config_static_selectorELNS0_4arch9wavefront6targetE1EEEvSW_,"axG",@progbits,_ZN7rocprim17ROCPRIM_400000_NS6detail17trampoline_kernelINS0_14default_configENS1_29binary_search_config_selectorIiiEEZNS1_14transform_implILb0ES3_S5_N6thrust23THRUST_200600_302600_NS6detail15normal_iteratorINS8_7pointerIiNS8_11hip_rocprim5par_tENS8_11use_defaultESE_EEEESG_ZNS1_13binary_searchIS3_S5_NSA_INS8_10device_ptrIiEEEESG_SG_NS1_16binary_search_opENS9_16wrapped_functionINS8_6system6detail7generic6detail18binary_search_lessEbEEEE10hipError_tPvRmT1_T2_T3_mmT4_T5_P12ihipStream_tbEUlRKiE_EEST_SX_SY_mSZ_S12_bEUlT_E_NS1_11comp_targetILNS1_3genE10ELNS1_11target_archE1200ELNS1_3gpuE4ELNS1_3repE0EEENS1_30default_config_static_selectorELNS0_4arch9wavefront6targetE1EEEvSW_,comdat
.Lfunc_end713:
	.size	_ZN7rocprim17ROCPRIM_400000_NS6detail17trampoline_kernelINS0_14default_configENS1_29binary_search_config_selectorIiiEEZNS1_14transform_implILb0ES3_S5_N6thrust23THRUST_200600_302600_NS6detail15normal_iteratorINS8_7pointerIiNS8_11hip_rocprim5par_tENS8_11use_defaultESE_EEEESG_ZNS1_13binary_searchIS3_S5_NSA_INS8_10device_ptrIiEEEESG_SG_NS1_16binary_search_opENS9_16wrapped_functionINS8_6system6detail7generic6detail18binary_search_lessEbEEEE10hipError_tPvRmT1_T2_T3_mmT4_T5_P12ihipStream_tbEUlRKiE_EEST_SX_SY_mSZ_S12_bEUlT_E_NS1_11comp_targetILNS1_3genE10ELNS1_11target_archE1200ELNS1_3gpuE4ELNS1_3repE0EEENS1_30default_config_static_selectorELNS0_4arch9wavefront6targetE1EEEvSW_, .Lfunc_end713-_ZN7rocprim17ROCPRIM_400000_NS6detail17trampoline_kernelINS0_14default_configENS1_29binary_search_config_selectorIiiEEZNS1_14transform_implILb0ES3_S5_N6thrust23THRUST_200600_302600_NS6detail15normal_iteratorINS8_7pointerIiNS8_11hip_rocprim5par_tENS8_11use_defaultESE_EEEESG_ZNS1_13binary_searchIS3_S5_NSA_INS8_10device_ptrIiEEEESG_SG_NS1_16binary_search_opENS9_16wrapped_functionINS8_6system6detail7generic6detail18binary_search_lessEbEEEE10hipError_tPvRmT1_T2_T3_mmT4_T5_P12ihipStream_tbEUlRKiE_EEST_SX_SY_mSZ_S12_bEUlT_E_NS1_11comp_targetILNS1_3genE10ELNS1_11target_archE1200ELNS1_3gpuE4ELNS1_3repE0EEENS1_30default_config_static_selectorELNS0_4arch9wavefront6targetE1EEEvSW_
                                        ; -- End function
	.set _ZN7rocprim17ROCPRIM_400000_NS6detail17trampoline_kernelINS0_14default_configENS1_29binary_search_config_selectorIiiEEZNS1_14transform_implILb0ES3_S5_N6thrust23THRUST_200600_302600_NS6detail15normal_iteratorINS8_7pointerIiNS8_11hip_rocprim5par_tENS8_11use_defaultESE_EEEESG_ZNS1_13binary_searchIS3_S5_NSA_INS8_10device_ptrIiEEEESG_SG_NS1_16binary_search_opENS9_16wrapped_functionINS8_6system6detail7generic6detail18binary_search_lessEbEEEE10hipError_tPvRmT1_T2_T3_mmT4_T5_P12ihipStream_tbEUlRKiE_EEST_SX_SY_mSZ_S12_bEUlT_E_NS1_11comp_targetILNS1_3genE10ELNS1_11target_archE1200ELNS1_3gpuE4ELNS1_3repE0EEENS1_30default_config_static_selectorELNS0_4arch9wavefront6targetE1EEEvSW_.num_vgpr, 0
	.set _ZN7rocprim17ROCPRIM_400000_NS6detail17trampoline_kernelINS0_14default_configENS1_29binary_search_config_selectorIiiEEZNS1_14transform_implILb0ES3_S5_N6thrust23THRUST_200600_302600_NS6detail15normal_iteratorINS8_7pointerIiNS8_11hip_rocprim5par_tENS8_11use_defaultESE_EEEESG_ZNS1_13binary_searchIS3_S5_NSA_INS8_10device_ptrIiEEEESG_SG_NS1_16binary_search_opENS9_16wrapped_functionINS8_6system6detail7generic6detail18binary_search_lessEbEEEE10hipError_tPvRmT1_T2_T3_mmT4_T5_P12ihipStream_tbEUlRKiE_EEST_SX_SY_mSZ_S12_bEUlT_E_NS1_11comp_targetILNS1_3genE10ELNS1_11target_archE1200ELNS1_3gpuE4ELNS1_3repE0EEENS1_30default_config_static_selectorELNS0_4arch9wavefront6targetE1EEEvSW_.num_agpr, 0
	.set _ZN7rocprim17ROCPRIM_400000_NS6detail17trampoline_kernelINS0_14default_configENS1_29binary_search_config_selectorIiiEEZNS1_14transform_implILb0ES3_S5_N6thrust23THRUST_200600_302600_NS6detail15normal_iteratorINS8_7pointerIiNS8_11hip_rocprim5par_tENS8_11use_defaultESE_EEEESG_ZNS1_13binary_searchIS3_S5_NSA_INS8_10device_ptrIiEEEESG_SG_NS1_16binary_search_opENS9_16wrapped_functionINS8_6system6detail7generic6detail18binary_search_lessEbEEEE10hipError_tPvRmT1_T2_T3_mmT4_T5_P12ihipStream_tbEUlRKiE_EEST_SX_SY_mSZ_S12_bEUlT_E_NS1_11comp_targetILNS1_3genE10ELNS1_11target_archE1200ELNS1_3gpuE4ELNS1_3repE0EEENS1_30default_config_static_selectorELNS0_4arch9wavefront6targetE1EEEvSW_.numbered_sgpr, 0
	.set _ZN7rocprim17ROCPRIM_400000_NS6detail17trampoline_kernelINS0_14default_configENS1_29binary_search_config_selectorIiiEEZNS1_14transform_implILb0ES3_S5_N6thrust23THRUST_200600_302600_NS6detail15normal_iteratorINS8_7pointerIiNS8_11hip_rocprim5par_tENS8_11use_defaultESE_EEEESG_ZNS1_13binary_searchIS3_S5_NSA_INS8_10device_ptrIiEEEESG_SG_NS1_16binary_search_opENS9_16wrapped_functionINS8_6system6detail7generic6detail18binary_search_lessEbEEEE10hipError_tPvRmT1_T2_T3_mmT4_T5_P12ihipStream_tbEUlRKiE_EEST_SX_SY_mSZ_S12_bEUlT_E_NS1_11comp_targetILNS1_3genE10ELNS1_11target_archE1200ELNS1_3gpuE4ELNS1_3repE0EEENS1_30default_config_static_selectorELNS0_4arch9wavefront6targetE1EEEvSW_.num_named_barrier, 0
	.set _ZN7rocprim17ROCPRIM_400000_NS6detail17trampoline_kernelINS0_14default_configENS1_29binary_search_config_selectorIiiEEZNS1_14transform_implILb0ES3_S5_N6thrust23THRUST_200600_302600_NS6detail15normal_iteratorINS8_7pointerIiNS8_11hip_rocprim5par_tENS8_11use_defaultESE_EEEESG_ZNS1_13binary_searchIS3_S5_NSA_INS8_10device_ptrIiEEEESG_SG_NS1_16binary_search_opENS9_16wrapped_functionINS8_6system6detail7generic6detail18binary_search_lessEbEEEE10hipError_tPvRmT1_T2_T3_mmT4_T5_P12ihipStream_tbEUlRKiE_EEST_SX_SY_mSZ_S12_bEUlT_E_NS1_11comp_targetILNS1_3genE10ELNS1_11target_archE1200ELNS1_3gpuE4ELNS1_3repE0EEENS1_30default_config_static_selectorELNS0_4arch9wavefront6targetE1EEEvSW_.private_seg_size, 0
	.set _ZN7rocprim17ROCPRIM_400000_NS6detail17trampoline_kernelINS0_14default_configENS1_29binary_search_config_selectorIiiEEZNS1_14transform_implILb0ES3_S5_N6thrust23THRUST_200600_302600_NS6detail15normal_iteratorINS8_7pointerIiNS8_11hip_rocprim5par_tENS8_11use_defaultESE_EEEESG_ZNS1_13binary_searchIS3_S5_NSA_INS8_10device_ptrIiEEEESG_SG_NS1_16binary_search_opENS9_16wrapped_functionINS8_6system6detail7generic6detail18binary_search_lessEbEEEE10hipError_tPvRmT1_T2_T3_mmT4_T5_P12ihipStream_tbEUlRKiE_EEST_SX_SY_mSZ_S12_bEUlT_E_NS1_11comp_targetILNS1_3genE10ELNS1_11target_archE1200ELNS1_3gpuE4ELNS1_3repE0EEENS1_30default_config_static_selectorELNS0_4arch9wavefront6targetE1EEEvSW_.uses_vcc, 0
	.set _ZN7rocprim17ROCPRIM_400000_NS6detail17trampoline_kernelINS0_14default_configENS1_29binary_search_config_selectorIiiEEZNS1_14transform_implILb0ES3_S5_N6thrust23THRUST_200600_302600_NS6detail15normal_iteratorINS8_7pointerIiNS8_11hip_rocprim5par_tENS8_11use_defaultESE_EEEESG_ZNS1_13binary_searchIS3_S5_NSA_INS8_10device_ptrIiEEEESG_SG_NS1_16binary_search_opENS9_16wrapped_functionINS8_6system6detail7generic6detail18binary_search_lessEbEEEE10hipError_tPvRmT1_T2_T3_mmT4_T5_P12ihipStream_tbEUlRKiE_EEST_SX_SY_mSZ_S12_bEUlT_E_NS1_11comp_targetILNS1_3genE10ELNS1_11target_archE1200ELNS1_3gpuE4ELNS1_3repE0EEENS1_30default_config_static_selectorELNS0_4arch9wavefront6targetE1EEEvSW_.uses_flat_scratch, 0
	.set _ZN7rocprim17ROCPRIM_400000_NS6detail17trampoline_kernelINS0_14default_configENS1_29binary_search_config_selectorIiiEEZNS1_14transform_implILb0ES3_S5_N6thrust23THRUST_200600_302600_NS6detail15normal_iteratorINS8_7pointerIiNS8_11hip_rocprim5par_tENS8_11use_defaultESE_EEEESG_ZNS1_13binary_searchIS3_S5_NSA_INS8_10device_ptrIiEEEESG_SG_NS1_16binary_search_opENS9_16wrapped_functionINS8_6system6detail7generic6detail18binary_search_lessEbEEEE10hipError_tPvRmT1_T2_T3_mmT4_T5_P12ihipStream_tbEUlRKiE_EEST_SX_SY_mSZ_S12_bEUlT_E_NS1_11comp_targetILNS1_3genE10ELNS1_11target_archE1200ELNS1_3gpuE4ELNS1_3repE0EEENS1_30default_config_static_selectorELNS0_4arch9wavefront6targetE1EEEvSW_.has_dyn_sized_stack, 0
	.set _ZN7rocprim17ROCPRIM_400000_NS6detail17trampoline_kernelINS0_14default_configENS1_29binary_search_config_selectorIiiEEZNS1_14transform_implILb0ES3_S5_N6thrust23THRUST_200600_302600_NS6detail15normal_iteratorINS8_7pointerIiNS8_11hip_rocprim5par_tENS8_11use_defaultESE_EEEESG_ZNS1_13binary_searchIS3_S5_NSA_INS8_10device_ptrIiEEEESG_SG_NS1_16binary_search_opENS9_16wrapped_functionINS8_6system6detail7generic6detail18binary_search_lessEbEEEE10hipError_tPvRmT1_T2_T3_mmT4_T5_P12ihipStream_tbEUlRKiE_EEST_SX_SY_mSZ_S12_bEUlT_E_NS1_11comp_targetILNS1_3genE10ELNS1_11target_archE1200ELNS1_3gpuE4ELNS1_3repE0EEENS1_30default_config_static_selectorELNS0_4arch9wavefront6targetE1EEEvSW_.has_recursion, 0
	.set _ZN7rocprim17ROCPRIM_400000_NS6detail17trampoline_kernelINS0_14default_configENS1_29binary_search_config_selectorIiiEEZNS1_14transform_implILb0ES3_S5_N6thrust23THRUST_200600_302600_NS6detail15normal_iteratorINS8_7pointerIiNS8_11hip_rocprim5par_tENS8_11use_defaultESE_EEEESG_ZNS1_13binary_searchIS3_S5_NSA_INS8_10device_ptrIiEEEESG_SG_NS1_16binary_search_opENS9_16wrapped_functionINS8_6system6detail7generic6detail18binary_search_lessEbEEEE10hipError_tPvRmT1_T2_T3_mmT4_T5_P12ihipStream_tbEUlRKiE_EEST_SX_SY_mSZ_S12_bEUlT_E_NS1_11comp_targetILNS1_3genE10ELNS1_11target_archE1200ELNS1_3gpuE4ELNS1_3repE0EEENS1_30default_config_static_selectorELNS0_4arch9wavefront6targetE1EEEvSW_.has_indirect_call, 0
	.section	.AMDGPU.csdata,"",@progbits
; Kernel info:
; codeLenInByte = 0
; TotalNumSgprs: 4
; NumVgprs: 0
; ScratchSize: 0
; MemoryBound: 0
; FloatMode: 240
; IeeeMode: 1
; LDSByteSize: 0 bytes/workgroup (compile time only)
; SGPRBlocks: 0
; VGPRBlocks: 0
; NumSGPRsForWavesPerEU: 4
; NumVGPRsForWavesPerEU: 1
; Occupancy: 10
; WaveLimiterHint : 0
; COMPUTE_PGM_RSRC2:SCRATCH_EN: 0
; COMPUTE_PGM_RSRC2:USER_SGPR: 6
; COMPUTE_PGM_RSRC2:TRAP_HANDLER: 0
; COMPUTE_PGM_RSRC2:TGID_X_EN: 1
; COMPUTE_PGM_RSRC2:TGID_Y_EN: 0
; COMPUTE_PGM_RSRC2:TGID_Z_EN: 0
; COMPUTE_PGM_RSRC2:TIDIG_COMP_CNT: 0
	.section	.text._ZN7rocprim17ROCPRIM_400000_NS6detail17trampoline_kernelINS0_14default_configENS1_29binary_search_config_selectorIiiEEZNS1_14transform_implILb0ES3_S5_N6thrust23THRUST_200600_302600_NS6detail15normal_iteratorINS8_7pointerIiNS8_11hip_rocprim5par_tENS8_11use_defaultESE_EEEESG_ZNS1_13binary_searchIS3_S5_NSA_INS8_10device_ptrIiEEEESG_SG_NS1_16binary_search_opENS9_16wrapped_functionINS8_6system6detail7generic6detail18binary_search_lessEbEEEE10hipError_tPvRmT1_T2_T3_mmT4_T5_P12ihipStream_tbEUlRKiE_EEST_SX_SY_mSZ_S12_bEUlT_E_NS1_11comp_targetILNS1_3genE9ELNS1_11target_archE1100ELNS1_3gpuE3ELNS1_3repE0EEENS1_30default_config_static_selectorELNS0_4arch9wavefront6targetE1EEEvSW_,"axG",@progbits,_ZN7rocprim17ROCPRIM_400000_NS6detail17trampoline_kernelINS0_14default_configENS1_29binary_search_config_selectorIiiEEZNS1_14transform_implILb0ES3_S5_N6thrust23THRUST_200600_302600_NS6detail15normal_iteratorINS8_7pointerIiNS8_11hip_rocprim5par_tENS8_11use_defaultESE_EEEESG_ZNS1_13binary_searchIS3_S5_NSA_INS8_10device_ptrIiEEEESG_SG_NS1_16binary_search_opENS9_16wrapped_functionINS8_6system6detail7generic6detail18binary_search_lessEbEEEE10hipError_tPvRmT1_T2_T3_mmT4_T5_P12ihipStream_tbEUlRKiE_EEST_SX_SY_mSZ_S12_bEUlT_E_NS1_11comp_targetILNS1_3genE9ELNS1_11target_archE1100ELNS1_3gpuE3ELNS1_3repE0EEENS1_30default_config_static_selectorELNS0_4arch9wavefront6targetE1EEEvSW_,comdat
	.protected	_ZN7rocprim17ROCPRIM_400000_NS6detail17trampoline_kernelINS0_14default_configENS1_29binary_search_config_selectorIiiEEZNS1_14transform_implILb0ES3_S5_N6thrust23THRUST_200600_302600_NS6detail15normal_iteratorINS8_7pointerIiNS8_11hip_rocprim5par_tENS8_11use_defaultESE_EEEESG_ZNS1_13binary_searchIS3_S5_NSA_INS8_10device_ptrIiEEEESG_SG_NS1_16binary_search_opENS9_16wrapped_functionINS8_6system6detail7generic6detail18binary_search_lessEbEEEE10hipError_tPvRmT1_T2_T3_mmT4_T5_P12ihipStream_tbEUlRKiE_EEST_SX_SY_mSZ_S12_bEUlT_E_NS1_11comp_targetILNS1_3genE9ELNS1_11target_archE1100ELNS1_3gpuE3ELNS1_3repE0EEENS1_30default_config_static_selectorELNS0_4arch9wavefront6targetE1EEEvSW_ ; -- Begin function _ZN7rocprim17ROCPRIM_400000_NS6detail17trampoline_kernelINS0_14default_configENS1_29binary_search_config_selectorIiiEEZNS1_14transform_implILb0ES3_S5_N6thrust23THRUST_200600_302600_NS6detail15normal_iteratorINS8_7pointerIiNS8_11hip_rocprim5par_tENS8_11use_defaultESE_EEEESG_ZNS1_13binary_searchIS3_S5_NSA_INS8_10device_ptrIiEEEESG_SG_NS1_16binary_search_opENS9_16wrapped_functionINS8_6system6detail7generic6detail18binary_search_lessEbEEEE10hipError_tPvRmT1_T2_T3_mmT4_T5_P12ihipStream_tbEUlRKiE_EEST_SX_SY_mSZ_S12_bEUlT_E_NS1_11comp_targetILNS1_3genE9ELNS1_11target_archE1100ELNS1_3gpuE3ELNS1_3repE0EEENS1_30default_config_static_selectorELNS0_4arch9wavefront6targetE1EEEvSW_
	.globl	_ZN7rocprim17ROCPRIM_400000_NS6detail17trampoline_kernelINS0_14default_configENS1_29binary_search_config_selectorIiiEEZNS1_14transform_implILb0ES3_S5_N6thrust23THRUST_200600_302600_NS6detail15normal_iteratorINS8_7pointerIiNS8_11hip_rocprim5par_tENS8_11use_defaultESE_EEEESG_ZNS1_13binary_searchIS3_S5_NSA_INS8_10device_ptrIiEEEESG_SG_NS1_16binary_search_opENS9_16wrapped_functionINS8_6system6detail7generic6detail18binary_search_lessEbEEEE10hipError_tPvRmT1_T2_T3_mmT4_T5_P12ihipStream_tbEUlRKiE_EEST_SX_SY_mSZ_S12_bEUlT_E_NS1_11comp_targetILNS1_3genE9ELNS1_11target_archE1100ELNS1_3gpuE3ELNS1_3repE0EEENS1_30default_config_static_selectorELNS0_4arch9wavefront6targetE1EEEvSW_
	.p2align	8
	.type	_ZN7rocprim17ROCPRIM_400000_NS6detail17trampoline_kernelINS0_14default_configENS1_29binary_search_config_selectorIiiEEZNS1_14transform_implILb0ES3_S5_N6thrust23THRUST_200600_302600_NS6detail15normal_iteratorINS8_7pointerIiNS8_11hip_rocprim5par_tENS8_11use_defaultESE_EEEESG_ZNS1_13binary_searchIS3_S5_NSA_INS8_10device_ptrIiEEEESG_SG_NS1_16binary_search_opENS9_16wrapped_functionINS8_6system6detail7generic6detail18binary_search_lessEbEEEE10hipError_tPvRmT1_T2_T3_mmT4_T5_P12ihipStream_tbEUlRKiE_EEST_SX_SY_mSZ_S12_bEUlT_E_NS1_11comp_targetILNS1_3genE9ELNS1_11target_archE1100ELNS1_3gpuE3ELNS1_3repE0EEENS1_30default_config_static_selectorELNS0_4arch9wavefront6targetE1EEEvSW_,@function
_ZN7rocprim17ROCPRIM_400000_NS6detail17trampoline_kernelINS0_14default_configENS1_29binary_search_config_selectorIiiEEZNS1_14transform_implILb0ES3_S5_N6thrust23THRUST_200600_302600_NS6detail15normal_iteratorINS8_7pointerIiNS8_11hip_rocprim5par_tENS8_11use_defaultESE_EEEESG_ZNS1_13binary_searchIS3_S5_NSA_INS8_10device_ptrIiEEEESG_SG_NS1_16binary_search_opENS9_16wrapped_functionINS8_6system6detail7generic6detail18binary_search_lessEbEEEE10hipError_tPvRmT1_T2_T3_mmT4_T5_P12ihipStream_tbEUlRKiE_EEST_SX_SY_mSZ_S12_bEUlT_E_NS1_11comp_targetILNS1_3genE9ELNS1_11target_archE1100ELNS1_3gpuE3ELNS1_3repE0EEENS1_30default_config_static_selectorELNS0_4arch9wavefront6targetE1EEEvSW_: ; @_ZN7rocprim17ROCPRIM_400000_NS6detail17trampoline_kernelINS0_14default_configENS1_29binary_search_config_selectorIiiEEZNS1_14transform_implILb0ES3_S5_N6thrust23THRUST_200600_302600_NS6detail15normal_iteratorINS8_7pointerIiNS8_11hip_rocprim5par_tENS8_11use_defaultESE_EEEESG_ZNS1_13binary_searchIS3_S5_NSA_INS8_10device_ptrIiEEEESG_SG_NS1_16binary_search_opENS9_16wrapped_functionINS8_6system6detail7generic6detail18binary_search_lessEbEEEE10hipError_tPvRmT1_T2_T3_mmT4_T5_P12ihipStream_tbEUlRKiE_EEST_SX_SY_mSZ_S12_bEUlT_E_NS1_11comp_targetILNS1_3genE9ELNS1_11target_archE1100ELNS1_3gpuE3ELNS1_3repE0EEENS1_30default_config_static_selectorELNS0_4arch9wavefront6targetE1EEEvSW_
; %bb.0:
	.section	.rodata,"a",@progbits
	.p2align	6, 0x0
	.amdhsa_kernel _ZN7rocprim17ROCPRIM_400000_NS6detail17trampoline_kernelINS0_14default_configENS1_29binary_search_config_selectorIiiEEZNS1_14transform_implILb0ES3_S5_N6thrust23THRUST_200600_302600_NS6detail15normal_iteratorINS8_7pointerIiNS8_11hip_rocprim5par_tENS8_11use_defaultESE_EEEESG_ZNS1_13binary_searchIS3_S5_NSA_INS8_10device_ptrIiEEEESG_SG_NS1_16binary_search_opENS9_16wrapped_functionINS8_6system6detail7generic6detail18binary_search_lessEbEEEE10hipError_tPvRmT1_T2_T3_mmT4_T5_P12ihipStream_tbEUlRKiE_EEST_SX_SY_mSZ_S12_bEUlT_E_NS1_11comp_targetILNS1_3genE9ELNS1_11target_archE1100ELNS1_3gpuE3ELNS1_3repE0EEENS1_30default_config_static_selectorELNS0_4arch9wavefront6targetE1EEEvSW_
		.amdhsa_group_segment_fixed_size 0
		.amdhsa_private_segment_fixed_size 0
		.amdhsa_kernarg_size 56
		.amdhsa_user_sgpr_count 6
		.amdhsa_user_sgpr_private_segment_buffer 1
		.amdhsa_user_sgpr_dispatch_ptr 0
		.amdhsa_user_sgpr_queue_ptr 0
		.amdhsa_user_sgpr_kernarg_segment_ptr 1
		.amdhsa_user_sgpr_dispatch_id 0
		.amdhsa_user_sgpr_flat_scratch_init 0
		.amdhsa_user_sgpr_private_segment_size 0
		.amdhsa_uses_dynamic_stack 0
		.amdhsa_system_sgpr_private_segment_wavefront_offset 0
		.amdhsa_system_sgpr_workgroup_id_x 1
		.amdhsa_system_sgpr_workgroup_id_y 0
		.amdhsa_system_sgpr_workgroup_id_z 0
		.amdhsa_system_sgpr_workgroup_info 0
		.amdhsa_system_vgpr_workitem_id 0
		.amdhsa_next_free_vgpr 1
		.amdhsa_next_free_sgpr 0
		.amdhsa_reserve_vcc 0
		.amdhsa_reserve_flat_scratch 0
		.amdhsa_float_round_mode_32 0
		.amdhsa_float_round_mode_16_64 0
		.amdhsa_float_denorm_mode_32 3
		.amdhsa_float_denorm_mode_16_64 3
		.amdhsa_dx10_clamp 1
		.amdhsa_ieee_mode 1
		.amdhsa_fp16_overflow 0
		.amdhsa_exception_fp_ieee_invalid_op 0
		.amdhsa_exception_fp_denorm_src 0
		.amdhsa_exception_fp_ieee_div_zero 0
		.amdhsa_exception_fp_ieee_overflow 0
		.amdhsa_exception_fp_ieee_underflow 0
		.amdhsa_exception_fp_ieee_inexact 0
		.amdhsa_exception_int_div_zero 0
	.end_amdhsa_kernel
	.section	.text._ZN7rocprim17ROCPRIM_400000_NS6detail17trampoline_kernelINS0_14default_configENS1_29binary_search_config_selectorIiiEEZNS1_14transform_implILb0ES3_S5_N6thrust23THRUST_200600_302600_NS6detail15normal_iteratorINS8_7pointerIiNS8_11hip_rocprim5par_tENS8_11use_defaultESE_EEEESG_ZNS1_13binary_searchIS3_S5_NSA_INS8_10device_ptrIiEEEESG_SG_NS1_16binary_search_opENS9_16wrapped_functionINS8_6system6detail7generic6detail18binary_search_lessEbEEEE10hipError_tPvRmT1_T2_T3_mmT4_T5_P12ihipStream_tbEUlRKiE_EEST_SX_SY_mSZ_S12_bEUlT_E_NS1_11comp_targetILNS1_3genE9ELNS1_11target_archE1100ELNS1_3gpuE3ELNS1_3repE0EEENS1_30default_config_static_selectorELNS0_4arch9wavefront6targetE1EEEvSW_,"axG",@progbits,_ZN7rocprim17ROCPRIM_400000_NS6detail17trampoline_kernelINS0_14default_configENS1_29binary_search_config_selectorIiiEEZNS1_14transform_implILb0ES3_S5_N6thrust23THRUST_200600_302600_NS6detail15normal_iteratorINS8_7pointerIiNS8_11hip_rocprim5par_tENS8_11use_defaultESE_EEEESG_ZNS1_13binary_searchIS3_S5_NSA_INS8_10device_ptrIiEEEESG_SG_NS1_16binary_search_opENS9_16wrapped_functionINS8_6system6detail7generic6detail18binary_search_lessEbEEEE10hipError_tPvRmT1_T2_T3_mmT4_T5_P12ihipStream_tbEUlRKiE_EEST_SX_SY_mSZ_S12_bEUlT_E_NS1_11comp_targetILNS1_3genE9ELNS1_11target_archE1100ELNS1_3gpuE3ELNS1_3repE0EEENS1_30default_config_static_selectorELNS0_4arch9wavefront6targetE1EEEvSW_,comdat
.Lfunc_end714:
	.size	_ZN7rocprim17ROCPRIM_400000_NS6detail17trampoline_kernelINS0_14default_configENS1_29binary_search_config_selectorIiiEEZNS1_14transform_implILb0ES3_S5_N6thrust23THRUST_200600_302600_NS6detail15normal_iteratorINS8_7pointerIiNS8_11hip_rocprim5par_tENS8_11use_defaultESE_EEEESG_ZNS1_13binary_searchIS3_S5_NSA_INS8_10device_ptrIiEEEESG_SG_NS1_16binary_search_opENS9_16wrapped_functionINS8_6system6detail7generic6detail18binary_search_lessEbEEEE10hipError_tPvRmT1_T2_T3_mmT4_T5_P12ihipStream_tbEUlRKiE_EEST_SX_SY_mSZ_S12_bEUlT_E_NS1_11comp_targetILNS1_3genE9ELNS1_11target_archE1100ELNS1_3gpuE3ELNS1_3repE0EEENS1_30default_config_static_selectorELNS0_4arch9wavefront6targetE1EEEvSW_, .Lfunc_end714-_ZN7rocprim17ROCPRIM_400000_NS6detail17trampoline_kernelINS0_14default_configENS1_29binary_search_config_selectorIiiEEZNS1_14transform_implILb0ES3_S5_N6thrust23THRUST_200600_302600_NS6detail15normal_iteratorINS8_7pointerIiNS8_11hip_rocprim5par_tENS8_11use_defaultESE_EEEESG_ZNS1_13binary_searchIS3_S5_NSA_INS8_10device_ptrIiEEEESG_SG_NS1_16binary_search_opENS9_16wrapped_functionINS8_6system6detail7generic6detail18binary_search_lessEbEEEE10hipError_tPvRmT1_T2_T3_mmT4_T5_P12ihipStream_tbEUlRKiE_EEST_SX_SY_mSZ_S12_bEUlT_E_NS1_11comp_targetILNS1_3genE9ELNS1_11target_archE1100ELNS1_3gpuE3ELNS1_3repE0EEENS1_30default_config_static_selectorELNS0_4arch9wavefront6targetE1EEEvSW_
                                        ; -- End function
	.set _ZN7rocprim17ROCPRIM_400000_NS6detail17trampoline_kernelINS0_14default_configENS1_29binary_search_config_selectorIiiEEZNS1_14transform_implILb0ES3_S5_N6thrust23THRUST_200600_302600_NS6detail15normal_iteratorINS8_7pointerIiNS8_11hip_rocprim5par_tENS8_11use_defaultESE_EEEESG_ZNS1_13binary_searchIS3_S5_NSA_INS8_10device_ptrIiEEEESG_SG_NS1_16binary_search_opENS9_16wrapped_functionINS8_6system6detail7generic6detail18binary_search_lessEbEEEE10hipError_tPvRmT1_T2_T3_mmT4_T5_P12ihipStream_tbEUlRKiE_EEST_SX_SY_mSZ_S12_bEUlT_E_NS1_11comp_targetILNS1_3genE9ELNS1_11target_archE1100ELNS1_3gpuE3ELNS1_3repE0EEENS1_30default_config_static_selectorELNS0_4arch9wavefront6targetE1EEEvSW_.num_vgpr, 0
	.set _ZN7rocprim17ROCPRIM_400000_NS6detail17trampoline_kernelINS0_14default_configENS1_29binary_search_config_selectorIiiEEZNS1_14transform_implILb0ES3_S5_N6thrust23THRUST_200600_302600_NS6detail15normal_iteratorINS8_7pointerIiNS8_11hip_rocprim5par_tENS8_11use_defaultESE_EEEESG_ZNS1_13binary_searchIS3_S5_NSA_INS8_10device_ptrIiEEEESG_SG_NS1_16binary_search_opENS9_16wrapped_functionINS8_6system6detail7generic6detail18binary_search_lessEbEEEE10hipError_tPvRmT1_T2_T3_mmT4_T5_P12ihipStream_tbEUlRKiE_EEST_SX_SY_mSZ_S12_bEUlT_E_NS1_11comp_targetILNS1_3genE9ELNS1_11target_archE1100ELNS1_3gpuE3ELNS1_3repE0EEENS1_30default_config_static_selectorELNS0_4arch9wavefront6targetE1EEEvSW_.num_agpr, 0
	.set _ZN7rocprim17ROCPRIM_400000_NS6detail17trampoline_kernelINS0_14default_configENS1_29binary_search_config_selectorIiiEEZNS1_14transform_implILb0ES3_S5_N6thrust23THRUST_200600_302600_NS6detail15normal_iteratorINS8_7pointerIiNS8_11hip_rocprim5par_tENS8_11use_defaultESE_EEEESG_ZNS1_13binary_searchIS3_S5_NSA_INS8_10device_ptrIiEEEESG_SG_NS1_16binary_search_opENS9_16wrapped_functionINS8_6system6detail7generic6detail18binary_search_lessEbEEEE10hipError_tPvRmT1_T2_T3_mmT4_T5_P12ihipStream_tbEUlRKiE_EEST_SX_SY_mSZ_S12_bEUlT_E_NS1_11comp_targetILNS1_3genE9ELNS1_11target_archE1100ELNS1_3gpuE3ELNS1_3repE0EEENS1_30default_config_static_selectorELNS0_4arch9wavefront6targetE1EEEvSW_.numbered_sgpr, 0
	.set _ZN7rocprim17ROCPRIM_400000_NS6detail17trampoline_kernelINS0_14default_configENS1_29binary_search_config_selectorIiiEEZNS1_14transform_implILb0ES3_S5_N6thrust23THRUST_200600_302600_NS6detail15normal_iteratorINS8_7pointerIiNS8_11hip_rocprim5par_tENS8_11use_defaultESE_EEEESG_ZNS1_13binary_searchIS3_S5_NSA_INS8_10device_ptrIiEEEESG_SG_NS1_16binary_search_opENS9_16wrapped_functionINS8_6system6detail7generic6detail18binary_search_lessEbEEEE10hipError_tPvRmT1_T2_T3_mmT4_T5_P12ihipStream_tbEUlRKiE_EEST_SX_SY_mSZ_S12_bEUlT_E_NS1_11comp_targetILNS1_3genE9ELNS1_11target_archE1100ELNS1_3gpuE3ELNS1_3repE0EEENS1_30default_config_static_selectorELNS0_4arch9wavefront6targetE1EEEvSW_.num_named_barrier, 0
	.set _ZN7rocprim17ROCPRIM_400000_NS6detail17trampoline_kernelINS0_14default_configENS1_29binary_search_config_selectorIiiEEZNS1_14transform_implILb0ES3_S5_N6thrust23THRUST_200600_302600_NS6detail15normal_iteratorINS8_7pointerIiNS8_11hip_rocprim5par_tENS8_11use_defaultESE_EEEESG_ZNS1_13binary_searchIS3_S5_NSA_INS8_10device_ptrIiEEEESG_SG_NS1_16binary_search_opENS9_16wrapped_functionINS8_6system6detail7generic6detail18binary_search_lessEbEEEE10hipError_tPvRmT1_T2_T3_mmT4_T5_P12ihipStream_tbEUlRKiE_EEST_SX_SY_mSZ_S12_bEUlT_E_NS1_11comp_targetILNS1_3genE9ELNS1_11target_archE1100ELNS1_3gpuE3ELNS1_3repE0EEENS1_30default_config_static_selectorELNS0_4arch9wavefront6targetE1EEEvSW_.private_seg_size, 0
	.set _ZN7rocprim17ROCPRIM_400000_NS6detail17trampoline_kernelINS0_14default_configENS1_29binary_search_config_selectorIiiEEZNS1_14transform_implILb0ES3_S5_N6thrust23THRUST_200600_302600_NS6detail15normal_iteratorINS8_7pointerIiNS8_11hip_rocprim5par_tENS8_11use_defaultESE_EEEESG_ZNS1_13binary_searchIS3_S5_NSA_INS8_10device_ptrIiEEEESG_SG_NS1_16binary_search_opENS9_16wrapped_functionINS8_6system6detail7generic6detail18binary_search_lessEbEEEE10hipError_tPvRmT1_T2_T3_mmT4_T5_P12ihipStream_tbEUlRKiE_EEST_SX_SY_mSZ_S12_bEUlT_E_NS1_11comp_targetILNS1_3genE9ELNS1_11target_archE1100ELNS1_3gpuE3ELNS1_3repE0EEENS1_30default_config_static_selectorELNS0_4arch9wavefront6targetE1EEEvSW_.uses_vcc, 0
	.set _ZN7rocprim17ROCPRIM_400000_NS6detail17trampoline_kernelINS0_14default_configENS1_29binary_search_config_selectorIiiEEZNS1_14transform_implILb0ES3_S5_N6thrust23THRUST_200600_302600_NS6detail15normal_iteratorINS8_7pointerIiNS8_11hip_rocprim5par_tENS8_11use_defaultESE_EEEESG_ZNS1_13binary_searchIS3_S5_NSA_INS8_10device_ptrIiEEEESG_SG_NS1_16binary_search_opENS9_16wrapped_functionINS8_6system6detail7generic6detail18binary_search_lessEbEEEE10hipError_tPvRmT1_T2_T3_mmT4_T5_P12ihipStream_tbEUlRKiE_EEST_SX_SY_mSZ_S12_bEUlT_E_NS1_11comp_targetILNS1_3genE9ELNS1_11target_archE1100ELNS1_3gpuE3ELNS1_3repE0EEENS1_30default_config_static_selectorELNS0_4arch9wavefront6targetE1EEEvSW_.uses_flat_scratch, 0
	.set _ZN7rocprim17ROCPRIM_400000_NS6detail17trampoline_kernelINS0_14default_configENS1_29binary_search_config_selectorIiiEEZNS1_14transform_implILb0ES3_S5_N6thrust23THRUST_200600_302600_NS6detail15normal_iteratorINS8_7pointerIiNS8_11hip_rocprim5par_tENS8_11use_defaultESE_EEEESG_ZNS1_13binary_searchIS3_S5_NSA_INS8_10device_ptrIiEEEESG_SG_NS1_16binary_search_opENS9_16wrapped_functionINS8_6system6detail7generic6detail18binary_search_lessEbEEEE10hipError_tPvRmT1_T2_T3_mmT4_T5_P12ihipStream_tbEUlRKiE_EEST_SX_SY_mSZ_S12_bEUlT_E_NS1_11comp_targetILNS1_3genE9ELNS1_11target_archE1100ELNS1_3gpuE3ELNS1_3repE0EEENS1_30default_config_static_selectorELNS0_4arch9wavefront6targetE1EEEvSW_.has_dyn_sized_stack, 0
	.set _ZN7rocprim17ROCPRIM_400000_NS6detail17trampoline_kernelINS0_14default_configENS1_29binary_search_config_selectorIiiEEZNS1_14transform_implILb0ES3_S5_N6thrust23THRUST_200600_302600_NS6detail15normal_iteratorINS8_7pointerIiNS8_11hip_rocprim5par_tENS8_11use_defaultESE_EEEESG_ZNS1_13binary_searchIS3_S5_NSA_INS8_10device_ptrIiEEEESG_SG_NS1_16binary_search_opENS9_16wrapped_functionINS8_6system6detail7generic6detail18binary_search_lessEbEEEE10hipError_tPvRmT1_T2_T3_mmT4_T5_P12ihipStream_tbEUlRKiE_EEST_SX_SY_mSZ_S12_bEUlT_E_NS1_11comp_targetILNS1_3genE9ELNS1_11target_archE1100ELNS1_3gpuE3ELNS1_3repE0EEENS1_30default_config_static_selectorELNS0_4arch9wavefront6targetE1EEEvSW_.has_recursion, 0
	.set _ZN7rocprim17ROCPRIM_400000_NS6detail17trampoline_kernelINS0_14default_configENS1_29binary_search_config_selectorIiiEEZNS1_14transform_implILb0ES3_S5_N6thrust23THRUST_200600_302600_NS6detail15normal_iteratorINS8_7pointerIiNS8_11hip_rocprim5par_tENS8_11use_defaultESE_EEEESG_ZNS1_13binary_searchIS3_S5_NSA_INS8_10device_ptrIiEEEESG_SG_NS1_16binary_search_opENS9_16wrapped_functionINS8_6system6detail7generic6detail18binary_search_lessEbEEEE10hipError_tPvRmT1_T2_T3_mmT4_T5_P12ihipStream_tbEUlRKiE_EEST_SX_SY_mSZ_S12_bEUlT_E_NS1_11comp_targetILNS1_3genE9ELNS1_11target_archE1100ELNS1_3gpuE3ELNS1_3repE0EEENS1_30default_config_static_selectorELNS0_4arch9wavefront6targetE1EEEvSW_.has_indirect_call, 0
	.section	.AMDGPU.csdata,"",@progbits
; Kernel info:
; codeLenInByte = 0
; TotalNumSgprs: 4
; NumVgprs: 0
; ScratchSize: 0
; MemoryBound: 0
; FloatMode: 240
; IeeeMode: 1
; LDSByteSize: 0 bytes/workgroup (compile time only)
; SGPRBlocks: 0
; VGPRBlocks: 0
; NumSGPRsForWavesPerEU: 4
; NumVGPRsForWavesPerEU: 1
; Occupancy: 10
; WaveLimiterHint : 0
; COMPUTE_PGM_RSRC2:SCRATCH_EN: 0
; COMPUTE_PGM_RSRC2:USER_SGPR: 6
; COMPUTE_PGM_RSRC2:TRAP_HANDLER: 0
; COMPUTE_PGM_RSRC2:TGID_X_EN: 1
; COMPUTE_PGM_RSRC2:TGID_Y_EN: 0
; COMPUTE_PGM_RSRC2:TGID_Z_EN: 0
; COMPUTE_PGM_RSRC2:TIDIG_COMP_CNT: 0
	.section	.text._ZN7rocprim17ROCPRIM_400000_NS6detail17trampoline_kernelINS0_14default_configENS1_29binary_search_config_selectorIiiEEZNS1_14transform_implILb0ES3_S5_N6thrust23THRUST_200600_302600_NS6detail15normal_iteratorINS8_7pointerIiNS8_11hip_rocprim5par_tENS8_11use_defaultESE_EEEESG_ZNS1_13binary_searchIS3_S5_NSA_INS8_10device_ptrIiEEEESG_SG_NS1_16binary_search_opENS9_16wrapped_functionINS8_6system6detail7generic6detail18binary_search_lessEbEEEE10hipError_tPvRmT1_T2_T3_mmT4_T5_P12ihipStream_tbEUlRKiE_EEST_SX_SY_mSZ_S12_bEUlT_E_NS1_11comp_targetILNS1_3genE8ELNS1_11target_archE1030ELNS1_3gpuE2ELNS1_3repE0EEENS1_30default_config_static_selectorELNS0_4arch9wavefront6targetE1EEEvSW_,"axG",@progbits,_ZN7rocprim17ROCPRIM_400000_NS6detail17trampoline_kernelINS0_14default_configENS1_29binary_search_config_selectorIiiEEZNS1_14transform_implILb0ES3_S5_N6thrust23THRUST_200600_302600_NS6detail15normal_iteratorINS8_7pointerIiNS8_11hip_rocprim5par_tENS8_11use_defaultESE_EEEESG_ZNS1_13binary_searchIS3_S5_NSA_INS8_10device_ptrIiEEEESG_SG_NS1_16binary_search_opENS9_16wrapped_functionINS8_6system6detail7generic6detail18binary_search_lessEbEEEE10hipError_tPvRmT1_T2_T3_mmT4_T5_P12ihipStream_tbEUlRKiE_EEST_SX_SY_mSZ_S12_bEUlT_E_NS1_11comp_targetILNS1_3genE8ELNS1_11target_archE1030ELNS1_3gpuE2ELNS1_3repE0EEENS1_30default_config_static_selectorELNS0_4arch9wavefront6targetE1EEEvSW_,comdat
	.protected	_ZN7rocprim17ROCPRIM_400000_NS6detail17trampoline_kernelINS0_14default_configENS1_29binary_search_config_selectorIiiEEZNS1_14transform_implILb0ES3_S5_N6thrust23THRUST_200600_302600_NS6detail15normal_iteratorINS8_7pointerIiNS8_11hip_rocprim5par_tENS8_11use_defaultESE_EEEESG_ZNS1_13binary_searchIS3_S5_NSA_INS8_10device_ptrIiEEEESG_SG_NS1_16binary_search_opENS9_16wrapped_functionINS8_6system6detail7generic6detail18binary_search_lessEbEEEE10hipError_tPvRmT1_T2_T3_mmT4_T5_P12ihipStream_tbEUlRKiE_EEST_SX_SY_mSZ_S12_bEUlT_E_NS1_11comp_targetILNS1_3genE8ELNS1_11target_archE1030ELNS1_3gpuE2ELNS1_3repE0EEENS1_30default_config_static_selectorELNS0_4arch9wavefront6targetE1EEEvSW_ ; -- Begin function _ZN7rocprim17ROCPRIM_400000_NS6detail17trampoline_kernelINS0_14default_configENS1_29binary_search_config_selectorIiiEEZNS1_14transform_implILb0ES3_S5_N6thrust23THRUST_200600_302600_NS6detail15normal_iteratorINS8_7pointerIiNS8_11hip_rocprim5par_tENS8_11use_defaultESE_EEEESG_ZNS1_13binary_searchIS3_S5_NSA_INS8_10device_ptrIiEEEESG_SG_NS1_16binary_search_opENS9_16wrapped_functionINS8_6system6detail7generic6detail18binary_search_lessEbEEEE10hipError_tPvRmT1_T2_T3_mmT4_T5_P12ihipStream_tbEUlRKiE_EEST_SX_SY_mSZ_S12_bEUlT_E_NS1_11comp_targetILNS1_3genE8ELNS1_11target_archE1030ELNS1_3gpuE2ELNS1_3repE0EEENS1_30default_config_static_selectorELNS0_4arch9wavefront6targetE1EEEvSW_
	.globl	_ZN7rocprim17ROCPRIM_400000_NS6detail17trampoline_kernelINS0_14default_configENS1_29binary_search_config_selectorIiiEEZNS1_14transform_implILb0ES3_S5_N6thrust23THRUST_200600_302600_NS6detail15normal_iteratorINS8_7pointerIiNS8_11hip_rocprim5par_tENS8_11use_defaultESE_EEEESG_ZNS1_13binary_searchIS3_S5_NSA_INS8_10device_ptrIiEEEESG_SG_NS1_16binary_search_opENS9_16wrapped_functionINS8_6system6detail7generic6detail18binary_search_lessEbEEEE10hipError_tPvRmT1_T2_T3_mmT4_T5_P12ihipStream_tbEUlRKiE_EEST_SX_SY_mSZ_S12_bEUlT_E_NS1_11comp_targetILNS1_3genE8ELNS1_11target_archE1030ELNS1_3gpuE2ELNS1_3repE0EEENS1_30default_config_static_selectorELNS0_4arch9wavefront6targetE1EEEvSW_
	.p2align	8
	.type	_ZN7rocprim17ROCPRIM_400000_NS6detail17trampoline_kernelINS0_14default_configENS1_29binary_search_config_selectorIiiEEZNS1_14transform_implILb0ES3_S5_N6thrust23THRUST_200600_302600_NS6detail15normal_iteratorINS8_7pointerIiNS8_11hip_rocprim5par_tENS8_11use_defaultESE_EEEESG_ZNS1_13binary_searchIS3_S5_NSA_INS8_10device_ptrIiEEEESG_SG_NS1_16binary_search_opENS9_16wrapped_functionINS8_6system6detail7generic6detail18binary_search_lessEbEEEE10hipError_tPvRmT1_T2_T3_mmT4_T5_P12ihipStream_tbEUlRKiE_EEST_SX_SY_mSZ_S12_bEUlT_E_NS1_11comp_targetILNS1_3genE8ELNS1_11target_archE1030ELNS1_3gpuE2ELNS1_3repE0EEENS1_30default_config_static_selectorELNS0_4arch9wavefront6targetE1EEEvSW_,@function
_ZN7rocprim17ROCPRIM_400000_NS6detail17trampoline_kernelINS0_14default_configENS1_29binary_search_config_selectorIiiEEZNS1_14transform_implILb0ES3_S5_N6thrust23THRUST_200600_302600_NS6detail15normal_iteratorINS8_7pointerIiNS8_11hip_rocprim5par_tENS8_11use_defaultESE_EEEESG_ZNS1_13binary_searchIS3_S5_NSA_INS8_10device_ptrIiEEEESG_SG_NS1_16binary_search_opENS9_16wrapped_functionINS8_6system6detail7generic6detail18binary_search_lessEbEEEE10hipError_tPvRmT1_T2_T3_mmT4_T5_P12ihipStream_tbEUlRKiE_EEST_SX_SY_mSZ_S12_bEUlT_E_NS1_11comp_targetILNS1_3genE8ELNS1_11target_archE1030ELNS1_3gpuE2ELNS1_3repE0EEENS1_30default_config_static_selectorELNS0_4arch9wavefront6targetE1EEEvSW_: ; @_ZN7rocprim17ROCPRIM_400000_NS6detail17trampoline_kernelINS0_14default_configENS1_29binary_search_config_selectorIiiEEZNS1_14transform_implILb0ES3_S5_N6thrust23THRUST_200600_302600_NS6detail15normal_iteratorINS8_7pointerIiNS8_11hip_rocprim5par_tENS8_11use_defaultESE_EEEESG_ZNS1_13binary_searchIS3_S5_NSA_INS8_10device_ptrIiEEEESG_SG_NS1_16binary_search_opENS9_16wrapped_functionINS8_6system6detail7generic6detail18binary_search_lessEbEEEE10hipError_tPvRmT1_T2_T3_mmT4_T5_P12ihipStream_tbEUlRKiE_EEST_SX_SY_mSZ_S12_bEUlT_E_NS1_11comp_targetILNS1_3genE8ELNS1_11target_archE1030ELNS1_3gpuE2ELNS1_3repE0EEENS1_30default_config_static_selectorELNS0_4arch9wavefront6targetE1EEEvSW_
; %bb.0:
	.section	.rodata,"a",@progbits
	.p2align	6, 0x0
	.amdhsa_kernel _ZN7rocprim17ROCPRIM_400000_NS6detail17trampoline_kernelINS0_14default_configENS1_29binary_search_config_selectorIiiEEZNS1_14transform_implILb0ES3_S5_N6thrust23THRUST_200600_302600_NS6detail15normal_iteratorINS8_7pointerIiNS8_11hip_rocprim5par_tENS8_11use_defaultESE_EEEESG_ZNS1_13binary_searchIS3_S5_NSA_INS8_10device_ptrIiEEEESG_SG_NS1_16binary_search_opENS9_16wrapped_functionINS8_6system6detail7generic6detail18binary_search_lessEbEEEE10hipError_tPvRmT1_T2_T3_mmT4_T5_P12ihipStream_tbEUlRKiE_EEST_SX_SY_mSZ_S12_bEUlT_E_NS1_11comp_targetILNS1_3genE8ELNS1_11target_archE1030ELNS1_3gpuE2ELNS1_3repE0EEENS1_30default_config_static_selectorELNS0_4arch9wavefront6targetE1EEEvSW_
		.amdhsa_group_segment_fixed_size 0
		.amdhsa_private_segment_fixed_size 0
		.amdhsa_kernarg_size 56
		.amdhsa_user_sgpr_count 6
		.amdhsa_user_sgpr_private_segment_buffer 1
		.amdhsa_user_sgpr_dispatch_ptr 0
		.amdhsa_user_sgpr_queue_ptr 0
		.amdhsa_user_sgpr_kernarg_segment_ptr 1
		.amdhsa_user_sgpr_dispatch_id 0
		.amdhsa_user_sgpr_flat_scratch_init 0
		.amdhsa_user_sgpr_private_segment_size 0
		.amdhsa_uses_dynamic_stack 0
		.amdhsa_system_sgpr_private_segment_wavefront_offset 0
		.amdhsa_system_sgpr_workgroup_id_x 1
		.amdhsa_system_sgpr_workgroup_id_y 0
		.amdhsa_system_sgpr_workgroup_id_z 0
		.amdhsa_system_sgpr_workgroup_info 0
		.amdhsa_system_vgpr_workitem_id 0
		.amdhsa_next_free_vgpr 1
		.amdhsa_next_free_sgpr 0
		.amdhsa_reserve_vcc 0
		.amdhsa_reserve_flat_scratch 0
		.amdhsa_float_round_mode_32 0
		.amdhsa_float_round_mode_16_64 0
		.amdhsa_float_denorm_mode_32 3
		.amdhsa_float_denorm_mode_16_64 3
		.amdhsa_dx10_clamp 1
		.amdhsa_ieee_mode 1
		.amdhsa_fp16_overflow 0
		.amdhsa_exception_fp_ieee_invalid_op 0
		.amdhsa_exception_fp_denorm_src 0
		.amdhsa_exception_fp_ieee_div_zero 0
		.amdhsa_exception_fp_ieee_overflow 0
		.amdhsa_exception_fp_ieee_underflow 0
		.amdhsa_exception_fp_ieee_inexact 0
		.amdhsa_exception_int_div_zero 0
	.end_amdhsa_kernel
	.section	.text._ZN7rocprim17ROCPRIM_400000_NS6detail17trampoline_kernelINS0_14default_configENS1_29binary_search_config_selectorIiiEEZNS1_14transform_implILb0ES3_S5_N6thrust23THRUST_200600_302600_NS6detail15normal_iteratorINS8_7pointerIiNS8_11hip_rocprim5par_tENS8_11use_defaultESE_EEEESG_ZNS1_13binary_searchIS3_S5_NSA_INS8_10device_ptrIiEEEESG_SG_NS1_16binary_search_opENS9_16wrapped_functionINS8_6system6detail7generic6detail18binary_search_lessEbEEEE10hipError_tPvRmT1_T2_T3_mmT4_T5_P12ihipStream_tbEUlRKiE_EEST_SX_SY_mSZ_S12_bEUlT_E_NS1_11comp_targetILNS1_3genE8ELNS1_11target_archE1030ELNS1_3gpuE2ELNS1_3repE0EEENS1_30default_config_static_selectorELNS0_4arch9wavefront6targetE1EEEvSW_,"axG",@progbits,_ZN7rocprim17ROCPRIM_400000_NS6detail17trampoline_kernelINS0_14default_configENS1_29binary_search_config_selectorIiiEEZNS1_14transform_implILb0ES3_S5_N6thrust23THRUST_200600_302600_NS6detail15normal_iteratorINS8_7pointerIiNS8_11hip_rocprim5par_tENS8_11use_defaultESE_EEEESG_ZNS1_13binary_searchIS3_S5_NSA_INS8_10device_ptrIiEEEESG_SG_NS1_16binary_search_opENS9_16wrapped_functionINS8_6system6detail7generic6detail18binary_search_lessEbEEEE10hipError_tPvRmT1_T2_T3_mmT4_T5_P12ihipStream_tbEUlRKiE_EEST_SX_SY_mSZ_S12_bEUlT_E_NS1_11comp_targetILNS1_3genE8ELNS1_11target_archE1030ELNS1_3gpuE2ELNS1_3repE0EEENS1_30default_config_static_selectorELNS0_4arch9wavefront6targetE1EEEvSW_,comdat
.Lfunc_end715:
	.size	_ZN7rocprim17ROCPRIM_400000_NS6detail17trampoline_kernelINS0_14default_configENS1_29binary_search_config_selectorIiiEEZNS1_14transform_implILb0ES3_S5_N6thrust23THRUST_200600_302600_NS6detail15normal_iteratorINS8_7pointerIiNS8_11hip_rocprim5par_tENS8_11use_defaultESE_EEEESG_ZNS1_13binary_searchIS3_S5_NSA_INS8_10device_ptrIiEEEESG_SG_NS1_16binary_search_opENS9_16wrapped_functionINS8_6system6detail7generic6detail18binary_search_lessEbEEEE10hipError_tPvRmT1_T2_T3_mmT4_T5_P12ihipStream_tbEUlRKiE_EEST_SX_SY_mSZ_S12_bEUlT_E_NS1_11comp_targetILNS1_3genE8ELNS1_11target_archE1030ELNS1_3gpuE2ELNS1_3repE0EEENS1_30default_config_static_selectorELNS0_4arch9wavefront6targetE1EEEvSW_, .Lfunc_end715-_ZN7rocprim17ROCPRIM_400000_NS6detail17trampoline_kernelINS0_14default_configENS1_29binary_search_config_selectorIiiEEZNS1_14transform_implILb0ES3_S5_N6thrust23THRUST_200600_302600_NS6detail15normal_iteratorINS8_7pointerIiNS8_11hip_rocprim5par_tENS8_11use_defaultESE_EEEESG_ZNS1_13binary_searchIS3_S5_NSA_INS8_10device_ptrIiEEEESG_SG_NS1_16binary_search_opENS9_16wrapped_functionINS8_6system6detail7generic6detail18binary_search_lessEbEEEE10hipError_tPvRmT1_T2_T3_mmT4_T5_P12ihipStream_tbEUlRKiE_EEST_SX_SY_mSZ_S12_bEUlT_E_NS1_11comp_targetILNS1_3genE8ELNS1_11target_archE1030ELNS1_3gpuE2ELNS1_3repE0EEENS1_30default_config_static_selectorELNS0_4arch9wavefront6targetE1EEEvSW_
                                        ; -- End function
	.set _ZN7rocprim17ROCPRIM_400000_NS6detail17trampoline_kernelINS0_14default_configENS1_29binary_search_config_selectorIiiEEZNS1_14transform_implILb0ES3_S5_N6thrust23THRUST_200600_302600_NS6detail15normal_iteratorINS8_7pointerIiNS8_11hip_rocprim5par_tENS8_11use_defaultESE_EEEESG_ZNS1_13binary_searchIS3_S5_NSA_INS8_10device_ptrIiEEEESG_SG_NS1_16binary_search_opENS9_16wrapped_functionINS8_6system6detail7generic6detail18binary_search_lessEbEEEE10hipError_tPvRmT1_T2_T3_mmT4_T5_P12ihipStream_tbEUlRKiE_EEST_SX_SY_mSZ_S12_bEUlT_E_NS1_11comp_targetILNS1_3genE8ELNS1_11target_archE1030ELNS1_3gpuE2ELNS1_3repE0EEENS1_30default_config_static_selectorELNS0_4arch9wavefront6targetE1EEEvSW_.num_vgpr, 0
	.set _ZN7rocprim17ROCPRIM_400000_NS6detail17trampoline_kernelINS0_14default_configENS1_29binary_search_config_selectorIiiEEZNS1_14transform_implILb0ES3_S5_N6thrust23THRUST_200600_302600_NS6detail15normal_iteratorINS8_7pointerIiNS8_11hip_rocprim5par_tENS8_11use_defaultESE_EEEESG_ZNS1_13binary_searchIS3_S5_NSA_INS8_10device_ptrIiEEEESG_SG_NS1_16binary_search_opENS9_16wrapped_functionINS8_6system6detail7generic6detail18binary_search_lessEbEEEE10hipError_tPvRmT1_T2_T3_mmT4_T5_P12ihipStream_tbEUlRKiE_EEST_SX_SY_mSZ_S12_bEUlT_E_NS1_11comp_targetILNS1_3genE8ELNS1_11target_archE1030ELNS1_3gpuE2ELNS1_3repE0EEENS1_30default_config_static_selectorELNS0_4arch9wavefront6targetE1EEEvSW_.num_agpr, 0
	.set _ZN7rocprim17ROCPRIM_400000_NS6detail17trampoline_kernelINS0_14default_configENS1_29binary_search_config_selectorIiiEEZNS1_14transform_implILb0ES3_S5_N6thrust23THRUST_200600_302600_NS6detail15normal_iteratorINS8_7pointerIiNS8_11hip_rocprim5par_tENS8_11use_defaultESE_EEEESG_ZNS1_13binary_searchIS3_S5_NSA_INS8_10device_ptrIiEEEESG_SG_NS1_16binary_search_opENS9_16wrapped_functionINS8_6system6detail7generic6detail18binary_search_lessEbEEEE10hipError_tPvRmT1_T2_T3_mmT4_T5_P12ihipStream_tbEUlRKiE_EEST_SX_SY_mSZ_S12_bEUlT_E_NS1_11comp_targetILNS1_3genE8ELNS1_11target_archE1030ELNS1_3gpuE2ELNS1_3repE0EEENS1_30default_config_static_selectorELNS0_4arch9wavefront6targetE1EEEvSW_.numbered_sgpr, 0
	.set _ZN7rocprim17ROCPRIM_400000_NS6detail17trampoline_kernelINS0_14default_configENS1_29binary_search_config_selectorIiiEEZNS1_14transform_implILb0ES3_S5_N6thrust23THRUST_200600_302600_NS6detail15normal_iteratorINS8_7pointerIiNS8_11hip_rocprim5par_tENS8_11use_defaultESE_EEEESG_ZNS1_13binary_searchIS3_S5_NSA_INS8_10device_ptrIiEEEESG_SG_NS1_16binary_search_opENS9_16wrapped_functionINS8_6system6detail7generic6detail18binary_search_lessEbEEEE10hipError_tPvRmT1_T2_T3_mmT4_T5_P12ihipStream_tbEUlRKiE_EEST_SX_SY_mSZ_S12_bEUlT_E_NS1_11comp_targetILNS1_3genE8ELNS1_11target_archE1030ELNS1_3gpuE2ELNS1_3repE0EEENS1_30default_config_static_selectorELNS0_4arch9wavefront6targetE1EEEvSW_.num_named_barrier, 0
	.set _ZN7rocprim17ROCPRIM_400000_NS6detail17trampoline_kernelINS0_14default_configENS1_29binary_search_config_selectorIiiEEZNS1_14transform_implILb0ES3_S5_N6thrust23THRUST_200600_302600_NS6detail15normal_iteratorINS8_7pointerIiNS8_11hip_rocprim5par_tENS8_11use_defaultESE_EEEESG_ZNS1_13binary_searchIS3_S5_NSA_INS8_10device_ptrIiEEEESG_SG_NS1_16binary_search_opENS9_16wrapped_functionINS8_6system6detail7generic6detail18binary_search_lessEbEEEE10hipError_tPvRmT1_T2_T3_mmT4_T5_P12ihipStream_tbEUlRKiE_EEST_SX_SY_mSZ_S12_bEUlT_E_NS1_11comp_targetILNS1_3genE8ELNS1_11target_archE1030ELNS1_3gpuE2ELNS1_3repE0EEENS1_30default_config_static_selectorELNS0_4arch9wavefront6targetE1EEEvSW_.private_seg_size, 0
	.set _ZN7rocprim17ROCPRIM_400000_NS6detail17trampoline_kernelINS0_14default_configENS1_29binary_search_config_selectorIiiEEZNS1_14transform_implILb0ES3_S5_N6thrust23THRUST_200600_302600_NS6detail15normal_iteratorINS8_7pointerIiNS8_11hip_rocprim5par_tENS8_11use_defaultESE_EEEESG_ZNS1_13binary_searchIS3_S5_NSA_INS8_10device_ptrIiEEEESG_SG_NS1_16binary_search_opENS9_16wrapped_functionINS8_6system6detail7generic6detail18binary_search_lessEbEEEE10hipError_tPvRmT1_T2_T3_mmT4_T5_P12ihipStream_tbEUlRKiE_EEST_SX_SY_mSZ_S12_bEUlT_E_NS1_11comp_targetILNS1_3genE8ELNS1_11target_archE1030ELNS1_3gpuE2ELNS1_3repE0EEENS1_30default_config_static_selectorELNS0_4arch9wavefront6targetE1EEEvSW_.uses_vcc, 0
	.set _ZN7rocprim17ROCPRIM_400000_NS6detail17trampoline_kernelINS0_14default_configENS1_29binary_search_config_selectorIiiEEZNS1_14transform_implILb0ES3_S5_N6thrust23THRUST_200600_302600_NS6detail15normal_iteratorINS8_7pointerIiNS8_11hip_rocprim5par_tENS8_11use_defaultESE_EEEESG_ZNS1_13binary_searchIS3_S5_NSA_INS8_10device_ptrIiEEEESG_SG_NS1_16binary_search_opENS9_16wrapped_functionINS8_6system6detail7generic6detail18binary_search_lessEbEEEE10hipError_tPvRmT1_T2_T3_mmT4_T5_P12ihipStream_tbEUlRKiE_EEST_SX_SY_mSZ_S12_bEUlT_E_NS1_11comp_targetILNS1_3genE8ELNS1_11target_archE1030ELNS1_3gpuE2ELNS1_3repE0EEENS1_30default_config_static_selectorELNS0_4arch9wavefront6targetE1EEEvSW_.uses_flat_scratch, 0
	.set _ZN7rocprim17ROCPRIM_400000_NS6detail17trampoline_kernelINS0_14default_configENS1_29binary_search_config_selectorIiiEEZNS1_14transform_implILb0ES3_S5_N6thrust23THRUST_200600_302600_NS6detail15normal_iteratorINS8_7pointerIiNS8_11hip_rocprim5par_tENS8_11use_defaultESE_EEEESG_ZNS1_13binary_searchIS3_S5_NSA_INS8_10device_ptrIiEEEESG_SG_NS1_16binary_search_opENS9_16wrapped_functionINS8_6system6detail7generic6detail18binary_search_lessEbEEEE10hipError_tPvRmT1_T2_T3_mmT4_T5_P12ihipStream_tbEUlRKiE_EEST_SX_SY_mSZ_S12_bEUlT_E_NS1_11comp_targetILNS1_3genE8ELNS1_11target_archE1030ELNS1_3gpuE2ELNS1_3repE0EEENS1_30default_config_static_selectorELNS0_4arch9wavefront6targetE1EEEvSW_.has_dyn_sized_stack, 0
	.set _ZN7rocprim17ROCPRIM_400000_NS6detail17trampoline_kernelINS0_14default_configENS1_29binary_search_config_selectorIiiEEZNS1_14transform_implILb0ES3_S5_N6thrust23THRUST_200600_302600_NS6detail15normal_iteratorINS8_7pointerIiNS8_11hip_rocprim5par_tENS8_11use_defaultESE_EEEESG_ZNS1_13binary_searchIS3_S5_NSA_INS8_10device_ptrIiEEEESG_SG_NS1_16binary_search_opENS9_16wrapped_functionINS8_6system6detail7generic6detail18binary_search_lessEbEEEE10hipError_tPvRmT1_T2_T3_mmT4_T5_P12ihipStream_tbEUlRKiE_EEST_SX_SY_mSZ_S12_bEUlT_E_NS1_11comp_targetILNS1_3genE8ELNS1_11target_archE1030ELNS1_3gpuE2ELNS1_3repE0EEENS1_30default_config_static_selectorELNS0_4arch9wavefront6targetE1EEEvSW_.has_recursion, 0
	.set _ZN7rocprim17ROCPRIM_400000_NS6detail17trampoline_kernelINS0_14default_configENS1_29binary_search_config_selectorIiiEEZNS1_14transform_implILb0ES3_S5_N6thrust23THRUST_200600_302600_NS6detail15normal_iteratorINS8_7pointerIiNS8_11hip_rocprim5par_tENS8_11use_defaultESE_EEEESG_ZNS1_13binary_searchIS3_S5_NSA_INS8_10device_ptrIiEEEESG_SG_NS1_16binary_search_opENS9_16wrapped_functionINS8_6system6detail7generic6detail18binary_search_lessEbEEEE10hipError_tPvRmT1_T2_T3_mmT4_T5_P12ihipStream_tbEUlRKiE_EEST_SX_SY_mSZ_S12_bEUlT_E_NS1_11comp_targetILNS1_3genE8ELNS1_11target_archE1030ELNS1_3gpuE2ELNS1_3repE0EEENS1_30default_config_static_selectorELNS0_4arch9wavefront6targetE1EEEvSW_.has_indirect_call, 0
	.section	.AMDGPU.csdata,"",@progbits
; Kernel info:
; codeLenInByte = 0
; TotalNumSgprs: 4
; NumVgprs: 0
; ScratchSize: 0
; MemoryBound: 0
; FloatMode: 240
; IeeeMode: 1
; LDSByteSize: 0 bytes/workgroup (compile time only)
; SGPRBlocks: 0
; VGPRBlocks: 0
; NumSGPRsForWavesPerEU: 4
; NumVGPRsForWavesPerEU: 1
; Occupancy: 10
; WaveLimiterHint : 0
; COMPUTE_PGM_RSRC2:SCRATCH_EN: 0
; COMPUTE_PGM_RSRC2:USER_SGPR: 6
; COMPUTE_PGM_RSRC2:TRAP_HANDLER: 0
; COMPUTE_PGM_RSRC2:TGID_X_EN: 1
; COMPUTE_PGM_RSRC2:TGID_Y_EN: 0
; COMPUTE_PGM_RSRC2:TGID_Z_EN: 0
; COMPUTE_PGM_RSRC2:TIDIG_COMP_CNT: 0
	.section	.text._ZN7rocprim17ROCPRIM_400000_NS6detail17trampoline_kernelINS0_14default_configENS1_29binary_search_config_selectorIsiEEZNS1_14transform_implILb0ES3_S5_N6thrust23THRUST_200600_302600_NS6detail15normal_iteratorINS8_7pointerIsNS8_11hip_rocprim5par_tENS8_11use_defaultESE_EEEENSA_INSB_IiSD_SE_SE_EEEEZNS1_13binary_searchIS3_S5_NSA_INS8_10device_ptrIsEEEESG_SI_NS1_16binary_search_opENS9_16wrapped_functionINS8_6system6detail7generic6detail18binary_search_lessEbEEEE10hipError_tPvRmT1_T2_T3_mmT4_T5_P12ihipStream_tbEUlRKsE_EESV_SZ_S10_mS11_S14_bEUlT_E_NS1_11comp_targetILNS1_3genE0ELNS1_11target_archE4294967295ELNS1_3gpuE0ELNS1_3repE0EEENS1_30default_config_static_selectorELNS0_4arch9wavefront6targetE1EEEvSY_,"axG",@progbits,_ZN7rocprim17ROCPRIM_400000_NS6detail17trampoline_kernelINS0_14default_configENS1_29binary_search_config_selectorIsiEEZNS1_14transform_implILb0ES3_S5_N6thrust23THRUST_200600_302600_NS6detail15normal_iteratorINS8_7pointerIsNS8_11hip_rocprim5par_tENS8_11use_defaultESE_EEEENSA_INSB_IiSD_SE_SE_EEEEZNS1_13binary_searchIS3_S5_NSA_INS8_10device_ptrIsEEEESG_SI_NS1_16binary_search_opENS9_16wrapped_functionINS8_6system6detail7generic6detail18binary_search_lessEbEEEE10hipError_tPvRmT1_T2_T3_mmT4_T5_P12ihipStream_tbEUlRKsE_EESV_SZ_S10_mS11_S14_bEUlT_E_NS1_11comp_targetILNS1_3genE0ELNS1_11target_archE4294967295ELNS1_3gpuE0ELNS1_3repE0EEENS1_30default_config_static_selectorELNS0_4arch9wavefront6targetE1EEEvSY_,comdat
	.protected	_ZN7rocprim17ROCPRIM_400000_NS6detail17trampoline_kernelINS0_14default_configENS1_29binary_search_config_selectorIsiEEZNS1_14transform_implILb0ES3_S5_N6thrust23THRUST_200600_302600_NS6detail15normal_iteratorINS8_7pointerIsNS8_11hip_rocprim5par_tENS8_11use_defaultESE_EEEENSA_INSB_IiSD_SE_SE_EEEEZNS1_13binary_searchIS3_S5_NSA_INS8_10device_ptrIsEEEESG_SI_NS1_16binary_search_opENS9_16wrapped_functionINS8_6system6detail7generic6detail18binary_search_lessEbEEEE10hipError_tPvRmT1_T2_T3_mmT4_T5_P12ihipStream_tbEUlRKsE_EESV_SZ_S10_mS11_S14_bEUlT_E_NS1_11comp_targetILNS1_3genE0ELNS1_11target_archE4294967295ELNS1_3gpuE0ELNS1_3repE0EEENS1_30default_config_static_selectorELNS0_4arch9wavefront6targetE1EEEvSY_ ; -- Begin function _ZN7rocprim17ROCPRIM_400000_NS6detail17trampoline_kernelINS0_14default_configENS1_29binary_search_config_selectorIsiEEZNS1_14transform_implILb0ES3_S5_N6thrust23THRUST_200600_302600_NS6detail15normal_iteratorINS8_7pointerIsNS8_11hip_rocprim5par_tENS8_11use_defaultESE_EEEENSA_INSB_IiSD_SE_SE_EEEEZNS1_13binary_searchIS3_S5_NSA_INS8_10device_ptrIsEEEESG_SI_NS1_16binary_search_opENS9_16wrapped_functionINS8_6system6detail7generic6detail18binary_search_lessEbEEEE10hipError_tPvRmT1_T2_T3_mmT4_T5_P12ihipStream_tbEUlRKsE_EESV_SZ_S10_mS11_S14_bEUlT_E_NS1_11comp_targetILNS1_3genE0ELNS1_11target_archE4294967295ELNS1_3gpuE0ELNS1_3repE0EEENS1_30default_config_static_selectorELNS0_4arch9wavefront6targetE1EEEvSY_
	.globl	_ZN7rocprim17ROCPRIM_400000_NS6detail17trampoline_kernelINS0_14default_configENS1_29binary_search_config_selectorIsiEEZNS1_14transform_implILb0ES3_S5_N6thrust23THRUST_200600_302600_NS6detail15normal_iteratorINS8_7pointerIsNS8_11hip_rocprim5par_tENS8_11use_defaultESE_EEEENSA_INSB_IiSD_SE_SE_EEEEZNS1_13binary_searchIS3_S5_NSA_INS8_10device_ptrIsEEEESG_SI_NS1_16binary_search_opENS9_16wrapped_functionINS8_6system6detail7generic6detail18binary_search_lessEbEEEE10hipError_tPvRmT1_T2_T3_mmT4_T5_P12ihipStream_tbEUlRKsE_EESV_SZ_S10_mS11_S14_bEUlT_E_NS1_11comp_targetILNS1_3genE0ELNS1_11target_archE4294967295ELNS1_3gpuE0ELNS1_3repE0EEENS1_30default_config_static_selectorELNS0_4arch9wavefront6targetE1EEEvSY_
	.p2align	8
	.type	_ZN7rocprim17ROCPRIM_400000_NS6detail17trampoline_kernelINS0_14default_configENS1_29binary_search_config_selectorIsiEEZNS1_14transform_implILb0ES3_S5_N6thrust23THRUST_200600_302600_NS6detail15normal_iteratorINS8_7pointerIsNS8_11hip_rocprim5par_tENS8_11use_defaultESE_EEEENSA_INSB_IiSD_SE_SE_EEEEZNS1_13binary_searchIS3_S5_NSA_INS8_10device_ptrIsEEEESG_SI_NS1_16binary_search_opENS9_16wrapped_functionINS8_6system6detail7generic6detail18binary_search_lessEbEEEE10hipError_tPvRmT1_T2_T3_mmT4_T5_P12ihipStream_tbEUlRKsE_EESV_SZ_S10_mS11_S14_bEUlT_E_NS1_11comp_targetILNS1_3genE0ELNS1_11target_archE4294967295ELNS1_3gpuE0ELNS1_3repE0EEENS1_30default_config_static_selectorELNS0_4arch9wavefront6targetE1EEEvSY_,@function
_ZN7rocprim17ROCPRIM_400000_NS6detail17trampoline_kernelINS0_14default_configENS1_29binary_search_config_selectorIsiEEZNS1_14transform_implILb0ES3_S5_N6thrust23THRUST_200600_302600_NS6detail15normal_iteratorINS8_7pointerIsNS8_11hip_rocprim5par_tENS8_11use_defaultESE_EEEENSA_INSB_IiSD_SE_SE_EEEEZNS1_13binary_searchIS3_S5_NSA_INS8_10device_ptrIsEEEESG_SI_NS1_16binary_search_opENS9_16wrapped_functionINS8_6system6detail7generic6detail18binary_search_lessEbEEEE10hipError_tPvRmT1_T2_T3_mmT4_T5_P12ihipStream_tbEUlRKsE_EESV_SZ_S10_mS11_S14_bEUlT_E_NS1_11comp_targetILNS1_3genE0ELNS1_11target_archE4294967295ELNS1_3gpuE0ELNS1_3repE0EEENS1_30default_config_static_selectorELNS0_4arch9wavefront6targetE1EEEvSY_: ; @_ZN7rocprim17ROCPRIM_400000_NS6detail17trampoline_kernelINS0_14default_configENS1_29binary_search_config_selectorIsiEEZNS1_14transform_implILb0ES3_S5_N6thrust23THRUST_200600_302600_NS6detail15normal_iteratorINS8_7pointerIsNS8_11hip_rocprim5par_tENS8_11use_defaultESE_EEEENSA_INSB_IiSD_SE_SE_EEEEZNS1_13binary_searchIS3_S5_NSA_INS8_10device_ptrIsEEEESG_SI_NS1_16binary_search_opENS9_16wrapped_functionINS8_6system6detail7generic6detail18binary_search_lessEbEEEE10hipError_tPvRmT1_T2_T3_mmT4_T5_P12ihipStream_tbEUlRKsE_EESV_SZ_S10_mS11_S14_bEUlT_E_NS1_11comp_targetILNS1_3genE0ELNS1_11target_archE4294967295ELNS1_3gpuE0ELNS1_3repE0EEENS1_30default_config_static_selectorELNS0_4arch9wavefront6targetE1EEEvSY_
; %bb.0:
	.section	.rodata,"a",@progbits
	.p2align	6, 0x0
	.amdhsa_kernel _ZN7rocprim17ROCPRIM_400000_NS6detail17trampoline_kernelINS0_14default_configENS1_29binary_search_config_selectorIsiEEZNS1_14transform_implILb0ES3_S5_N6thrust23THRUST_200600_302600_NS6detail15normal_iteratorINS8_7pointerIsNS8_11hip_rocprim5par_tENS8_11use_defaultESE_EEEENSA_INSB_IiSD_SE_SE_EEEEZNS1_13binary_searchIS3_S5_NSA_INS8_10device_ptrIsEEEESG_SI_NS1_16binary_search_opENS9_16wrapped_functionINS8_6system6detail7generic6detail18binary_search_lessEbEEEE10hipError_tPvRmT1_T2_T3_mmT4_T5_P12ihipStream_tbEUlRKsE_EESV_SZ_S10_mS11_S14_bEUlT_E_NS1_11comp_targetILNS1_3genE0ELNS1_11target_archE4294967295ELNS1_3gpuE0ELNS1_3repE0EEENS1_30default_config_static_selectorELNS0_4arch9wavefront6targetE1EEEvSY_
		.amdhsa_group_segment_fixed_size 0
		.amdhsa_private_segment_fixed_size 0
		.amdhsa_kernarg_size 56
		.amdhsa_user_sgpr_count 6
		.amdhsa_user_sgpr_private_segment_buffer 1
		.amdhsa_user_sgpr_dispatch_ptr 0
		.amdhsa_user_sgpr_queue_ptr 0
		.amdhsa_user_sgpr_kernarg_segment_ptr 1
		.amdhsa_user_sgpr_dispatch_id 0
		.amdhsa_user_sgpr_flat_scratch_init 0
		.amdhsa_user_sgpr_private_segment_size 0
		.amdhsa_uses_dynamic_stack 0
		.amdhsa_system_sgpr_private_segment_wavefront_offset 0
		.amdhsa_system_sgpr_workgroup_id_x 1
		.amdhsa_system_sgpr_workgroup_id_y 0
		.amdhsa_system_sgpr_workgroup_id_z 0
		.amdhsa_system_sgpr_workgroup_info 0
		.amdhsa_system_vgpr_workitem_id 0
		.amdhsa_next_free_vgpr 1
		.amdhsa_next_free_sgpr 0
		.amdhsa_reserve_vcc 0
		.amdhsa_reserve_flat_scratch 0
		.amdhsa_float_round_mode_32 0
		.amdhsa_float_round_mode_16_64 0
		.amdhsa_float_denorm_mode_32 3
		.amdhsa_float_denorm_mode_16_64 3
		.amdhsa_dx10_clamp 1
		.amdhsa_ieee_mode 1
		.amdhsa_fp16_overflow 0
		.amdhsa_exception_fp_ieee_invalid_op 0
		.amdhsa_exception_fp_denorm_src 0
		.amdhsa_exception_fp_ieee_div_zero 0
		.amdhsa_exception_fp_ieee_overflow 0
		.amdhsa_exception_fp_ieee_underflow 0
		.amdhsa_exception_fp_ieee_inexact 0
		.amdhsa_exception_int_div_zero 0
	.end_amdhsa_kernel
	.section	.text._ZN7rocprim17ROCPRIM_400000_NS6detail17trampoline_kernelINS0_14default_configENS1_29binary_search_config_selectorIsiEEZNS1_14transform_implILb0ES3_S5_N6thrust23THRUST_200600_302600_NS6detail15normal_iteratorINS8_7pointerIsNS8_11hip_rocprim5par_tENS8_11use_defaultESE_EEEENSA_INSB_IiSD_SE_SE_EEEEZNS1_13binary_searchIS3_S5_NSA_INS8_10device_ptrIsEEEESG_SI_NS1_16binary_search_opENS9_16wrapped_functionINS8_6system6detail7generic6detail18binary_search_lessEbEEEE10hipError_tPvRmT1_T2_T3_mmT4_T5_P12ihipStream_tbEUlRKsE_EESV_SZ_S10_mS11_S14_bEUlT_E_NS1_11comp_targetILNS1_3genE0ELNS1_11target_archE4294967295ELNS1_3gpuE0ELNS1_3repE0EEENS1_30default_config_static_selectorELNS0_4arch9wavefront6targetE1EEEvSY_,"axG",@progbits,_ZN7rocprim17ROCPRIM_400000_NS6detail17trampoline_kernelINS0_14default_configENS1_29binary_search_config_selectorIsiEEZNS1_14transform_implILb0ES3_S5_N6thrust23THRUST_200600_302600_NS6detail15normal_iteratorINS8_7pointerIsNS8_11hip_rocprim5par_tENS8_11use_defaultESE_EEEENSA_INSB_IiSD_SE_SE_EEEEZNS1_13binary_searchIS3_S5_NSA_INS8_10device_ptrIsEEEESG_SI_NS1_16binary_search_opENS9_16wrapped_functionINS8_6system6detail7generic6detail18binary_search_lessEbEEEE10hipError_tPvRmT1_T2_T3_mmT4_T5_P12ihipStream_tbEUlRKsE_EESV_SZ_S10_mS11_S14_bEUlT_E_NS1_11comp_targetILNS1_3genE0ELNS1_11target_archE4294967295ELNS1_3gpuE0ELNS1_3repE0EEENS1_30default_config_static_selectorELNS0_4arch9wavefront6targetE1EEEvSY_,comdat
.Lfunc_end716:
	.size	_ZN7rocprim17ROCPRIM_400000_NS6detail17trampoline_kernelINS0_14default_configENS1_29binary_search_config_selectorIsiEEZNS1_14transform_implILb0ES3_S5_N6thrust23THRUST_200600_302600_NS6detail15normal_iteratorINS8_7pointerIsNS8_11hip_rocprim5par_tENS8_11use_defaultESE_EEEENSA_INSB_IiSD_SE_SE_EEEEZNS1_13binary_searchIS3_S5_NSA_INS8_10device_ptrIsEEEESG_SI_NS1_16binary_search_opENS9_16wrapped_functionINS8_6system6detail7generic6detail18binary_search_lessEbEEEE10hipError_tPvRmT1_T2_T3_mmT4_T5_P12ihipStream_tbEUlRKsE_EESV_SZ_S10_mS11_S14_bEUlT_E_NS1_11comp_targetILNS1_3genE0ELNS1_11target_archE4294967295ELNS1_3gpuE0ELNS1_3repE0EEENS1_30default_config_static_selectorELNS0_4arch9wavefront6targetE1EEEvSY_, .Lfunc_end716-_ZN7rocprim17ROCPRIM_400000_NS6detail17trampoline_kernelINS0_14default_configENS1_29binary_search_config_selectorIsiEEZNS1_14transform_implILb0ES3_S5_N6thrust23THRUST_200600_302600_NS6detail15normal_iteratorINS8_7pointerIsNS8_11hip_rocprim5par_tENS8_11use_defaultESE_EEEENSA_INSB_IiSD_SE_SE_EEEEZNS1_13binary_searchIS3_S5_NSA_INS8_10device_ptrIsEEEESG_SI_NS1_16binary_search_opENS9_16wrapped_functionINS8_6system6detail7generic6detail18binary_search_lessEbEEEE10hipError_tPvRmT1_T2_T3_mmT4_T5_P12ihipStream_tbEUlRKsE_EESV_SZ_S10_mS11_S14_bEUlT_E_NS1_11comp_targetILNS1_3genE0ELNS1_11target_archE4294967295ELNS1_3gpuE0ELNS1_3repE0EEENS1_30default_config_static_selectorELNS0_4arch9wavefront6targetE1EEEvSY_
                                        ; -- End function
	.set _ZN7rocprim17ROCPRIM_400000_NS6detail17trampoline_kernelINS0_14default_configENS1_29binary_search_config_selectorIsiEEZNS1_14transform_implILb0ES3_S5_N6thrust23THRUST_200600_302600_NS6detail15normal_iteratorINS8_7pointerIsNS8_11hip_rocprim5par_tENS8_11use_defaultESE_EEEENSA_INSB_IiSD_SE_SE_EEEEZNS1_13binary_searchIS3_S5_NSA_INS8_10device_ptrIsEEEESG_SI_NS1_16binary_search_opENS9_16wrapped_functionINS8_6system6detail7generic6detail18binary_search_lessEbEEEE10hipError_tPvRmT1_T2_T3_mmT4_T5_P12ihipStream_tbEUlRKsE_EESV_SZ_S10_mS11_S14_bEUlT_E_NS1_11comp_targetILNS1_3genE0ELNS1_11target_archE4294967295ELNS1_3gpuE0ELNS1_3repE0EEENS1_30default_config_static_selectorELNS0_4arch9wavefront6targetE1EEEvSY_.num_vgpr, 0
	.set _ZN7rocprim17ROCPRIM_400000_NS6detail17trampoline_kernelINS0_14default_configENS1_29binary_search_config_selectorIsiEEZNS1_14transform_implILb0ES3_S5_N6thrust23THRUST_200600_302600_NS6detail15normal_iteratorINS8_7pointerIsNS8_11hip_rocprim5par_tENS8_11use_defaultESE_EEEENSA_INSB_IiSD_SE_SE_EEEEZNS1_13binary_searchIS3_S5_NSA_INS8_10device_ptrIsEEEESG_SI_NS1_16binary_search_opENS9_16wrapped_functionINS8_6system6detail7generic6detail18binary_search_lessEbEEEE10hipError_tPvRmT1_T2_T3_mmT4_T5_P12ihipStream_tbEUlRKsE_EESV_SZ_S10_mS11_S14_bEUlT_E_NS1_11comp_targetILNS1_3genE0ELNS1_11target_archE4294967295ELNS1_3gpuE0ELNS1_3repE0EEENS1_30default_config_static_selectorELNS0_4arch9wavefront6targetE1EEEvSY_.num_agpr, 0
	.set _ZN7rocprim17ROCPRIM_400000_NS6detail17trampoline_kernelINS0_14default_configENS1_29binary_search_config_selectorIsiEEZNS1_14transform_implILb0ES3_S5_N6thrust23THRUST_200600_302600_NS6detail15normal_iteratorINS8_7pointerIsNS8_11hip_rocprim5par_tENS8_11use_defaultESE_EEEENSA_INSB_IiSD_SE_SE_EEEEZNS1_13binary_searchIS3_S5_NSA_INS8_10device_ptrIsEEEESG_SI_NS1_16binary_search_opENS9_16wrapped_functionINS8_6system6detail7generic6detail18binary_search_lessEbEEEE10hipError_tPvRmT1_T2_T3_mmT4_T5_P12ihipStream_tbEUlRKsE_EESV_SZ_S10_mS11_S14_bEUlT_E_NS1_11comp_targetILNS1_3genE0ELNS1_11target_archE4294967295ELNS1_3gpuE0ELNS1_3repE0EEENS1_30default_config_static_selectorELNS0_4arch9wavefront6targetE1EEEvSY_.numbered_sgpr, 0
	.set _ZN7rocprim17ROCPRIM_400000_NS6detail17trampoline_kernelINS0_14default_configENS1_29binary_search_config_selectorIsiEEZNS1_14transform_implILb0ES3_S5_N6thrust23THRUST_200600_302600_NS6detail15normal_iteratorINS8_7pointerIsNS8_11hip_rocprim5par_tENS8_11use_defaultESE_EEEENSA_INSB_IiSD_SE_SE_EEEEZNS1_13binary_searchIS3_S5_NSA_INS8_10device_ptrIsEEEESG_SI_NS1_16binary_search_opENS9_16wrapped_functionINS8_6system6detail7generic6detail18binary_search_lessEbEEEE10hipError_tPvRmT1_T2_T3_mmT4_T5_P12ihipStream_tbEUlRKsE_EESV_SZ_S10_mS11_S14_bEUlT_E_NS1_11comp_targetILNS1_3genE0ELNS1_11target_archE4294967295ELNS1_3gpuE0ELNS1_3repE0EEENS1_30default_config_static_selectorELNS0_4arch9wavefront6targetE1EEEvSY_.num_named_barrier, 0
	.set _ZN7rocprim17ROCPRIM_400000_NS6detail17trampoline_kernelINS0_14default_configENS1_29binary_search_config_selectorIsiEEZNS1_14transform_implILb0ES3_S5_N6thrust23THRUST_200600_302600_NS6detail15normal_iteratorINS8_7pointerIsNS8_11hip_rocprim5par_tENS8_11use_defaultESE_EEEENSA_INSB_IiSD_SE_SE_EEEEZNS1_13binary_searchIS3_S5_NSA_INS8_10device_ptrIsEEEESG_SI_NS1_16binary_search_opENS9_16wrapped_functionINS8_6system6detail7generic6detail18binary_search_lessEbEEEE10hipError_tPvRmT1_T2_T3_mmT4_T5_P12ihipStream_tbEUlRKsE_EESV_SZ_S10_mS11_S14_bEUlT_E_NS1_11comp_targetILNS1_3genE0ELNS1_11target_archE4294967295ELNS1_3gpuE0ELNS1_3repE0EEENS1_30default_config_static_selectorELNS0_4arch9wavefront6targetE1EEEvSY_.private_seg_size, 0
	.set _ZN7rocprim17ROCPRIM_400000_NS6detail17trampoline_kernelINS0_14default_configENS1_29binary_search_config_selectorIsiEEZNS1_14transform_implILb0ES3_S5_N6thrust23THRUST_200600_302600_NS6detail15normal_iteratorINS8_7pointerIsNS8_11hip_rocprim5par_tENS8_11use_defaultESE_EEEENSA_INSB_IiSD_SE_SE_EEEEZNS1_13binary_searchIS3_S5_NSA_INS8_10device_ptrIsEEEESG_SI_NS1_16binary_search_opENS9_16wrapped_functionINS8_6system6detail7generic6detail18binary_search_lessEbEEEE10hipError_tPvRmT1_T2_T3_mmT4_T5_P12ihipStream_tbEUlRKsE_EESV_SZ_S10_mS11_S14_bEUlT_E_NS1_11comp_targetILNS1_3genE0ELNS1_11target_archE4294967295ELNS1_3gpuE0ELNS1_3repE0EEENS1_30default_config_static_selectorELNS0_4arch9wavefront6targetE1EEEvSY_.uses_vcc, 0
	.set _ZN7rocprim17ROCPRIM_400000_NS6detail17trampoline_kernelINS0_14default_configENS1_29binary_search_config_selectorIsiEEZNS1_14transform_implILb0ES3_S5_N6thrust23THRUST_200600_302600_NS6detail15normal_iteratorINS8_7pointerIsNS8_11hip_rocprim5par_tENS8_11use_defaultESE_EEEENSA_INSB_IiSD_SE_SE_EEEEZNS1_13binary_searchIS3_S5_NSA_INS8_10device_ptrIsEEEESG_SI_NS1_16binary_search_opENS9_16wrapped_functionINS8_6system6detail7generic6detail18binary_search_lessEbEEEE10hipError_tPvRmT1_T2_T3_mmT4_T5_P12ihipStream_tbEUlRKsE_EESV_SZ_S10_mS11_S14_bEUlT_E_NS1_11comp_targetILNS1_3genE0ELNS1_11target_archE4294967295ELNS1_3gpuE0ELNS1_3repE0EEENS1_30default_config_static_selectorELNS0_4arch9wavefront6targetE1EEEvSY_.uses_flat_scratch, 0
	.set _ZN7rocprim17ROCPRIM_400000_NS6detail17trampoline_kernelINS0_14default_configENS1_29binary_search_config_selectorIsiEEZNS1_14transform_implILb0ES3_S5_N6thrust23THRUST_200600_302600_NS6detail15normal_iteratorINS8_7pointerIsNS8_11hip_rocprim5par_tENS8_11use_defaultESE_EEEENSA_INSB_IiSD_SE_SE_EEEEZNS1_13binary_searchIS3_S5_NSA_INS8_10device_ptrIsEEEESG_SI_NS1_16binary_search_opENS9_16wrapped_functionINS8_6system6detail7generic6detail18binary_search_lessEbEEEE10hipError_tPvRmT1_T2_T3_mmT4_T5_P12ihipStream_tbEUlRKsE_EESV_SZ_S10_mS11_S14_bEUlT_E_NS1_11comp_targetILNS1_3genE0ELNS1_11target_archE4294967295ELNS1_3gpuE0ELNS1_3repE0EEENS1_30default_config_static_selectorELNS0_4arch9wavefront6targetE1EEEvSY_.has_dyn_sized_stack, 0
	.set _ZN7rocprim17ROCPRIM_400000_NS6detail17trampoline_kernelINS0_14default_configENS1_29binary_search_config_selectorIsiEEZNS1_14transform_implILb0ES3_S5_N6thrust23THRUST_200600_302600_NS6detail15normal_iteratorINS8_7pointerIsNS8_11hip_rocprim5par_tENS8_11use_defaultESE_EEEENSA_INSB_IiSD_SE_SE_EEEEZNS1_13binary_searchIS3_S5_NSA_INS8_10device_ptrIsEEEESG_SI_NS1_16binary_search_opENS9_16wrapped_functionINS8_6system6detail7generic6detail18binary_search_lessEbEEEE10hipError_tPvRmT1_T2_T3_mmT4_T5_P12ihipStream_tbEUlRKsE_EESV_SZ_S10_mS11_S14_bEUlT_E_NS1_11comp_targetILNS1_3genE0ELNS1_11target_archE4294967295ELNS1_3gpuE0ELNS1_3repE0EEENS1_30default_config_static_selectorELNS0_4arch9wavefront6targetE1EEEvSY_.has_recursion, 0
	.set _ZN7rocprim17ROCPRIM_400000_NS6detail17trampoline_kernelINS0_14default_configENS1_29binary_search_config_selectorIsiEEZNS1_14transform_implILb0ES3_S5_N6thrust23THRUST_200600_302600_NS6detail15normal_iteratorINS8_7pointerIsNS8_11hip_rocprim5par_tENS8_11use_defaultESE_EEEENSA_INSB_IiSD_SE_SE_EEEEZNS1_13binary_searchIS3_S5_NSA_INS8_10device_ptrIsEEEESG_SI_NS1_16binary_search_opENS9_16wrapped_functionINS8_6system6detail7generic6detail18binary_search_lessEbEEEE10hipError_tPvRmT1_T2_T3_mmT4_T5_P12ihipStream_tbEUlRKsE_EESV_SZ_S10_mS11_S14_bEUlT_E_NS1_11comp_targetILNS1_3genE0ELNS1_11target_archE4294967295ELNS1_3gpuE0ELNS1_3repE0EEENS1_30default_config_static_selectorELNS0_4arch9wavefront6targetE1EEEvSY_.has_indirect_call, 0
	.section	.AMDGPU.csdata,"",@progbits
; Kernel info:
; codeLenInByte = 0
; TotalNumSgprs: 4
; NumVgprs: 0
; ScratchSize: 0
; MemoryBound: 0
; FloatMode: 240
; IeeeMode: 1
; LDSByteSize: 0 bytes/workgroup (compile time only)
; SGPRBlocks: 0
; VGPRBlocks: 0
; NumSGPRsForWavesPerEU: 4
; NumVGPRsForWavesPerEU: 1
; Occupancy: 10
; WaveLimiterHint : 0
; COMPUTE_PGM_RSRC2:SCRATCH_EN: 0
; COMPUTE_PGM_RSRC2:USER_SGPR: 6
; COMPUTE_PGM_RSRC2:TRAP_HANDLER: 0
; COMPUTE_PGM_RSRC2:TGID_X_EN: 1
; COMPUTE_PGM_RSRC2:TGID_Y_EN: 0
; COMPUTE_PGM_RSRC2:TGID_Z_EN: 0
; COMPUTE_PGM_RSRC2:TIDIG_COMP_CNT: 0
	.section	.text._ZN7rocprim17ROCPRIM_400000_NS6detail17trampoline_kernelINS0_14default_configENS1_29binary_search_config_selectorIsiEEZNS1_14transform_implILb0ES3_S5_N6thrust23THRUST_200600_302600_NS6detail15normal_iteratorINS8_7pointerIsNS8_11hip_rocprim5par_tENS8_11use_defaultESE_EEEENSA_INSB_IiSD_SE_SE_EEEEZNS1_13binary_searchIS3_S5_NSA_INS8_10device_ptrIsEEEESG_SI_NS1_16binary_search_opENS9_16wrapped_functionINS8_6system6detail7generic6detail18binary_search_lessEbEEEE10hipError_tPvRmT1_T2_T3_mmT4_T5_P12ihipStream_tbEUlRKsE_EESV_SZ_S10_mS11_S14_bEUlT_E_NS1_11comp_targetILNS1_3genE5ELNS1_11target_archE942ELNS1_3gpuE9ELNS1_3repE0EEENS1_30default_config_static_selectorELNS0_4arch9wavefront6targetE1EEEvSY_,"axG",@progbits,_ZN7rocprim17ROCPRIM_400000_NS6detail17trampoline_kernelINS0_14default_configENS1_29binary_search_config_selectorIsiEEZNS1_14transform_implILb0ES3_S5_N6thrust23THRUST_200600_302600_NS6detail15normal_iteratorINS8_7pointerIsNS8_11hip_rocprim5par_tENS8_11use_defaultESE_EEEENSA_INSB_IiSD_SE_SE_EEEEZNS1_13binary_searchIS3_S5_NSA_INS8_10device_ptrIsEEEESG_SI_NS1_16binary_search_opENS9_16wrapped_functionINS8_6system6detail7generic6detail18binary_search_lessEbEEEE10hipError_tPvRmT1_T2_T3_mmT4_T5_P12ihipStream_tbEUlRKsE_EESV_SZ_S10_mS11_S14_bEUlT_E_NS1_11comp_targetILNS1_3genE5ELNS1_11target_archE942ELNS1_3gpuE9ELNS1_3repE0EEENS1_30default_config_static_selectorELNS0_4arch9wavefront6targetE1EEEvSY_,comdat
	.protected	_ZN7rocprim17ROCPRIM_400000_NS6detail17trampoline_kernelINS0_14default_configENS1_29binary_search_config_selectorIsiEEZNS1_14transform_implILb0ES3_S5_N6thrust23THRUST_200600_302600_NS6detail15normal_iteratorINS8_7pointerIsNS8_11hip_rocprim5par_tENS8_11use_defaultESE_EEEENSA_INSB_IiSD_SE_SE_EEEEZNS1_13binary_searchIS3_S5_NSA_INS8_10device_ptrIsEEEESG_SI_NS1_16binary_search_opENS9_16wrapped_functionINS8_6system6detail7generic6detail18binary_search_lessEbEEEE10hipError_tPvRmT1_T2_T3_mmT4_T5_P12ihipStream_tbEUlRKsE_EESV_SZ_S10_mS11_S14_bEUlT_E_NS1_11comp_targetILNS1_3genE5ELNS1_11target_archE942ELNS1_3gpuE9ELNS1_3repE0EEENS1_30default_config_static_selectorELNS0_4arch9wavefront6targetE1EEEvSY_ ; -- Begin function _ZN7rocprim17ROCPRIM_400000_NS6detail17trampoline_kernelINS0_14default_configENS1_29binary_search_config_selectorIsiEEZNS1_14transform_implILb0ES3_S5_N6thrust23THRUST_200600_302600_NS6detail15normal_iteratorINS8_7pointerIsNS8_11hip_rocprim5par_tENS8_11use_defaultESE_EEEENSA_INSB_IiSD_SE_SE_EEEEZNS1_13binary_searchIS3_S5_NSA_INS8_10device_ptrIsEEEESG_SI_NS1_16binary_search_opENS9_16wrapped_functionINS8_6system6detail7generic6detail18binary_search_lessEbEEEE10hipError_tPvRmT1_T2_T3_mmT4_T5_P12ihipStream_tbEUlRKsE_EESV_SZ_S10_mS11_S14_bEUlT_E_NS1_11comp_targetILNS1_3genE5ELNS1_11target_archE942ELNS1_3gpuE9ELNS1_3repE0EEENS1_30default_config_static_selectorELNS0_4arch9wavefront6targetE1EEEvSY_
	.globl	_ZN7rocprim17ROCPRIM_400000_NS6detail17trampoline_kernelINS0_14default_configENS1_29binary_search_config_selectorIsiEEZNS1_14transform_implILb0ES3_S5_N6thrust23THRUST_200600_302600_NS6detail15normal_iteratorINS8_7pointerIsNS8_11hip_rocprim5par_tENS8_11use_defaultESE_EEEENSA_INSB_IiSD_SE_SE_EEEEZNS1_13binary_searchIS3_S5_NSA_INS8_10device_ptrIsEEEESG_SI_NS1_16binary_search_opENS9_16wrapped_functionINS8_6system6detail7generic6detail18binary_search_lessEbEEEE10hipError_tPvRmT1_T2_T3_mmT4_T5_P12ihipStream_tbEUlRKsE_EESV_SZ_S10_mS11_S14_bEUlT_E_NS1_11comp_targetILNS1_3genE5ELNS1_11target_archE942ELNS1_3gpuE9ELNS1_3repE0EEENS1_30default_config_static_selectorELNS0_4arch9wavefront6targetE1EEEvSY_
	.p2align	8
	.type	_ZN7rocprim17ROCPRIM_400000_NS6detail17trampoline_kernelINS0_14default_configENS1_29binary_search_config_selectorIsiEEZNS1_14transform_implILb0ES3_S5_N6thrust23THRUST_200600_302600_NS6detail15normal_iteratorINS8_7pointerIsNS8_11hip_rocprim5par_tENS8_11use_defaultESE_EEEENSA_INSB_IiSD_SE_SE_EEEEZNS1_13binary_searchIS3_S5_NSA_INS8_10device_ptrIsEEEESG_SI_NS1_16binary_search_opENS9_16wrapped_functionINS8_6system6detail7generic6detail18binary_search_lessEbEEEE10hipError_tPvRmT1_T2_T3_mmT4_T5_P12ihipStream_tbEUlRKsE_EESV_SZ_S10_mS11_S14_bEUlT_E_NS1_11comp_targetILNS1_3genE5ELNS1_11target_archE942ELNS1_3gpuE9ELNS1_3repE0EEENS1_30default_config_static_selectorELNS0_4arch9wavefront6targetE1EEEvSY_,@function
_ZN7rocprim17ROCPRIM_400000_NS6detail17trampoline_kernelINS0_14default_configENS1_29binary_search_config_selectorIsiEEZNS1_14transform_implILb0ES3_S5_N6thrust23THRUST_200600_302600_NS6detail15normal_iteratorINS8_7pointerIsNS8_11hip_rocprim5par_tENS8_11use_defaultESE_EEEENSA_INSB_IiSD_SE_SE_EEEEZNS1_13binary_searchIS3_S5_NSA_INS8_10device_ptrIsEEEESG_SI_NS1_16binary_search_opENS9_16wrapped_functionINS8_6system6detail7generic6detail18binary_search_lessEbEEEE10hipError_tPvRmT1_T2_T3_mmT4_T5_P12ihipStream_tbEUlRKsE_EESV_SZ_S10_mS11_S14_bEUlT_E_NS1_11comp_targetILNS1_3genE5ELNS1_11target_archE942ELNS1_3gpuE9ELNS1_3repE0EEENS1_30default_config_static_selectorELNS0_4arch9wavefront6targetE1EEEvSY_: ; @_ZN7rocprim17ROCPRIM_400000_NS6detail17trampoline_kernelINS0_14default_configENS1_29binary_search_config_selectorIsiEEZNS1_14transform_implILb0ES3_S5_N6thrust23THRUST_200600_302600_NS6detail15normal_iteratorINS8_7pointerIsNS8_11hip_rocprim5par_tENS8_11use_defaultESE_EEEENSA_INSB_IiSD_SE_SE_EEEEZNS1_13binary_searchIS3_S5_NSA_INS8_10device_ptrIsEEEESG_SI_NS1_16binary_search_opENS9_16wrapped_functionINS8_6system6detail7generic6detail18binary_search_lessEbEEEE10hipError_tPvRmT1_T2_T3_mmT4_T5_P12ihipStream_tbEUlRKsE_EESV_SZ_S10_mS11_S14_bEUlT_E_NS1_11comp_targetILNS1_3genE5ELNS1_11target_archE942ELNS1_3gpuE9ELNS1_3repE0EEENS1_30default_config_static_selectorELNS0_4arch9wavefront6targetE1EEEvSY_
; %bb.0:
	.section	.rodata,"a",@progbits
	.p2align	6, 0x0
	.amdhsa_kernel _ZN7rocprim17ROCPRIM_400000_NS6detail17trampoline_kernelINS0_14default_configENS1_29binary_search_config_selectorIsiEEZNS1_14transform_implILb0ES3_S5_N6thrust23THRUST_200600_302600_NS6detail15normal_iteratorINS8_7pointerIsNS8_11hip_rocprim5par_tENS8_11use_defaultESE_EEEENSA_INSB_IiSD_SE_SE_EEEEZNS1_13binary_searchIS3_S5_NSA_INS8_10device_ptrIsEEEESG_SI_NS1_16binary_search_opENS9_16wrapped_functionINS8_6system6detail7generic6detail18binary_search_lessEbEEEE10hipError_tPvRmT1_T2_T3_mmT4_T5_P12ihipStream_tbEUlRKsE_EESV_SZ_S10_mS11_S14_bEUlT_E_NS1_11comp_targetILNS1_3genE5ELNS1_11target_archE942ELNS1_3gpuE9ELNS1_3repE0EEENS1_30default_config_static_selectorELNS0_4arch9wavefront6targetE1EEEvSY_
		.amdhsa_group_segment_fixed_size 0
		.amdhsa_private_segment_fixed_size 0
		.amdhsa_kernarg_size 56
		.amdhsa_user_sgpr_count 6
		.amdhsa_user_sgpr_private_segment_buffer 1
		.amdhsa_user_sgpr_dispatch_ptr 0
		.amdhsa_user_sgpr_queue_ptr 0
		.amdhsa_user_sgpr_kernarg_segment_ptr 1
		.amdhsa_user_sgpr_dispatch_id 0
		.amdhsa_user_sgpr_flat_scratch_init 0
		.amdhsa_user_sgpr_private_segment_size 0
		.amdhsa_uses_dynamic_stack 0
		.amdhsa_system_sgpr_private_segment_wavefront_offset 0
		.amdhsa_system_sgpr_workgroup_id_x 1
		.amdhsa_system_sgpr_workgroup_id_y 0
		.amdhsa_system_sgpr_workgroup_id_z 0
		.amdhsa_system_sgpr_workgroup_info 0
		.amdhsa_system_vgpr_workitem_id 0
		.amdhsa_next_free_vgpr 1
		.amdhsa_next_free_sgpr 0
		.amdhsa_reserve_vcc 0
		.amdhsa_reserve_flat_scratch 0
		.amdhsa_float_round_mode_32 0
		.amdhsa_float_round_mode_16_64 0
		.amdhsa_float_denorm_mode_32 3
		.amdhsa_float_denorm_mode_16_64 3
		.amdhsa_dx10_clamp 1
		.amdhsa_ieee_mode 1
		.amdhsa_fp16_overflow 0
		.amdhsa_exception_fp_ieee_invalid_op 0
		.amdhsa_exception_fp_denorm_src 0
		.amdhsa_exception_fp_ieee_div_zero 0
		.amdhsa_exception_fp_ieee_overflow 0
		.amdhsa_exception_fp_ieee_underflow 0
		.amdhsa_exception_fp_ieee_inexact 0
		.amdhsa_exception_int_div_zero 0
	.end_amdhsa_kernel
	.section	.text._ZN7rocprim17ROCPRIM_400000_NS6detail17trampoline_kernelINS0_14default_configENS1_29binary_search_config_selectorIsiEEZNS1_14transform_implILb0ES3_S5_N6thrust23THRUST_200600_302600_NS6detail15normal_iteratorINS8_7pointerIsNS8_11hip_rocprim5par_tENS8_11use_defaultESE_EEEENSA_INSB_IiSD_SE_SE_EEEEZNS1_13binary_searchIS3_S5_NSA_INS8_10device_ptrIsEEEESG_SI_NS1_16binary_search_opENS9_16wrapped_functionINS8_6system6detail7generic6detail18binary_search_lessEbEEEE10hipError_tPvRmT1_T2_T3_mmT4_T5_P12ihipStream_tbEUlRKsE_EESV_SZ_S10_mS11_S14_bEUlT_E_NS1_11comp_targetILNS1_3genE5ELNS1_11target_archE942ELNS1_3gpuE9ELNS1_3repE0EEENS1_30default_config_static_selectorELNS0_4arch9wavefront6targetE1EEEvSY_,"axG",@progbits,_ZN7rocprim17ROCPRIM_400000_NS6detail17trampoline_kernelINS0_14default_configENS1_29binary_search_config_selectorIsiEEZNS1_14transform_implILb0ES3_S5_N6thrust23THRUST_200600_302600_NS6detail15normal_iteratorINS8_7pointerIsNS8_11hip_rocprim5par_tENS8_11use_defaultESE_EEEENSA_INSB_IiSD_SE_SE_EEEEZNS1_13binary_searchIS3_S5_NSA_INS8_10device_ptrIsEEEESG_SI_NS1_16binary_search_opENS9_16wrapped_functionINS8_6system6detail7generic6detail18binary_search_lessEbEEEE10hipError_tPvRmT1_T2_T3_mmT4_T5_P12ihipStream_tbEUlRKsE_EESV_SZ_S10_mS11_S14_bEUlT_E_NS1_11comp_targetILNS1_3genE5ELNS1_11target_archE942ELNS1_3gpuE9ELNS1_3repE0EEENS1_30default_config_static_selectorELNS0_4arch9wavefront6targetE1EEEvSY_,comdat
.Lfunc_end717:
	.size	_ZN7rocprim17ROCPRIM_400000_NS6detail17trampoline_kernelINS0_14default_configENS1_29binary_search_config_selectorIsiEEZNS1_14transform_implILb0ES3_S5_N6thrust23THRUST_200600_302600_NS6detail15normal_iteratorINS8_7pointerIsNS8_11hip_rocprim5par_tENS8_11use_defaultESE_EEEENSA_INSB_IiSD_SE_SE_EEEEZNS1_13binary_searchIS3_S5_NSA_INS8_10device_ptrIsEEEESG_SI_NS1_16binary_search_opENS9_16wrapped_functionINS8_6system6detail7generic6detail18binary_search_lessEbEEEE10hipError_tPvRmT1_T2_T3_mmT4_T5_P12ihipStream_tbEUlRKsE_EESV_SZ_S10_mS11_S14_bEUlT_E_NS1_11comp_targetILNS1_3genE5ELNS1_11target_archE942ELNS1_3gpuE9ELNS1_3repE0EEENS1_30default_config_static_selectorELNS0_4arch9wavefront6targetE1EEEvSY_, .Lfunc_end717-_ZN7rocprim17ROCPRIM_400000_NS6detail17trampoline_kernelINS0_14default_configENS1_29binary_search_config_selectorIsiEEZNS1_14transform_implILb0ES3_S5_N6thrust23THRUST_200600_302600_NS6detail15normal_iteratorINS8_7pointerIsNS8_11hip_rocprim5par_tENS8_11use_defaultESE_EEEENSA_INSB_IiSD_SE_SE_EEEEZNS1_13binary_searchIS3_S5_NSA_INS8_10device_ptrIsEEEESG_SI_NS1_16binary_search_opENS9_16wrapped_functionINS8_6system6detail7generic6detail18binary_search_lessEbEEEE10hipError_tPvRmT1_T2_T3_mmT4_T5_P12ihipStream_tbEUlRKsE_EESV_SZ_S10_mS11_S14_bEUlT_E_NS1_11comp_targetILNS1_3genE5ELNS1_11target_archE942ELNS1_3gpuE9ELNS1_3repE0EEENS1_30default_config_static_selectorELNS0_4arch9wavefront6targetE1EEEvSY_
                                        ; -- End function
	.set _ZN7rocprim17ROCPRIM_400000_NS6detail17trampoline_kernelINS0_14default_configENS1_29binary_search_config_selectorIsiEEZNS1_14transform_implILb0ES3_S5_N6thrust23THRUST_200600_302600_NS6detail15normal_iteratorINS8_7pointerIsNS8_11hip_rocprim5par_tENS8_11use_defaultESE_EEEENSA_INSB_IiSD_SE_SE_EEEEZNS1_13binary_searchIS3_S5_NSA_INS8_10device_ptrIsEEEESG_SI_NS1_16binary_search_opENS9_16wrapped_functionINS8_6system6detail7generic6detail18binary_search_lessEbEEEE10hipError_tPvRmT1_T2_T3_mmT4_T5_P12ihipStream_tbEUlRKsE_EESV_SZ_S10_mS11_S14_bEUlT_E_NS1_11comp_targetILNS1_3genE5ELNS1_11target_archE942ELNS1_3gpuE9ELNS1_3repE0EEENS1_30default_config_static_selectorELNS0_4arch9wavefront6targetE1EEEvSY_.num_vgpr, 0
	.set _ZN7rocprim17ROCPRIM_400000_NS6detail17trampoline_kernelINS0_14default_configENS1_29binary_search_config_selectorIsiEEZNS1_14transform_implILb0ES3_S5_N6thrust23THRUST_200600_302600_NS6detail15normal_iteratorINS8_7pointerIsNS8_11hip_rocprim5par_tENS8_11use_defaultESE_EEEENSA_INSB_IiSD_SE_SE_EEEEZNS1_13binary_searchIS3_S5_NSA_INS8_10device_ptrIsEEEESG_SI_NS1_16binary_search_opENS9_16wrapped_functionINS8_6system6detail7generic6detail18binary_search_lessEbEEEE10hipError_tPvRmT1_T2_T3_mmT4_T5_P12ihipStream_tbEUlRKsE_EESV_SZ_S10_mS11_S14_bEUlT_E_NS1_11comp_targetILNS1_3genE5ELNS1_11target_archE942ELNS1_3gpuE9ELNS1_3repE0EEENS1_30default_config_static_selectorELNS0_4arch9wavefront6targetE1EEEvSY_.num_agpr, 0
	.set _ZN7rocprim17ROCPRIM_400000_NS6detail17trampoline_kernelINS0_14default_configENS1_29binary_search_config_selectorIsiEEZNS1_14transform_implILb0ES3_S5_N6thrust23THRUST_200600_302600_NS6detail15normal_iteratorINS8_7pointerIsNS8_11hip_rocprim5par_tENS8_11use_defaultESE_EEEENSA_INSB_IiSD_SE_SE_EEEEZNS1_13binary_searchIS3_S5_NSA_INS8_10device_ptrIsEEEESG_SI_NS1_16binary_search_opENS9_16wrapped_functionINS8_6system6detail7generic6detail18binary_search_lessEbEEEE10hipError_tPvRmT1_T2_T3_mmT4_T5_P12ihipStream_tbEUlRKsE_EESV_SZ_S10_mS11_S14_bEUlT_E_NS1_11comp_targetILNS1_3genE5ELNS1_11target_archE942ELNS1_3gpuE9ELNS1_3repE0EEENS1_30default_config_static_selectorELNS0_4arch9wavefront6targetE1EEEvSY_.numbered_sgpr, 0
	.set _ZN7rocprim17ROCPRIM_400000_NS6detail17trampoline_kernelINS0_14default_configENS1_29binary_search_config_selectorIsiEEZNS1_14transform_implILb0ES3_S5_N6thrust23THRUST_200600_302600_NS6detail15normal_iteratorINS8_7pointerIsNS8_11hip_rocprim5par_tENS8_11use_defaultESE_EEEENSA_INSB_IiSD_SE_SE_EEEEZNS1_13binary_searchIS3_S5_NSA_INS8_10device_ptrIsEEEESG_SI_NS1_16binary_search_opENS9_16wrapped_functionINS8_6system6detail7generic6detail18binary_search_lessEbEEEE10hipError_tPvRmT1_T2_T3_mmT4_T5_P12ihipStream_tbEUlRKsE_EESV_SZ_S10_mS11_S14_bEUlT_E_NS1_11comp_targetILNS1_3genE5ELNS1_11target_archE942ELNS1_3gpuE9ELNS1_3repE0EEENS1_30default_config_static_selectorELNS0_4arch9wavefront6targetE1EEEvSY_.num_named_barrier, 0
	.set _ZN7rocprim17ROCPRIM_400000_NS6detail17trampoline_kernelINS0_14default_configENS1_29binary_search_config_selectorIsiEEZNS1_14transform_implILb0ES3_S5_N6thrust23THRUST_200600_302600_NS6detail15normal_iteratorINS8_7pointerIsNS8_11hip_rocprim5par_tENS8_11use_defaultESE_EEEENSA_INSB_IiSD_SE_SE_EEEEZNS1_13binary_searchIS3_S5_NSA_INS8_10device_ptrIsEEEESG_SI_NS1_16binary_search_opENS9_16wrapped_functionINS8_6system6detail7generic6detail18binary_search_lessEbEEEE10hipError_tPvRmT1_T2_T3_mmT4_T5_P12ihipStream_tbEUlRKsE_EESV_SZ_S10_mS11_S14_bEUlT_E_NS1_11comp_targetILNS1_3genE5ELNS1_11target_archE942ELNS1_3gpuE9ELNS1_3repE0EEENS1_30default_config_static_selectorELNS0_4arch9wavefront6targetE1EEEvSY_.private_seg_size, 0
	.set _ZN7rocprim17ROCPRIM_400000_NS6detail17trampoline_kernelINS0_14default_configENS1_29binary_search_config_selectorIsiEEZNS1_14transform_implILb0ES3_S5_N6thrust23THRUST_200600_302600_NS6detail15normal_iteratorINS8_7pointerIsNS8_11hip_rocprim5par_tENS8_11use_defaultESE_EEEENSA_INSB_IiSD_SE_SE_EEEEZNS1_13binary_searchIS3_S5_NSA_INS8_10device_ptrIsEEEESG_SI_NS1_16binary_search_opENS9_16wrapped_functionINS8_6system6detail7generic6detail18binary_search_lessEbEEEE10hipError_tPvRmT1_T2_T3_mmT4_T5_P12ihipStream_tbEUlRKsE_EESV_SZ_S10_mS11_S14_bEUlT_E_NS1_11comp_targetILNS1_3genE5ELNS1_11target_archE942ELNS1_3gpuE9ELNS1_3repE0EEENS1_30default_config_static_selectorELNS0_4arch9wavefront6targetE1EEEvSY_.uses_vcc, 0
	.set _ZN7rocprim17ROCPRIM_400000_NS6detail17trampoline_kernelINS0_14default_configENS1_29binary_search_config_selectorIsiEEZNS1_14transform_implILb0ES3_S5_N6thrust23THRUST_200600_302600_NS6detail15normal_iteratorINS8_7pointerIsNS8_11hip_rocprim5par_tENS8_11use_defaultESE_EEEENSA_INSB_IiSD_SE_SE_EEEEZNS1_13binary_searchIS3_S5_NSA_INS8_10device_ptrIsEEEESG_SI_NS1_16binary_search_opENS9_16wrapped_functionINS8_6system6detail7generic6detail18binary_search_lessEbEEEE10hipError_tPvRmT1_T2_T3_mmT4_T5_P12ihipStream_tbEUlRKsE_EESV_SZ_S10_mS11_S14_bEUlT_E_NS1_11comp_targetILNS1_3genE5ELNS1_11target_archE942ELNS1_3gpuE9ELNS1_3repE0EEENS1_30default_config_static_selectorELNS0_4arch9wavefront6targetE1EEEvSY_.uses_flat_scratch, 0
	.set _ZN7rocprim17ROCPRIM_400000_NS6detail17trampoline_kernelINS0_14default_configENS1_29binary_search_config_selectorIsiEEZNS1_14transform_implILb0ES3_S5_N6thrust23THRUST_200600_302600_NS6detail15normal_iteratorINS8_7pointerIsNS8_11hip_rocprim5par_tENS8_11use_defaultESE_EEEENSA_INSB_IiSD_SE_SE_EEEEZNS1_13binary_searchIS3_S5_NSA_INS8_10device_ptrIsEEEESG_SI_NS1_16binary_search_opENS9_16wrapped_functionINS8_6system6detail7generic6detail18binary_search_lessEbEEEE10hipError_tPvRmT1_T2_T3_mmT4_T5_P12ihipStream_tbEUlRKsE_EESV_SZ_S10_mS11_S14_bEUlT_E_NS1_11comp_targetILNS1_3genE5ELNS1_11target_archE942ELNS1_3gpuE9ELNS1_3repE0EEENS1_30default_config_static_selectorELNS0_4arch9wavefront6targetE1EEEvSY_.has_dyn_sized_stack, 0
	.set _ZN7rocprim17ROCPRIM_400000_NS6detail17trampoline_kernelINS0_14default_configENS1_29binary_search_config_selectorIsiEEZNS1_14transform_implILb0ES3_S5_N6thrust23THRUST_200600_302600_NS6detail15normal_iteratorINS8_7pointerIsNS8_11hip_rocprim5par_tENS8_11use_defaultESE_EEEENSA_INSB_IiSD_SE_SE_EEEEZNS1_13binary_searchIS3_S5_NSA_INS8_10device_ptrIsEEEESG_SI_NS1_16binary_search_opENS9_16wrapped_functionINS8_6system6detail7generic6detail18binary_search_lessEbEEEE10hipError_tPvRmT1_T2_T3_mmT4_T5_P12ihipStream_tbEUlRKsE_EESV_SZ_S10_mS11_S14_bEUlT_E_NS1_11comp_targetILNS1_3genE5ELNS1_11target_archE942ELNS1_3gpuE9ELNS1_3repE0EEENS1_30default_config_static_selectorELNS0_4arch9wavefront6targetE1EEEvSY_.has_recursion, 0
	.set _ZN7rocprim17ROCPRIM_400000_NS6detail17trampoline_kernelINS0_14default_configENS1_29binary_search_config_selectorIsiEEZNS1_14transform_implILb0ES3_S5_N6thrust23THRUST_200600_302600_NS6detail15normal_iteratorINS8_7pointerIsNS8_11hip_rocprim5par_tENS8_11use_defaultESE_EEEENSA_INSB_IiSD_SE_SE_EEEEZNS1_13binary_searchIS3_S5_NSA_INS8_10device_ptrIsEEEESG_SI_NS1_16binary_search_opENS9_16wrapped_functionINS8_6system6detail7generic6detail18binary_search_lessEbEEEE10hipError_tPvRmT1_T2_T3_mmT4_T5_P12ihipStream_tbEUlRKsE_EESV_SZ_S10_mS11_S14_bEUlT_E_NS1_11comp_targetILNS1_3genE5ELNS1_11target_archE942ELNS1_3gpuE9ELNS1_3repE0EEENS1_30default_config_static_selectorELNS0_4arch9wavefront6targetE1EEEvSY_.has_indirect_call, 0
	.section	.AMDGPU.csdata,"",@progbits
; Kernel info:
; codeLenInByte = 0
; TotalNumSgprs: 4
; NumVgprs: 0
; ScratchSize: 0
; MemoryBound: 0
; FloatMode: 240
; IeeeMode: 1
; LDSByteSize: 0 bytes/workgroup (compile time only)
; SGPRBlocks: 0
; VGPRBlocks: 0
; NumSGPRsForWavesPerEU: 4
; NumVGPRsForWavesPerEU: 1
; Occupancy: 10
; WaveLimiterHint : 0
; COMPUTE_PGM_RSRC2:SCRATCH_EN: 0
; COMPUTE_PGM_RSRC2:USER_SGPR: 6
; COMPUTE_PGM_RSRC2:TRAP_HANDLER: 0
; COMPUTE_PGM_RSRC2:TGID_X_EN: 1
; COMPUTE_PGM_RSRC2:TGID_Y_EN: 0
; COMPUTE_PGM_RSRC2:TGID_Z_EN: 0
; COMPUTE_PGM_RSRC2:TIDIG_COMP_CNT: 0
	.section	.text._ZN7rocprim17ROCPRIM_400000_NS6detail17trampoline_kernelINS0_14default_configENS1_29binary_search_config_selectorIsiEEZNS1_14transform_implILb0ES3_S5_N6thrust23THRUST_200600_302600_NS6detail15normal_iteratorINS8_7pointerIsNS8_11hip_rocprim5par_tENS8_11use_defaultESE_EEEENSA_INSB_IiSD_SE_SE_EEEEZNS1_13binary_searchIS3_S5_NSA_INS8_10device_ptrIsEEEESG_SI_NS1_16binary_search_opENS9_16wrapped_functionINS8_6system6detail7generic6detail18binary_search_lessEbEEEE10hipError_tPvRmT1_T2_T3_mmT4_T5_P12ihipStream_tbEUlRKsE_EESV_SZ_S10_mS11_S14_bEUlT_E_NS1_11comp_targetILNS1_3genE4ELNS1_11target_archE910ELNS1_3gpuE8ELNS1_3repE0EEENS1_30default_config_static_selectorELNS0_4arch9wavefront6targetE1EEEvSY_,"axG",@progbits,_ZN7rocprim17ROCPRIM_400000_NS6detail17trampoline_kernelINS0_14default_configENS1_29binary_search_config_selectorIsiEEZNS1_14transform_implILb0ES3_S5_N6thrust23THRUST_200600_302600_NS6detail15normal_iteratorINS8_7pointerIsNS8_11hip_rocprim5par_tENS8_11use_defaultESE_EEEENSA_INSB_IiSD_SE_SE_EEEEZNS1_13binary_searchIS3_S5_NSA_INS8_10device_ptrIsEEEESG_SI_NS1_16binary_search_opENS9_16wrapped_functionINS8_6system6detail7generic6detail18binary_search_lessEbEEEE10hipError_tPvRmT1_T2_T3_mmT4_T5_P12ihipStream_tbEUlRKsE_EESV_SZ_S10_mS11_S14_bEUlT_E_NS1_11comp_targetILNS1_3genE4ELNS1_11target_archE910ELNS1_3gpuE8ELNS1_3repE0EEENS1_30default_config_static_selectorELNS0_4arch9wavefront6targetE1EEEvSY_,comdat
	.protected	_ZN7rocprim17ROCPRIM_400000_NS6detail17trampoline_kernelINS0_14default_configENS1_29binary_search_config_selectorIsiEEZNS1_14transform_implILb0ES3_S5_N6thrust23THRUST_200600_302600_NS6detail15normal_iteratorINS8_7pointerIsNS8_11hip_rocprim5par_tENS8_11use_defaultESE_EEEENSA_INSB_IiSD_SE_SE_EEEEZNS1_13binary_searchIS3_S5_NSA_INS8_10device_ptrIsEEEESG_SI_NS1_16binary_search_opENS9_16wrapped_functionINS8_6system6detail7generic6detail18binary_search_lessEbEEEE10hipError_tPvRmT1_T2_T3_mmT4_T5_P12ihipStream_tbEUlRKsE_EESV_SZ_S10_mS11_S14_bEUlT_E_NS1_11comp_targetILNS1_3genE4ELNS1_11target_archE910ELNS1_3gpuE8ELNS1_3repE0EEENS1_30default_config_static_selectorELNS0_4arch9wavefront6targetE1EEEvSY_ ; -- Begin function _ZN7rocprim17ROCPRIM_400000_NS6detail17trampoline_kernelINS0_14default_configENS1_29binary_search_config_selectorIsiEEZNS1_14transform_implILb0ES3_S5_N6thrust23THRUST_200600_302600_NS6detail15normal_iteratorINS8_7pointerIsNS8_11hip_rocprim5par_tENS8_11use_defaultESE_EEEENSA_INSB_IiSD_SE_SE_EEEEZNS1_13binary_searchIS3_S5_NSA_INS8_10device_ptrIsEEEESG_SI_NS1_16binary_search_opENS9_16wrapped_functionINS8_6system6detail7generic6detail18binary_search_lessEbEEEE10hipError_tPvRmT1_T2_T3_mmT4_T5_P12ihipStream_tbEUlRKsE_EESV_SZ_S10_mS11_S14_bEUlT_E_NS1_11comp_targetILNS1_3genE4ELNS1_11target_archE910ELNS1_3gpuE8ELNS1_3repE0EEENS1_30default_config_static_selectorELNS0_4arch9wavefront6targetE1EEEvSY_
	.globl	_ZN7rocprim17ROCPRIM_400000_NS6detail17trampoline_kernelINS0_14default_configENS1_29binary_search_config_selectorIsiEEZNS1_14transform_implILb0ES3_S5_N6thrust23THRUST_200600_302600_NS6detail15normal_iteratorINS8_7pointerIsNS8_11hip_rocprim5par_tENS8_11use_defaultESE_EEEENSA_INSB_IiSD_SE_SE_EEEEZNS1_13binary_searchIS3_S5_NSA_INS8_10device_ptrIsEEEESG_SI_NS1_16binary_search_opENS9_16wrapped_functionINS8_6system6detail7generic6detail18binary_search_lessEbEEEE10hipError_tPvRmT1_T2_T3_mmT4_T5_P12ihipStream_tbEUlRKsE_EESV_SZ_S10_mS11_S14_bEUlT_E_NS1_11comp_targetILNS1_3genE4ELNS1_11target_archE910ELNS1_3gpuE8ELNS1_3repE0EEENS1_30default_config_static_selectorELNS0_4arch9wavefront6targetE1EEEvSY_
	.p2align	8
	.type	_ZN7rocprim17ROCPRIM_400000_NS6detail17trampoline_kernelINS0_14default_configENS1_29binary_search_config_selectorIsiEEZNS1_14transform_implILb0ES3_S5_N6thrust23THRUST_200600_302600_NS6detail15normal_iteratorINS8_7pointerIsNS8_11hip_rocprim5par_tENS8_11use_defaultESE_EEEENSA_INSB_IiSD_SE_SE_EEEEZNS1_13binary_searchIS3_S5_NSA_INS8_10device_ptrIsEEEESG_SI_NS1_16binary_search_opENS9_16wrapped_functionINS8_6system6detail7generic6detail18binary_search_lessEbEEEE10hipError_tPvRmT1_T2_T3_mmT4_T5_P12ihipStream_tbEUlRKsE_EESV_SZ_S10_mS11_S14_bEUlT_E_NS1_11comp_targetILNS1_3genE4ELNS1_11target_archE910ELNS1_3gpuE8ELNS1_3repE0EEENS1_30default_config_static_selectorELNS0_4arch9wavefront6targetE1EEEvSY_,@function
_ZN7rocprim17ROCPRIM_400000_NS6detail17trampoline_kernelINS0_14default_configENS1_29binary_search_config_selectorIsiEEZNS1_14transform_implILb0ES3_S5_N6thrust23THRUST_200600_302600_NS6detail15normal_iteratorINS8_7pointerIsNS8_11hip_rocprim5par_tENS8_11use_defaultESE_EEEENSA_INSB_IiSD_SE_SE_EEEEZNS1_13binary_searchIS3_S5_NSA_INS8_10device_ptrIsEEEESG_SI_NS1_16binary_search_opENS9_16wrapped_functionINS8_6system6detail7generic6detail18binary_search_lessEbEEEE10hipError_tPvRmT1_T2_T3_mmT4_T5_P12ihipStream_tbEUlRKsE_EESV_SZ_S10_mS11_S14_bEUlT_E_NS1_11comp_targetILNS1_3genE4ELNS1_11target_archE910ELNS1_3gpuE8ELNS1_3repE0EEENS1_30default_config_static_selectorELNS0_4arch9wavefront6targetE1EEEvSY_: ; @_ZN7rocprim17ROCPRIM_400000_NS6detail17trampoline_kernelINS0_14default_configENS1_29binary_search_config_selectorIsiEEZNS1_14transform_implILb0ES3_S5_N6thrust23THRUST_200600_302600_NS6detail15normal_iteratorINS8_7pointerIsNS8_11hip_rocprim5par_tENS8_11use_defaultESE_EEEENSA_INSB_IiSD_SE_SE_EEEEZNS1_13binary_searchIS3_S5_NSA_INS8_10device_ptrIsEEEESG_SI_NS1_16binary_search_opENS9_16wrapped_functionINS8_6system6detail7generic6detail18binary_search_lessEbEEEE10hipError_tPvRmT1_T2_T3_mmT4_T5_P12ihipStream_tbEUlRKsE_EESV_SZ_S10_mS11_S14_bEUlT_E_NS1_11comp_targetILNS1_3genE4ELNS1_11target_archE910ELNS1_3gpuE8ELNS1_3repE0EEENS1_30default_config_static_selectorELNS0_4arch9wavefront6targetE1EEEvSY_
; %bb.0:
	.section	.rodata,"a",@progbits
	.p2align	6, 0x0
	.amdhsa_kernel _ZN7rocprim17ROCPRIM_400000_NS6detail17trampoline_kernelINS0_14default_configENS1_29binary_search_config_selectorIsiEEZNS1_14transform_implILb0ES3_S5_N6thrust23THRUST_200600_302600_NS6detail15normal_iteratorINS8_7pointerIsNS8_11hip_rocprim5par_tENS8_11use_defaultESE_EEEENSA_INSB_IiSD_SE_SE_EEEEZNS1_13binary_searchIS3_S5_NSA_INS8_10device_ptrIsEEEESG_SI_NS1_16binary_search_opENS9_16wrapped_functionINS8_6system6detail7generic6detail18binary_search_lessEbEEEE10hipError_tPvRmT1_T2_T3_mmT4_T5_P12ihipStream_tbEUlRKsE_EESV_SZ_S10_mS11_S14_bEUlT_E_NS1_11comp_targetILNS1_3genE4ELNS1_11target_archE910ELNS1_3gpuE8ELNS1_3repE0EEENS1_30default_config_static_selectorELNS0_4arch9wavefront6targetE1EEEvSY_
		.amdhsa_group_segment_fixed_size 0
		.amdhsa_private_segment_fixed_size 0
		.amdhsa_kernarg_size 56
		.amdhsa_user_sgpr_count 6
		.amdhsa_user_sgpr_private_segment_buffer 1
		.amdhsa_user_sgpr_dispatch_ptr 0
		.amdhsa_user_sgpr_queue_ptr 0
		.amdhsa_user_sgpr_kernarg_segment_ptr 1
		.amdhsa_user_sgpr_dispatch_id 0
		.amdhsa_user_sgpr_flat_scratch_init 0
		.amdhsa_user_sgpr_private_segment_size 0
		.amdhsa_uses_dynamic_stack 0
		.amdhsa_system_sgpr_private_segment_wavefront_offset 0
		.amdhsa_system_sgpr_workgroup_id_x 1
		.amdhsa_system_sgpr_workgroup_id_y 0
		.amdhsa_system_sgpr_workgroup_id_z 0
		.amdhsa_system_sgpr_workgroup_info 0
		.amdhsa_system_vgpr_workitem_id 0
		.amdhsa_next_free_vgpr 1
		.amdhsa_next_free_sgpr 0
		.amdhsa_reserve_vcc 0
		.amdhsa_reserve_flat_scratch 0
		.amdhsa_float_round_mode_32 0
		.amdhsa_float_round_mode_16_64 0
		.amdhsa_float_denorm_mode_32 3
		.amdhsa_float_denorm_mode_16_64 3
		.amdhsa_dx10_clamp 1
		.amdhsa_ieee_mode 1
		.amdhsa_fp16_overflow 0
		.amdhsa_exception_fp_ieee_invalid_op 0
		.amdhsa_exception_fp_denorm_src 0
		.amdhsa_exception_fp_ieee_div_zero 0
		.amdhsa_exception_fp_ieee_overflow 0
		.amdhsa_exception_fp_ieee_underflow 0
		.amdhsa_exception_fp_ieee_inexact 0
		.amdhsa_exception_int_div_zero 0
	.end_amdhsa_kernel
	.section	.text._ZN7rocprim17ROCPRIM_400000_NS6detail17trampoline_kernelINS0_14default_configENS1_29binary_search_config_selectorIsiEEZNS1_14transform_implILb0ES3_S5_N6thrust23THRUST_200600_302600_NS6detail15normal_iteratorINS8_7pointerIsNS8_11hip_rocprim5par_tENS8_11use_defaultESE_EEEENSA_INSB_IiSD_SE_SE_EEEEZNS1_13binary_searchIS3_S5_NSA_INS8_10device_ptrIsEEEESG_SI_NS1_16binary_search_opENS9_16wrapped_functionINS8_6system6detail7generic6detail18binary_search_lessEbEEEE10hipError_tPvRmT1_T2_T3_mmT4_T5_P12ihipStream_tbEUlRKsE_EESV_SZ_S10_mS11_S14_bEUlT_E_NS1_11comp_targetILNS1_3genE4ELNS1_11target_archE910ELNS1_3gpuE8ELNS1_3repE0EEENS1_30default_config_static_selectorELNS0_4arch9wavefront6targetE1EEEvSY_,"axG",@progbits,_ZN7rocprim17ROCPRIM_400000_NS6detail17trampoline_kernelINS0_14default_configENS1_29binary_search_config_selectorIsiEEZNS1_14transform_implILb0ES3_S5_N6thrust23THRUST_200600_302600_NS6detail15normal_iteratorINS8_7pointerIsNS8_11hip_rocprim5par_tENS8_11use_defaultESE_EEEENSA_INSB_IiSD_SE_SE_EEEEZNS1_13binary_searchIS3_S5_NSA_INS8_10device_ptrIsEEEESG_SI_NS1_16binary_search_opENS9_16wrapped_functionINS8_6system6detail7generic6detail18binary_search_lessEbEEEE10hipError_tPvRmT1_T2_T3_mmT4_T5_P12ihipStream_tbEUlRKsE_EESV_SZ_S10_mS11_S14_bEUlT_E_NS1_11comp_targetILNS1_3genE4ELNS1_11target_archE910ELNS1_3gpuE8ELNS1_3repE0EEENS1_30default_config_static_selectorELNS0_4arch9wavefront6targetE1EEEvSY_,comdat
.Lfunc_end718:
	.size	_ZN7rocprim17ROCPRIM_400000_NS6detail17trampoline_kernelINS0_14default_configENS1_29binary_search_config_selectorIsiEEZNS1_14transform_implILb0ES3_S5_N6thrust23THRUST_200600_302600_NS6detail15normal_iteratorINS8_7pointerIsNS8_11hip_rocprim5par_tENS8_11use_defaultESE_EEEENSA_INSB_IiSD_SE_SE_EEEEZNS1_13binary_searchIS3_S5_NSA_INS8_10device_ptrIsEEEESG_SI_NS1_16binary_search_opENS9_16wrapped_functionINS8_6system6detail7generic6detail18binary_search_lessEbEEEE10hipError_tPvRmT1_T2_T3_mmT4_T5_P12ihipStream_tbEUlRKsE_EESV_SZ_S10_mS11_S14_bEUlT_E_NS1_11comp_targetILNS1_3genE4ELNS1_11target_archE910ELNS1_3gpuE8ELNS1_3repE0EEENS1_30default_config_static_selectorELNS0_4arch9wavefront6targetE1EEEvSY_, .Lfunc_end718-_ZN7rocprim17ROCPRIM_400000_NS6detail17trampoline_kernelINS0_14default_configENS1_29binary_search_config_selectorIsiEEZNS1_14transform_implILb0ES3_S5_N6thrust23THRUST_200600_302600_NS6detail15normal_iteratorINS8_7pointerIsNS8_11hip_rocprim5par_tENS8_11use_defaultESE_EEEENSA_INSB_IiSD_SE_SE_EEEEZNS1_13binary_searchIS3_S5_NSA_INS8_10device_ptrIsEEEESG_SI_NS1_16binary_search_opENS9_16wrapped_functionINS8_6system6detail7generic6detail18binary_search_lessEbEEEE10hipError_tPvRmT1_T2_T3_mmT4_T5_P12ihipStream_tbEUlRKsE_EESV_SZ_S10_mS11_S14_bEUlT_E_NS1_11comp_targetILNS1_3genE4ELNS1_11target_archE910ELNS1_3gpuE8ELNS1_3repE0EEENS1_30default_config_static_selectorELNS0_4arch9wavefront6targetE1EEEvSY_
                                        ; -- End function
	.set _ZN7rocprim17ROCPRIM_400000_NS6detail17trampoline_kernelINS0_14default_configENS1_29binary_search_config_selectorIsiEEZNS1_14transform_implILb0ES3_S5_N6thrust23THRUST_200600_302600_NS6detail15normal_iteratorINS8_7pointerIsNS8_11hip_rocprim5par_tENS8_11use_defaultESE_EEEENSA_INSB_IiSD_SE_SE_EEEEZNS1_13binary_searchIS3_S5_NSA_INS8_10device_ptrIsEEEESG_SI_NS1_16binary_search_opENS9_16wrapped_functionINS8_6system6detail7generic6detail18binary_search_lessEbEEEE10hipError_tPvRmT1_T2_T3_mmT4_T5_P12ihipStream_tbEUlRKsE_EESV_SZ_S10_mS11_S14_bEUlT_E_NS1_11comp_targetILNS1_3genE4ELNS1_11target_archE910ELNS1_3gpuE8ELNS1_3repE0EEENS1_30default_config_static_selectorELNS0_4arch9wavefront6targetE1EEEvSY_.num_vgpr, 0
	.set _ZN7rocprim17ROCPRIM_400000_NS6detail17trampoline_kernelINS0_14default_configENS1_29binary_search_config_selectorIsiEEZNS1_14transform_implILb0ES3_S5_N6thrust23THRUST_200600_302600_NS6detail15normal_iteratorINS8_7pointerIsNS8_11hip_rocprim5par_tENS8_11use_defaultESE_EEEENSA_INSB_IiSD_SE_SE_EEEEZNS1_13binary_searchIS3_S5_NSA_INS8_10device_ptrIsEEEESG_SI_NS1_16binary_search_opENS9_16wrapped_functionINS8_6system6detail7generic6detail18binary_search_lessEbEEEE10hipError_tPvRmT1_T2_T3_mmT4_T5_P12ihipStream_tbEUlRKsE_EESV_SZ_S10_mS11_S14_bEUlT_E_NS1_11comp_targetILNS1_3genE4ELNS1_11target_archE910ELNS1_3gpuE8ELNS1_3repE0EEENS1_30default_config_static_selectorELNS0_4arch9wavefront6targetE1EEEvSY_.num_agpr, 0
	.set _ZN7rocprim17ROCPRIM_400000_NS6detail17trampoline_kernelINS0_14default_configENS1_29binary_search_config_selectorIsiEEZNS1_14transform_implILb0ES3_S5_N6thrust23THRUST_200600_302600_NS6detail15normal_iteratorINS8_7pointerIsNS8_11hip_rocprim5par_tENS8_11use_defaultESE_EEEENSA_INSB_IiSD_SE_SE_EEEEZNS1_13binary_searchIS3_S5_NSA_INS8_10device_ptrIsEEEESG_SI_NS1_16binary_search_opENS9_16wrapped_functionINS8_6system6detail7generic6detail18binary_search_lessEbEEEE10hipError_tPvRmT1_T2_T3_mmT4_T5_P12ihipStream_tbEUlRKsE_EESV_SZ_S10_mS11_S14_bEUlT_E_NS1_11comp_targetILNS1_3genE4ELNS1_11target_archE910ELNS1_3gpuE8ELNS1_3repE0EEENS1_30default_config_static_selectorELNS0_4arch9wavefront6targetE1EEEvSY_.numbered_sgpr, 0
	.set _ZN7rocprim17ROCPRIM_400000_NS6detail17trampoline_kernelINS0_14default_configENS1_29binary_search_config_selectorIsiEEZNS1_14transform_implILb0ES3_S5_N6thrust23THRUST_200600_302600_NS6detail15normal_iteratorINS8_7pointerIsNS8_11hip_rocprim5par_tENS8_11use_defaultESE_EEEENSA_INSB_IiSD_SE_SE_EEEEZNS1_13binary_searchIS3_S5_NSA_INS8_10device_ptrIsEEEESG_SI_NS1_16binary_search_opENS9_16wrapped_functionINS8_6system6detail7generic6detail18binary_search_lessEbEEEE10hipError_tPvRmT1_T2_T3_mmT4_T5_P12ihipStream_tbEUlRKsE_EESV_SZ_S10_mS11_S14_bEUlT_E_NS1_11comp_targetILNS1_3genE4ELNS1_11target_archE910ELNS1_3gpuE8ELNS1_3repE0EEENS1_30default_config_static_selectorELNS0_4arch9wavefront6targetE1EEEvSY_.num_named_barrier, 0
	.set _ZN7rocprim17ROCPRIM_400000_NS6detail17trampoline_kernelINS0_14default_configENS1_29binary_search_config_selectorIsiEEZNS1_14transform_implILb0ES3_S5_N6thrust23THRUST_200600_302600_NS6detail15normal_iteratorINS8_7pointerIsNS8_11hip_rocprim5par_tENS8_11use_defaultESE_EEEENSA_INSB_IiSD_SE_SE_EEEEZNS1_13binary_searchIS3_S5_NSA_INS8_10device_ptrIsEEEESG_SI_NS1_16binary_search_opENS9_16wrapped_functionINS8_6system6detail7generic6detail18binary_search_lessEbEEEE10hipError_tPvRmT1_T2_T3_mmT4_T5_P12ihipStream_tbEUlRKsE_EESV_SZ_S10_mS11_S14_bEUlT_E_NS1_11comp_targetILNS1_3genE4ELNS1_11target_archE910ELNS1_3gpuE8ELNS1_3repE0EEENS1_30default_config_static_selectorELNS0_4arch9wavefront6targetE1EEEvSY_.private_seg_size, 0
	.set _ZN7rocprim17ROCPRIM_400000_NS6detail17trampoline_kernelINS0_14default_configENS1_29binary_search_config_selectorIsiEEZNS1_14transform_implILb0ES3_S5_N6thrust23THRUST_200600_302600_NS6detail15normal_iteratorINS8_7pointerIsNS8_11hip_rocprim5par_tENS8_11use_defaultESE_EEEENSA_INSB_IiSD_SE_SE_EEEEZNS1_13binary_searchIS3_S5_NSA_INS8_10device_ptrIsEEEESG_SI_NS1_16binary_search_opENS9_16wrapped_functionINS8_6system6detail7generic6detail18binary_search_lessEbEEEE10hipError_tPvRmT1_T2_T3_mmT4_T5_P12ihipStream_tbEUlRKsE_EESV_SZ_S10_mS11_S14_bEUlT_E_NS1_11comp_targetILNS1_3genE4ELNS1_11target_archE910ELNS1_3gpuE8ELNS1_3repE0EEENS1_30default_config_static_selectorELNS0_4arch9wavefront6targetE1EEEvSY_.uses_vcc, 0
	.set _ZN7rocprim17ROCPRIM_400000_NS6detail17trampoline_kernelINS0_14default_configENS1_29binary_search_config_selectorIsiEEZNS1_14transform_implILb0ES3_S5_N6thrust23THRUST_200600_302600_NS6detail15normal_iteratorINS8_7pointerIsNS8_11hip_rocprim5par_tENS8_11use_defaultESE_EEEENSA_INSB_IiSD_SE_SE_EEEEZNS1_13binary_searchIS3_S5_NSA_INS8_10device_ptrIsEEEESG_SI_NS1_16binary_search_opENS9_16wrapped_functionINS8_6system6detail7generic6detail18binary_search_lessEbEEEE10hipError_tPvRmT1_T2_T3_mmT4_T5_P12ihipStream_tbEUlRKsE_EESV_SZ_S10_mS11_S14_bEUlT_E_NS1_11comp_targetILNS1_3genE4ELNS1_11target_archE910ELNS1_3gpuE8ELNS1_3repE0EEENS1_30default_config_static_selectorELNS0_4arch9wavefront6targetE1EEEvSY_.uses_flat_scratch, 0
	.set _ZN7rocprim17ROCPRIM_400000_NS6detail17trampoline_kernelINS0_14default_configENS1_29binary_search_config_selectorIsiEEZNS1_14transform_implILb0ES3_S5_N6thrust23THRUST_200600_302600_NS6detail15normal_iteratorINS8_7pointerIsNS8_11hip_rocprim5par_tENS8_11use_defaultESE_EEEENSA_INSB_IiSD_SE_SE_EEEEZNS1_13binary_searchIS3_S5_NSA_INS8_10device_ptrIsEEEESG_SI_NS1_16binary_search_opENS9_16wrapped_functionINS8_6system6detail7generic6detail18binary_search_lessEbEEEE10hipError_tPvRmT1_T2_T3_mmT4_T5_P12ihipStream_tbEUlRKsE_EESV_SZ_S10_mS11_S14_bEUlT_E_NS1_11comp_targetILNS1_3genE4ELNS1_11target_archE910ELNS1_3gpuE8ELNS1_3repE0EEENS1_30default_config_static_selectorELNS0_4arch9wavefront6targetE1EEEvSY_.has_dyn_sized_stack, 0
	.set _ZN7rocprim17ROCPRIM_400000_NS6detail17trampoline_kernelINS0_14default_configENS1_29binary_search_config_selectorIsiEEZNS1_14transform_implILb0ES3_S5_N6thrust23THRUST_200600_302600_NS6detail15normal_iteratorINS8_7pointerIsNS8_11hip_rocprim5par_tENS8_11use_defaultESE_EEEENSA_INSB_IiSD_SE_SE_EEEEZNS1_13binary_searchIS3_S5_NSA_INS8_10device_ptrIsEEEESG_SI_NS1_16binary_search_opENS9_16wrapped_functionINS8_6system6detail7generic6detail18binary_search_lessEbEEEE10hipError_tPvRmT1_T2_T3_mmT4_T5_P12ihipStream_tbEUlRKsE_EESV_SZ_S10_mS11_S14_bEUlT_E_NS1_11comp_targetILNS1_3genE4ELNS1_11target_archE910ELNS1_3gpuE8ELNS1_3repE0EEENS1_30default_config_static_selectorELNS0_4arch9wavefront6targetE1EEEvSY_.has_recursion, 0
	.set _ZN7rocprim17ROCPRIM_400000_NS6detail17trampoline_kernelINS0_14default_configENS1_29binary_search_config_selectorIsiEEZNS1_14transform_implILb0ES3_S5_N6thrust23THRUST_200600_302600_NS6detail15normal_iteratorINS8_7pointerIsNS8_11hip_rocprim5par_tENS8_11use_defaultESE_EEEENSA_INSB_IiSD_SE_SE_EEEEZNS1_13binary_searchIS3_S5_NSA_INS8_10device_ptrIsEEEESG_SI_NS1_16binary_search_opENS9_16wrapped_functionINS8_6system6detail7generic6detail18binary_search_lessEbEEEE10hipError_tPvRmT1_T2_T3_mmT4_T5_P12ihipStream_tbEUlRKsE_EESV_SZ_S10_mS11_S14_bEUlT_E_NS1_11comp_targetILNS1_3genE4ELNS1_11target_archE910ELNS1_3gpuE8ELNS1_3repE0EEENS1_30default_config_static_selectorELNS0_4arch9wavefront6targetE1EEEvSY_.has_indirect_call, 0
	.section	.AMDGPU.csdata,"",@progbits
; Kernel info:
; codeLenInByte = 0
; TotalNumSgprs: 4
; NumVgprs: 0
; ScratchSize: 0
; MemoryBound: 0
; FloatMode: 240
; IeeeMode: 1
; LDSByteSize: 0 bytes/workgroup (compile time only)
; SGPRBlocks: 0
; VGPRBlocks: 0
; NumSGPRsForWavesPerEU: 4
; NumVGPRsForWavesPerEU: 1
; Occupancy: 10
; WaveLimiterHint : 0
; COMPUTE_PGM_RSRC2:SCRATCH_EN: 0
; COMPUTE_PGM_RSRC2:USER_SGPR: 6
; COMPUTE_PGM_RSRC2:TRAP_HANDLER: 0
; COMPUTE_PGM_RSRC2:TGID_X_EN: 1
; COMPUTE_PGM_RSRC2:TGID_Y_EN: 0
; COMPUTE_PGM_RSRC2:TGID_Z_EN: 0
; COMPUTE_PGM_RSRC2:TIDIG_COMP_CNT: 0
	.section	.text._ZN7rocprim17ROCPRIM_400000_NS6detail17trampoline_kernelINS0_14default_configENS1_29binary_search_config_selectorIsiEEZNS1_14transform_implILb0ES3_S5_N6thrust23THRUST_200600_302600_NS6detail15normal_iteratorINS8_7pointerIsNS8_11hip_rocprim5par_tENS8_11use_defaultESE_EEEENSA_INSB_IiSD_SE_SE_EEEEZNS1_13binary_searchIS3_S5_NSA_INS8_10device_ptrIsEEEESG_SI_NS1_16binary_search_opENS9_16wrapped_functionINS8_6system6detail7generic6detail18binary_search_lessEbEEEE10hipError_tPvRmT1_T2_T3_mmT4_T5_P12ihipStream_tbEUlRKsE_EESV_SZ_S10_mS11_S14_bEUlT_E_NS1_11comp_targetILNS1_3genE3ELNS1_11target_archE908ELNS1_3gpuE7ELNS1_3repE0EEENS1_30default_config_static_selectorELNS0_4arch9wavefront6targetE1EEEvSY_,"axG",@progbits,_ZN7rocprim17ROCPRIM_400000_NS6detail17trampoline_kernelINS0_14default_configENS1_29binary_search_config_selectorIsiEEZNS1_14transform_implILb0ES3_S5_N6thrust23THRUST_200600_302600_NS6detail15normal_iteratorINS8_7pointerIsNS8_11hip_rocprim5par_tENS8_11use_defaultESE_EEEENSA_INSB_IiSD_SE_SE_EEEEZNS1_13binary_searchIS3_S5_NSA_INS8_10device_ptrIsEEEESG_SI_NS1_16binary_search_opENS9_16wrapped_functionINS8_6system6detail7generic6detail18binary_search_lessEbEEEE10hipError_tPvRmT1_T2_T3_mmT4_T5_P12ihipStream_tbEUlRKsE_EESV_SZ_S10_mS11_S14_bEUlT_E_NS1_11comp_targetILNS1_3genE3ELNS1_11target_archE908ELNS1_3gpuE7ELNS1_3repE0EEENS1_30default_config_static_selectorELNS0_4arch9wavefront6targetE1EEEvSY_,comdat
	.protected	_ZN7rocprim17ROCPRIM_400000_NS6detail17trampoline_kernelINS0_14default_configENS1_29binary_search_config_selectorIsiEEZNS1_14transform_implILb0ES3_S5_N6thrust23THRUST_200600_302600_NS6detail15normal_iteratorINS8_7pointerIsNS8_11hip_rocprim5par_tENS8_11use_defaultESE_EEEENSA_INSB_IiSD_SE_SE_EEEEZNS1_13binary_searchIS3_S5_NSA_INS8_10device_ptrIsEEEESG_SI_NS1_16binary_search_opENS9_16wrapped_functionINS8_6system6detail7generic6detail18binary_search_lessEbEEEE10hipError_tPvRmT1_T2_T3_mmT4_T5_P12ihipStream_tbEUlRKsE_EESV_SZ_S10_mS11_S14_bEUlT_E_NS1_11comp_targetILNS1_3genE3ELNS1_11target_archE908ELNS1_3gpuE7ELNS1_3repE0EEENS1_30default_config_static_selectorELNS0_4arch9wavefront6targetE1EEEvSY_ ; -- Begin function _ZN7rocprim17ROCPRIM_400000_NS6detail17trampoline_kernelINS0_14default_configENS1_29binary_search_config_selectorIsiEEZNS1_14transform_implILb0ES3_S5_N6thrust23THRUST_200600_302600_NS6detail15normal_iteratorINS8_7pointerIsNS8_11hip_rocprim5par_tENS8_11use_defaultESE_EEEENSA_INSB_IiSD_SE_SE_EEEEZNS1_13binary_searchIS3_S5_NSA_INS8_10device_ptrIsEEEESG_SI_NS1_16binary_search_opENS9_16wrapped_functionINS8_6system6detail7generic6detail18binary_search_lessEbEEEE10hipError_tPvRmT1_T2_T3_mmT4_T5_P12ihipStream_tbEUlRKsE_EESV_SZ_S10_mS11_S14_bEUlT_E_NS1_11comp_targetILNS1_3genE3ELNS1_11target_archE908ELNS1_3gpuE7ELNS1_3repE0EEENS1_30default_config_static_selectorELNS0_4arch9wavefront6targetE1EEEvSY_
	.globl	_ZN7rocprim17ROCPRIM_400000_NS6detail17trampoline_kernelINS0_14default_configENS1_29binary_search_config_selectorIsiEEZNS1_14transform_implILb0ES3_S5_N6thrust23THRUST_200600_302600_NS6detail15normal_iteratorINS8_7pointerIsNS8_11hip_rocprim5par_tENS8_11use_defaultESE_EEEENSA_INSB_IiSD_SE_SE_EEEEZNS1_13binary_searchIS3_S5_NSA_INS8_10device_ptrIsEEEESG_SI_NS1_16binary_search_opENS9_16wrapped_functionINS8_6system6detail7generic6detail18binary_search_lessEbEEEE10hipError_tPvRmT1_T2_T3_mmT4_T5_P12ihipStream_tbEUlRKsE_EESV_SZ_S10_mS11_S14_bEUlT_E_NS1_11comp_targetILNS1_3genE3ELNS1_11target_archE908ELNS1_3gpuE7ELNS1_3repE0EEENS1_30default_config_static_selectorELNS0_4arch9wavefront6targetE1EEEvSY_
	.p2align	8
	.type	_ZN7rocprim17ROCPRIM_400000_NS6detail17trampoline_kernelINS0_14default_configENS1_29binary_search_config_selectorIsiEEZNS1_14transform_implILb0ES3_S5_N6thrust23THRUST_200600_302600_NS6detail15normal_iteratorINS8_7pointerIsNS8_11hip_rocprim5par_tENS8_11use_defaultESE_EEEENSA_INSB_IiSD_SE_SE_EEEEZNS1_13binary_searchIS3_S5_NSA_INS8_10device_ptrIsEEEESG_SI_NS1_16binary_search_opENS9_16wrapped_functionINS8_6system6detail7generic6detail18binary_search_lessEbEEEE10hipError_tPvRmT1_T2_T3_mmT4_T5_P12ihipStream_tbEUlRKsE_EESV_SZ_S10_mS11_S14_bEUlT_E_NS1_11comp_targetILNS1_3genE3ELNS1_11target_archE908ELNS1_3gpuE7ELNS1_3repE0EEENS1_30default_config_static_selectorELNS0_4arch9wavefront6targetE1EEEvSY_,@function
_ZN7rocprim17ROCPRIM_400000_NS6detail17trampoline_kernelINS0_14default_configENS1_29binary_search_config_selectorIsiEEZNS1_14transform_implILb0ES3_S5_N6thrust23THRUST_200600_302600_NS6detail15normal_iteratorINS8_7pointerIsNS8_11hip_rocprim5par_tENS8_11use_defaultESE_EEEENSA_INSB_IiSD_SE_SE_EEEEZNS1_13binary_searchIS3_S5_NSA_INS8_10device_ptrIsEEEESG_SI_NS1_16binary_search_opENS9_16wrapped_functionINS8_6system6detail7generic6detail18binary_search_lessEbEEEE10hipError_tPvRmT1_T2_T3_mmT4_T5_P12ihipStream_tbEUlRKsE_EESV_SZ_S10_mS11_S14_bEUlT_E_NS1_11comp_targetILNS1_3genE3ELNS1_11target_archE908ELNS1_3gpuE7ELNS1_3repE0EEENS1_30default_config_static_selectorELNS0_4arch9wavefront6targetE1EEEvSY_: ; @_ZN7rocprim17ROCPRIM_400000_NS6detail17trampoline_kernelINS0_14default_configENS1_29binary_search_config_selectorIsiEEZNS1_14transform_implILb0ES3_S5_N6thrust23THRUST_200600_302600_NS6detail15normal_iteratorINS8_7pointerIsNS8_11hip_rocprim5par_tENS8_11use_defaultESE_EEEENSA_INSB_IiSD_SE_SE_EEEEZNS1_13binary_searchIS3_S5_NSA_INS8_10device_ptrIsEEEESG_SI_NS1_16binary_search_opENS9_16wrapped_functionINS8_6system6detail7generic6detail18binary_search_lessEbEEEE10hipError_tPvRmT1_T2_T3_mmT4_T5_P12ihipStream_tbEUlRKsE_EESV_SZ_S10_mS11_S14_bEUlT_E_NS1_11comp_targetILNS1_3genE3ELNS1_11target_archE908ELNS1_3gpuE7ELNS1_3repE0EEENS1_30default_config_static_selectorELNS0_4arch9wavefront6targetE1EEEvSY_
; %bb.0:
	.section	.rodata,"a",@progbits
	.p2align	6, 0x0
	.amdhsa_kernel _ZN7rocprim17ROCPRIM_400000_NS6detail17trampoline_kernelINS0_14default_configENS1_29binary_search_config_selectorIsiEEZNS1_14transform_implILb0ES3_S5_N6thrust23THRUST_200600_302600_NS6detail15normal_iteratorINS8_7pointerIsNS8_11hip_rocprim5par_tENS8_11use_defaultESE_EEEENSA_INSB_IiSD_SE_SE_EEEEZNS1_13binary_searchIS3_S5_NSA_INS8_10device_ptrIsEEEESG_SI_NS1_16binary_search_opENS9_16wrapped_functionINS8_6system6detail7generic6detail18binary_search_lessEbEEEE10hipError_tPvRmT1_T2_T3_mmT4_T5_P12ihipStream_tbEUlRKsE_EESV_SZ_S10_mS11_S14_bEUlT_E_NS1_11comp_targetILNS1_3genE3ELNS1_11target_archE908ELNS1_3gpuE7ELNS1_3repE0EEENS1_30default_config_static_selectorELNS0_4arch9wavefront6targetE1EEEvSY_
		.amdhsa_group_segment_fixed_size 0
		.amdhsa_private_segment_fixed_size 0
		.amdhsa_kernarg_size 56
		.amdhsa_user_sgpr_count 6
		.amdhsa_user_sgpr_private_segment_buffer 1
		.amdhsa_user_sgpr_dispatch_ptr 0
		.amdhsa_user_sgpr_queue_ptr 0
		.amdhsa_user_sgpr_kernarg_segment_ptr 1
		.amdhsa_user_sgpr_dispatch_id 0
		.amdhsa_user_sgpr_flat_scratch_init 0
		.amdhsa_user_sgpr_private_segment_size 0
		.amdhsa_uses_dynamic_stack 0
		.amdhsa_system_sgpr_private_segment_wavefront_offset 0
		.amdhsa_system_sgpr_workgroup_id_x 1
		.amdhsa_system_sgpr_workgroup_id_y 0
		.amdhsa_system_sgpr_workgroup_id_z 0
		.amdhsa_system_sgpr_workgroup_info 0
		.amdhsa_system_vgpr_workitem_id 0
		.amdhsa_next_free_vgpr 1
		.amdhsa_next_free_sgpr 0
		.amdhsa_reserve_vcc 0
		.amdhsa_reserve_flat_scratch 0
		.amdhsa_float_round_mode_32 0
		.amdhsa_float_round_mode_16_64 0
		.amdhsa_float_denorm_mode_32 3
		.amdhsa_float_denorm_mode_16_64 3
		.amdhsa_dx10_clamp 1
		.amdhsa_ieee_mode 1
		.amdhsa_fp16_overflow 0
		.amdhsa_exception_fp_ieee_invalid_op 0
		.amdhsa_exception_fp_denorm_src 0
		.amdhsa_exception_fp_ieee_div_zero 0
		.amdhsa_exception_fp_ieee_overflow 0
		.amdhsa_exception_fp_ieee_underflow 0
		.amdhsa_exception_fp_ieee_inexact 0
		.amdhsa_exception_int_div_zero 0
	.end_amdhsa_kernel
	.section	.text._ZN7rocprim17ROCPRIM_400000_NS6detail17trampoline_kernelINS0_14default_configENS1_29binary_search_config_selectorIsiEEZNS1_14transform_implILb0ES3_S5_N6thrust23THRUST_200600_302600_NS6detail15normal_iteratorINS8_7pointerIsNS8_11hip_rocprim5par_tENS8_11use_defaultESE_EEEENSA_INSB_IiSD_SE_SE_EEEEZNS1_13binary_searchIS3_S5_NSA_INS8_10device_ptrIsEEEESG_SI_NS1_16binary_search_opENS9_16wrapped_functionINS8_6system6detail7generic6detail18binary_search_lessEbEEEE10hipError_tPvRmT1_T2_T3_mmT4_T5_P12ihipStream_tbEUlRKsE_EESV_SZ_S10_mS11_S14_bEUlT_E_NS1_11comp_targetILNS1_3genE3ELNS1_11target_archE908ELNS1_3gpuE7ELNS1_3repE0EEENS1_30default_config_static_selectorELNS0_4arch9wavefront6targetE1EEEvSY_,"axG",@progbits,_ZN7rocprim17ROCPRIM_400000_NS6detail17trampoline_kernelINS0_14default_configENS1_29binary_search_config_selectorIsiEEZNS1_14transform_implILb0ES3_S5_N6thrust23THRUST_200600_302600_NS6detail15normal_iteratorINS8_7pointerIsNS8_11hip_rocprim5par_tENS8_11use_defaultESE_EEEENSA_INSB_IiSD_SE_SE_EEEEZNS1_13binary_searchIS3_S5_NSA_INS8_10device_ptrIsEEEESG_SI_NS1_16binary_search_opENS9_16wrapped_functionINS8_6system6detail7generic6detail18binary_search_lessEbEEEE10hipError_tPvRmT1_T2_T3_mmT4_T5_P12ihipStream_tbEUlRKsE_EESV_SZ_S10_mS11_S14_bEUlT_E_NS1_11comp_targetILNS1_3genE3ELNS1_11target_archE908ELNS1_3gpuE7ELNS1_3repE0EEENS1_30default_config_static_selectorELNS0_4arch9wavefront6targetE1EEEvSY_,comdat
.Lfunc_end719:
	.size	_ZN7rocprim17ROCPRIM_400000_NS6detail17trampoline_kernelINS0_14default_configENS1_29binary_search_config_selectorIsiEEZNS1_14transform_implILb0ES3_S5_N6thrust23THRUST_200600_302600_NS6detail15normal_iteratorINS8_7pointerIsNS8_11hip_rocprim5par_tENS8_11use_defaultESE_EEEENSA_INSB_IiSD_SE_SE_EEEEZNS1_13binary_searchIS3_S5_NSA_INS8_10device_ptrIsEEEESG_SI_NS1_16binary_search_opENS9_16wrapped_functionINS8_6system6detail7generic6detail18binary_search_lessEbEEEE10hipError_tPvRmT1_T2_T3_mmT4_T5_P12ihipStream_tbEUlRKsE_EESV_SZ_S10_mS11_S14_bEUlT_E_NS1_11comp_targetILNS1_3genE3ELNS1_11target_archE908ELNS1_3gpuE7ELNS1_3repE0EEENS1_30default_config_static_selectorELNS0_4arch9wavefront6targetE1EEEvSY_, .Lfunc_end719-_ZN7rocprim17ROCPRIM_400000_NS6detail17trampoline_kernelINS0_14default_configENS1_29binary_search_config_selectorIsiEEZNS1_14transform_implILb0ES3_S5_N6thrust23THRUST_200600_302600_NS6detail15normal_iteratorINS8_7pointerIsNS8_11hip_rocprim5par_tENS8_11use_defaultESE_EEEENSA_INSB_IiSD_SE_SE_EEEEZNS1_13binary_searchIS3_S5_NSA_INS8_10device_ptrIsEEEESG_SI_NS1_16binary_search_opENS9_16wrapped_functionINS8_6system6detail7generic6detail18binary_search_lessEbEEEE10hipError_tPvRmT1_T2_T3_mmT4_T5_P12ihipStream_tbEUlRKsE_EESV_SZ_S10_mS11_S14_bEUlT_E_NS1_11comp_targetILNS1_3genE3ELNS1_11target_archE908ELNS1_3gpuE7ELNS1_3repE0EEENS1_30default_config_static_selectorELNS0_4arch9wavefront6targetE1EEEvSY_
                                        ; -- End function
	.set _ZN7rocprim17ROCPRIM_400000_NS6detail17trampoline_kernelINS0_14default_configENS1_29binary_search_config_selectorIsiEEZNS1_14transform_implILb0ES3_S5_N6thrust23THRUST_200600_302600_NS6detail15normal_iteratorINS8_7pointerIsNS8_11hip_rocprim5par_tENS8_11use_defaultESE_EEEENSA_INSB_IiSD_SE_SE_EEEEZNS1_13binary_searchIS3_S5_NSA_INS8_10device_ptrIsEEEESG_SI_NS1_16binary_search_opENS9_16wrapped_functionINS8_6system6detail7generic6detail18binary_search_lessEbEEEE10hipError_tPvRmT1_T2_T3_mmT4_T5_P12ihipStream_tbEUlRKsE_EESV_SZ_S10_mS11_S14_bEUlT_E_NS1_11comp_targetILNS1_3genE3ELNS1_11target_archE908ELNS1_3gpuE7ELNS1_3repE0EEENS1_30default_config_static_selectorELNS0_4arch9wavefront6targetE1EEEvSY_.num_vgpr, 0
	.set _ZN7rocprim17ROCPRIM_400000_NS6detail17trampoline_kernelINS0_14default_configENS1_29binary_search_config_selectorIsiEEZNS1_14transform_implILb0ES3_S5_N6thrust23THRUST_200600_302600_NS6detail15normal_iteratorINS8_7pointerIsNS8_11hip_rocprim5par_tENS8_11use_defaultESE_EEEENSA_INSB_IiSD_SE_SE_EEEEZNS1_13binary_searchIS3_S5_NSA_INS8_10device_ptrIsEEEESG_SI_NS1_16binary_search_opENS9_16wrapped_functionINS8_6system6detail7generic6detail18binary_search_lessEbEEEE10hipError_tPvRmT1_T2_T3_mmT4_T5_P12ihipStream_tbEUlRKsE_EESV_SZ_S10_mS11_S14_bEUlT_E_NS1_11comp_targetILNS1_3genE3ELNS1_11target_archE908ELNS1_3gpuE7ELNS1_3repE0EEENS1_30default_config_static_selectorELNS0_4arch9wavefront6targetE1EEEvSY_.num_agpr, 0
	.set _ZN7rocprim17ROCPRIM_400000_NS6detail17trampoline_kernelINS0_14default_configENS1_29binary_search_config_selectorIsiEEZNS1_14transform_implILb0ES3_S5_N6thrust23THRUST_200600_302600_NS6detail15normal_iteratorINS8_7pointerIsNS8_11hip_rocprim5par_tENS8_11use_defaultESE_EEEENSA_INSB_IiSD_SE_SE_EEEEZNS1_13binary_searchIS3_S5_NSA_INS8_10device_ptrIsEEEESG_SI_NS1_16binary_search_opENS9_16wrapped_functionINS8_6system6detail7generic6detail18binary_search_lessEbEEEE10hipError_tPvRmT1_T2_T3_mmT4_T5_P12ihipStream_tbEUlRKsE_EESV_SZ_S10_mS11_S14_bEUlT_E_NS1_11comp_targetILNS1_3genE3ELNS1_11target_archE908ELNS1_3gpuE7ELNS1_3repE0EEENS1_30default_config_static_selectorELNS0_4arch9wavefront6targetE1EEEvSY_.numbered_sgpr, 0
	.set _ZN7rocprim17ROCPRIM_400000_NS6detail17trampoline_kernelINS0_14default_configENS1_29binary_search_config_selectorIsiEEZNS1_14transform_implILb0ES3_S5_N6thrust23THRUST_200600_302600_NS6detail15normal_iteratorINS8_7pointerIsNS8_11hip_rocprim5par_tENS8_11use_defaultESE_EEEENSA_INSB_IiSD_SE_SE_EEEEZNS1_13binary_searchIS3_S5_NSA_INS8_10device_ptrIsEEEESG_SI_NS1_16binary_search_opENS9_16wrapped_functionINS8_6system6detail7generic6detail18binary_search_lessEbEEEE10hipError_tPvRmT1_T2_T3_mmT4_T5_P12ihipStream_tbEUlRKsE_EESV_SZ_S10_mS11_S14_bEUlT_E_NS1_11comp_targetILNS1_3genE3ELNS1_11target_archE908ELNS1_3gpuE7ELNS1_3repE0EEENS1_30default_config_static_selectorELNS0_4arch9wavefront6targetE1EEEvSY_.num_named_barrier, 0
	.set _ZN7rocprim17ROCPRIM_400000_NS6detail17trampoline_kernelINS0_14default_configENS1_29binary_search_config_selectorIsiEEZNS1_14transform_implILb0ES3_S5_N6thrust23THRUST_200600_302600_NS6detail15normal_iteratorINS8_7pointerIsNS8_11hip_rocprim5par_tENS8_11use_defaultESE_EEEENSA_INSB_IiSD_SE_SE_EEEEZNS1_13binary_searchIS3_S5_NSA_INS8_10device_ptrIsEEEESG_SI_NS1_16binary_search_opENS9_16wrapped_functionINS8_6system6detail7generic6detail18binary_search_lessEbEEEE10hipError_tPvRmT1_T2_T3_mmT4_T5_P12ihipStream_tbEUlRKsE_EESV_SZ_S10_mS11_S14_bEUlT_E_NS1_11comp_targetILNS1_3genE3ELNS1_11target_archE908ELNS1_3gpuE7ELNS1_3repE0EEENS1_30default_config_static_selectorELNS0_4arch9wavefront6targetE1EEEvSY_.private_seg_size, 0
	.set _ZN7rocprim17ROCPRIM_400000_NS6detail17trampoline_kernelINS0_14default_configENS1_29binary_search_config_selectorIsiEEZNS1_14transform_implILb0ES3_S5_N6thrust23THRUST_200600_302600_NS6detail15normal_iteratorINS8_7pointerIsNS8_11hip_rocprim5par_tENS8_11use_defaultESE_EEEENSA_INSB_IiSD_SE_SE_EEEEZNS1_13binary_searchIS3_S5_NSA_INS8_10device_ptrIsEEEESG_SI_NS1_16binary_search_opENS9_16wrapped_functionINS8_6system6detail7generic6detail18binary_search_lessEbEEEE10hipError_tPvRmT1_T2_T3_mmT4_T5_P12ihipStream_tbEUlRKsE_EESV_SZ_S10_mS11_S14_bEUlT_E_NS1_11comp_targetILNS1_3genE3ELNS1_11target_archE908ELNS1_3gpuE7ELNS1_3repE0EEENS1_30default_config_static_selectorELNS0_4arch9wavefront6targetE1EEEvSY_.uses_vcc, 0
	.set _ZN7rocprim17ROCPRIM_400000_NS6detail17trampoline_kernelINS0_14default_configENS1_29binary_search_config_selectorIsiEEZNS1_14transform_implILb0ES3_S5_N6thrust23THRUST_200600_302600_NS6detail15normal_iteratorINS8_7pointerIsNS8_11hip_rocprim5par_tENS8_11use_defaultESE_EEEENSA_INSB_IiSD_SE_SE_EEEEZNS1_13binary_searchIS3_S5_NSA_INS8_10device_ptrIsEEEESG_SI_NS1_16binary_search_opENS9_16wrapped_functionINS8_6system6detail7generic6detail18binary_search_lessEbEEEE10hipError_tPvRmT1_T2_T3_mmT4_T5_P12ihipStream_tbEUlRKsE_EESV_SZ_S10_mS11_S14_bEUlT_E_NS1_11comp_targetILNS1_3genE3ELNS1_11target_archE908ELNS1_3gpuE7ELNS1_3repE0EEENS1_30default_config_static_selectorELNS0_4arch9wavefront6targetE1EEEvSY_.uses_flat_scratch, 0
	.set _ZN7rocprim17ROCPRIM_400000_NS6detail17trampoline_kernelINS0_14default_configENS1_29binary_search_config_selectorIsiEEZNS1_14transform_implILb0ES3_S5_N6thrust23THRUST_200600_302600_NS6detail15normal_iteratorINS8_7pointerIsNS8_11hip_rocprim5par_tENS8_11use_defaultESE_EEEENSA_INSB_IiSD_SE_SE_EEEEZNS1_13binary_searchIS3_S5_NSA_INS8_10device_ptrIsEEEESG_SI_NS1_16binary_search_opENS9_16wrapped_functionINS8_6system6detail7generic6detail18binary_search_lessEbEEEE10hipError_tPvRmT1_T2_T3_mmT4_T5_P12ihipStream_tbEUlRKsE_EESV_SZ_S10_mS11_S14_bEUlT_E_NS1_11comp_targetILNS1_3genE3ELNS1_11target_archE908ELNS1_3gpuE7ELNS1_3repE0EEENS1_30default_config_static_selectorELNS0_4arch9wavefront6targetE1EEEvSY_.has_dyn_sized_stack, 0
	.set _ZN7rocprim17ROCPRIM_400000_NS6detail17trampoline_kernelINS0_14default_configENS1_29binary_search_config_selectorIsiEEZNS1_14transform_implILb0ES3_S5_N6thrust23THRUST_200600_302600_NS6detail15normal_iteratorINS8_7pointerIsNS8_11hip_rocprim5par_tENS8_11use_defaultESE_EEEENSA_INSB_IiSD_SE_SE_EEEEZNS1_13binary_searchIS3_S5_NSA_INS8_10device_ptrIsEEEESG_SI_NS1_16binary_search_opENS9_16wrapped_functionINS8_6system6detail7generic6detail18binary_search_lessEbEEEE10hipError_tPvRmT1_T2_T3_mmT4_T5_P12ihipStream_tbEUlRKsE_EESV_SZ_S10_mS11_S14_bEUlT_E_NS1_11comp_targetILNS1_3genE3ELNS1_11target_archE908ELNS1_3gpuE7ELNS1_3repE0EEENS1_30default_config_static_selectorELNS0_4arch9wavefront6targetE1EEEvSY_.has_recursion, 0
	.set _ZN7rocprim17ROCPRIM_400000_NS6detail17trampoline_kernelINS0_14default_configENS1_29binary_search_config_selectorIsiEEZNS1_14transform_implILb0ES3_S5_N6thrust23THRUST_200600_302600_NS6detail15normal_iteratorINS8_7pointerIsNS8_11hip_rocprim5par_tENS8_11use_defaultESE_EEEENSA_INSB_IiSD_SE_SE_EEEEZNS1_13binary_searchIS3_S5_NSA_INS8_10device_ptrIsEEEESG_SI_NS1_16binary_search_opENS9_16wrapped_functionINS8_6system6detail7generic6detail18binary_search_lessEbEEEE10hipError_tPvRmT1_T2_T3_mmT4_T5_P12ihipStream_tbEUlRKsE_EESV_SZ_S10_mS11_S14_bEUlT_E_NS1_11comp_targetILNS1_3genE3ELNS1_11target_archE908ELNS1_3gpuE7ELNS1_3repE0EEENS1_30default_config_static_selectorELNS0_4arch9wavefront6targetE1EEEvSY_.has_indirect_call, 0
	.section	.AMDGPU.csdata,"",@progbits
; Kernel info:
; codeLenInByte = 0
; TotalNumSgprs: 4
; NumVgprs: 0
; ScratchSize: 0
; MemoryBound: 0
; FloatMode: 240
; IeeeMode: 1
; LDSByteSize: 0 bytes/workgroup (compile time only)
; SGPRBlocks: 0
; VGPRBlocks: 0
; NumSGPRsForWavesPerEU: 4
; NumVGPRsForWavesPerEU: 1
; Occupancy: 10
; WaveLimiterHint : 0
; COMPUTE_PGM_RSRC2:SCRATCH_EN: 0
; COMPUTE_PGM_RSRC2:USER_SGPR: 6
; COMPUTE_PGM_RSRC2:TRAP_HANDLER: 0
; COMPUTE_PGM_RSRC2:TGID_X_EN: 1
; COMPUTE_PGM_RSRC2:TGID_Y_EN: 0
; COMPUTE_PGM_RSRC2:TGID_Z_EN: 0
; COMPUTE_PGM_RSRC2:TIDIG_COMP_CNT: 0
	.section	.text._ZN7rocprim17ROCPRIM_400000_NS6detail17trampoline_kernelINS0_14default_configENS1_29binary_search_config_selectorIsiEEZNS1_14transform_implILb0ES3_S5_N6thrust23THRUST_200600_302600_NS6detail15normal_iteratorINS8_7pointerIsNS8_11hip_rocprim5par_tENS8_11use_defaultESE_EEEENSA_INSB_IiSD_SE_SE_EEEEZNS1_13binary_searchIS3_S5_NSA_INS8_10device_ptrIsEEEESG_SI_NS1_16binary_search_opENS9_16wrapped_functionINS8_6system6detail7generic6detail18binary_search_lessEbEEEE10hipError_tPvRmT1_T2_T3_mmT4_T5_P12ihipStream_tbEUlRKsE_EESV_SZ_S10_mS11_S14_bEUlT_E_NS1_11comp_targetILNS1_3genE2ELNS1_11target_archE906ELNS1_3gpuE6ELNS1_3repE0EEENS1_30default_config_static_selectorELNS0_4arch9wavefront6targetE1EEEvSY_,"axG",@progbits,_ZN7rocprim17ROCPRIM_400000_NS6detail17trampoline_kernelINS0_14default_configENS1_29binary_search_config_selectorIsiEEZNS1_14transform_implILb0ES3_S5_N6thrust23THRUST_200600_302600_NS6detail15normal_iteratorINS8_7pointerIsNS8_11hip_rocprim5par_tENS8_11use_defaultESE_EEEENSA_INSB_IiSD_SE_SE_EEEEZNS1_13binary_searchIS3_S5_NSA_INS8_10device_ptrIsEEEESG_SI_NS1_16binary_search_opENS9_16wrapped_functionINS8_6system6detail7generic6detail18binary_search_lessEbEEEE10hipError_tPvRmT1_T2_T3_mmT4_T5_P12ihipStream_tbEUlRKsE_EESV_SZ_S10_mS11_S14_bEUlT_E_NS1_11comp_targetILNS1_3genE2ELNS1_11target_archE906ELNS1_3gpuE6ELNS1_3repE0EEENS1_30default_config_static_selectorELNS0_4arch9wavefront6targetE1EEEvSY_,comdat
	.protected	_ZN7rocprim17ROCPRIM_400000_NS6detail17trampoline_kernelINS0_14default_configENS1_29binary_search_config_selectorIsiEEZNS1_14transform_implILb0ES3_S5_N6thrust23THRUST_200600_302600_NS6detail15normal_iteratorINS8_7pointerIsNS8_11hip_rocprim5par_tENS8_11use_defaultESE_EEEENSA_INSB_IiSD_SE_SE_EEEEZNS1_13binary_searchIS3_S5_NSA_INS8_10device_ptrIsEEEESG_SI_NS1_16binary_search_opENS9_16wrapped_functionINS8_6system6detail7generic6detail18binary_search_lessEbEEEE10hipError_tPvRmT1_T2_T3_mmT4_T5_P12ihipStream_tbEUlRKsE_EESV_SZ_S10_mS11_S14_bEUlT_E_NS1_11comp_targetILNS1_3genE2ELNS1_11target_archE906ELNS1_3gpuE6ELNS1_3repE0EEENS1_30default_config_static_selectorELNS0_4arch9wavefront6targetE1EEEvSY_ ; -- Begin function _ZN7rocprim17ROCPRIM_400000_NS6detail17trampoline_kernelINS0_14default_configENS1_29binary_search_config_selectorIsiEEZNS1_14transform_implILb0ES3_S5_N6thrust23THRUST_200600_302600_NS6detail15normal_iteratorINS8_7pointerIsNS8_11hip_rocprim5par_tENS8_11use_defaultESE_EEEENSA_INSB_IiSD_SE_SE_EEEEZNS1_13binary_searchIS3_S5_NSA_INS8_10device_ptrIsEEEESG_SI_NS1_16binary_search_opENS9_16wrapped_functionINS8_6system6detail7generic6detail18binary_search_lessEbEEEE10hipError_tPvRmT1_T2_T3_mmT4_T5_P12ihipStream_tbEUlRKsE_EESV_SZ_S10_mS11_S14_bEUlT_E_NS1_11comp_targetILNS1_3genE2ELNS1_11target_archE906ELNS1_3gpuE6ELNS1_3repE0EEENS1_30default_config_static_selectorELNS0_4arch9wavefront6targetE1EEEvSY_
	.globl	_ZN7rocprim17ROCPRIM_400000_NS6detail17trampoline_kernelINS0_14default_configENS1_29binary_search_config_selectorIsiEEZNS1_14transform_implILb0ES3_S5_N6thrust23THRUST_200600_302600_NS6detail15normal_iteratorINS8_7pointerIsNS8_11hip_rocprim5par_tENS8_11use_defaultESE_EEEENSA_INSB_IiSD_SE_SE_EEEEZNS1_13binary_searchIS3_S5_NSA_INS8_10device_ptrIsEEEESG_SI_NS1_16binary_search_opENS9_16wrapped_functionINS8_6system6detail7generic6detail18binary_search_lessEbEEEE10hipError_tPvRmT1_T2_T3_mmT4_T5_P12ihipStream_tbEUlRKsE_EESV_SZ_S10_mS11_S14_bEUlT_E_NS1_11comp_targetILNS1_3genE2ELNS1_11target_archE906ELNS1_3gpuE6ELNS1_3repE0EEENS1_30default_config_static_selectorELNS0_4arch9wavefront6targetE1EEEvSY_
	.p2align	8
	.type	_ZN7rocprim17ROCPRIM_400000_NS6detail17trampoline_kernelINS0_14default_configENS1_29binary_search_config_selectorIsiEEZNS1_14transform_implILb0ES3_S5_N6thrust23THRUST_200600_302600_NS6detail15normal_iteratorINS8_7pointerIsNS8_11hip_rocprim5par_tENS8_11use_defaultESE_EEEENSA_INSB_IiSD_SE_SE_EEEEZNS1_13binary_searchIS3_S5_NSA_INS8_10device_ptrIsEEEESG_SI_NS1_16binary_search_opENS9_16wrapped_functionINS8_6system6detail7generic6detail18binary_search_lessEbEEEE10hipError_tPvRmT1_T2_T3_mmT4_T5_P12ihipStream_tbEUlRKsE_EESV_SZ_S10_mS11_S14_bEUlT_E_NS1_11comp_targetILNS1_3genE2ELNS1_11target_archE906ELNS1_3gpuE6ELNS1_3repE0EEENS1_30default_config_static_selectorELNS0_4arch9wavefront6targetE1EEEvSY_,@function
_ZN7rocprim17ROCPRIM_400000_NS6detail17trampoline_kernelINS0_14default_configENS1_29binary_search_config_selectorIsiEEZNS1_14transform_implILb0ES3_S5_N6thrust23THRUST_200600_302600_NS6detail15normal_iteratorINS8_7pointerIsNS8_11hip_rocprim5par_tENS8_11use_defaultESE_EEEENSA_INSB_IiSD_SE_SE_EEEEZNS1_13binary_searchIS3_S5_NSA_INS8_10device_ptrIsEEEESG_SI_NS1_16binary_search_opENS9_16wrapped_functionINS8_6system6detail7generic6detail18binary_search_lessEbEEEE10hipError_tPvRmT1_T2_T3_mmT4_T5_P12ihipStream_tbEUlRKsE_EESV_SZ_S10_mS11_S14_bEUlT_E_NS1_11comp_targetILNS1_3genE2ELNS1_11target_archE906ELNS1_3gpuE6ELNS1_3repE0EEENS1_30default_config_static_selectorELNS0_4arch9wavefront6targetE1EEEvSY_: ; @_ZN7rocprim17ROCPRIM_400000_NS6detail17trampoline_kernelINS0_14default_configENS1_29binary_search_config_selectorIsiEEZNS1_14transform_implILb0ES3_S5_N6thrust23THRUST_200600_302600_NS6detail15normal_iteratorINS8_7pointerIsNS8_11hip_rocprim5par_tENS8_11use_defaultESE_EEEENSA_INSB_IiSD_SE_SE_EEEEZNS1_13binary_searchIS3_S5_NSA_INS8_10device_ptrIsEEEESG_SI_NS1_16binary_search_opENS9_16wrapped_functionINS8_6system6detail7generic6detail18binary_search_lessEbEEEE10hipError_tPvRmT1_T2_T3_mmT4_T5_P12ihipStream_tbEUlRKsE_EESV_SZ_S10_mS11_S14_bEUlT_E_NS1_11comp_targetILNS1_3genE2ELNS1_11target_archE906ELNS1_3gpuE6ELNS1_3repE0EEENS1_30default_config_static_selectorELNS0_4arch9wavefront6targetE1EEEvSY_
; %bb.0:
	s_load_dwordx8 s[8:15], s[4:5], 0x0
	s_load_dwordx4 s[16:19], s[4:5], 0x20
	s_load_dword s2, s[4:5], 0x38
	s_waitcnt lgkmcnt(0)
	s_lshl_b64 s[0:1], s[10:11], 1
	s_add_u32 s3, s8, s0
	s_addc_u32 s4, s9, s1
	s_lshl_b64 s[0:1], s[10:11], 2
	s_add_u32 s22, s14, s0
	s_addc_u32 s23, s15, s1
	s_lshl_b32 s8, s6, 10
	s_mov_b32 s9, 0
	s_add_i32 s2, s2, -1
	s_lshl_b64 s[0:1], s[8:9], 1
	s_add_u32 s14, s3, s0
	s_addc_u32 s15, s4, s1
	s_cmp_lg_u32 s6, s2
	s_cbranch_scc0 .LBB720_23
; %bb.1:
	v_lshlrev_b32_e32 v1, 1, v0
	v_mov_b32_e32 v2, s15
	v_add_co_u32_e32 v1, vcc, s14, v1
	v_addc_co_u32_e32 v2, vcc, 0, v2, vcc
	flat_load_ushort v8, v[1:2]
	flat_load_ushort v9, v[1:2] offset:512
	flat_load_ushort v7, v[1:2] offset:1024
	;; [unrolled: 1-line block ×3, first 2 shown]
	s_cmp_lg_u64 s[18:19], 0
	v_mov_b32_e32 v1, 0
	s_cselect_b64 s[2:3], -1, 0
	s_cmp_eq_u64 s[18:19], 0
	s_mov_b64 s[0:1], 0
	v_mov_b32_e32 v2, 0
	s_cbranch_scc1 .LBB720_5
; %bb.2:
	v_mov_b32_e32 v3, s18
	v_mov_b32_e32 v4, s19
	;; [unrolled: 1-line block ×3, first 2 shown]
.LBB720_3:                              ; =>This Inner Loop Header: Depth=1
	v_sub_co_u32_e32 v10, vcc, v3, v1
	v_subb_co_u32_e32 v11, vcc, v4, v2, vcc
	v_lshrrev_b64 v[12:13], 1, v[10:11]
	v_lshrrev_b64 v[10:11], 6, v[10:11]
	v_add_co_u32_e32 v12, vcc, v12, v1
	v_addc_co_u32_e32 v13, vcc, v13, v2, vcc
	v_add_co_u32_e32 v10, vcc, v12, v10
	v_addc_co_u32_e32 v11, vcc, v13, v11, vcc
	v_lshlrev_b64 v[12:13], 1, v[10:11]
	v_add_co_u32_e32 v12, vcc, s16, v12
	v_addc_co_u32_e32 v13, vcc, v6, v13, vcc
	global_load_ushort v12, v[12:13], off
	v_add_co_u32_e32 v13, vcc, 1, v10
	v_addc_co_u32_e32 v14, vcc, 0, v11, vcc
	s_waitcnt vmcnt(0) lgkmcnt(0)
	v_cmp_lt_i16_e32 vcc, v12, v8
	v_cndmask_b32_e32 v4, v11, v4, vcc
	v_cndmask_b32_e32 v3, v10, v3, vcc
	;; [unrolled: 1-line block ×4, first 2 shown]
	v_cmp_ge_u64_e32 vcc, v[1:2], v[3:4]
	s_or_b64 s[0:1], vcc, s[0:1]
	s_andn2_b64 exec, exec, s[0:1]
	s_cbranch_execnz .LBB720_3
; %bb.4:
	s_or_b64 exec, exec, s[0:1]
.LBB720_5:
	v_cmp_ne_u64_e32 vcc, s[18:19], v[1:2]
	v_mov_b32_e32 v6, 0
	s_and_saveexec_b64 s[0:1], vcc
	s_cbranch_execz .LBB720_7
; %bb.6:
	v_lshlrev_b64 v[1:2], 1, v[1:2]
	v_mov_b32_e32 v3, s17
	v_add_co_u32_e32 v1, vcc, s16, v1
	v_addc_co_u32_e32 v2, vcc, v3, v2, vcc
	global_load_ushort v1, v[1:2], off
	s_waitcnt vmcnt(0) lgkmcnt(0)
	v_cmp_ge_i16_e32 vcc, v8, v1
	v_cndmask_b32_e64 v6, 0, 1, vcc
.LBB720_7:
	s_or_b64 exec, exec, s[0:1]
	v_cndmask_b32_e64 v1, 0, 1, s[2:3]
	v_cmp_ne_u32_e64 s[0:1], 1, v1
	s_andn2_b64 vcc, exec, s[2:3]
	s_cbranch_vccnz .LBB720_40
; %bb.8:
	v_mov_b32_e32 v1, 0
	v_mov_b32_e32 v3, s18
	s_mov_b64 s[2:3], 0
	v_mov_b32_e32 v2, 0
	v_mov_b32_e32 v4, s19
	s_waitcnt vmcnt(0) lgkmcnt(0)
	v_mov_b32_e32 v8, s17
.LBB720_9:                              ; =>This Inner Loop Header: Depth=1
	v_sub_co_u32_e32 v10, vcc, v3, v1
	v_subb_co_u32_e32 v11, vcc, v4, v2, vcc
	v_lshrrev_b64 v[12:13], 1, v[10:11]
	v_lshrrev_b64 v[10:11], 6, v[10:11]
	v_add_co_u32_e32 v12, vcc, v12, v1
	v_addc_co_u32_e32 v13, vcc, v13, v2, vcc
	v_add_co_u32_e32 v10, vcc, v12, v10
	v_addc_co_u32_e32 v11, vcc, v13, v11, vcc
	v_lshlrev_b64 v[12:13], 1, v[10:11]
	v_add_co_u32_e32 v12, vcc, s16, v12
	v_addc_co_u32_e32 v13, vcc, v8, v13, vcc
	global_load_ushort v12, v[12:13], off
	v_add_co_u32_e32 v13, vcc, 1, v10
	v_addc_co_u32_e32 v14, vcc, 0, v11, vcc
	s_waitcnt vmcnt(0)
	v_cmp_lt_i16_e32 vcc, v12, v9
	v_cndmask_b32_e32 v4, v11, v4, vcc
	v_cndmask_b32_e32 v3, v10, v3, vcc
	;; [unrolled: 1-line block ×4, first 2 shown]
	v_cmp_ge_u64_e32 vcc, v[1:2], v[3:4]
	s_or_b64 s[2:3], vcc, s[2:3]
	s_andn2_b64 exec, exec, s[2:3]
	s_cbranch_execnz .LBB720_9
; %bb.10:
	s_or_b64 exec, exec, s[2:3]
	v_cmp_ne_u64_e32 vcc, s[18:19], v[1:2]
	v_mov_b32_e32 v8, 0
	s_and_saveexec_b64 s[2:3], vcc
	s_cbranch_execz .LBB720_12
.LBB720_11:
	v_lshlrev_b64 v[1:2], 1, v[1:2]
	v_mov_b32_e32 v3, s17
	v_add_co_u32_e32 v1, vcc, s16, v1
	v_addc_co_u32_e32 v2, vcc, v3, v2, vcc
	global_load_ushort v1, v[1:2], off
	s_waitcnt vmcnt(0)
	v_cmp_ge_i16_e32 vcc, v9, v1
	v_cndmask_b32_e64 v8, 0, 1, vcc
.LBB720_12:
	s_or_b64 exec, exec, s[2:3]
	s_and_b64 vcc, exec, s[0:1]
	s_cbranch_vccnz .LBB720_41
; %bb.13:
	v_mov_b32_e32 v1, 0
	v_mov_b32_e32 v3, s18
	s_mov_b64 s[2:3], 0
	v_mov_b32_e32 v2, 0
	v_mov_b32_e32 v4, s19
	;; [unrolled: 1-line block ×3, first 2 shown]
.LBB720_14:                             ; =>This Inner Loop Header: Depth=1
	v_sub_co_u32_e32 v10, vcc, v3, v1
	v_subb_co_u32_e32 v11, vcc, v4, v2, vcc
	v_lshrrev_b64 v[12:13], 1, v[10:11]
	v_lshrrev_b64 v[10:11], 6, v[10:11]
	v_add_co_u32_e32 v12, vcc, v12, v1
	v_addc_co_u32_e32 v13, vcc, v13, v2, vcc
	v_add_co_u32_e32 v10, vcc, v12, v10
	v_addc_co_u32_e32 v11, vcc, v13, v11, vcc
	v_lshlrev_b64 v[12:13], 1, v[10:11]
	v_add_co_u32_e32 v12, vcc, s16, v12
	v_addc_co_u32_e32 v13, vcc, v9, v13, vcc
	global_load_ushort v12, v[12:13], off
	v_add_co_u32_e32 v13, vcc, 1, v10
	v_addc_co_u32_e32 v14, vcc, 0, v11, vcc
	s_waitcnt vmcnt(0)
	v_cmp_lt_i16_e32 vcc, v12, v7
	v_cndmask_b32_e32 v4, v11, v4, vcc
	v_cndmask_b32_e32 v3, v10, v3, vcc
	;; [unrolled: 1-line block ×4, first 2 shown]
	v_cmp_ge_u64_e32 vcc, v[1:2], v[3:4]
	s_or_b64 s[2:3], vcc, s[2:3]
	s_andn2_b64 exec, exec, s[2:3]
	s_cbranch_execnz .LBB720_14
; %bb.15:
	s_or_b64 exec, exec, s[2:3]
	v_cmp_ne_u64_e32 vcc, s[18:19], v[1:2]
	v_mov_b32_e32 v9, 0
	s_and_saveexec_b64 s[2:3], vcc
	s_cbranch_execz .LBB720_17
.LBB720_16:
	v_lshlrev_b64 v[1:2], 1, v[1:2]
	v_mov_b32_e32 v3, s17
	v_add_co_u32_e32 v1, vcc, s16, v1
	v_addc_co_u32_e32 v2, vcc, v3, v2, vcc
	global_load_ushort v1, v[1:2], off
	s_waitcnt vmcnt(0)
	v_cmp_ge_i16_e32 vcc, v7, v1
	v_cndmask_b32_e64 v9, 0, 1, vcc
.LBB720_17:
	s_or_b64 exec, exec, s[2:3]
	s_and_b64 vcc, exec, s[0:1]
	s_cbranch_vccnz .LBB720_42
; %bb.18:
	v_mov_b32_e32 v1, 0
	v_mov_b32_e32 v3, s18
	s_mov_b64 s[0:1], 0
	v_mov_b32_e32 v2, 0
	v_mov_b32_e32 v4, s19
	;; [unrolled: 1-line block ×3, first 2 shown]
.LBB720_19:                             ; =>This Inner Loop Header: Depth=1
	v_sub_co_u32_e32 v10, vcc, v3, v1
	v_subb_co_u32_e32 v11, vcc, v4, v2, vcc
	v_lshrrev_b64 v[12:13], 1, v[10:11]
	v_lshrrev_b64 v[10:11], 6, v[10:11]
	v_add_co_u32_e32 v12, vcc, v12, v1
	v_addc_co_u32_e32 v13, vcc, v13, v2, vcc
	v_add_co_u32_e32 v10, vcc, v12, v10
	v_addc_co_u32_e32 v11, vcc, v13, v11, vcc
	v_lshlrev_b64 v[12:13], 1, v[10:11]
	v_add_co_u32_e32 v12, vcc, s16, v12
	v_addc_co_u32_e32 v13, vcc, v7, v13, vcc
	global_load_ushort v12, v[12:13], off
	v_add_co_u32_e32 v13, vcc, 1, v10
	v_addc_co_u32_e32 v14, vcc, 0, v11, vcc
	s_waitcnt vmcnt(0)
	v_cmp_lt_i16_e32 vcc, v12, v5
	v_cndmask_b32_e32 v4, v11, v4, vcc
	v_cndmask_b32_e32 v3, v10, v3, vcc
	;; [unrolled: 1-line block ×4, first 2 shown]
	v_cmp_ge_u64_e32 vcc, v[1:2], v[3:4]
	s_or_b64 s[0:1], vcc, s[0:1]
	s_andn2_b64 exec, exec, s[0:1]
	s_cbranch_execnz .LBB720_19
; %bb.20:
	s_or_b64 exec, exec, s[0:1]
	v_cmp_ne_u64_e32 vcc, s[18:19], v[1:2]
	v_mov_b32_e32 v7, 0
	s_and_saveexec_b64 s[0:1], vcc
	s_cbranch_execz .LBB720_22
.LBB720_21:
	v_lshlrev_b64 v[1:2], 1, v[1:2]
	v_mov_b32_e32 v3, s17
	v_add_co_u32_e32 v1, vcc, s16, v1
	v_addc_co_u32_e32 v2, vcc, v3, v2, vcc
	global_load_ushort v1, v[1:2], off
	s_waitcnt vmcnt(0)
	v_cmp_ge_i16_e32 vcc, v5, v1
	v_cndmask_b32_e64 v7, 0, 1, vcc
.LBB720_22:
	s_or_b64 exec, exec, s[0:1]
	s_lshl_b64 s[0:1], s[8:9], 2
	s_add_u32 s0, s22, s0
	s_addc_u32 s1, s23, s1
	v_lshlrev_b32_e32 v1, 2, v0
	v_mov_b32_e32 v2, s1
	v_add_co_u32_e32 v1, vcc, s0, v1
	v_addc_co_u32_e32 v2, vcc, 0, v2, vcc
	flat_store_dword v[1:2], v6
	flat_store_dword v[1:2], v8 offset:1024
	flat_store_dword v[1:2], v9 offset:2048
	s_mov_b64 s[10:11], -1
	s_branch .LBB720_72
.LBB720_23:
	s_mov_b64 s[10:11], 0
                                        ; implicit-def: $vgpr7
                                        ; implicit-def: $vgpr1_vgpr2
	s_cbranch_execz .LBB720_72
; %bb.24:
	s_sub_i32 s12, s12, s8
	v_mov_b32_e32 v1, 0
	v_cmp_gt_u32_e64 s[0:1], s12, v0
	v_mov_b32_e32 v2, v1
	s_and_saveexec_b64 s[2:3], s[0:1]
	s_cbranch_execz .LBB720_26
; %bb.25:
	v_lshlrev_b32_e32 v2, 1, v0
	v_mov_b32_e32 v3, s15
	v_add_co_u32_e32 v2, vcc, s14, v2
	v_addc_co_u32_e32 v3, vcc, 0, v3, vcc
	flat_load_ushort v2, v[2:3]
	v_mov_b32_e32 v3, v1
	s_waitcnt vmcnt(0) lgkmcnt(0)
	v_and_b32_e32 v2, 0xffff, v2
	v_mov_b32_e32 v1, v2
	v_mov_b32_e32 v2, v3
.LBB720_26:
	s_or_b64 exec, exec, s[2:3]
	v_or_b32_e32 v3, 0x100, v0
	v_cmp_gt_u32_e64 s[2:3], s12, v3
	s_and_saveexec_b64 s[4:5], s[2:3]
	s_cbranch_execz .LBB720_28
; %bb.27:
	v_lshlrev_b32_e32 v3, 1, v0
	v_mov_b32_e32 v4, s15
	v_add_co_u32_e32 v3, vcc, s14, v3
	v_addc_co_u32_e32 v4, vcc, 0, v4, vcc
	flat_load_ushort v3, v[3:4] offset:512
	s_mov_b32 s6, 0x5040100
	s_waitcnt vmcnt(0) lgkmcnt(0)
	v_perm_b32 v1, v3, v1, s6
.LBB720_28:
	s_or_b64 exec, exec, s[4:5]
	v_or_b32_e32 v3, 0x200, v0
	v_cmp_gt_u32_e64 s[4:5], s12, v3
	s_and_saveexec_b64 s[6:7], s[4:5]
	s_cbranch_execz .LBB720_30
; %bb.29:
	v_lshlrev_b32_e32 v3, 1, v0
	v_mov_b32_e32 v4, s15
	v_add_co_u32_e32 v3, vcc, s14, v3
	v_addc_co_u32_e32 v4, vcc, 0, v4, vcc
	flat_load_ushort v3, v[3:4] offset:1024
	s_mov_b32 s13, 0xffff
	s_waitcnt vmcnt(0) lgkmcnt(0)
	v_bfi_b32 v2, s13, v3, v2
.LBB720_30:
	s_or_b64 exec, exec, s[6:7]
	v_or_b32_e32 v3, 0x300, v0
	v_cmp_gt_u32_e64 s[6:7], s12, v3
	s_and_saveexec_b64 s[12:13], s[6:7]
	s_cbranch_execz .LBB720_32
; %bb.31:
	v_lshlrev_b32_e32 v3, 1, v0
	v_mov_b32_e32 v4, s15
	v_add_co_u32_e32 v3, vcc, s14, v3
	v_addc_co_u32_e32 v4, vcc, 0, v4, vcc
	flat_load_ushort v3, v[3:4] offset:1536
	s_mov_b32 s14, 0x5040100
	s_waitcnt vmcnt(0) lgkmcnt(0)
	v_perm_b32 v2, v3, v2, s14
.LBB720_32:
	s_or_b64 exec, exec, s[12:13]
	s_cmp_lg_u64 s[18:19], 0
	v_mov_b32_e32 v8, 0
	s_cselect_b64 s[12:13], -1, 0
	v_mov_b32_e32 v9, v8
	v_mov_b32_e32 v10, v8
	;; [unrolled: 1-line block ×3, first 2 shown]
	s_and_saveexec_b64 s[14:15], s[0:1]
	s_cbranch_execnz .LBB720_36
; %bb.33:
	s_or_b64 exec, exec, s[14:15]
	s_and_saveexec_b64 s[14:15], s[2:3]
	s_cbranch_execnz .LBB720_47
.LBB720_34:
	s_or_b64 exec, exec, s[14:15]
	s_and_saveexec_b64 s[14:15], s[4:5]
	s_cbranch_execnz .LBB720_53
.LBB720_35:
	s_or_b64 exec, exec, s[14:15]
	s_and_saveexec_b64 s[14:15], s[6:7]
	s_cbranch_execnz .LBB720_59
	s_branch .LBB720_65
.LBB720_36:
	s_andn2_b64 vcc, exec, s[12:13]
	s_cbranch_vccnz .LBB720_43
; %bb.37:
	v_mov_b32_e32 v3, 0
	v_mov_b32_e32 v5, s18
	s_mov_b64 s[20:21], 0
	v_mov_b32_e32 v4, 0
	v_mov_b32_e32 v6, s19
	;; [unrolled: 1-line block ×3, first 2 shown]
.LBB720_38:                             ; =>This Inner Loop Header: Depth=1
	v_sub_co_u32_e32 v8, vcc, v5, v3
	v_subb_co_u32_e32 v9, vcc, v6, v4, vcc
	v_lshrrev_b64 v[10:11], 1, v[8:9]
	v_lshrrev_b64 v[8:9], 6, v[8:9]
	v_add_co_u32_e32 v10, vcc, v10, v3
	v_addc_co_u32_e32 v11, vcc, v11, v4, vcc
	v_add_co_u32_e32 v8, vcc, v10, v8
	v_addc_co_u32_e32 v9, vcc, v11, v9, vcc
	v_lshlrev_b64 v[10:11], 1, v[8:9]
	v_add_co_u32_e32 v10, vcc, s16, v10
	v_addc_co_u32_e32 v11, vcc, v7, v11, vcc
	global_load_ushort v10, v[10:11], off
	v_add_co_u32_e32 v11, vcc, 1, v8
	v_addc_co_u32_e32 v12, vcc, 0, v9, vcc
	s_waitcnt vmcnt(0)
	v_cmp_lt_i16_e32 vcc, v10, v1
	v_cndmask_b32_e32 v6, v9, v6, vcc
	v_cndmask_b32_e32 v5, v8, v5, vcc
	;; [unrolled: 1-line block ×4, first 2 shown]
	v_cmp_ge_u64_e32 vcc, v[3:4], v[5:6]
	s_or_b64 s[20:21], vcc, s[20:21]
	s_andn2_b64 exec, exec, s[20:21]
	s_cbranch_execnz .LBB720_38
; %bb.39:
	s_or_b64 exec, exec, s[20:21]
	s_branch .LBB720_44
.LBB720_40:
	v_mov_b32_e32 v1, 0
	v_mov_b32_e32 v2, 0
	v_cmp_ne_u64_e32 vcc, s[18:19], v[1:2]
	s_waitcnt vmcnt(0) lgkmcnt(0)
	v_mov_b32_e32 v8, 0
	s_and_saveexec_b64 s[2:3], vcc
	s_cbranch_execnz .LBB720_11
	s_branch .LBB720_12
.LBB720_41:
	v_mov_b32_e32 v1, 0
	v_mov_b32_e32 v2, 0
	v_cmp_ne_u64_e32 vcc, s[18:19], v[1:2]
	v_mov_b32_e32 v9, 0
	s_and_saveexec_b64 s[2:3], vcc
	s_cbranch_execnz .LBB720_16
	s_branch .LBB720_17
.LBB720_42:
	v_mov_b32_e32 v1, 0
	v_mov_b32_e32 v2, 0
	v_cmp_ne_u64_e32 vcc, s[18:19], v[1:2]
	v_mov_b32_e32 v7, 0
	s_and_saveexec_b64 s[0:1], vcc
	s_cbranch_execnz .LBB720_21
	s_branch .LBB720_22
.LBB720_43:
	v_mov_b32_e32 v3, 0
	v_mov_b32_e32 v4, 0
.LBB720_44:
	v_cmp_ne_u64_e32 vcc, s[18:19], v[3:4]
	v_mov_b32_e32 v9, 0
	v_mov_b32_e32 v8, 0
	s_and_saveexec_b64 s[20:21], vcc
	s_cbranch_execz .LBB720_46
; %bb.45:
	v_lshlrev_b64 v[3:4], 1, v[3:4]
	v_mov_b32_e32 v5, s17
	v_add_co_u32_e32 v3, vcc, s16, v3
	v_addc_co_u32_e32 v4, vcc, v5, v4, vcc
	global_load_ushort v3, v[3:4], off
	s_waitcnt vmcnt(0)
	v_cmp_ge_i16_e32 vcc, v1, v3
	v_cndmask_b32_e64 v8, 0, 1, vcc
.LBB720_46:
	s_or_b64 exec, exec, s[20:21]
	v_mov_b32_e32 v10, v9
	v_mov_b32_e32 v7, v9
	s_or_b64 exec, exec, s[14:15]
	s_and_saveexec_b64 s[14:15], s[2:3]
	s_cbranch_execz .LBB720_34
.LBB720_47:
	s_andn2_b64 vcc, exec, s[12:13]
	s_cbranch_vccnz .LBB720_77
; %bb.48:
	v_mov_b32_e32 v3, 0
	v_mov_b32_e32 v5, s18
	s_mov_b64 s[20:21], 0
	v_mov_b32_e32 v4, 0
	v_mov_b32_e32 v6, s19
	;; [unrolled: 1-line block ×3, first 2 shown]
.LBB720_49:                             ; =>This Inner Loop Header: Depth=1
	v_sub_co_u32_e32 v11, vcc, v5, v3
	v_subb_co_u32_e32 v12, vcc, v6, v4, vcc
	v_lshrrev_b64 v[13:14], 1, v[11:12]
	v_lshrrev_b64 v[11:12], 6, v[11:12]
	v_add_co_u32_e32 v13, vcc, v13, v3
	v_addc_co_u32_e32 v14, vcc, v14, v4, vcc
	v_add_co_u32_e32 v11, vcc, v13, v11
	v_addc_co_u32_e32 v12, vcc, v14, v12, vcc
	v_lshlrev_b64 v[13:14], 1, v[11:12]
	v_add_co_u32_e32 v13, vcc, s16, v13
	v_addc_co_u32_e32 v14, vcc, v9, v14, vcc
	global_load_ushort v13, v[13:14], off
	v_add_co_u32_e32 v14, vcc, 1, v11
	v_addc_co_u32_e32 v15, vcc, 0, v12, vcc
	s_waitcnt vmcnt(0)
	v_cmp_lt_i16_sdwa vcc, v13, v1 src0_sel:DWORD src1_sel:WORD_1
	v_cndmask_b32_e32 v6, v12, v6, vcc
	v_cndmask_b32_e32 v5, v11, v5, vcc
	;; [unrolled: 1-line block ×4, first 2 shown]
	v_cmp_ge_u64_e32 vcc, v[3:4], v[5:6]
	s_or_b64 s[20:21], vcc, s[20:21]
	s_andn2_b64 exec, exec, s[20:21]
	s_cbranch_execnz .LBB720_49
; %bb.50:
	s_or_b64 exec, exec, s[20:21]
	v_cmp_ne_u64_e32 vcc, s[18:19], v[3:4]
	v_mov_b32_e32 v9, 0
	s_and_saveexec_b64 s[20:21], vcc
	s_cbranch_execz .LBB720_52
.LBB720_51:
	v_lshlrev_b64 v[3:4], 1, v[3:4]
	v_mov_b32_e32 v5, s17
	v_add_co_u32_e32 v3, vcc, s16, v3
	v_addc_co_u32_e32 v4, vcc, v5, v4, vcc
	global_load_ushort v3, v[3:4], off
	s_waitcnt vmcnt(0)
	v_cmp_ge_i16_sdwa s[24:25], v1, v3 src0_sel:WORD_1 src1_sel:DWORD
	v_cndmask_b32_e64 v9, 0, 1, s[24:25]
.LBB720_52:
	s_or_b64 exec, exec, s[20:21]
	s_or_b64 exec, exec, s[14:15]
	s_and_saveexec_b64 s[14:15], s[4:5]
	s_cbranch_execz .LBB720_35
.LBB720_53:
	s_andn2_b64 vcc, exec, s[12:13]
	s_cbranch_vccnz .LBB720_78
; %bb.54:
	v_mov_b32_e32 v3, 0
	v_mov_b32_e32 v5, s18
	s_mov_b64 s[20:21], 0
	v_mov_b32_e32 v4, 0
	v_mov_b32_e32 v6, s19
	;; [unrolled: 1-line block ×3, first 2 shown]
.LBB720_55:                             ; =>This Inner Loop Header: Depth=1
	v_sub_co_u32_e32 v10, vcc, v5, v3
	v_subb_co_u32_e32 v11, vcc, v6, v4, vcc
	v_lshrrev_b64 v[12:13], 1, v[10:11]
	v_lshrrev_b64 v[10:11], 6, v[10:11]
	v_add_co_u32_e32 v12, vcc, v12, v3
	v_addc_co_u32_e32 v13, vcc, v13, v4, vcc
	v_add_co_u32_e32 v10, vcc, v12, v10
	v_addc_co_u32_e32 v11, vcc, v13, v11, vcc
	v_lshlrev_b64 v[12:13], 1, v[10:11]
	v_add_co_u32_e32 v12, vcc, s16, v12
	v_addc_co_u32_e32 v13, vcc, v1, v13, vcc
	global_load_ushort v12, v[12:13], off
	v_add_co_u32_e32 v13, vcc, 1, v10
	v_addc_co_u32_e32 v14, vcc, 0, v11, vcc
	s_waitcnt vmcnt(0)
	v_cmp_lt_i16_e32 vcc, v12, v2
	v_cndmask_b32_e32 v6, v11, v6, vcc
	v_cndmask_b32_e32 v5, v10, v5, vcc
	;; [unrolled: 1-line block ×4, first 2 shown]
	v_cmp_ge_u64_e32 vcc, v[3:4], v[5:6]
	s_or_b64 s[20:21], vcc, s[20:21]
	s_andn2_b64 exec, exec, s[20:21]
	s_cbranch_execnz .LBB720_55
; %bb.56:
	s_or_b64 exec, exec, s[20:21]
	v_cmp_ne_u64_e32 vcc, s[18:19], v[3:4]
	v_mov_b32_e32 v10, 0
	s_and_saveexec_b64 s[20:21], vcc
	s_cbranch_execz .LBB720_58
.LBB720_57:
	v_lshlrev_b64 v[3:4], 1, v[3:4]
	v_mov_b32_e32 v1, s17
	v_add_co_u32_e32 v3, vcc, s16, v3
	v_addc_co_u32_e32 v4, vcc, v1, v4, vcc
	global_load_ushort v1, v[3:4], off
	s_waitcnt vmcnt(0)
	v_cmp_ge_i16_e32 vcc, v2, v1
	v_cndmask_b32_e64 v10, 0, 1, vcc
.LBB720_58:
	s_or_b64 exec, exec, s[20:21]
	s_or_b64 exec, exec, s[14:15]
	s_and_saveexec_b64 s[14:15], s[6:7]
	s_cbranch_execz .LBB720_65
.LBB720_59:
	s_andn2_b64 vcc, exec, s[12:13]
	s_cbranch_vccnz .LBB720_79
; %bb.60:
	v_mov_b32_e32 v3, 0
	v_mov_b32_e32 v5, s18
	s_mov_b64 s[12:13], 0
	v_mov_b32_e32 v4, 0
	v_mov_b32_e32 v6, s19
	;; [unrolled: 1-line block ×3, first 2 shown]
.LBB720_61:                             ; =>This Inner Loop Header: Depth=1
	v_sub_co_u32_e32 v11, vcc, v5, v3
	v_subb_co_u32_e32 v12, vcc, v6, v4, vcc
	v_lshrrev_b64 v[13:14], 1, v[11:12]
	v_lshrrev_b64 v[11:12], 6, v[11:12]
	v_add_co_u32_e32 v7, vcc, v13, v3
	v_addc_co_u32_e32 v13, vcc, v14, v4, vcc
	v_add_co_u32_e32 v11, vcc, v7, v11
	v_addc_co_u32_e32 v12, vcc, v13, v12, vcc
	v_lshlrev_b64 v[13:14], 1, v[11:12]
	v_add_co_u32_e32 v13, vcc, s16, v13
	v_addc_co_u32_e32 v14, vcc, v1, v14, vcc
	global_load_ushort v7, v[13:14], off
	v_add_co_u32_e32 v13, vcc, 1, v11
	v_addc_co_u32_e32 v14, vcc, 0, v12, vcc
	s_waitcnt vmcnt(0)
	v_cmp_lt_i16_sdwa vcc, v7, v2 src0_sel:DWORD src1_sel:WORD_1
	v_cndmask_b32_e32 v6, v12, v6, vcc
	v_cndmask_b32_e32 v5, v11, v5, vcc
	;; [unrolled: 1-line block ×4, first 2 shown]
	v_cmp_ge_u64_e32 vcc, v[3:4], v[5:6]
	s_or_b64 s[12:13], vcc, s[12:13]
	s_andn2_b64 exec, exec, s[12:13]
	s_cbranch_execnz .LBB720_61
; %bb.62:
	s_or_b64 exec, exec, s[12:13]
	v_cmp_ne_u64_e32 vcc, s[18:19], v[3:4]
	v_mov_b32_e32 v7, 0
	s_and_saveexec_b64 s[12:13], vcc
	s_cbranch_execz .LBB720_64
.LBB720_63:
	v_lshlrev_b64 v[3:4], 1, v[3:4]
	v_mov_b32_e32 v1, s17
	v_add_co_u32_e32 v3, vcc, s16, v3
	v_addc_co_u32_e32 v4, vcc, v1, v4, vcc
	global_load_ushort v1, v[3:4], off
	s_waitcnt vmcnt(0)
	v_cmp_ge_i16_sdwa s[16:17], v2, v1 src0_sel:WORD_1 src1_sel:DWORD
	v_cndmask_b32_e64 v7, 0, 1, s[16:17]
.LBB720_64:
	s_or_b64 exec, exec, s[12:13]
.LBB720_65:
	s_or_b64 exec, exec, s[14:15]
	s_lshl_b64 s[8:9], s[8:9], 2
	s_add_u32 s8, s22, s8
	s_addc_u32 s9, s23, s9
	v_lshlrev_b32_e32 v0, 2, v0
	v_mov_b32_e32 v2, s9
	v_add_co_u32_e32 v1, vcc, s8, v0
	v_addc_co_u32_e32 v2, vcc, 0, v2, vcc
	s_and_saveexec_b64 s[8:9], s[0:1]
	s_xor_b64 s[0:1], exec, s[8:9]
	s_cbranch_execz .LBB720_67
; %bb.66:
	flat_store_dword v[1:2], v8
.LBB720_67:
	s_or_b64 exec, exec, s[0:1]
	s_and_saveexec_b64 s[0:1], s[2:3]
	s_cbranch_execnz .LBB720_75
; %bb.68:
	s_or_b64 exec, exec, s[0:1]
	s_and_saveexec_b64 s[0:1], s[4:5]
	s_cbranch_execnz .LBB720_76
.LBB720_69:
	s_or_b64 exec, exec, s[0:1]
	s_and_saveexec_b64 s[0:1], s[6:7]
.LBB720_70:
	s_or_b64 s[10:11], s[10:11], exec
.LBB720_71:
	s_or_b64 exec, exec, s[0:1]
.LBB720_72:
	s_and_saveexec_b64 s[0:1], s[10:11]
	s_cbranch_execnz .LBB720_74
; %bb.73:
	s_endpgm
.LBB720_74:
	flat_store_dword v[1:2], v7 offset:3072
	s_endpgm
.LBB720_75:
	flat_store_dword v[1:2], v9 offset:1024
	s_or_b64 exec, exec, s[0:1]
	s_and_saveexec_b64 s[0:1], s[4:5]
	s_cbranch_execz .LBB720_69
.LBB720_76:
	flat_store_dword v[1:2], v10 offset:2048
	s_or_b64 exec, exec, s[0:1]
	s_and_saveexec_b64 s[0:1], s[6:7]
	s_cbranch_execnz .LBB720_70
	s_branch .LBB720_71
.LBB720_77:
	v_mov_b32_e32 v3, 0
	v_mov_b32_e32 v4, 0
	v_cmp_ne_u64_e32 vcc, s[18:19], v[3:4]
	v_mov_b32_e32 v9, 0
	s_and_saveexec_b64 s[20:21], vcc
	s_cbranch_execnz .LBB720_51
	s_branch .LBB720_52
.LBB720_78:
	v_mov_b32_e32 v3, 0
	v_mov_b32_e32 v4, 0
	v_cmp_ne_u64_e32 vcc, s[18:19], v[3:4]
	v_mov_b32_e32 v10, 0
	s_and_saveexec_b64 s[20:21], vcc
	s_cbranch_execnz .LBB720_57
	s_branch .LBB720_58
.LBB720_79:
	v_mov_b32_e32 v3, 0
	v_mov_b32_e32 v4, 0
	v_cmp_ne_u64_e32 vcc, s[18:19], v[3:4]
	v_mov_b32_e32 v7, 0
	s_and_saveexec_b64 s[12:13], vcc
	s_cbranch_execnz .LBB720_63
	s_branch .LBB720_64
	.section	.rodata,"a",@progbits
	.p2align	6, 0x0
	.amdhsa_kernel _ZN7rocprim17ROCPRIM_400000_NS6detail17trampoline_kernelINS0_14default_configENS1_29binary_search_config_selectorIsiEEZNS1_14transform_implILb0ES3_S5_N6thrust23THRUST_200600_302600_NS6detail15normal_iteratorINS8_7pointerIsNS8_11hip_rocprim5par_tENS8_11use_defaultESE_EEEENSA_INSB_IiSD_SE_SE_EEEEZNS1_13binary_searchIS3_S5_NSA_INS8_10device_ptrIsEEEESG_SI_NS1_16binary_search_opENS9_16wrapped_functionINS8_6system6detail7generic6detail18binary_search_lessEbEEEE10hipError_tPvRmT1_T2_T3_mmT4_T5_P12ihipStream_tbEUlRKsE_EESV_SZ_S10_mS11_S14_bEUlT_E_NS1_11comp_targetILNS1_3genE2ELNS1_11target_archE906ELNS1_3gpuE6ELNS1_3repE0EEENS1_30default_config_static_selectorELNS0_4arch9wavefront6targetE1EEEvSY_
		.amdhsa_group_segment_fixed_size 0
		.amdhsa_private_segment_fixed_size 0
		.amdhsa_kernarg_size 312
		.amdhsa_user_sgpr_count 6
		.amdhsa_user_sgpr_private_segment_buffer 1
		.amdhsa_user_sgpr_dispatch_ptr 0
		.amdhsa_user_sgpr_queue_ptr 0
		.amdhsa_user_sgpr_kernarg_segment_ptr 1
		.amdhsa_user_sgpr_dispatch_id 0
		.amdhsa_user_sgpr_flat_scratch_init 0
		.amdhsa_user_sgpr_private_segment_size 0
		.amdhsa_uses_dynamic_stack 0
		.amdhsa_system_sgpr_private_segment_wavefront_offset 0
		.amdhsa_system_sgpr_workgroup_id_x 1
		.amdhsa_system_sgpr_workgroup_id_y 0
		.amdhsa_system_sgpr_workgroup_id_z 0
		.amdhsa_system_sgpr_workgroup_info 0
		.amdhsa_system_vgpr_workitem_id 0
		.amdhsa_next_free_vgpr 16
		.amdhsa_next_free_sgpr 26
		.amdhsa_reserve_vcc 1
		.amdhsa_reserve_flat_scratch 0
		.amdhsa_float_round_mode_32 0
		.amdhsa_float_round_mode_16_64 0
		.amdhsa_float_denorm_mode_32 3
		.amdhsa_float_denorm_mode_16_64 3
		.amdhsa_dx10_clamp 1
		.amdhsa_ieee_mode 1
		.amdhsa_fp16_overflow 0
		.amdhsa_exception_fp_ieee_invalid_op 0
		.amdhsa_exception_fp_denorm_src 0
		.amdhsa_exception_fp_ieee_div_zero 0
		.amdhsa_exception_fp_ieee_overflow 0
		.amdhsa_exception_fp_ieee_underflow 0
		.amdhsa_exception_fp_ieee_inexact 0
		.amdhsa_exception_int_div_zero 0
	.end_amdhsa_kernel
	.section	.text._ZN7rocprim17ROCPRIM_400000_NS6detail17trampoline_kernelINS0_14default_configENS1_29binary_search_config_selectorIsiEEZNS1_14transform_implILb0ES3_S5_N6thrust23THRUST_200600_302600_NS6detail15normal_iteratorINS8_7pointerIsNS8_11hip_rocprim5par_tENS8_11use_defaultESE_EEEENSA_INSB_IiSD_SE_SE_EEEEZNS1_13binary_searchIS3_S5_NSA_INS8_10device_ptrIsEEEESG_SI_NS1_16binary_search_opENS9_16wrapped_functionINS8_6system6detail7generic6detail18binary_search_lessEbEEEE10hipError_tPvRmT1_T2_T3_mmT4_T5_P12ihipStream_tbEUlRKsE_EESV_SZ_S10_mS11_S14_bEUlT_E_NS1_11comp_targetILNS1_3genE2ELNS1_11target_archE906ELNS1_3gpuE6ELNS1_3repE0EEENS1_30default_config_static_selectorELNS0_4arch9wavefront6targetE1EEEvSY_,"axG",@progbits,_ZN7rocprim17ROCPRIM_400000_NS6detail17trampoline_kernelINS0_14default_configENS1_29binary_search_config_selectorIsiEEZNS1_14transform_implILb0ES3_S5_N6thrust23THRUST_200600_302600_NS6detail15normal_iteratorINS8_7pointerIsNS8_11hip_rocprim5par_tENS8_11use_defaultESE_EEEENSA_INSB_IiSD_SE_SE_EEEEZNS1_13binary_searchIS3_S5_NSA_INS8_10device_ptrIsEEEESG_SI_NS1_16binary_search_opENS9_16wrapped_functionINS8_6system6detail7generic6detail18binary_search_lessEbEEEE10hipError_tPvRmT1_T2_T3_mmT4_T5_P12ihipStream_tbEUlRKsE_EESV_SZ_S10_mS11_S14_bEUlT_E_NS1_11comp_targetILNS1_3genE2ELNS1_11target_archE906ELNS1_3gpuE6ELNS1_3repE0EEENS1_30default_config_static_selectorELNS0_4arch9wavefront6targetE1EEEvSY_,comdat
.Lfunc_end720:
	.size	_ZN7rocprim17ROCPRIM_400000_NS6detail17trampoline_kernelINS0_14default_configENS1_29binary_search_config_selectorIsiEEZNS1_14transform_implILb0ES3_S5_N6thrust23THRUST_200600_302600_NS6detail15normal_iteratorINS8_7pointerIsNS8_11hip_rocprim5par_tENS8_11use_defaultESE_EEEENSA_INSB_IiSD_SE_SE_EEEEZNS1_13binary_searchIS3_S5_NSA_INS8_10device_ptrIsEEEESG_SI_NS1_16binary_search_opENS9_16wrapped_functionINS8_6system6detail7generic6detail18binary_search_lessEbEEEE10hipError_tPvRmT1_T2_T3_mmT4_T5_P12ihipStream_tbEUlRKsE_EESV_SZ_S10_mS11_S14_bEUlT_E_NS1_11comp_targetILNS1_3genE2ELNS1_11target_archE906ELNS1_3gpuE6ELNS1_3repE0EEENS1_30default_config_static_selectorELNS0_4arch9wavefront6targetE1EEEvSY_, .Lfunc_end720-_ZN7rocprim17ROCPRIM_400000_NS6detail17trampoline_kernelINS0_14default_configENS1_29binary_search_config_selectorIsiEEZNS1_14transform_implILb0ES3_S5_N6thrust23THRUST_200600_302600_NS6detail15normal_iteratorINS8_7pointerIsNS8_11hip_rocprim5par_tENS8_11use_defaultESE_EEEENSA_INSB_IiSD_SE_SE_EEEEZNS1_13binary_searchIS3_S5_NSA_INS8_10device_ptrIsEEEESG_SI_NS1_16binary_search_opENS9_16wrapped_functionINS8_6system6detail7generic6detail18binary_search_lessEbEEEE10hipError_tPvRmT1_T2_T3_mmT4_T5_P12ihipStream_tbEUlRKsE_EESV_SZ_S10_mS11_S14_bEUlT_E_NS1_11comp_targetILNS1_3genE2ELNS1_11target_archE906ELNS1_3gpuE6ELNS1_3repE0EEENS1_30default_config_static_selectorELNS0_4arch9wavefront6targetE1EEEvSY_
                                        ; -- End function
	.set _ZN7rocprim17ROCPRIM_400000_NS6detail17trampoline_kernelINS0_14default_configENS1_29binary_search_config_selectorIsiEEZNS1_14transform_implILb0ES3_S5_N6thrust23THRUST_200600_302600_NS6detail15normal_iteratorINS8_7pointerIsNS8_11hip_rocprim5par_tENS8_11use_defaultESE_EEEENSA_INSB_IiSD_SE_SE_EEEEZNS1_13binary_searchIS3_S5_NSA_INS8_10device_ptrIsEEEESG_SI_NS1_16binary_search_opENS9_16wrapped_functionINS8_6system6detail7generic6detail18binary_search_lessEbEEEE10hipError_tPvRmT1_T2_T3_mmT4_T5_P12ihipStream_tbEUlRKsE_EESV_SZ_S10_mS11_S14_bEUlT_E_NS1_11comp_targetILNS1_3genE2ELNS1_11target_archE906ELNS1_3gpuE6ELNS1_3repE0EEENS1_30default_config_static_selectorELNS0_4arch9wavefront6targetE1EEEvSY_.num_vgpr, 16
	.set _ZN7rocprim17ROCPRIM_400000_NS6detail17trampoline_kernelINS0_14default_configENS1_29binary_search_config_selectorIsiEEZNS1_14transform_implILb0ES3_S5_N6thrust23THRUST_200600_302600_NS6detail15normal_iteratorINS8_7pointerIsNS8_11hip_rocprim5par_tENS8_11use_defaultESE_EEEENSA_INSB_IiSD_SE_SE_EEEEZNS1_13binary_searchIS3_S5_NSA_INS8_10device_ptrIsEEEESG_SI_NS1_16binary_search_opENS9_16wrapped_functionINS8_6system6detail7generic6detail18binary_search_lessEbEEEE10hipError_tPvRmT1_T2_T3_mmT4_T5_P12ihipStream_tbEUlRKsE_EESV_SZ_S10_mS11_S14_bEUlT_E_NS1_11comp_targetILNS1_3genE2ELNS1_11target_archE906ELNS1_3gpuE6ELNS1_3repE0EEENS1_30default_config_static_selectorELNS0_4arch9wavefront6targetE1EEEvSY_.num_agpr, 0
	.set _ZN7rocprim17ROCPRIM_400000_NS6detail17trampoline_kernelINS0_14default_configENS1_29binary_search_config_selectorIsiEEZNS1_14transform_implILb0ES3_S5_N6thrust23THRUST_200600_302600_NS6detail15normal_iteratorINS8_7pointerIsNS8_11hip_rocprim5par_tENS8_11use_defaultESE_EEEENSA_INSB_IiSD_SE_SE_EEEEZNS1_13binary_searchIS3_S5_NSA_INS8_10device_ptrIsEEEESG_SI_NS1_16binary_search_opENS9_16wrapped_functionINS8_6system6detail7generic6detail18binary_search_lessEbEEEE10hipError_tPvRmT1_T2_T3_mmT4_T5_P12ihipStream_tbEUlRKsE_EESV_SZ_S10_mS11_S14_bEUlT_E_NS1_11comp_targetILNS1_3genE2ELNS1_11target_archE906ELNS1_3gpuE6ELNS1_3repE0EEENS1_30default_config_static_selectorELNS0_4arch9wavefront6targetE1EEEvSY_.numbered_sgpr, 26
	.set _ZN7rocprim17ROCPRIM_400000_NS6detail17trampoline_kernelINS0_14default_configENS1_29binary_search_config_selectorIsiEEZNS1_14transform_implILb0ES3_S5_N6thrust23THRUST_200600_302600_NS6detail15normal_iteratorINS8_7pointerIsNS8_11hip_rocprim5par_tENS8_11use_defaultESE_EEEENSA_INSB_IiSD_SE_SE_EEEEZNS1_13binary_searchIS3_S5_NSA_INS8_10device_ptrIsEEEESG_SI_NS1_16binary_search_opENS9_16wrapped_functionINS8_6system6detail7generic6detail18binary_search_lessEbEEEE10hipError_tPvRmT1_T2_T3_mmT4_T5_P12ihipStream_tbEUlRKsE_EESV_SZ_S10_mS11_S14_bEUlT_E_NS1_11comp_targetILNS1_3genE2ELNS1_11target_archE906ELNS1_3gpuE6ELNS1_3repE0EEENS1_30default_config_static_selectorELNS0_4arch9wavefront6targetE1EEEvSY_.num_named_barrier, 0
	.set _ZN7rocprim17ROCPRIM_400000_NS6detail17trampoline_kernelINS0_14default_configENS1_29binary_search_config_selectorIsiEEZNS1_14transform_implILb0ES3_S5_N6thrust23THRUST_200600_302600_NS6detail15normal_iteratorINS8_7pointerIsNS8_11hip_rocprim5par_tENS8_11use_defaultESE_EEEENSA_INSB_IiSD_SE_SE_EEEEZNS1_13binary_searchIS3_S5_NSA_INS8_10device_ptrIsEEEESG_SI_NS1_16binary_search_opENS9_16wrapped_functionINS8_6system6detail7generic6detail18binary_search_lessEbEEEE10hipError_tPvRmT1_T2_T3_mmT4_T5_P12ihipStream_tbEUlRKsE_EESV_SZ_S10_mS11_S14_bEUlT_E_NS1_11comp_targetILNS1_3genE2ELNS1_11target_archE906ELNS1_3gpuE6ELNS1_3repE0EEENS1_30default_config_static_selectorELNS0_4arch9wavefront6targetE1EEEvSY_.private_seg_size, 0
	.set _ZN7rocprim17ROCPRIM_400000_NS6detail17trampoline_kernelINS0_14default_configENS1_29binary_search_config_selectorIsiEEZNS1_14transform_implILb0ES3_S5_N6thrust23THRUST_200600_302600_NS6detail15normal_iteratorINS8_7pointerIsNS8_11hip_rocprim5par_tENS8_11use_defaultESE_EEEENSA_INSB_IiSD_SE_SE_EEEEZNS1_13binary_searchIS3_S5_NSA_INS8_10device_ptrIsEEEESG_SI_NS1_16binary_search_opENS9_16wrapped_functionINS8_6system6detail7generic6detail18binary_search_lessEbEEEE10hipError_tPvRmT1_T2_T3_mmT4_T5_P12ihipStream_tbEUlRKsE_EESV_SZ_S10_mS11_S14_bEUlT_E_NS1_11comp_targetILNS1_3genE2ELNS1_11target_archE906ELNS1_3gpuE6ELNS1_3repE0EEENS1_30default_config_static_selectorELNS0_4arch9wavefront6targetE1EEEvSY_.uses_vcc, 1
	.set _ZN7rocprim17ROCPRIM_400000_NS6detail17trampoline_kernelINS0_14default_configENS1_29binary_search_config_selectorIsiEEZNS1_14transform_implILb0ES3_S5_N6thrust23THRUST_200600_302600_NS6detail15normal_iteratorINS8_7pointerIsNS8_11hip_rocprim5par_tENS8_11use_defaultESE_EEEENSA_INSB_IiSD_SE_SE_EEEEZNS1_13binary_searchIS3_S5_NSA_INS8_10device_ptrIsEEEESG_SI_NS1_16binary_search_opENS9_16wrapped_functionINS8_6system6detail7generic6detail18binary_search_lessEbEEEE10hipError_tPvRmT1_T2_T3_mmT4_T5_P12ihipStream_tbEUlRKsE_EESV_SZ_S10_mS11_S14_bEUlT_E_NS1_11comp_targetILNS1_3genE2ELNS1_11target_archE906ELNS1_3gpuE6ELNS1_3repE0EEENS1_30default_config_static_selectorELNS0_4arch9wavefront6targetE1EEEvSY_.uses_flat_scratch, 0
	.set _ZN7rocprim17ROCPRIM_400000_NS6detail17trampoline_kernelINS0_14default_configENS1_29binary_search_config_selectorIsiEEZNS1_14transform_implILb0ES3_S5_N6thrust23THRUST_200600_302600_NS6detail15normal_iteratorINS8_7pointerIsNS8_11hip_rocprim5par_tENS8_11use_defaultESE_EEEENSA_INSB_IiSD_SE_SE_EEEEZNS1_13binary_searchIS3_S5_NSA_INS8_10device_ptrIsEEEESG_SI_NS1_16binary_search_opENS9_16wrapped_functionINS8_6system6detail7generic6detail18binary_search_lessEbEEEE10hipError_tPvRmT1_T2_T3_mmT4_T5_P12ihipStream_tbEUlRKsE_EESV_SZ_S10_mS11_S14_bEUlT_E_NS1_11comp_targetILNS1_3genE2ELNS1_11target_archE906ELNS1_3gpuE6ELNS1_3repE0EEENS1_30default_config_static_selectorELNS0_4arch9wavefront6targetE1EEEvSY_.has_dyn_sized_stack, 0
	.set _ZN7rocprim17ROCPRIM_400000_NS6detail17trampoline_kernelINS0_14default_configENS1_29binary_search_config_selectorIsiEEZNS1_14transform_implILb0ES3_S5_N6thrust23THRUST_200600_302600_NS6detail15normal_iteratorINS8_7pointerIsNS8_11hip_rocprim5par_tENS8_11use_defaultESE_EEEENSA_INSB_IiSD_SE_SE_EEEEZNS1_13binary_searchIS3_S5_NSA_INS8_10device_ptrIsEEEESG_SI_NS1_16binary_search_opENS9_16wrapped_functionINS8_6system6detail7generic6detail18binary_search_lessEbEEEE10hipError_tPvRmT1_T2_T3_mmT4_T5_P12ihipStream_tbEUlRKsE_EESV_SZ_S10_mS11_S14_bEUlT_E_NS1_11comp_targetILNS1_3genE2ELNS1_11target_archE906ELNS1_3gpuE6ELNS1_3repE0EEENS1_30default_config_static_selectorELNS0_4arch9wavefront6targetE1EEEvSY_.has_recursion, 0
	.set _ZN7rocprim17ROCPRIM_400000_NS6detail17trampoline_kernelINS0_14default_configENS1_29binary_search_config_selectorIsiEEZNS1_14transform_implILb0ES3_S5_N6thrust23THRUST_200600_302600_NS6detail15normal_iteratorINS8_7pointerIsNS8_11hip_rocprim5par_tENS8_11use_defaultESE_EEEENSA_INSB_IiSD_SE_SE_EEEEZNS1_13binary_searchIS3_S5_NSA_INS8_10device_ptrIsEEEESG_SI_NS1_16binary_search_opENS9_16wrapped_functionINS8_6system6detail7generic6detail18binary_search_lessEbEEEE10hipError_tPvRmT1_T2_T3_mmT4_T5_P12ihipStream_tbEUlRKsE_EESV_SZ_S10_mS11_S14_bEUlT_E_NS1_11comp_targetILNS1_3genE2ELNS1_11target_archE906ELNS1_3gpuE6ELNS1_3repE0EEENS1_30default_config_static_selectorELNS0_4arch9wavefront6targetE1EEEvSY_.has_indirect_call, 0
	.section	.AMDGPU.csdata,"",@progbits
; Kernel info:
; codeLenInByte = 2700
; TotalNumSgprs: 30
; NumVgprs: 16
; ScratchSize: 0
; MemoryBound: 0
; FloatMode: 240
; IeeeMode: 1
; LDSByteSize: 0 bytes/workgroup (compile time only)
; SGPRBlocks: 3
; VGPRBlocks: 3
; NumSGPRsForWavesPerEU: 30
; NumVGPRsForWavesPerEU: 16
; Occupancy: 10
; WaveLimiterHint : 1
; COMPUTE_PGM_RSRC2:SCRATCH_EN: 0
; COMPUTE_PGM_RSRC2:USER_SGPR: 6
; COMPUTE_PGM_RSRC2:TRAP_HANDLER: 0
; COMPUTE_PGM_RSRC2:TGID_X_EN: 1
; COMPUTE_PGM_RSRC2:TGID_Y_EN: 0
; COMPUTE_PGM_RSRC2:TGID_Z_EN: 0
; COMPUTE_PGM_RSRC2:TIDIG_COMP_CNT: 0
	.section	.text._ZN7rocprim17ROCPRIM_400000_NS6detail17trampoline_kernelINS0_14default_configENS1_29binary_search_config_selectorIsiEEZNS1_14transform_implILb0ES3_S5_N6thrust23THRUST_200600_302600_NS6detail15normal_iteratorINS8_7pointerIsNS8_11hip_rocprim5par_tENS8_11use_defaultESE_EEEENSA_INSB_IiSD_SE_SE_EEEEZNS1_13binary_searchIS3_S5_NSA_INS8_10device_ptrIsEEEESG_SI_NS1_16binary_search_opENS9_16wrapped_functionINS8_6system6detail7generic6detail18binary_search_lessEbEEEE10hipError_tPvRmT1_T2_T3_mmT4_T5_P12ihipStream_tbEUlRKsE_EESV_SZ_S10_mS11_S14_bEUlT_E_NS1_11comp_targetILNS1_3genE10ELNS1_11target_archE1201ELNS1_3gpuE5ELNS1_3repE0EEENS1_30default_config_static_selectorELNS0_4arch9wavefront6targetE1EEEvSY_,"axG",@progbits,_ZN7rocprim17ROCPRIM_400000_NS6detail17trampoline_kernelINS0_14default_configENS1_29binary_search_config_selectorIsiEEZNS1_14transform_implILb0ES3_S5_N6thrust23THRUST_200600_302600_NS6detail15normal_iteratorINS8_7pointerIsNS8_11hip_rocprim5par_tENS8_11use_defaultESE_EEEENSA_INSB_IiSD_SE_SE_EEEEZNS1_13binary_searchIS3_S5_NSA_INS8_10device_ptrIsEEEESG_SI_NS1_16binary_search_opENS9_16wrapped_functionINS8_6system6detail7generic6detail18binary_search_lessEbEEEE10hipError_tPvRmT1_T2_T3_mmT4_T5_P12ihipStream_tbEUlRKsE_EESV_SZ_S10_mS11_S14_bEUlT_E_NS1_11comp_targetILNS1_3genE10ELNS1_11target_archE1201ELNS1_3gpuE5ELNS1_3repE0EEENS1_30default_config_static_selectorELNS0_4arch9wavefront6targetE1EEEvSY_,comdat
	.protected	_ZN7rocprim17ROCPRIM_400000_NS6detail17trampoline_kernelINS0_14default_configENS1_29binary_search_config_selectorIsiEEZNS1_14transform_implILb0ES3_S5_N6thrust23THRUST_200600_302600_NS6detail15normal_iteratorINS8_7pointerIsNS8_11hip_rocprim5par_tENS8_11use_defaultESE_EEEENSA_INSB_IiSD_SE_SE_EEEEZNS1_13binary_searchIS3_S5_NSA_INS8_10device_ptrIsEEEESG_SI_NS1_16binary_search_opENS9_16wrapped_functionINS8_6system6detail7generic6detail18binary_search_lessEbEEEE10hipError_tPvRmT1_T2_T3_mmT4_T5_P12ihipStream_tbEUlRKsE_EESV_SZ_S10_mS11_S14_bEUlT_E_NS1_11comp_targetILNS1_3genE10ELNS1_11target_archE1201ELNS1_3gpuE5ELNS1_3repE0EEENS1_30default_config_static_selectorELNS0_4arch9wavefront6targetE1EEEvSY_ ; -- Begin function _ZN7rocprim17ROCPRIM_400000_NS6detail17trampoline_kernelINS0_14default_configENS1_29binary_search_config_selectorIsiEEZNS1_14transform_implILb0ES3_S5_N6thrust23THRUST_200600_302600_NS6detail15normal_iteratorINS8_7pointerIsNS8_11hip_rocprim5par_tENS8_11use_defaultESE_EEEENSA_INSB_IiSD_SE_SE_EEEEZNS1_13binary_searchIS3_S5_NSA_INS8_10device_ptrIsEEEESG_SI_NS1_16binary_search_opENS9_16wrapped_functionINS8_6system6detail7generic6detail18binary_search_lessEbEEEE10hipError_tPvRmT1_T2_T3_mmT4_T5_P12ihipStream_tbEUlRKsE_EESV_SZ_S10_mS11_S14_bEUlT_E_NS1_11comp_targetILNS1_3genE10ELNS1_11target_archE1201ELNS1_3gpuE5ELNS1_3repE0EEENS1_30default_config_static_selectorELNS0_4arch9wavefront6targetE1EEEvSY_
	.globl	_ZN7rocprim17ROCPRIM_400000_NS6detail17trampoline_kernelINS0_14default_configENS1_29binary_search_config_selectorIsiEEZNS1_14transform_implILb0ES3_S5_N6thrust23THRUST_200600_302600_NS6detail15normal_iteratorINS8_7pointerIsNS8_11hip_rocprim5par_tENS8_11use_defaultESE_EEEENSA_INSB_IiSD_SE_SE_EEEEZNS1_13binary_searchIS3_S5_NSA_INS8_10device_ptrIsEEEESG_SI_NS1_16binary_search_opENS9_16wrapped_functionINS8_6system6detail7generic6detail18binary_search_lessEbEEEE10hipError_tPvRmT1_T2_T3_mmT4_T5_P12ihipStream_tbEUlRKsE_EESV_SZ_S10_mS11_S14_bEUlT_E_NS1_11comp_targetILNS1_3genE10ELNS1_11target_archE1201ELNS1_3gpuE5ELNS1_3repE0EEENS1_30default_config_static_selectorELNS0_4arch9wavefront6targetE1EEEvSY_
	.p2align	8
	.type	_ZN7rocprim17ROCPRIM_400000_NS6detail17trampoline_kernelINS0_14default_configENS1_29binary_search_config_selectorIsiEEZNS1_14transform_implILb0ES3_S5_N6thrust23THRUST_200600_302600_NS6detail15normal_iteratorINS8_7pointerIsNS8_11hip_rocprim5par_tENS8_11use_defaultESE_EEEENSA_INSB_IiSD_SE_SE_EEEEZNS1_13binary_searchIS3_S5_NSA_INS8_10device_ptrIsEEEESG_SI_NS1_16binary_search_opENS9_16wrapped_functionINS8_6system6detail7generic6detail18binary_search_lessEbEEEE10hipError_tPvRmT1_T2_T3_mmT4_T5_P12ihipStream_tbEUlRKsE_EESV_SZ_S10_mS11_S14_bEUlT_E_NS1_11comp_targetILNS1_3genE10ELNS1_11target_archE1201ELNS1_3gpuE5ELNS1_3repE0EEENS1_30default_config_static_selectorELNS0_4arch9wavefront6targetE1EEEvSY_,@function
_ZN7rocprim17ROCPRIM_400000_NS6detail17trampoline_kernelINS0_14default_configENS1_29binary_search_config_selectorIsiEEZNS1_14transform_implILb0ES3_S5_N6thrust23THRUST_200600_302600_NS6detail15normal_iteratorINS8_7pointerIsNS8_11hip_rocprim5par_tENS8_11use_defaultESE_EEEENSA_INSB_IiSD_SE_SE_EEEEZNS1_13binary_searchIS3_S5_NSA_INS8_10device_ptrIsEEEESG_SI_NS1_16binary_search_opENS9_16wrapped_functionINS8_6system6detail7generic6detail18binary_search_lessEbEEEE10hipError_tPvRmT1_T2_T3_mmT4_T5_P12ihipStream_tbEUlRKsE_EESV_SZ_S10_mS11_S14_bEUlT_E_NS1_11comp_targetILNS1_3genE10ELNS1_11target_archE1201ELNS1_3gpuE5ELNS1_3repE0EEENS1_30default_config_static_selectorELNS0_4arch9wavefront6targetE1EEEvSY_: ; @_ZN7rocprim17ROCPRIM_400000_NS6detail17trampoline_kernelINS0_14default_configENS1_29binary_search_config_selectorIsiEEZNS1_14transform_implILb0ES3_S5_N6thrust23THRUST_200600_302600_NS6detail15normal_iteratorINS8_7pointerIsNS8_11hip_rocprim5par_tENS8_11use_defaultESE_EEEENSA_INSB_IiSD_SE_SE_EEEEZNS1_13binary_searchIS3_S5_NSA_INS8_10device_ptrIsEEEESG_SI_NS1_16binary_search_opENS9_16wrapped_functionINS8_6system6detail7generic6detail18binary_search_lessEbEEEE10hipError_tPvRmT1_T2_T3_mmT4_T5_P12ihipStream_tbEUlRKsE_EESV_SZ_S10_mS11_S14_bEUlT_E_NS1_11comp_targetILNS1_3genE10ELNS1_11target_archE1201ELNS1_3gpuE5ELNS1_3repE0EEENS1_30default_config_static_selectorELNS0_4arch9wavefront6targetE1EEEvSY_
; %bb.0:
	.section	.rodata,"a",@progbits
	.p2align	6, 0x0
	.amdhsa_kernel _ZN7rocprim17ROCPRIM_400000_NS6detail17trampoline_kernelINS0_14default_configENS1_29binary_search_config_selectorIsiEEZNS1_14transform_implILb0ES3_S5_N6thrust23THRUST_200600_302600_NS6detail15normal_iteratorINS8_7pointerIsNS8_11hip_rocprim5par_tENS8_11use_defaultESE_EEEENSA_INSB_IiSD_SE_SE_EEEEZNS1_13binary_searchIS3_S5_NSA_INS8_10device_ptrIsEEEESG_SI_NS1_16binary_search_opENS9_16wrapped_functionINS8_6system6detail7generic6detail18binary_search_lessEbEEEE10hipError_tPvRmT1_T2_T3_mmT4_T5_P12ihipStream_tbEUlRKsE_EESV_SZ_S10_mS11_S14_bEUlT_E_NS1_11comp_targetILNS1_3genE10ELNS1_11target_archE1201ELNS1_3gpuE5ELNS1_3repE0EEENS1_30default_config_static_selectorELNS0_4arch9wavefront6targetE1EEEvSY_
		.amdhsa_group_segment_fixed_size 0
		.amdhsa_private_segment_fixed_size 0
		.amdhsa_kernarg_size 56
		.amdhsa_user_sgpr_count 6
		.amdhsa_user_sgpr_private_segment_buffer 1
		.amdhsa_user_sgpr_dispatch_ptr 0
		.amdhsa_user_sgpr_queue_ptr 0
		.amdhsa_user_sgpr_kernarg_segment_ptr 1
		.amdhsa_user_sgpr_dispatch_id 0
		.amdhsa_user_sgpr_flat_scratch_init 0
		.amdhsa_user_sgpr_private_segment_size 0
		.amdhsa_uses_dynamic_stack 0
		.amdhsa_system_sgpr_private_segment_wavefront_offset 0
		.amdhsa_system_sgpr_workgroup_id_x 1
		.amdhsa_system_sgpr_workgroup_id_y 0
		.amdhsa_system_sgpr_workgroup_id_z 0
		.amdhsa_system_sgpr_workgroup_info 0
		.amdhsa_system_vgpr_workitem_id 0
		.amdhsa_next_free_vgpr 1
		.amdhsa_next_free_sgpr 0
		.amdhsa_reserve_vcc 0
		.amdhsa_reserve_flat_scratch 0
		.amdhsa_float_round_mode_32 0
		.amdhsa_float_round_mode_16_64 0
		.amdhsa_float_denorm_mode_32 3
		.amdhsa_float_denorm_mode_16_64 3
		.amdhsa_dx10_clamp 1
		.amdhsa_ieee_mode 1
		.amdhsa_fp16_overflow 0
		.amdhsa_exception_fp_ieee_invalid_op 0
		.amdhsa_exception_fp_denorm_src 0
		.amdhsa_exception_fp_ieee_div_zero 0
		.amdhsa_exception_fp_ieee_overflow 0
		.amdhsa_exception_fp_ieee_underflow 0
		.amdhsa_exception_fp_ieee_inexact 0
		.amdhsa_exception_int_div_zero 0
	.end_amdhsa_kernel
	.section	.text._ZN7rocprim17ROCPRIM_400000_NS6detail17trampoline_kernelINS0_14default_configENS1_29binary_search_config_selectorIsiEEZNS1_14transform_implILb0ES3_S5_N6thrust23THRUST_200600_302600_NS6detail15normal_iteratorINS8_7pointerIsNS8_11hip_rocprim5par_tENS8_11use_defaultESE_EEEENSA_INSB_IiSD_SE_SE_EEEEZNS1_13binary_searchIS3_S5_NSA_INS8_10device_ptrIsEEEESG_SI_NS1_16binary_search_opENS9_16wrapped_functionINS8_6system6detail7generic6detail18binary_search_lessEbEEEE10hipError_tPvRmT1_T2_T3_mmT4_T5_P12ihipStream_tbEUlRKsE_EESV_SZ_S10_mS11_S14_bEUlT_E_NS1_11comp_targetILNS1_3genE10ELNS1_11target_archE1201ELNS1_3gpuE5ELNS1_3repE0EEENS1_30default_config_static_selectorELNS0_4arch9wavefront6targetE1EEEvSY_,"axG",@progbits,_ZN7rocprim17ROCPRIM_400000_NS6detail17trampoline_kernelINS0_14default_configENS1_29binary_search_config_selectorIsiEEZNS1_14transform_implILb0ES3_S5_N6thrust23THRUST_200600_302600_NS6detail15normal_iteratorINS8_7pointerIsNS8_11hip_rocprim5par_tENS8_11use_defaultESE_EEEENSA_INSB_IiSD_SE_SE_EEEEZNS1_13binary_searchIS3_S5_NSA_INS8_10device_ptrIsEEEESG_SI_NS1_16binary_search_opENS9_16wrapped_functionINS8_6system6detail7generic6detail18binary_search_lessEbEEEE10hipError_tPvRmT1_T2_T3_mmT4_T5_P12ihipStream_tbEUlRKsE_EESV_SZ_S10_mS11_S14_bEUlT_E_NS1_11comp_targetILNS1_3genE10ELNS1_11target_archE1201ELNS1_3gpuE5ELNS1_3repE0EEENS1_30default_config_static_selectorELNS0_4arch9wavefront6targetE1EEEvSY_,comdat
.Lfunc_end721:
	.size	_ZN7rocprim17ROCPRIM_400000_NS6detail17trampoline_kernelINS0_14default_configENS1_29binary_search_config_selectorIsiEEZNS1_14transform_implILb0ES3_S5_N6thrust23THRUST_200600_302600_NS6detail15normal_iteratorINS8_7pointerIsNS8_11hip_rocprim5par_tENS8_11use_defaultESE_EEEENSA_INSB_IiSD_SE_SE_EEEEZNS1_13binary_searchIS3_S5_NSA_INS8_10device_ptrIsEEEESG_SI_NS1_16binary_search_opENS9_16wrapped_functionINS8_6system6detail7generic6detail18binary_search_lessEbEEEE10hipError_tPvRmT1_T2_T3_mmT4_T5_P12ihipStream_tbEUlRKsE_EESV_SZ_S10_mS11_S14_bEUlT_E_NS1_11comp_targetILNS1_3genE10ELNS1_11target_archE1201ELNS1_3gpuE5ELNS1_3repE0EEENS1_30default_config_static_selectorELNS0_4arch9wavefront6targetE1EEEvSY_, .Lfunc_end721-_ZN7rocprim17ROCPRIM_400000_NS6detail17trampoline_kernelINS0_14default_configENS1_29binary_search_config_selectorIsiEEZNS1_14transform_implILb0ES3_S5_N6thrust23THRUST_200600_302600_NS6detail15normal_iteratorINS8_7pointerIsNS8_11hip_rocprim5par_tENS8_11use_defaultESE_EEEENSA_INSB_IiSD_SE_SE_EEEEZNS1_13binary_searchIS3_S5_NSA_INS8_10device_ptrIsEEEESG_SI_NS1_16binary_search_opENS9_16wrapped_functionINS8_6system6detail7generic6detail18binary_search_lessEbEEEE10hipError_tPvRmT1_T2_T3_mmT4_T5_P12ihipStream_tbEUlRKsE_EESV_SZ_S10_mS11_S14_bEUlT_E_NS1_11comp_targetILNS1_3genE10ELNS1_11target_archE1201ELNS1_3gpuE5ELNS1_3repE0EEENS1_30default_config_static_selectorELNS0_4arch9wavefront6targetE1EEEvSY_
                                        ; -- End function
	.set _ZN7rocprim17ROCPRIM_400000_NS6detail17trampoline_kernelINS0_14default_configENS1_29binary_search_config_selectorIsiEEZNS1_14transform_implILb0ES3_S5_N6thrust23THRUST_200600_302600_NS6detail15normal_iteratorINS8_7pointerIsNS8_11hip_rocprim5par_tENS8_11use_defaultESE_EEEENSA_INSB_IiSD_SE_SE_EEEEZNS1_13binary_searchIS3_S5_NSA_INS8_10device_ptrIsEEEESG_SI_NS1_16binary_search_opENS9_16wrapped_functionINS8_6system6detail7generic6detail18binary_search_lessEbEEEE10hipError_tPvRmT1_T2_T3_mmT4_T5_P12ihipStream_tbEUlRKsE_EESV_SZ_S10_mS11_S14_bEUlT_E_NS1_11comp_targetILNS1_3genE10ELNS1_11target_archE1201ELNS1_3gpuE5ELNS1_3repE0EEENS1_30default_config_static_selectorELNS0_4arch9wavefront6targetE1EEEvSY_.num_vgpr, 0
	.set _ZN7rocprim17ROCPRIM_400000_NS6detail17trampoline_kernelINS0_14default_configENS1_29binary_search_config_selectorIsiEEZNS1_14transform_implILb0ES3_S5_N6thrust23THRUST_200600_302600_NS6detail15normal_iteratorINS8_7pointerIsNS8_11hip_rocprim5par_tENS8_11use_defaultESE_EEEENSA_INSB_IiSD_SE_SE_EEEEZNS1_13binary_searchIS3_S5_NSA_INS8_10device_ptrIsEEEESG_SI_NS1_16binary_search_opENS9_16wrapped_functionINS8_6system6detail7generic6detail18binary_search_lessEbEEEE10hipError_tPvRmT1_T2_T3_mmT4_T5_P12ihipStream_tbEUlRKsE_EESV_SZ_S10_mS11_S14_bEUlT_E_NS1_11comp_targetILNS1_3genE10ELNS1_11target_archE1201ELNS1_3gpuE5ELNS1_3repE0EEENS1_30default_config_static_selectorELNS0_4arch9wavefront6targetE1EEEvSY_.num_agpr, 0
	.set _ZN7rocprim17ROCPRIM_400000_NS6detail17trampoline_kernelINS0_14default_configENS1_29binary_search_config_selectorIsiEEZNS1_14transform_implILb0ES3_S5_N6thrust23THRUST_200600_302600_NS6detail15normal_iteratorINS8_7pointerIsNS8_11hip_rocprim5par_tENS8_11use_defaultESE_EEEENSA_INSB_IiSD_SE_SE_EEEEZNS1_13binary_searchIS3_S5_NSA_INS8_10device_ptrIsEEEESG_SI_NS1_16binary_search_opENS9_16wrapped_functionINS8_6system6detail7generic6detail18binary_search_lessEbEEEE10hipError_tPvRmT1_T2_T3_mmT4_T5_P12ihipStream_tbEUlRKsE_EESV_SZ_S10_mS11_S14_bEUlT_E_NS1_11comp_targetILNS1_3genE10ELNS1_11target_archE1201ELNS1_3gpuE5ELNS1_3repE0EEENS1_30default_config_static_selectorELNS0_4arch9wavefront6targetE1EEEvSY_.numbered_sgpr, 0
	.set _ZN7rocprim17ROCPRIM_400000_NS6detail17trampoline_kernelINS0_14default_configENS1_29binary_search_config_selectorIsiEEZNS1_14transform_implILb0ES3_S5_N6thrust23THRUST_200600_302600_NS6detail15normal_iteratorINS8_7pointerIsNS8_11hip_rocprim5par_tENS8_11use_defaultESE_EEEENSA_INSB_IiSD_SE_SE_EEEEZNS1_13binary_searchIS3_S5_NSA_INS8_10device_ptrIsEEEESG_SI_NS1_16binary_search_opENS9_16wrapped_functionINS8_6system6detail7generic6detail18binary_search_lessEbEEEE10hipError_tPvRmT1_T2_T3_mmT4_T5_P12ihipStream_tbEUlRKsE_EESV_SZ_S10_mS11_S14_bEUlT_E_NS1_11comp_targetILNS1_3genE10ELNS1_11target_archE1201ELNS1_3gpuE5ELNS1_3repE0EEENS1_30default_config_static_selectorELNS0_4arch9wavefront6targetE1EEEvSY_.num_named_barrier, 0
	.set _ZN7rocprim17ROCPRIM_400000_NS6detail17trampoline_kernelINS0_14default_configENS1_29binary_search_config_selectorIsiEEZNS1_14transform_implILb0ES3_S5_N6thrust23THRUST_200600_302600_NS6detail15normal_iteratorINS8_7pointerIsNS8_11hip_rocprim5par_tENS8_11use_defaultESE_EEEENSA_INSB_IiSD_SE_SE_EEEEZNS1_13binary_searchIS3_S5_NSA_INS8_10device_ptrIsEEEESG_SI_NS1_16binary_search_opENS9_16wrapped_functionINS8_6system6detail7generic6detail18binary_search_lessEbEEEE10hipError_tPvRmT1_T2_T3_mmT4_T5_P12ihipStream_tbEUlRKsE_EESV_SZ_S10_mS11_S14_bEUlT_E_NS1_11comp_targetILNS1_3genE10ELNS1_11target_archE1201ELNS1_3gpuE5ELNS1_3repE0EEENS1_30default_config_static_selectorELNS0_4arch9wavefront6targetE1EEEvSY_.private_seg_size, 0
	.set _ZN7rocprim17ROCPRIM_400000_NS6detail17trampoline_kernelINS0_14default_configENS1_29binary_search_config_selectorIsiEEZNS1_14transform_implILb0ES3_S5_N6thrust23THRUST_200600_302600_NS6detail15normal_iteratorINS8_7pointerIsNS8_11hip_rocprim5par_tENS8_11use_defaultESE_EEEENSA_INSB_IiSD_SE_SE_EEEEZNS1_13binary_searchIS3_S5_NSA_INS8_10device_ptrIsEEEESG_SI_NS1_16binary_search_opENS9_16wrapped_functionINS8_6system6detail7generic6detail18binary_search_lessEbEEEE10hipError_tPvRmT1_T2_T3_mmT4_T5_P12ihipStream_tbEUlRKsE_EESV_SZ_S10_mS11_S14_bEUlT_E_NS1_11comp_targetILNS1_3genE10ELNS1_11target_archE1201ELNS1_3gpuE5ELNS1_3repE0EEENS1_30default_config_static_selectorELNS0_4arch9wavefront6targetE1EEEvSY_.uses_vcc, 0
	.set _ZN7rocprim17ROCPRIM_400000_NS6detail17trampoline_kernelINS0_14default_configENS1_29binary_search_config_selectorIsiEEZNS1_14transform_implILb0ES3_S5_N6thrust23THRUST_200600_302600_NS6detail15normal_iteratorINS8_7pointerIsNS8_11hip_rocprim5par_tENS8_11use_defaultESE_EEEENSA_INSB_IiSD_SE_SE_EEEEZNS1_13binary_searchIS3_S5_NSA_INS8_10device_ptrIsEEEESG_SI_NS1_16binary_search_opENS9_16wrapped_functionINS8_6system6detail7generic6detail18binary_search_lessEbEEEE10hipError_tPvRmT1_T2_T3_mmT4_T5_P12ihipStream_tbEUlRKsE_EESV_SZ_S10_mS11_S14_bEUlT_E_NS1_11comp_targetILNS1_3genE10ELNS1_11target_archE1201ELNS1_3gpuE5ELNS1_3repE0EEENS1_30default_config_static_selectorELNS0_4arch9wavefront6targetE1EEEvSY_.uses_flat_scratch, 0
	.set _ZN7rocprim17ROCPRIM_400000_NS6detail17trampoline_kernelINS0_14default_configENS1_29binary_search_config_selectorIsiEEZNS1_14transform_implILb0ES3_S5_N6thrust23THRUST_200600_302600_NS6detail15normal_iteratorINS8_7pointerIsNS8_11hip_rocprim5par_tENS8_11use_defaultESE_EEEENSA_INSB_IiSD_SE_SE_EEEEZNS1_13binary_searchIS3_S5_NSA_INS8_10device_ptrIsEEEESG_SI_NS1_16binary_search_opENS9_16wrapped_functionINS8_6system6detail7generic6detail18binary_search_lessEbEEEE10hipError_tPvRmT1_T2_T3_mmT4_T5_P12ihipStream_tbEUlRKsE_EESV_SZ_S10_mS11_S14_bEUlT_E_NS1_11comp_targetILNS1_3genE10ELNS1_11target_archE1201ELNS1_3gpuE5ELNS1_3repE0EEENS1_30default_config_static_selectorELNS0_4arch9wavefront6targetE1EEEvSY_.has_dyn_sized_stack, 0
	.set _ZN7rocprim17ROCPRIM_400000_NS6detail17trampoline_kernelINS0_14default_configENS1_29binary_search_config_selectorIsiEEZNS1_14transform_implILb0ES3_S5_N6thrust23THRUST_200600_302600_NS6detail15normal_iteratorINS8_7pointerIsNS8_11hip_rocprim5par_tENS8_11use_defaultESE_EEEENSA_INSB_IiSD_SE_SE_EEEEZNS1_13binary_searchIS3_S5_NSA_INS8_10device_ptrIsEEEESG_SI_NS1_16binary_search_opENS9_16wrapped_functionINS8_6system6detail7generic6detail18binary_search_lessEbEEEE10hipError_tPvRmT1_T2_T3_mmT4_T5_P12ihipStream_tbEUlRKsE_EESV_SZ_S10_mS11_S14_bEUlT_E_NS1_11comp_targetILNS1_3genE10ELNS1_11target_archE1201ELNS1_3gpuE5ELNS1_3repE0EEENS1_30default_config_static_selectorELNS0_4arch9wavefront6targetE1EEEvSY_.has_recursion, 0
	.set _ZN7rocprim17ROCPRIM_400000_NS6detail17trampoline_kernelINS0_14default_configENS1_29binary_search_config_selectorIsiEEZNS1_14transform_implILb0ES3_S5_N6thrust23THRUST_200600_302600_NS6detail15normal_iteratorINS8_7pointerIsNS8_11hip_rocprim5par_tENS8_11use_defaultESE_EEEENSA_INSB_IiSD_SE_SE_EEEEZNS1_13binary_searchIS3_S5_NSA_INS8_10device_ptrIsEEEESG_SI_NS1_16binary_search_opENS9_16wrapped_functionINS8_6system6detail7generic6detail18binary_search_lessEbEEEE10hipError_tPvRmT1_T2_T3_mmT4_T5_P12ihipStream_tbEUlRKsE_EESV_SZ_S10_mS11_S14_bEUlT_E_NS1_11comp_targetILNS1_3genE10ELNS1_11target_archE1201ELNS1_3gpuE5ELNS1_3repE0EEENS1_30default_config_static_selectorELNS0_4arch9wavefront6targetE1EEEvSY_.has_indirect_call, 0
	.section	.AMDGPU.csdata,"",@progbits
; Kernel info:
; codeLenInByte = 0
; TotalNumSgprs: 4
; NumVgprs: 0
; ScratchSize: 0
; MemoryBound: 0
; FloatMode: 240
; IeeeMode: 1
; LDSByteSize: 0 bytes/workgroup (compile time only)
; SGPRBlocks: 0
; VGPRBlocks: 0
; NumSGPRsForWavesPerEU: 4
; NumVGPRsForWavesPerEU: 1
; Occupancy: 10
; WaveLimiterHint : 0
; COMPUTE_PGM_RSRC2:SCRATCH_EN: 0
; COMPUTE_PGM_RSRC2:USER_SGPR: 6
; COMPUTE_PGM_RSRC2:TRAP_HANDLER: 0
; COMPUTE_PGM_RSRC2:TGID_X_EN: 1
; COMPUTE_PGM_RSRC2:TGID_Y_EN: 0
; COMPUTE_PGM_RSRC2:TGID_Z_EN: 0
; COMPUTE_PGM_RSRC2:TIDIG_COMP_CNT: 0
	.section	.text._ZN7rocprim17ROCPRIM_400000_NS6detail17trampoline_kernelINS0_14default_configENS1_29binary_search_config_selectorIsiEEZNS1_14transform_implILb0ES3_S5_N6thrust23THRUST_200600_302600_NS6detail15normal_iteratorINS8_7pointerIsNS8_11hip_rocprim5par_tENS8_11use_defaultESE_EEEENSA_INSB_IiSD_SE_SE_EEEEZNS1_13binary_searchIS3_S5_NSA_INS8_10device_ptrIsEEEESG_SI_NS1_16binary_search_opENS9_16wrapped_functionINS8_6system6detail7generic6detail18binary_search_lessEbEEEE10hipError_tPvRmT1_T2_T3_mmT4_T5_P12ihipStream_tbEUlRKsE_EESV_SZ_S10_mS11_S14_bEUlT_E_NS1_11comp_targetILNS1_3genE10ELNS1_11target_archE1200ELNS1_3gpuE4ELNS1_3repE0EEENS1_30default_config_static_selectorELNS0_4arch9wavefront6targetE1EEEvSY_,"axG",@progbits,_ZN7rocprim17ROCPRIM_400000_NS6detail17trampoline_kernelINS0_14default_configENS1_29binary_search_config_selectorIsiEEZNS1_14transform_implILb0ES3_S5_N6thrust23THRUST_200600_302600_NS6detail15normal_iteratorINS8_7pointerIsNS8_11hip_rocprim5par_tENS8_11use_defaultESE_EEEENSA_INSB_IiSD_SE_SE_EEEEZNS1_13binary_searchIS3_S5_NSA_INS8_10device_ptrIsEEEESG_SI_NS1_16binary_search_opENS9_16wrapped_functionINS8_6system6detail7generic6detail18binary_search_lessEbEEEE10hipError_tPvRmT1_T2_T3_mmT4_T5_P12ihipStream_tbEUlRKsE_EESV_SZ_S10_mS11_S14_bEUlT_E_NS1_11comp_targetILNS1_3genE10ELNS1_11target_archE1200ELNS1_3gpuE4ELNS1_3repE0EEENS1_30default_config_static_selectorELNS0_4arch9wavefront6targetE1EEEvSY_,comdat
	.protected	_ZN7rocprim17ROCPRIM_400000_NS6detail17trampoline_kernelINS0_14default_configENS1_29binary_search_config_selectorIsiEEZNS1_14transform_implILb0ES3_S5_N6thrust23THRUST_200600_302600_NS6detail15normal_iteratorINS8_7pointerIsNS8_11hip_rocprim5par_tENS8_11use_defaultESE_EEEENSA_INSB_IiSD_SE_SE_EEEEZNS1_13binary_searchIS3_S5_NSA_INS8_10device_ptrIsEEEESG_SI_NS1_16binary_search_opENS9_16wrapped_functionINS8_6system6detail7generic6detail18binary_search_lessEbEEEE10hipError_tPvRmT1_T2_T3_mmT4_T5_P12ihipStream_tbEUlRKsE_EESV_SZ_S10_mS11_S14_bEUlT_E_NS1_11comp_targetILNS1_3genE10ELNS1_11target_archE1200ELNS1_3gpuE4ELNS1_3repE0EEENS1_30default_config_static_selectorELNS0_4arch9wavefront6targetE1EEEvSY_ ; -- Begin function _ZN7rocprim17ROCPRIM_400000_NS6detail17trampoline_kernelINS0_14default_configENS1_29binary_search_config_selectorIsiEEZNS1_14transform_implILb0ES3_S5_N6thrust23THRUST_200600_302600_NS6detail15normal_iteratorINS8_7pointerIsNS8_11hip_rocprim5par_tENS8_11use_defaultESE_EEEENSA_INSB_IiSD_SE_SE_EEEEZNS1_13binary_searchIS3_S5_NSA_INS8_10device_ptrIsEEEESG_SI_NS1_16binary_search_opENS9_16wrapped_functionINS8_6system6detail7generic6detail18binary_search_lessEbEEEE10hipError_tPvRmT1_T2_T3_mmT4_T5_P12ihipStream_tbEUlRKsE_EESV_SZ_S10_mS11_S14_bEUlT_E_NS1_11comp_targetILNS1_3genE10ELNS1_11target_archE1200ELNS1_3gpuE4ELNS1_3repE0EEENS1_30default_config_static_selectorELNS0_4arch9wavefront6targetE1EEEvSY_
	.globl	_ZN7rocprim17ROCPRIM_400000_NS6detail17trampoline_kernelINS0_14default_configENS1_29binary_search_config_selectorIsiEEZNS1_14transform_implILb0ES3_S5_N6thrust23THRUST_200600_302600_NS6detail15normal_iteratorINS8_7pointerIsNS8_11hip_rocprim5par_tENS8_11use_defaultESE_EEEENSA_INSB_IiSD_SE_SE_EEEEZNS1_13binary_searchIS3_S5_NSA_INS8_10device_ptrIsEEEESG_SI_NS1_16binary_search_opENS9_16wrapped_functionINS8_6system6detail7generic6detail18binary_search_lessEbEEEE10hipError_tPvRmT1_T2_T3_mmT4_T5_P12ihipStream_tbEUlRKsE_EESV_SZ_S10_mS11_S14_bEUlT_E_NS1_11comp_targetILNS1_3genE10ELNS1_11target_archE1200ELNS1_3gpuE4ELNS1_3repE0EEENS1_30default_config_static_selectorELNS0_4arch9wavefront6targetE1EEEvSY_
	.p2align	8
	.type	_ZN7rocprim17ROCPRIM_400000_NS6detail17trampoline_kernelINS0_14default_configENS1_29binary_search_config_selectorIsiEEZNS1_14transform_implILb0ES3_S5_N6thrust23THRUST_200600_302600_NS6detail15normal_iteratorINS8_7pointerIsNS8_11hip_rocprim5par_tENS8_11use_defaultESE_EEEENSA_INSB_IiSD_SE_SE_EEEEZNS1_13binary_searchIS3_S5_NSA_INS8_10device_ptrIsEEEESG_SI_NS1_16binary_search_opENS9_16wrapped_functionINS8_6system6detail7generic6detail18binary_search_lessEbEEEE10hipError_tPvRmT1_T2_T3_mmT4_T5_P12ihipStream_tbEUlRKsE_EESV_SZ_S10_mS11_S14_bEUlT_E_NS1_11comp_targetILNS1_3genE10ELNS1_11target_archE1200ELNS1_3gpuE4ELNS1_3repE0EEENS1_30default_config_static_selectorELNS0_4arch9wavefront6targetE1EEEvSY_,@function
_ZN7rocprim17ROCPRIM_400000_NS6detail17trampoline_kernelINS0_14default_configENS1_29binary_search_config_selectorIsiEEZNS1_14transform_implILb0ES3_S5_N6thrust23THRUST_200600_302600_NS6detail15normal_iteratorINS8_7pointerIsNS8_11hip_rocprim5par_tENS8_11use_defaultESE_EEEENSA_INSB_IiSD_SE_SE_EEEEZNS1_13binary_searchIS3_S5_NSA_INS8_10device_ptrIsEEEESG_SI_NS1_16binary_search_opENS9_16wrapped_functionINS8_6system6detail7generic6detail18binary_search_lessEbEEEE10hipError_tPvRmT1_T2_T3_mmT4_T5_P12ihipStream_tbEUlRKsE_EESV_SZ_S10_mS11_S14_bEUlT_E_NS1_11comp_targetILNS1_3genE10ELNS1_11target_archE1200ELNS1_3gpuE4ELNS1_3repE0EEENS1_30default_config_static_selectorELNS0_4arch9wavefront6targetE1EEEvSY_: ; @_ZN7rocprim17ROCPRIM_400000_NS6detail17trampoline_kernelINS0_14default_configENS1_29binary_search_config_selectorIsiEEZNS1_14transform_implILb0ES3_S5_N6thrust23THRUST_200600_302600_NS6detail15normal_iteratorINS8_7pointerIsNS8_11hip_rocprim5par_tENS8_11use_defaultESE_EEEENSA_INSB_IiSD_SE_SE_EEEEZNS1_13binary_searchIS3_S5_NSA_INS8_10device_ptrIsEEEESG_SI_NS1_16binary_search_opENS9_16wrapped_functionINS8_6system6detail7generic6detail18binary_search_lessEbEEEE10hipError_tPvRmT1_T2_T3_mmT4_T5_P12ihipStream_tbEUlRKsE_EESV_SZ_S10_mS11_S14_bEUlT_E_NS1_11comp_targetILNS1_3genE10ELNS1_11target_archE1200ELNS1_3gpuE4ELNS1_3repE0EEENS1_30default_config_static_selectorELNS0_4arch9wavefront6targetE1EEEvSY_
; %bb.0:
	.section	.rodata,"a",@progbits
	.p2align	6, 0x0
	.amdhsa_kernel _ZN7rocprim17ROCPRIM_400000_NS6detail17trampoline_kernelINS0_14default_configENS1_29binary_search_config_selectorIsiEEZNS1_14transform_implILb0ES3_S5_N6thrust23THRUST_200600_302600_NS6detail15normal_iteratorINS8_7pointerIsNS8_11hip_rocprim5par_tENS8_11use_defaultESE_EEEENSA_INSB_IiSD_SE_SE_EEEEZNS1_13binary_searchIS3_S5_NSA_INS8_10device_ptrIsEEEESG_SI_NS1_16binary_search_opENS9_16wrapped_functionINS8_6system6detail7generic6detail18binary_search_lessEbEEEE10hipError_tPvRmT1_T2_T3_mmT4_T5_P12ihipStream_tbEUlRKsE_EESV_SZ_S10_mS11_S14_bEUlT_E_NS1_11comp_targetILNS1_3genE10ELNS1_11target_archE1200ELNS1_3gpuE4ELNS1_3repE0EEENS1_30default_config_static_selectorELNS0_4arch9wavefront6targetE1EEEvSY_
		.amdhsa_group_segment_fixed_size 0
		.amdhsa_private_segment_fixed_size 0
		.amdhsa_kernarg_size 56
		.amdhsa_user_sgpr_count 6
		.amdhsa_user_sgpr_private_segment_buffer 1
		.amdhsa_user_sgpr_dispatch_ptr 0
		.amdhsa_user_sgpr_queue_ptr 0
		.amdhsa_user_sgpr_kernarg_segment_ptr 1
		.amdhsa_user_sgpr_dispatch_id 0
		.amdhsa_user_sgpr_flat_scratch_init 0
		.amdhsa_user_sgpr_private_segment_size 0
		.amdhsa_uses_dynamic_stack 0
		.amdhsa_system_sgpr_private_segment_wavefront_offset 0
		.amdhsa_system_sgpr_workgroup_id_x 1
		.amdhsa_system_sgpr_workgroup_id_y 0
		.amdhsa_system_sgpr_workgroup_id_z 0
		.amdhsa_system_sgpr_workgroup_info 0
		.amdhsa_system_vgpr_workitem_id 0
		.amdhsa_next_free_vgpr 1
		.amdhsa_next_free_sgpr 0
		.amdhsa_reserve_vcc 0
		.amdhsa_reserve_flat_scratch 0
		.amdhsa_float_round_mode_32 0
		.amdhsa_float_round_mode_16_64 0
		.amdhsa_float_denorm_mode_32 3
		.amdhsa_float_denorm_mode_16_64 3
		.amdhsa_dx10_clamp 1
		.amdhsa_ieee_mode 1
		.amdhsa_fp16_overflow 0
		.amdhsa_exception_fp_ieee_invalid_op 0
		.amdhsa_exception_fp_denorm_src 0
		.amdhsa_exception_fp_ieee_div_zero 0
		.amdhsa_exception_fp_ieee_overflow 0
		.amdhsa_exception_fp_ieee_underflow 0
		.amdhsa_exception_fp_ieee_inexact 0
		.amdhsa_exception_int_div_zero 0
	.end_amdhsa_kernel
	.section	.text._ZN7rocprim17ROCPRIM_400000_NS6detail17trampoline_kernelINS0_14default_configENS1_29binary_search_config_selectorIsiEEZNS1_14transform_implILb0ES3_S5_N6thrust23THRUST_200600_302600_NS6detail15normal_iteratorINS8_7pointerIsNS8_11hip_rocprim5par_tENS8_11use_defaultESE_EEEENSA_INSB_IiSD_SE_SE_EEEEZNS1_13binary_searchIS3_S5_NSA_INS8_10device_ptrIsEEEESG_SI_NS1_16binary_search_opENS9_16wrapped_functionINS8_6system6detail7generic6detail18binary_search_lessEbEEEE10hipError_tPvRmT1_T2_T3_mmT4_T5_P12ihipStream_tbEUlRKsE_EESV_SZ_S10_mS11_S14_bEUlT_E_NS1_11comp_targetILNS1_3genE10ELNS1_11target_archE1200ELNS1_3gpuE4ELNS1_3repE0EEENS1_30default_config_static_selectorELNS0_4arch9wavefront6targetE1EEEvSY_,"axG",@progbits,_ZN7rocprim17ROCPRIM_400000_NS6detail17trampoline_kernelINS0_14default_configENS1_29binary_search_config_selectorIsiEEZNS1_14transform_implILb0ES3_S5_N6thrust23THRUST_200600_302600_NS6detail15normal_iteratorINS8_7pointerIsNS8_11hip_rocprim5par_tENS8_11use_defaultESE_EEEENSA_INSB_IiSD_SE_SE_EEEEZNS1_13binary_searchIS3_S5_NSA_INS8_10device_ptrIsEEEESG_SI_NS1_16binary_search_opENS9_16wrapped_functionINS8_6system6detail7generic6detail18binary_search_lessEbEEEE10hipError_tPvRmT1_T2_T3_mmT4_T5_P12ihipStream_tbEUlRKsE_EESV_SZ_S10_mS11_S14_bEUlT_E_NS1_11comp_targetILNS1_3genE10ELNS1_11target_archE1200ELNS1_3gpuE4ELNS1_3repE0EEENS1_30default_config_static_selectorELNS0_4arch9wavefront6targetE1EEEvSY_,comdat
.Lfunc_end722:
	.size	_ZN7rocprim17ROCPRIM_400000_NS6detail17trampoline_kernelINS0_14default_configENS1_29binary_search_config_selectorIsiEEZNS1_14transform_implILb0ES3_S5_N6thrust23THRUST_200600_302600_NS6detail15normal_iteratorINS8_7pointerIsNS8_11hip_rocprim5par_tENS8_11use_defaultESE_EEEENSA_INSB_IiSD_SE_SE_EEEEZNS1_13binary_searchIS3_S5_NSA_INS8_10device_ptrIsEEEESG_SI_NS1_16binary_search_opENS9_16wrapped_functionINS8_6system6detail7generic6detail18binary_search_lessEbEEEE10hipError_tPvRmT1_T2_T3_mmT4_T5_P12ihipStream_tbEUlRKsE_EESV_SZ_S10_mS11_S14_bEUlT_E_NS1_11comp_targetILNS1_3genE10ELNS1_11target_archE1200ELNS1_3gpuE4ELNS1_3repE0EEENS1_30default_config_static_selectorELNS0_4arch9wavefront6targetE1EEEvSY_, .Lfunc_end722-_ZN7rocprim17ROCPRIM_400000_NS6detail17trampoline_kernelINS0_14default_configENS1_29binary_search_config_selectorIsiEEZNS1_14transform_implILb0ES3_S5_N6thrust23THRUST_200600_302600_NS6detail15normal_iteratorINS8_7pointerIsNS8_11hip_rocprim5par_tENS8_11use_defaultESE_EEEENSA_INSB_IiSD_SE_SE_EEEEZNS1_13binary_searchIS3_S5_NSA_INS8_10device_ptrIsEEEESG_SI_NS1_16binary_search_opENS9_16wrapped_functionINS8_6system6detail7generic6detail18binary_search_lessEbEEEE10hipError_tPvRmT1_T2_T3_mmT4_T5_P12ihipStream_tbEUlRKsE_EESV_SZ_S10_mS11_S14_bEUlT_E_NS1_11comp_targetILNS1_3genE10ELNS1_11target_archE1200ELNS1_3gpuE4ELNS1_3repE0EEENS1_30default_config_static_selectorELNS0_4arch9wavefront6targetE1EEEvSY_
                                        ; -- End function
	.set _ZN7rocprim17ROCPRIM_400000_NS6detail17trampoline_kernelINS0_14default_configENS1_29binary_search_config_selectorIsiEEZNS1_14transform_implILb0ES3_S5_N6thrust23THRUST_200600_302600_NS6detail15normal_iteratorINS8_7pointerIsNS8_11hip_rocprim5par_tENS8_11use_defaultESE_EEEENSA_INSB_IiSD_SE_SE_EEEEZNS1_13binary_searchIS3_S5_NSA_INS8_10device_ptrIsEEEESG_SI_NS1_16binary_search_opENS9_16wrapped_functionINS8_6system6detail7generic6detail18binary_search_lessEbEEEE10hipError_tPvRmT1_T2_T3_mmT4_T5_P12ihipStream_tbEUlRKsE_EESV_SZ_S10_mS11_S14_bEUlT_E_NS1_11comp_targetILNS1_3genE10ELNS1_11target_archE1200ELNS1_3gpuE4ELNS1_3repE0EEENS1_30default_config_static_selectorELNS0_4arch9wavefront6targetE1EEEvSY_.num_vgpr, 0
	.set _ZN7rocprim17ROCPRIM_400000_NS6detail17trampoline_kernelINS0_14default_configENS1_29binary_search_config_selectorIsiEEZNS1_14transform_implILb0ES3_S5_N6thrust23THRUST_200600_302600_NS6detail15normal_iteratorINS8_7pointerIsNS8_11hip_rocprim5par_tENS8_11use_defaultESE_EEEENSA_INSB_IiSD_SE_SE_EEEEZNS1_13binary_searchIS3_S5_NSA_INS8_10device_ptrIsEEEESG_SI_NS1_16binary_search_opENS9_16wrapped_functionINS8_6system6detail7generic6detail18binary_search_lessEbEEEE10hipError_tPvRmT1_T2_T3_mmT4_T5_P12ihipStream_tbEUlRKsE_EESV_SZ_S10_mS11_S14_bEUlT_E_NS1_11comp_targetILNS1_3genE10ELNS1_11target_archE1200ELNS1_3gpuE4ELNS1_3repE0EEENS1_30default_config_static_selectorELNS0_4arch9wavefront6targetE1EEEvSY_.num_agpr, 0
	.set _ZN7rocprim17ROCPRIM_400000_NS6detail17trampoline_kernelINS0_14default_configENS1_29binary_search_config_selectorIsiEEZNS1_14transform_implILb0ES3_S5_N6thrust23THRUST_200600_302600_NS6detail15normal_iteratorINS8_7pointerIsNS8_11hip_rocprim5par_tENS8_11use_defaultESE_EEEENSA_INSB_IiSD_SE_SE_EEEEZNS1_13binary_searchIS3_S5_NSA_INS8_10device_ptrIsEEEESG_SI_NS1_16binary_search_opENS9_16wrapped_functionINS8_6system6detail7generic6detail18binary_search_lessEbEEEE10hipError_tPvRmT1_T2_T3_mmT4_T5_P12ihipStream_tbEUlRKsE_EESV_SZ_S10_mS11_S14_bEUlT_E_NS1_11comp_targetILNS1_3genE10ELNS1_11target_archE1200ELNS1_3gpuE4ELNS1_3repE0EEENS1_30default_config_static_selectorELNS0_4arch9wavefront6targetE1EEEvSY_.numbered_sgpr, 0
	.set _ZN7rocprim17ROCPRIM_400000_NS6detail17trampoline_kernelINS0_14default_configENS1_29binary_search_config_selectorIsiEEZNS1_14transform_implILb0ES3_S5_N6thrust23THRUST_200600_302600_NS6detail15normal_iteratorINS8_7pointerIsNS8_11hip_rocprim5par_tENS8_11use_defaultESE_EEEENSA_INSB_IiSD_SE_SE_EEEEZNS1_13binary_searchIS3_S5_NSA_INS8_10device_ptrIsEEEESG_SI_NS1_16binary_search_opENS9_16wrapped_functionINS8_6system6detail7generic6detail18binary_search_lessEbEEEE10hipError_tPvRmT1_T2_T3_mmT4_T5_P12ihipStream_tbEUlRKsE_EESV_SZ_S10_mS11_S14_bEUlT_E_NS1_11comp_targetILNS1_3genE10ELNS1_11target_archE1200ELNS1_3gpuE4ELNS1_3repE0EEENS1_30default_config_static_selectorELNS0_4arch9wavefront6targetE1EEEvSY_.num_named_barrier, 0
	.set _ZN7rocprim17ROCPRIM_400000_NS6detail17trampoline_kernelINS0_14default_configENS1_29binary_search_config_selectorIsiEEZNS1_14transform_implILb0ES3_S5_N6thrust23THRUST_200600_302600_NS6detail15normal_iteratorINS8_7pointerIsNS8_11hip_rocprim5par_tENS8_11use_defaultESE_EEEENSA_INSB_IiSD_SE_SE_EEEEZNS1_13binary_searchIS3_S5_NSA_INS8_10device_ptrIsEEEESG_SI_NS1_16binary_search_opENS9_16wrapped_functionINS8_6system6detail7generic6detail18binary_search_lessEbEEEE10hipError_tPvRmT1_T2_T3_mmT4_T5_P12ihipStream_tbEUlRKsE_EESV_SZ_S10_mS11_S14_bEUlT_E_NS1_11comp_targetILNS1_3genE10ELNS1_11target_archE1200ELNS1_3gpuE4ELNS1_3repE0EEENS1_30default_config_static_selectorELNS0_4arch9wavefront6targetE1EEEvSY_.private_seg_size, 0
	.set _ZN7rocprim17ROCPRIM_400000_NS6detail17trampoline_kernelINS0_14default_configENS1_29binary_search_config_selectorIsiEEZNS1_14transform_implILb0ES3_S5_N6thrust23THRUST_200600_302600_NS6detail15normal_iteratorINS8_7pointerIsNS8_11hip_rocprim5par_tENS8_11use_defaultESE_EEEENSA_INSB_IiSD_SE_SE_EEEEZNS1_13binary_searchIS3_S5_NSA_INS8_10device_ptrIsEEEESG_SI_NS1_16binary_search_opENS9_16wrapped_functionINS8_6system6detail7generic6detail18binary_search_lessEbEEEE10hipError_tPvRmT1_T2_T3_mmT4_T5_P12ihipStream_tbEUlRKsE_EESV_SZ_S10_mS11_S14_bEUlT_E_NS1_11comp_targetILNS1_3genE10ELNS1_11target_archE1200ELNS1_3gpuE4ELNS1_3repE0EEENS1_30default_config_static_selectorELNS0_4arch9wavefront6targetE1EEEvSY_.uses_vcc, 0
	.set _ZN7rocprim17ROCPRIM_400000_NS6detail17trampoline_kernelINS0_14default_configENS1_29binary_search_config_selectorIsiEEZNS1_14transform_implILb0ES3_S5_N6thrust23THRUST_200600_302600_NS6detail15normal_iteratorINS8_7pointerIsNS8_11hip_rocprim5par_tENS8_11use_defaultESE_EEEENSA_INSB_IiSD_SE_SE_EEEEZNS1_13binary_searchIS3_S5_NSA_INS8_10device_ptrIsEEEESG_SI_NS1_16binary_search_opENS9_16wrapped_functionINS8_6system6detail7generic6detail18binary_search_lessEbEEEE10hipError_tPvRmT1_T2_T3_mmT4_T5_P12ihipStream_tbEUlRKsE_EESV_SZ_S10_mS11_S14_bEUlT_E_NS1_11comp_targetILNS1_3genE10ELNS1_11target_archE1200ELNS1_3gpuE4ELNS1_3repE0EEENS1_30default_config_static_selectorELNS0_4arch9wavefront6targetE1EEEvSY_.uses_flat_scratch, 0
	.set _ZN7rocprim17ROCPRIM_400000_NS6detail17trampoline_kernelINS0_14default_configENS1_29binary_search_config_selectorIsiEEZNS1_14transform_implILb0ES3_S5_N6thrust23THRUST_200600_302600_NS6detail15normal_iteratorINS8_7pointerIsNS8_11hip_rocprim5par_tENS8_11use_defaultESE_EEEENSA_INSB_IiSD_SE_SE_EEEEZNS1_13binary_searchIS3_S5_NSA_INS8_10device_ptrIsEEEESG_SI_NS1_16binary_search_opENS9_16wrapped_functionINS8_6system6detail7generic6detail18binary_search_lessEbEEEE10hipError_tPvRmT1_T2_T3_mmT4_T5_P12ihipStream_tbEUlRKsE_EESV_SZ_S10_mS11_S14_bEUlT_E_NS1_11comp_targetILNS1_3genE10ELNS1_11target_archE1200ELNS1_3gpuE4ELNS1_3repE0EEENS1_30default_config_static_selectorELNS0_4arch9wavefront6targetE1EEEvSY_.has_dyn_sized_stack, 0
	.set _ZN7rocprim17ROCPRIM_400000_NS6detail17trampoline_kernelINS0_14default_configENS1_29binary_search_config_selectorIsiEEZNS1_14transform_implILb0ES3_S5_N6thrust23THRUST_200600_302600_NS6detail15normal_iteratorINS8_7pointerIsNS8_11hip_rocprim5par_tENS8_11use_defaultESE_EEEENSA_INSB_IiSD_SE_SE_EEEEZNS1_13binary_searchIS3_S5_NSA_INS8_10device_ptrIsEEEESG_SI_NS1_16binary_search_opENS9_16wrapped_functionINS8_6system6detail7generic6detail18binary_search_lessEbEEEE10hipError_tPvRmT1_T2_T3_mmT4_T5_P12ihipStream_tbEUlRKsE_EESV_SZ_S10_mS11_S14_bEUlT_E_NS1_11comp_targetILNS1_3genE10ELNS1_11target_archE1200ELNS1_3gpuE4ELNS1_3repE0EEENS1_30default_config_static_selectorELNS0_4arch9wavefront6targetE1EEEvSY_.has_recursion, 0
	.set _ZN7rocprim17ROCPRIM_400000_NS6detail17trampoline_kernelINS0_14default_configENS1_29binary_search_config_selectorIsiEEZNS1_14transform_implILb0ES3_S5_N6thrust23THRUST_200600_302600_NS6detail15normal_iteratorINS8_7pointerIsNS8_11hip_rocprim5par_tENS8_11use_defaultESE_EEEENSA_INSB_IiSD_SE_SE_EEEEZNS1_13binary_searchIS3_S5_NSA_INS8_10device_ptrIsEEEESG_SI_NS1_16binary_search_opENS9_16wrapped_functionINS8_6system6detail7generic6detail18binary_search_lessEbEEEE10hipError_tPvRmT1_T2_T3_mmT4_T5_P12ihipStream_tbEUlRKsE_EESV_SZ_S10_mS11_S14_bEUlT_E_NS1_11comp_targetILNS1_3genE10ELNS1_11target_archE1200ELNS1_3gpuE4ELNS1_3repE0EEENS1_30default_config_static_selectorELNS0_4arch9wavefront6targetE1EEEvSY_.has_indirect_call, 0
	.section	.AMDGPU.csdata,"",@progbits
; Kernel info:
; codeLenInByte = 0
; TotalNumSgprs: 4
; NumVgprs: 0
; ScratchSize: 0
; MemoryBound: 0
; FloatMode: 240
; IeeeMode: 1
; LDSByteSize: 0 bytes/workgroup (compile time only)
; SGPRBlocks: 0
; VGPRBlocks: 0
; NumSGPRsForWavesPerEU: 4
; NumVGPRsForWavesPerEU: 1
; Occupancy: 10
; WaveLimiterHint : 0
; COMPUTE_PGM_RSRC2:SCRATCH_EN: 0
; COMPUTE_PGM_RSRC2:USER_SGPR: 6
; COMPUTE_PGM_RSRC2:TRAP_HANDLER: 0
; COMPUTE_PGM_RSRC2:TGID_X_EN: 1
; COMPUTE_PGM_RSRC2:TGID_Y_EN: 0
; COMPUTE_PGM_RSRC2:TGID_Z_EN: 0
; COMPUTE_PGM_RSRC2:TIDIG_COMP_CNT: 0
	.section	.text._ZN7rocprim17ROCPRIM_400000_NS6detail17trampoline_kernelINS0_14default_configENS1_29binary_search_config_selectorIsiEEZNS1_14transform_implILb0ES3_S5_N6thrust23THRUST_200600_302600_NS6detail15normal_iteratorINS8_7pointerIsNS8_11hip_rocprim5par_tENS8_11use_defaultESE_EEEENSA_INSB_IiSD_SE_SE_EEEEZNS1_13binary_searchIS3_S5_NSA_INS8_10device_ptrIsEEEESG_SI_NS1_16binary_search_opENS9_16wrapped_functionINS8_6system6detail7generic6detail18binary_search_lessEbEEEE10hipError_tPvRmT1_T2_T3_mmT4_T5_P12ihipStream_tbEUlRKsE_EESV_SZ_S10_mS11_S14_bEUlT_E_NS1_11comp_targetILNS1_3genE9ELNS1_11target_archE1100ELNS1_3gpuE3ELNS1_3repE0EEENS1_30default_config_static_selectorELNS0_4arch9wavefront6targetE1EEEvSY_,"axG",@progbits,_ZN7rocprim17ROCPRIM_400000_NS6detail17trampoline_kernelINS0_14default_configENS1_29binary_search_config_selectorIsiEEZNS1_14transform_implILb0ES3_S5_N6thrust23THRUST_200600_302600_NS6detail15normal_iteratorINS8_7pointerIsNS8_11hip_rocprim5par_tENS8_11use_defaultESE_EEEENSA_INSB_IiSD_SE_SE_EEEEZNS1_13binary_searchIS3_S5_NSA_INS8_10device_ptrIsEEEESG_SI_NS1_16binary_search_opENS9_16wrapped_functionINS8_6system6detail7generic6detail18binary_search_lessEbEEEE10hipError_tPvRmT1_T2_T3_mmT4_T5_P12ihipStream_tbEUlRKsE_EESV_SZ_S10_mS11_S14_bEUlT_E_NS1_11comp_targetILNS1_3genE9ELNS1_11target_archE1100ELNS1_3gpuE3ELNS1_3repE0EEENS1_30default_config_static_selectorELNS0_4arch9wavefront6targetE1EEEvSY_,comdat
	.protected	_ZN7rocprim17ROCPRIM_400000_NS6detail17trampoline_kernelINS0_14default_configENS1_29binary_search_config_selectorIsiEEZNS1_14transform_implILb0ES3_S5_N6thrust23THRUST_200600_302600_NS6detail15normal_iteratorINS8_7pointerIsNS8_11hip_rocprim5par_tENS8_11use_defaultESE_EEEENSA_INSB_IiSD_SE_SE_EEEEZNS1_13binary_searchIS3_S5_NSA_INS8_10device_ptrIsEEEESG_SI_NS1_16binary_search_opENS9_16wrapped_functionINS8_6system6detail7generic6detail18binary_search_lessEbEEEE10hipError_tPvRmT1_T2_T3_mmT4_T5_P12ihipStream_tbEUlRKsE_EESV_SZ_S10_mS11_S14_bEUlT_E_NS1_11comp_targetILNS1_3genE9ELNS1_11target_archE1100ELNS1_3gpuE3ELNS1_3repE0EEENS1_30default_config_static_selectorELNS0_4arch9wavefront6targetE1EEEvSY_ ; -- Begin function _ZN7rocprim17ROCPRIM_400000_NS6detail17trampoline_kernelINS0_14default_configENS1_29binary_search_config_selectorIsiEEZNS1_14transform_implILb0ES3_S5_N6thrust23THRUST_200600_302600_NS6detail15normal_iteratorINS8_7pointerIsNS8_11hip_rocprim5par_tENS8_11use_defaultESE_EEEENSA_INSB_IiSD_SE_SE_EEEEZNS1_13binary_searchIS3_S5_NSA_INS8_10device_ptrIsEEEESG_SI_NS1_16binary_search_opENS9_16wrapped_functionINS8_6system6detail7generic6detail18binary_search_lessEbEEEE10hipError_tPvRmT1_T2_T3_mmT4_T5_P12ihipStream_tbEUlRKsE_EESV_SZ_S10_mS11_S14_bEUlT_E_NS1_11comp_targetILNS1_3genE9ELNS1_11target_archE1100ELNS1_3gpuE3ELNS1_3repE0EEENS1_30default_config_static_selectorELNS0_4arch9wavefront6targetE1EEEvSY_
	.globl	_ZN7rocprim17ROCPRIM_400000_NS6detail17trampoline_kernelINS0_14default_configENS1_29binary_search_config_selectorIsiEEZNS1_14transform_implILb0ES3_S5_N6thrust23THRUST_200600_302600_NS6detail15normal_iteratorINS8_7pointerIsNS8_11hip_rocprim5par_tENS8_11use_defaultESE_EEEENSA_INSB_IiSD_SE_SE_EEEEZNS1_13binary_searchIS3_S5_NSA_INS8_10device_ptrIsEEEESG_SI_NS1_16binary_search_opENS9_16wrapped_functionINS8_6system6detail7generic6detail18binary_search_lessEbEEEE10hipError_tPvRmT1_T2_T3_mmT4_T5_P12ihipStream_tbEUlRKsE_EESV_SZ_S10_mS11_S14_bEUlT_E_NS1_11comp_targetILNS1_3genE9ELNS1_11target_archE1100ELNS1_3gpuE3ELNS1_3repE0EEENS1_30default_config_static_selectorELNS0_4arch9wavefront6targetE1EEEvSY_
	.p2align	8
	.type	_ZN7rocprim17ROCPRIM_400000_NS6detail17trampoline_kernelINS0_14default_configENS1_29binary_search_config_selectorIsiEEZNS1_14transform_implILb0ES3_S5_N6thrust23THRUST_200600_302600_NS6detail15normal_iteratorINS8_7pointerIsNS8_11hip_rocprim5par_tENS8_11use_defaultESE_EEEENSA_INSB_IiSD_SE_SE_EEEEZNS1_13binary_searchIS3_S5_NSA_INS8_10device_ptrIsEEEESG_SI_NS1_16binary_search_opENS9_16wrapped_functionINS8_6system6detail7generic6detail18binary_search_lessEbEEEE10hipError_tPvRmT1_T2_T3_mmT4_T5_P12ihipStream_tbEUlRKsE_EESV_SZ_S10_mS11_S14_bEUlT_E_NS1_11comp_targetILNS1_3genE9ELNS1_11target_archE1100ELNS1_3gpuE3ELNS1_3repE0EEENS1_30default_config_static_selectorELNS0_4arch9wavefront6targetE1EEEvSY_,@function
_ZN7rocprim17ROCPRIM_400000_NS6detail17trampoline_kernelINS0_14default_configENS1_29binary_search_config_selectorIsiEEZNS1_14transform_implILb0ES3_S5_N6thrust23THRUST_200600_302600_NS6detail15normal_iteratorINS8_7pointerIsNS8_11hip_rocprim5par_tENS8_11use_defaultESE_EEEENSA_INSB_IiSD_SE_SE_EEEEZNS1_13binary_searchIS3_S5_NSA_INS8_10device_ptrIsEEEESG_SI_NS1_16binary_search_opENS9_16wrapped_functionINS8_6system6detail7generic6detail18binary_search_lessEbEEEE10hipError_tPvRmT1_T2_T3_mmT4_T5_P12ihipStream_tbEUlRKsE_EESV_SZ_S10_mS11_S14_bEUlT_E_NS1_11comp_targetILNS1_3genE9ELNS1_11target_archE1100ELNS1_3gpuE3ELNS1_3repE0EEENS1_30default_config_static_selectorELNS0_4arch9wavefront6targetE1EEEvSY_: ; @_ZN7rocprim17ROCPRIM_400000_NS6detail17trampoline_kernelINS0_14default_configENS1_29binary_search_config_selectorIsiEEZNS1_14transform_implILb0ES3_S5_N6thrust23THRUST_200600_302600_NS6detail15normal_iteratorINS8_7pointerIsNS8_11hip_rocprim5par_tENS8_11use_defaultESE_EEEENSA_INSB_IiSD_SE_SE_EEEEZNS1_13binary_searchIS3_S5_NSA_INS8_10device_ptrIsEEEESG_SI_NS1_16binary_search_opENS9_16wrapped_functionINS8_6system6detail7generic6detail18binary_search_lessEbEEEE10hipError_tPvRmT1_T2_T3_mmT4_T5_P12ihipStream_tbEUlRKsE_EESV_SZ_S10_mS11_S14_bEUlT_E_NS1_11comp_targetILNS1_3genE9ELNS1_11target_archE1100ELNS1_3gpuE3ELNS1_3repE0EEENS1_30default_config_static_selectorELNS0_4arch9wavefront6targetE1EEEvSY_
; %bb.0:
	.section	.rodata,"a",@progbits
	.p2align	6, 0x0
	.amdhsa_kernel _ZN7rocprim17ROCPRIM_400000_NS6detail17trampoline_kernelINS0_14default_configENS1_29binary_search_config_selectorIsiEEZNS1_14transform_implILb0ES3_S5_N6thrust23THRUST_200600_302600_NS6detail15normal_iteratorINS8_7pointerIsNS8_11hip_rocprim5par_tENS8_11use_defaultESE_EEEENSA_INSB_IiSD_SE_SE_EEEEZNS1_13binary_searchIS3_S5_NSA_INS8_10device_ptrIsEEEESG_SI_NS1_16binary_search_opENS9_16wrapped_functionINS8_6system6detail7generic6detail18binary_search_lessEbEEEE10hipError_tPvRmT1_T2_T3_mmT4_T5_P12ihipStream_tbEUlRKsE_EESV_SZ_S10_mS11_S14_bEUlT_E_NS1_11comp_targetILNS1_3genE9ELNS1_11target_archE1100ELNS1_3gpuE3ELNS1_3repE0EEENS1_30default_config_static_selectorELNS0_4arch9wavefront6targetE1EEEvSY_
		.amdhsa_group_segment_fixed_size 0
		.amdhsa_private_segment_fixed_size 0
		.amdhsa_kernarg_size 56
		.amdhsa_user_sgpr_count 6
		.amdhsa_user_sgpr_private_segment_buffer 1
		.amdhsa_user_sgpr_dispatch_ptr 0
		.amdhsa_user_sgpr_queue_ptr 0
		.amdhsa_user_sgpr_kernarg_segment_ptr 1
		.amdhsa_user_sgpr_dispatch_id 0
		.amdhsa_user_sgpr_flat_scratch_init 0
		.amdhsa_user_sgpr_private_segment_size 0
		.amdhsa_uses_dynamic_stack 0
		.amdhsa_system_sgpr_private_segment_wavefront_offset 0
		.amdhsa_system_sgpr_workgroup_id_x 1
		.amdhsa_system_sgpr_workgroup_id_y 0
		.amdhsa_system_sgpr_workgroup_id_z 0
		.amdhsa_system_sgpr_workgroup_info 0
		.amdhsa_system_vgpr_workitem_id 0
		.amdhsa_next_free_vgpr 1
		.amdhsa_next_free_sgpr 0
		.amdhsa_reserve_vcc 0
		.amdhsa_reserve_flat_scratch 0
		.amdhsa_float_round_mode_32 0
		.amdhsa_float_round_mode_16_64 0
		.amdhsa_float_denorm_mode_32 3
		.amdhsa_float_denorm_mode_16_64 3
		.amdhsa_dx10_clamp 1
		.amdhsa_ieee_mode 1
		.amdhsa_fp16_overflow 0
		.amdhsa_exception_fp_ieee_invalid_op 0
		.amdhsa_exception_fp_denorm_src 0
		.amdhsa_exception_fp_ieee_div_zero 0
		.amdhsa_exception_fp_ieee_overflow 0
		.amdhsa_exception_fp_ieee_underflow 0
		.amdhsa_exception_fp_ieee_inexact 0
		.amdhsa_exception_int_div_zero 0
	.end_amdhsa_kernel
	.section	.text._ZN7rocprim17ROCPRIM_400000_NS6detail17trampoline_kernelINS0_14default_configENS1_29binary_search_config_selectorIsiEEZNS1_14transform_implILb0ES3_S5_N6thrust23THRUST_200600_302600_NS6detail15normal_iteratorINS8_7pointerIsNS8_11hip_rocprim5par_tENS8_11use_defaultESE_EEEENSA_INSB_IiSD_SE_SE_EEEEZNS1_13binary_searchIS3_S5_NSA_INS8_10device_ptrIsEEEESG_SI_NS1_16binary_search_opENS9_16wrapped_functionINS8_6system6detail7generic6detail18binary_search_lessEbEEEE10hipError_tPvRmT1_T2_T3_mmT4_T5_P12ihipStream_tbEUlRKsE_EESV_SZ_S10_mS11_S14_bEUlT_E_NS1_11comp_targetILNS1_3genE9ELNS1_11target_archE1100ELNS1_3gpuE3ELNS1_3repE0EEENS1_30default_config_static_selectorELNS0_4arch9wavefront6targetE1EEEvSY_,"axG",@progbits,_ZN7rocprim17ROCPRIM_400000_NS6detail17trampoline_kernelINS0_14default_configENS1_29binary_search_config_selectorIsiEEZNS1_14transform_implILb0ES3_S5_N6thrust23THRUST_200600_302600_NS6detail15normal_iteratorINS8_7pointerIsNS8_11hip_rocprim5par_tENS8_11use_defaultESE_EEEENSA_INSB_IiSD_SE_SE_EEEEZNS1_13binary_searchIS3_S5_NSA_INS8_10device_ptrIsEEEESG_SI_NS1_16binary_search_opENS9_16wrapped_functionINS8_6system6detail7generic6detail18binary_search_lessEbEEEE10hipError_tPvRmT1_T2_T3_mmT4_T5_P12ihipStream_tbEUlRKsE_EESV_SZ_S10_mS11_S14_bEUlT_E_NS1_11comp_targetILNS1_3genE9ELNS1_11target_archE1100ELNS1_3gpuE3ELNS1_3repE0EEENS1_30default_config_static_selectorELNS0_4arch9wavefront6targetE1EEEvSY_,comdat
.Lfunc_end723:
	.size	_ZN7rocprim17ROCPRIM_400000_NS6detail17trampoline_kernelINS0_14default_configENS1_29binary_search_config_selectorIsiEEZNS1_14transform_implILb0ES3_S5_N6thrust23THRUST_200600_302600_NS6detail15normal_iteratorINS8_7pointerIsNS8_11hip_rocprim5par_tENS8_11use_defaultESE_EEEENSA_INSB_IiSD_SE_SE_EEEEZNS1_13binary_searchIS3_S5_NSA_INS8_10device_ptrIsEEEESG_SI_NS1_16binary_search_opENS9_16wrapped_functionINS8_6system6detail7generic6detail18binary_search_lessEbEEEE10hipError_tPvRmT1_T2_T3_mmT4_T5_P12ihipStream_tbEUlRKsE_EESV_SZ_S10_mS11_S14_bEUlT_E_NS1_11comp_targetILNS1_3genE9ELNS1_11target_archE1100ELNS1_3gpuE3ELNS1_3repE0EEENS1_30default_config_static_selectorELNS0_4arch9wavefront6targetE1EEEvSY_, .Lfunc_end723-_ZN7rocprim17ROCPRIM_400000_NS6detail17trampoline_kernelINS0_14default_configENS1_29binary_search_config_selectorIsiEEZNS1_14transform_implILb0ES3_S5_N6thrust23THRUST_200600_302600_NS6detail15normal_iteratorINS8_7pointerIsNS8_11hip_rocprim5par_tENS8_11use_defaultESE_EEEENSA_INSB_IiSD_SE_SE_EEEEZNS1_13binary_searchIS3_S5_NSA_INS8_10device_ptrIsEEEESG_SI_NS1_16binary_search_opENS9_16wrapped_functionINS8_6system6detail7generic6detail18binary_search_lessEbEEEE10hipError_tPvRmT1_T2_T3_mmT4_T5_P12ihipStream_tbEUlRKsE_EESV_SZ_S10_mS11_S14_bEUlT_E_NS1_11comp_targetILNS1_3genE9ELNS1_11target_archE1100ELNS1_3gpuE3ELNS1_3repE0EEENS1_30default_config_static_selectorELNS0_4arch9wavefront6targetE1EEEvSY_
                                        ; -- End function
	.set _ZN7rocprim17ROCPRIM_400000_NS6detail17trampoline_kernelINS0_14default_configENS1_29binary_search_config_selectorIsiEEZNS1_14transform_implILb0ES3_S5_N6thrust23THRUST_200600_302600_NS6detail15normal_iteratorINS8_7pointerIsNS8_11hip_rocprim5par_tENS8_11use_defaultESE_EEEENSA_INSB_IiSD_SE_SE_EEEEZNS1_13binary_searchIS3_S5_NSA_INS8_10device_ptrIsEEEESG_SI_NS1_16binary_search_opENS9_16wrapped_functionINS8_6system6detail7generic6detail18binary_search_lessEbEEEE10hipError_tPvRmT1_T2_T3_mmT4_T5_P12ihipStream_tbEUlRKsE_EESV_SZ_S10_mS11_S14_bEUlT_E_NS1_11comp_targetILNS1_3genE9ELNS1_11target_archE1100ELNS1_3gpuE3ELNS1_3repE0EEENS1_30default_config_static_selectorELNS0_4arch9wavefront6targetE1EEEvSY_.num_vgpr, 0
	.set _ZN7rocprim17ROCPRIM_400000_NS6detail17trampoline_kernelINS0_14default_configENS1_29binary_search_config_selectorIsiEEZNS1_14transform_implILb0ES3_S5_N6thrust23THRUST_200600_302600_NS6detail15normal_iteratorINS8_7pointerIsNS8_11hip_rocprim5par_tENS8_11use_defaultESE_EEEENSA_INSB_IiSD_SE_SE_EEEEZNS1_13binary_searchIS3_S5_NSA_INS8_10device_ptrIsEEEESG_SI_NS1_16binary_search_opENS9_16wrapped_functionINS8_6system6detail7generic6detail18binary_search_lessEbEEEE10hipError_tPvRmT1_T2_T3_mmT4_T5_P12ihipStream_tbEUlRKsE_EESV_SZ_S10_mS11_S14_bEUlT_E_NS1_11comp_targetILNS1_3genE9ELNS1_11target_archE1100ELNS1_3gpuE3ELNS1_3repE0EEENS1_30default_config_static_selectorELNS0_4arch9wavefront6targetE1EEEvSY_.num_agpr, 0
	.set _ZN7rocprim17ROCPRIM_400000_NS6detail17trampoline_kernelINS0_14default_configENS1_29binary_search_config_selectorIsiEEZNS1_14transform_implILb0ES3_S5_N6thrust23THRUST_200600_302600_NS6detail15normal_iteratorINS8_7pointerIsNS8_11hip_rocprim5par_tENS8_11use_defaultESE_EEEENSA_INSB_IiSD_SE_SE_EEEEZNS1_13binary_searchIS3_S5_NSA_INS8_10device_ptrIsEEEESG_SI_NS1_16binary_search_opENS9_16wrapped_functionINS8_6system6detail7generic6detail18binary_search_lessEbEEEE10hipError_tPvRmT1_T2_T3_mmT4_T5_P12ihipStream_tbEUlRKsE_EESV_SZ_S10_mS11_S14_bEUlT_E_NS1_11comp_targetILNS1_3genE9ELNS1_11target_archE1100ELNS1_3gpuE3ELNS1_3repE0EEENS1_30default_config_static_selectorELNS0_4arch9wavefront6targetE1EEEvSY_.numbered_sgpr, 0
	.set _ZN7rocprim17ROCPRIM_400000_NS6detail17trampoline_kernelINS0_14default_configENS1_29binary_search_config_selectorIsiEEZNS1_14transform_implILb0ES3_S5_N6thrust23THRUST_200600_302600_NS6detail15normal_iteratorINS8_7pointerIsNS8_11hip_rocprim5par_tENS8_11use_defaultESE_EEEENSA_INSB_IiSD_SE_SE_EEEEZNS1_13binary_searchIS3_S5_NSA_INS8_10device_ptrIsEEEESG_SI_NS1_16binary_search_opENS9_16wrapped_functionINS8_6system6detail7generic6detail18binary_search_lessEbEEEE10hipError_tPvRmT1_T2_T3_mmT4_T5_P12ihipStream_tbEUlRKsE_EESV_SZ_S10_mS11_S14_bEUlT_E_NS1_11comp_targetILNS1_3genE9ELNS1_11target_archE1100ELNS1_3gpuE3ELNS1_3repE0EEENS1_30default_config_static_selectorELNS0_4arch9wavefront6targetE1EEEvSY_.num_named_barrier, 0
	.set _ZN7rocprim17ROCPRIM_400000_NS6detail17trampoline_kernelINS0_14default_configENS1_29binary_search_config_selectorIsiEEZNS1_14transform_implILb0ES3_S5_N6thrust23THRUST_200600_302600_NS6detail15normal_iteratorINS8_7pointerIsNS8_11hip_rocprim5par_tENS8_11use_defaultESE_EEEENSA_INSB_IiSD_SE_SE_EEEEZNS1_13binary_searchIS3_S5_NSA_INS8_10device_ptrIsEEEESG_SI_NS1_16binary_search_opENS9_16wrapped_functionINS8_6system6detail7generic6detail18binary_search_lessEbEEEE10hipError_tPvRmT1_T2_T3_mmT4_T5_P12ihipStream_tbEUlRKsE_EESV_SZ_S10_mS11_S14_bEUlT_E_NS1_11comp_targetILNS1_3genE9ELNS1_11target_archE1100ELNS1_3gpuE3ELNS1_3repE0EEENS1_30default_config_static_selectorELNS0_4arch9wavefront6targetE1EEEvSY_.private_seg_size, 0
	.set _ZN7rocprim17ROCPRIM_400000_NS6detail17trampoline_kernelINS0_14default_configENS1_29binary_search_config_selectorIsiEEZNS1_14transform_implILb0ES3_S5_N6thrust23THRUST_200600_302600_NS6detail15normal_iteratorINS8_7pointerIsNS8_11hip_rocprim5par_tENS8_11use_defaultESE_EEEENSA_INSB_IiSD_SE_SE_EEEEZNS1_13binary_searchIS3_S5_NSA_INS8_10device_ptrIsEEEESG_SI_NS1_16binary_search_opENS9_16wrapped_functionINS8_6system6detail7generic6detail18binary_search_lessEbEEEE10hipError_tPvRmT1_T2_T3_mmT4_T5_P12ihipStream_tbEUlRKsE_EESV_SZ_S10_mS11_S14_bEUlT_E_NS1_11comp_targetILNS1_3genE9ELNS1_11target_archE1100ELNS1_3gpuE3ELNS1_3repE0EEENS1_30default_config_static_selectorELNS0_4arch9wavefront6targetE1EEEvSY_.uses_vcc, 0
	.set _ZN7rocprim17ROCPRIM_400000_NS6detail17trampoline_kernelINS0_14default_configENS1_29binary_search_config_selectorIsiEEZNS1_14transform_implILb0ES3_S5_N6thrust23THRUST_200600_302600_NS6detail15normal_iteratorINS8_7pointerIsNS8_11hip_rocprim5par_tENS8_11use_defaultESE_EEEENSA_INSB_IiSD_SE_SE_EEEEZNS1_13binary_searchIS3_S5_NSA_INS8_10device_ptrIsEEEESG_SI_NS1_16binary_search_opENS9_16wrapped_functionINS8_6system6detail7generic6detail18binary_search_lessEbEEEE10hipError_tPvRmT1_T2_T3_mmT4_T5_P12ihipStream_tbEUlRKsE_EESV_SZ_S10_mS11_S14_bEUlT_E_NS1_11comp_targetILNS1_3genE9ELNS1_11target_archE1100ELNS1_3gpuE3ELNS1_3repE0EEENS1_30default_config_static_selectorELNS0_4arch9wavefront6targetE1EEEvSY_.uses_flat_scratch, 0
	.set _ZN7rocprim17ROCPRIM_400000_NS6detail17trampoline_kernelINS0_14default_configENS1_29binary_search_config_selectorIsiEEZNS1_14transform_implILb0ES3_S5_N6thrust23THRUST_200600_302600_NS6detail15normal_iteratorINS8_7pointerIsNS8_11hip_rocprim5par_tENS8_11use_defaultESE_EEEENSA_INSB_IiSD_SE_SE_EEEEZNS1_13binary_searchIS3_S5_NSA_INS8_10device_ptrIsEEEESG_SI_NS1_16binary_search_opENS9_16wrapped_functionINS8_6system6detail7generic6detail18binary_search_lessEbEEEE10hipError_tPvRmT1_T2_T3_mmT4_T5_P12ihipStream_tbEUlRKsE_EESV_SZ_S10_mS11_S14_bEUlT_E_NS1_11comp_targetILNS1_3genE9ELNS1_11target_archE1100ELNS1_3gpuE3ELNS1_3repE0EEENS1_30default_config_static_selectorELNS0_4arch9wavefront6targetE1EEEvSY_.has_dyn_sized_stack, 0
	.set _ZN7rocprim17ROCPRIM_400000_NS6detail17trampoline_kernelINS0_14default_configENS1_29binary_search_config_selectorIsiEEZNS1_14transform_implILb0ES3_S5_N6thrust23THRUST_200600_302600_NS6detail15normal_iteratorINS8_7pointerIsNS8_11hip_rocprim5par_tENS8_11use_defaultESE_EEEENSA_INSB_IiSD_SE_SE_EEEEZNS1_13binary_searchIS3_S5_NSA_INS8_10device_ptrIsEEEESG_SI_NS1_16binary_search_opENS9_16wrapped_functionINS8_6system6detail7generic6detail18binary_search_lessEbEEEE10hipError_tPvRmT1_T2_T3_mmT4_T5_P12ihipStream_tbEUlRKsE_EESV_SZ_S10_mS11_S14_bEUlT_E_NS1_11comp_targetILNS1_3genE9ELNS1_11target_archE1100ELNS1_3gpuE3ELNS1_3repE0EEENS1_30default_config_static_selectorELNS0_4arch9wavefront6targetE1EEEvSY_.has_recursion, 0
	.set _ZN7rocprim17ROCPRIM_400000_NS6detail17trampoline_kernelINS0_14default_configENS1_29binary_search_config_selectorIsiEEZNS1_14transform_implILb0ES3_S5_N6thrust23THRUST_200600_302600_NS6detail15normal_iteratorINS8_7pointerIsNS8_11hip_rocprim5par_tENS8_11use_defaultESE_EEEENSA_INSB_IiSD_SE_SE_EEEEZNS1_13binary_searchIS3_S5_NSA_INS8_10device_ptrIsEEEESG_SI_NS1_16binary_search_opENS9_16wrapped_functionINS8_6system6detail7generic6detail18binary_search_lessEbEEEE10hipError_tPvRmT1_T2_T3_mmT4_T5_P12ihipStream_tbEUlRKsE_EESV_SZ_S10_mS11_S14_bEUlT_E_NS1_11comp_targetILNS1_3genE9ELNS1_11target_archE1100ELNS1_3gpuE3ELNS1_3repE0EEENS1_30default_config_static_selectorELNS0_4arch9wavefront6targetE1EEEvSY_.has_indirect_call, 0
	.section	.AMDGPU.csdata,"",@progbits
; Kernel info:
; codeLenInByte = 0
; TotalNumSgprs: 4
; NumVgprs: 0
; ScratchSize: 0
; MemoryBound: 0
; FloatMode: 240
; IeeeMode: 1
; LDSByteSize: 0 bytes/workgroup (compile time only)
; SGPRBlocks: 0
; VGPRBlocks: 0
; NumSGPRsForWavesPerEU: 4
; NumVGPRsForWavesPerEU: 1
; Occupancy: 10
; WaveLimiterHint : 0
; COMPUTE_PGM_RSRC2:SCRATCH_EN: 0
; COMPUTE_PGM_RSRC2:USER_SGPR: 6
; COMPUTE_PGM_RSRC2:TRAP_HANDLER: 0
; COMPUTE_PGM_RSRC2:TGID_X_EN: 1
; COMPUTE_PGM_RSRC2:TGID_Y_EN: 0
; COMPUTE_PGM_RSRC2:TGID_Z_EN: 0
; COMPUTE_PGM_RSRC2:TIDIG_COMP_CNT: 0
	.section	.text._ZN7rocprim17ROCPRIM_400000_NS6detail17trampoline_kernelINS0_14default_configENS1_29binary_search_config_selectorIsiEEZNS1_14transform_implILb0ES3_S5_N6thrust23THRUST_200600_302600_NS6detail15normal_iteratorINS8_7pointerIsNS8_11hip_rocprim5par_tENS8_11use_defaultESE_EEEENSA_INSB_IiSD_SE_SE_EEEEZNS1_13binary_searchIS3_S5_NSA_INS8_10device_ptrIsEEEESG_SI_NS1_16binary_search_opENS9_16wrapped_functionINS8_6system6detail7generic6detail18binary_search_lessEbEEEE10hipError_tPvRmT1_T2_T3_mmT4_T5_P12ihipStream_tbEUlRKsE_EESV_SZ_S10_mS11_S14_bEUlT_E_NS1_11comp_targetILNS1_3genE8ELNS1_11target_archE1030ELNS1_3gpuE2ELNS1_3repE0EEENS1_30default_config_static_selectorELNS0_4arch9wavefront6targetE1EEEvSY_,"axG",@progbits,_ZN7rocprim17ROCPRIM_400000_NS6detail17trampoline_kernelINS0_14default_configENS1_29binary_search_config_selectorIsiEEZNS1_14transform_implILb0ES3_S5_N6thrust23THRUST_200600_302600_NS6detail15normal_iteratorINS8_7pointerIsNS8_11hip_rocprim5par_tENS8_11use_defaultESE_EEEENSA_INSB_IiSD_SE_SE_EEEEZNS1_13binary_searchIS3_S5_NSA_INS8_10device_ptrIsEEEESG_SI_NS1_16binary_search_opENS9_16wrapped_functionINS8_6system6detail7generic6detail18binary_search_lessEbEEEE10hipError_tPvRmT1_T2_T3_mmT4_T5_P12ihipStream_tbEUlRKsE_EESV_SZ_S10_mS11_S14_bEUlT_E_NS1_11comp_targetILNS1_3genE8ELNS1_11target_archE1030ELNS1_3gpuE2ELNS1_3repE0EEENS1_30default_config_static_selectorELNS0_4arch9wavefront6targetE1EEEvSY_,comdat
	.protected	_ZN7rocprim17ROCPRIM_400000_NS6detail17trampoline_kernelINS0_14default_configENS1_29binary_search_config_selectorIsiEEZNS1_14transform_implILb0ES3_S5_N6thrust23THRUST_200600_302600_NS6detail15normal_iteratorINS8_7pointerIsNS8_11hip_rocprim5par_tENS8_11use_defaultESE_EEEENSA_INSB_IiSD_SE_SE_EEEEZNS1_13binary_searchIS3_S5_NSA_INS8_10device_ptrIsEEEESG_SI_NS1_16binary_search_opENS9_16wrapped_functionINS8_6system6detail7generic6detail18binary_search_lessEbEEEE10hipError_tPvRmT1_T2_T3_mmT4_T5_P12ihipStream_tbEUlRKsE_EESV_SZ_S10_mS11_S14_bEUlT_E_NS1_11comp_targetILNS1_3genE8ELNS1_11target_archE1030ELNS1_3gpuE2ELNS1_3repE0EEENS1_30default_config_static_selectorELNS0_4arch9wavefront6targetE1EEEvSY_ ; -- Begin function _ZN7rocprim17ROCPRIM_400000_NS6detail17trampoline_kernelINS0_14default_configENS1_29binary_search_config_selectorIsiEEZNS1_14transform_implILb0ES3_S5_N6thrust23THRUST_200600_302600_NS6detail15normal_iteratorINS8_7pointerIsNS8_11hip_rocprim5par_tENS8_11use_defaultESE_EEEENSA_INSB_IiSD_SE_SE_EEEEZNS1_13binary_searchIS3_S5_NSA_INS8_10device_ptrIsEEEESG_SI_NS1_16binary_search_opENS9_16wrapped_functionINS8_6system6detail7generic6detail18binary_search_lessEbEEEE10hipError_tPvRmT1_T2_T3_mmT4_T5_P12ihipStream_tbEUlRKsE_EESV_SZ_S10_mS11_S14_bEUlT_E_NS1_11comp_targetILNS1_3genE8ELNS1_11target_archE1030ELNS1_3gpuE2ELNS1_3repE0EEENS1_30default_config_static_selectorELNS0_4arch9wavefront6targetE1EEEvSY_
	.globl	_ZN7rocprim17ROCPRIM_400000_NS6detail17trampoline_kernelINS0_14default_configENS1_29binary_search_config_selectorIsiEEZNS1_14transform_implILb0ES3_S5_N6thrust23THRUST_200600_302600_NS6detail15normal_iteratorINS8_7pointerIsNS8_11hip_rocprim5par_tENS8_11use_defaultESE_EEEENSA_INSB_IiSD_SE_SE_EEEEZNS1_13binary_searchIS3_S5_NSA_INS8_10device_ptrIsEEEESG_SI_NS1_16binary_search_opENS9_16wrapped_functionINS8_6system6detail7generic6detail18binary_search_lessEbEEEE10hipError_tPvRmT1_T2_T3_mmT4_T5_P12ihipStream_tbEUlRKsE_EESV_SZ_S10_mS11_S14_bEUlT_E_NS1_11comp_targetILNS1_3genE8ELNS1_11target_archE1030ELNS1_3gpuE2ELNS1_3repE0EEENS1_30default_config_static_selectorELNS0_4arch9wavefront6targetE1EEEvSY_
	.p2align	8
	.type	_ZN7rocprim17ROCPRIM_400000_NS6detail17trampoline_kernelINS0_14default_configENS1_29binary_search_config_selectorIsiEEZNS1_14transform_implILb0ES3_S5_N6thrust23THRUST_200600_302600_NS6detail15normal_iteratorINS8_7pointerIsNS8_11hip_rocprim5par_tENS8_11use_defaultESE_EEEENSA_INSB_IiSD_SE_SE_EEEEZNS1_13binary_searchIS3_S5_NSA_INS8_10device_ptrIsEEEESG_SI_NS1_16binary_search_opENS9_16wrapped_functionINS8_6system6detail7generic6detail18binary_search_lessEbEEEE10hipError_tPvRmT1_T2_T3_mmT4_T5_P12ihipStream_tbEUlRKsE_EESV_SZ_S10_mS11_S14_bEUlT_E_NS1_11comp_targetILNS1_3genE8ELNS1_11target_archE1030ELNS1_3gpuE2ELNS1_3repE0EEENS1_30default_config_static_selectorELNS0_4arch9wavefront6targetE1EEEvSY_,@function
_ZN7rocprim17ROCPRIM_400000_NS6detail17trampoline_kernelINS0_14default_configENS1_29binary_search_config_selectorIsiEEZNS1_14transform_implILb0ES3_S5_N6thrust23THRUST_200600_302600_NS6detail15normal_iteratorINS8_7pointerIsNS8_11hip_rocprim5par_tENS8_11use_defaultESE_EEEENSA_INSB_IiSD_SE_SE_EEEEZNS1_13binary_searchIS3_S5_NSA_INS8_10device_ptrIsEEEESG_SI_NS1_16binary_search_opENS9_16wrapped_functionINS8_6system6detail7generic6detail18binary_search_lessEbEEEE10hipError_tPvRmT1_T2_T3_mmT4_T5_P12ihipStream_tbEUlRKsE_EESV_SZ_S10_mS11_S14_bEUlT_E_NS1_11comp_targetILNS1_3genE8ELNS1_11target_archE1030ELNS1_3gpuE2ELNS1_3repE0EEENS1_30default_config_static_selectorELNS0_4arch9wavefront6targetE1EEEvSY_: ; @_ZN7rocprim17ROCPRIM_400000_NS6detail17trampoline_kernelINS0_14default_configENS1_29binary_search_config_selectorIsiEEZNS1_14transform_implILb0ES3_S5_N6thrust23THRUST_200600_302600_NS6detail15normal_iteratorINS8_7pointerIsNS8_11hip_rocprim5par_tENS8_11use_defaultESE_EEEENSA_INSB_IiSD_SE_SE_EEEEZNS1_13binary_searchIS3_S5_NSA_INS8_10device_ptrIsEEEESG_SI_NS1_16binary_search_opENS9_16wrapped_functionINS8_6system6detail7generic6detail18binary_search_lessEbEEEE10hipError_tPvRmT1_T2_T3_mmT4_T5_P12ihipStream_tbEUlRKsE_EESV_SZ_S10_mS11_S14_bEUlT_E_NS1_11comp_targetILNS1_3genE8ELNS1_11target_archE1030ELNS1_3gpuE2ELNS1_3repE0EEENS1_30default_config_static_selectorELNS0_4arch9wavefront6targetE1EEEvSY_
; %bb.0:
	.section	.rodata,"a",@progbits
	.p2align	6, 0x0
	.amdhsa_kernel _ZN7rocprim17ROCPRIM_400000_NS6detail17trampoline_kernelINS0_14default_configENS1_29binary_search_config_selectorIsiEEZNS1_14transform_implILb0ES3_S5_N6thrust23THRUST_200600_302600_NS6detail15normal_iteratorINS8_7pointerIsNS8_11hip_rocprim5par_tENS8_11use_defaultESE_EEEENSA_INSB_IiSD_SE_SE_EEEEZNS1_13binary_searchIS3_S5_NSA_INS8_10device_ptrIsEEEESG_SI_NS1_16binary_search_opENS9_16wrapped_functionINS8_6system6detail7generic6detail18binary_search_lessEbEEEE10hipError_tPvRmT1_T2_T3_mmT4_T5_P12ihipStream_tbEUlRKsE_EESV_SZ_S10_mS11_S14_bEUlT_E_NS1_11comp_targetILNS1_3genE8ELNS1_11target_archE1030ELNS1_3gpuE2ELNS1_3repE0EEENS1_30default_config_static_selectorELNS0_4arch9wavefront6targetE1EEEvSY_
		.amdhsa_group_segment_fixed_size 0
		.amdhsa_private_segment_fixed_size 0
		.amdhsa_kernarg_size 56
		.amdhsa_user_sgpr_count 6
		.amdhsa_user_sgpr_private_segment_buffer 1
		.amdhsa_user_sgpr_dispatch_ptr 0
		.amdhsa_user_sgpr_queue_ptr 0
		.amdhsa_user_sgpr_kernarg_segment_ptr 1
		.amdhsa_user_sgpr_dispatch_id 0
		.amdhsa_user_sgpr_flat_scratch_init 0
		.amdhsa_user_sgpr_private_segment_size 0
		.amdhsa_uses_dynamic_stack 0
		.amdhsa_system_sgpr_private_segment_wavefront_offset 0
		.amdhsa_system_sgpr_workgroup_id_x 1
		.amdhsa_system_sgpr_workgroup_id_y 0
		.amdhsa_system_sgpr_workgroup_id_z 0
		.amdhsa_system_sgpr_workgroup_info 0
		.amdhsa_system_vgpr_workitem_id 0
		.amdhsa_next_free_vgpr 1
		.amdhsa_next_free_sgpr 0
		.amdhsa_reserve_vcc 0
		.amdhsa_reserve_flat_scratch 0
		.amdhsa_float_round_mode_32 0
		.amdhsa_float_round_mode_16_64 0
		.amdhsa_float_denorm_mode_32 3
		.amdhsa_float_denorm_mode_16_64 3
		.amdhsa_dx10_clamp 1
		.amdhsa_ieee_mode 1
		.amdhsa_fp16_overflow 0
		.amdhsa_exception_fp_ieee_invalid_op 0
		.amdhsa_exception_fp_denorm_src 0
		.amdhsa_exception_fp_ieee_div_zero 0
		.amdhsa_exception_fp_ieee_overflow 0
		.amdhsa_exception_fp_ieee_underflow 0
		.amdhsa_exception_fp_ieee_inexact 0
		.amdhsa_exception_int_div_zero 0
	.end_amdhsa_kernel
	.section	.text._ZN7rocprim17ROCPRIM_400000_NS6detail17trampoline_kernelINS0_14default_configENS1_29binary_search_config_selectorIsiEEZNS1_14transform_implILb0ES3_S5_N6thrust23THRUST_200600_302600_NS6detail15normal_iteratorINS8_7pointerIsNS8_11hip_rocprim5par_tENS8_11use_defaultESE_EEEENSA_INSB_IiSD_SE_SE_EEEEZNS1_13binary_searchIS3_S5_NSA_INS8_10device_ptrIsEEEESG_SI_NS1_16binary_search_opENS9_16wrapped_functionINS8_6system6detail7generic6detail18binary_search_lessEbEEEE10hipError_tPvRmT1_T2_T3_mmT4_T5_P12ihipStream_tbEUlRKsE_EESV_SZ_S10_mS11_S14_bEUlT_E_NS1_11comp_targetILNS1_3genE8ELNS1_11target_archE1030ELNS1_3gpuE2ELNS1_3repE0EEENS1_30default_config_static_selectorELNS0_4arch9wavefront6targetE1EEEvSY_,"axG",@progbits,_ZN7rocprim17ROCPRIM_400000_NS6detail17trampoline_kernelINS0_14default_configENS1_29binary_search_config_selectorIsiEEZNS1_14transform_implILb0ES3_S5_N6thrust23THRUST_200600_302600_NS6detail15normal_iteratorINS8_7pointerIsNS8_11hip_rocprim5par_tENS8_11use_defaultESE_EEEENSA_INSB_IiSD_SE_SE_EEEEZNS1_13binary_searchIS3_S5_NSA_INS8_10device_ptrIsEEEESG_SI_NS1_16binary_search_opENS9_16wrapped_functionINS8_6system6detail7generic6detail18binary_search_lessEbEEEE10hipError_tPvRmT1_T2_T3_mmT4_T5_P12ihipStream_tbEUlRKsE_EESV_SZ_S10_mS11_S14_bEUlT_E_NS1_11comp_targetILNS1_3genE8ELNS1_11target_archE1030ELNS1_3gpuE2ELNS1_3repE0EEENS1_30default_config_static_selectorELNS0_4arch9wavefront6targetE1EEEvSY_,comdat
.Lfunc_end724:
	.size	_ZN7rocprim17ROCPRIM_400000_NS6detail17trampoline_kernelINS0_14default_configENS1_29binary_search_config_selectorIsiEEZNS1_14transform_implILb0ES3_S5_N6thrust23THRUST_200600_302600_NS6detail15normal_iteratorINS8_7pointerIsNS8_11hip_rocprim5par_tENS8_11use_defaultESE_EEEENSA_INSB_IiSD_SE_SE_EEEEZNS1_13binary_searchIS3_S5_NSA_INS8_10device_ptrIsEEEESG_SI_NS1_16binary_search_opENS9_16wrapped_functionINS8_6system6detail7generic6detail18binary_search_lessEbEEEE10hipError_tPvRmT1_T2_T3_mmT4_T5_P12ihipStream_tbEUlRKsE_EESV_SZ_S10_mS11_S14_bEUlT_E_NS1_11comp_targetILNS1_3genE8ELNS1_11target_archE1030ELNS1_3gpuE2ELNS1_3repE0EEENS1_30default_config_static_selectorELNS0_4arch9wavefront6targetE1EEEvSY_, .Lfunc_end724-_ZN7rocprim17ROCPRIM_400000_NS6detail17trampoline_kernelINS0_14default_configENS1_29binary_search_config_selectorIsiEEZNS1_14transform_implILb0ES3_S5_N6thrust23THRUST_200600_302600_NS6detail15normal_iteratorINS8_7pointerIsNS8_11hip_rocprim5par_tENS8_11use_defaultESE_EEEENSA_INSB_IiSD_SE_SE_EEEEZNS1_13binary_searchIS3_S5_NSA_INS8_10device_ptrIsEEEESG_SI_NS1_16binary_search_opENS9_16wrapped_functionINS8_6system6detail7generic6detail18binary_search_lessEbEEEE10hipError_tPvRmT1_T2_T3_mmT4_T5_P12ihipStream_tbEUlRKsE_EESV_SZ_S10_mS11_S14_bEUlT_E_NS1_11comp_targetILNS1_3genE8ELNS1_11target_archE1030ELNS1_3gpuE2ELNS1_3repE0EEENS1_30default_config_static_selectorELNS0_4arch9wavefront6targetE1EEEvSY_
                                        ; -- End function
	.set _ZN7rocprim17ROCPRIM_400000_NS6detail17trampoline_kernelINS0_14default_configENS1_29binary_search_config_selectorIsiEEZNS1_14transform_implILb0ES3_S5_N6thrust23THRUST_200600_302600_NS6detail15normal_iteratorINS8_7pointerIsNS8_11hip_rocprim5par_tENS8_11use_defaultESE_EEEENSA_INSB_IiSD_SE_SE_EEEEZNS1_13binary_searchIS3_S5_NSA_INS8_10device_ptrIsEEEESG_SI_NS1_16binary_search_opENS9_16wrapped_functionINS8_6system6detail7generic6detail18binary_search_lessEbEEEE10hipError_tPvRmT1_T2_T3_mmT4_T5_P12ihipStream_tbEUlRKsE_EESV_SZ_S10_mS11_S14_bEUlT_E_NS1_11comp_targetILNS1_3genE8ELNS1_11target_archE1030ELNS1_3gpuE2ELNS1_3repE0EEENS1_30default_config_static_selectorELNS0_4arch9wavefront6targetE1EEEvSY_.num_vgpr, 0
	.set _ZN7rocprim17ROCPRIM_400000_NS6detail17trampoline_kernelINS0_14default_configENS1_29binary_search_config_selectorIsiEEZNS1_14transform_implILb0ES3_S5_N6thrust23THRUST_200600_302600_NS6detail15normal_iteratorINS8_7pointerIsNS8_11hip_rocprim5par_tENS8_11use_defaultESE_EEEENSA_INSB_IiSD_SE_SE_EEEEZNS1_13binary_searchIS3_S5_NSA_INS8_10device_ptrIsEEEESG_SI_NS1_16binary_search_opENS9_16wrapped_functionINS8_6system6detail7generic6detail18binary_search_lessEbEEEE10hipError_tPvRmT1_T2_T3_mmT4_T5_P12ihipStream_tbEUlRKsE_EESV_SZ_S10_mS11_S14_bEUlT_E_NS1_11comp_targetILNS1_3genE8ELNS1_11target_archE1030ELNS1_3gpuE2ELNS1_3repE0EEENS1_30default_config_static_selectorELNS0_4arch9wavefront6targetE1EEEvSY_.num_agpr, 0
	.set _ZN7rocprim17ROCPRIM_400000_NS6detail17trampoline_kernelINS0_14default_configENS1_29binary_search_config_selectorIsiEEZNS1_14transform_implILb0ES3_S5_N6thrust23THRUST_200600_302600_NS6detail15normal_iteratorINS8_7pointerIsNS8_11hip_rocprim5par_tENS8_11use_defaultESE_EEEENSA_INSB_IiSD_SE_SE_EEEEZNS1_13binary_searchIS3_S5_NSA_INS8_10device_ptrIsEEEESG_SI_NS1_16binary_search_opENS9_16wrapped_functionINS8_6system6detail7generic6detail18binary_search_lessEbEEEE10hipError_tPvRmT1_T2_T3_mmT4_T5_P12ihipStream_tbEUlRKsE_EESV_SZ_S10_mS11_S14_bEUlT_E_NS1_11comp_targetILNS1_3genE8ELNS1_11target_archE1030ELNS1_3gpuE2ELNS1_3repE0EEENS1_30default_config_static_selectorELNS0_4arch9wavefront6targetE1EEEvSY_.numbered_sgpr, 0
	.set _ZN7rocprim17ROCPRIM_400000_NS6detail17trampoline_kernelINS0_14default_configENS1_29binary_search_config_selectorIsiEEZNS1_14transform_implILb0ES3_S5_N6thrust23THRUST_200600_302600_NS6detail15normal_iteratorINS8_7pointerIsNS8_11hip_rocprim5par_tENS8_11use_defaultESE_EEEENSA_INSB_IiSD_SE_SE_EEEEZNS1_13binary_searchIS3_S5_NSA_INS8_10device_ptrIsEEEESG_SI_NS1_16binary_search_opENS9_16wrapped_functionINS8_6system6detail7generic6detail18binary_search_lessEbEEEE10hipError_tPvRmT1_T2_T3_mmT4_T5_P12ihipStream_tbEUlRKsE_EESV_SZ_S10_mS11_S14_bEUlT_E_NS1_11comp_targetILNS1_3genE8ELNS1_11target_archE1030ELNS1_3gpuE2ELNS1_3repE0EEENS1_30default_config_static_selectorELNS0_4arch9wavefront6targetE1EEEvSY_.num_named_barrier, 0
	.set _ZN7rocprim17ROCPRIM_400000_NS6detail17trampoline_kernelINS0_14default_configENS1_29binary_search_config_selectorIsiEEZNS1_14transform_implILb0ES3_S5_N6thrust23THRUST_200600_302600_NS6detail15normal_iteratorINS8_7pointerIsNS8_11hip_rocprim5par_tENS8_11use_defaultESE_EEEENSA_INSB_IiSD_SE_SE_EEEEZNS1_13binary_searchIS3_S5_NSA_INS8_10device_ptrIsEEEESG_SI_NS1_16binary_search_opENS9_16wrapped_functionINS8_6system6detail7generic6detail18binary_search_lessEbEEEE10hipError_tPvRmT1_T2_T3_mmT4_T5_P12ihipStream_tbEUlRKsE_EESV_SZ_S10_mS11_S14_bEUlT_E_NS1_11comp_targetILNS1_3genE8ELNS1_11target_archE1030ELNS1_3gpuE2ELNS1_3repE0EEENS1_30default_config_static_selectorELNS0_4arch9wavefront6targetE1EEEvSY_.private_seg_size, 0
	.set _ZN7rocprim17ROCPRIM_400000_NS6detail17trampoline_kernelINS0_14default_configENS1_29binary_search_config_selectorIsiEEZNS1_14transform_implILb0ES3_S5_N6thrust23THRUST_200600_302600_NS6detail15normal_iteratorINS8_7pointerIsNS8_11hip_rocprim5par_tENS8_11use_defaultESE_EEEENSA_INSB_IiSD_SE_SE_EEEEZNS1_13binary_searchIS3_S5_NSA_INS8_10device_ptrIsEEEESG_SI_NS1_16binary_search_opENS9_16wrapped_functionINS8_6system6detail7generic6detail18binary_search_lessEbEEEE10hipError_tPvRmT1_T2_T3_mmT4_T5_P12ihipStream_tbEUlRKsE_EESV_SZ_S10_mS11_S14_bEUlT_E_NS1_11comp_targetILNS1_3genE8ELNS1_11target_archE1030ELNS1_3gpuE2ELNS1_3repE0EEENS1_30default_config_static_selectorELNS0_4arch9wavefront6targetE1EEEvSY_.uses_vcc, 0
	.set _ZN7rocprim17ROCPRIM_400000_NS6detail17trampoline_kernelINS0_14default_configENS1_29binary_search_config_selectorIsiEEZNS1_14transform_implILb0ES3_S5_N6thrust23THRUST_200600_302600_NS6detail15normal_iteratorINS8_7pointerIsNS8_11hip_rocprim5par_tENS8_11use_defaultESE_EEEENSA_INSB_IiSD_SE_SE_EEEEZNS1_13binary_searchIS3_S5_NSA_INS8_10device_ptrIsEEEESG_SI_NS1_16binary_search_opENS9_16wrapped_functionINS8_6system6detail7generic6detail18binary_search_lessEbEEEE10hipError_tPvRmT1_T2_T3_mmT4_T5_P12ihipStream_tbEUlRKsE_EESV_SZ_S10_mS11_S14_bEUlT_E_NS1_11comp_targetILNS1_3genE8ELNS1_11target_archE1030ELNS1_3gpuE2ELNS1_3repE0EEENS1_30default_config_static_selectorELNS0_4arch9wavefront6targetE1EEEvSY_.uses_flat_scratch, 0
	.set _ZN7rocprim17ROCPRIM_400000_NS6detail17trampoline_kernelINS0_14default_configENS1_29binary_search_config_selectorIsiEEZNS1_14transform_implILb0ES3_S5_N6thrust23THRUST_200600_302600_NS6detail15normal_iteratorINS8_7pointerIsNS8_11hip_rocprim5par_tENS8_11use_defaultESE_EEEENSA_INSB_IiSD_SE_SE_EEEEZNS1_13binary_searchIS3_S5_NSA_INS8_10device_ptrIsEEEESG_SI_NS1_16binary_search_opENS9_16wrapped_functionINS8_6system6detail7generic6detail18binary_search_lessEbEEEE10hipError_tPvRmT1_T2_T3_mmT4_T5_P12ihipStream_tbEUlRKsE_EESV_SZ_S10_mS11_S14_bEUlT_E_NS1_11comp_targetILNS1_3genE8ELNS1_11target_archE1030ELNS1_3gpuE2ELNS1_3repE0EEENS1_30default_config_static_selectorELNS0_4arch9wavefront6targetE1EEEvSY_.has_dyn_sized_stack, 0
	.set _ZN7rocprim17ROCPRIM_400000_NS6detail17trampoline_kernelINS0_14default_configENS1_29binary_search_config_selectorIsiEEZNS1_14transform_implILb0ES3_S5_N6thrust23THRUST_200600_302600_NS6detail15normal_iteratorINS8_7pointerIsNS8_11hip_rocprim5par_tENS8_11use_defaultESE_EEEENSA_INSB_IiSD_SE_SE_EEEEZNS1_13binary_searchIS3_S5_NSA_INS8_10device_ptrIsEEEESG_SI_NS1_16binary_search_opENS9_16wrapped_functionINS8_6system6detail7generic6detail18binary_search_lessEbEEEE10hipError_tPvRmT1_T2_T3_mmT4_T5_P12ihipStream_tbEUlRKsE_EESV_SZ_S10_mS11_S14_bEUlT_E_NS1_11comp_targetILNS1_3genE8ELNS1_11target_archE1030ELNS1_3gpuE2ELNS1_3repE0EEENS1_30default_config_static_selectorELNS0_4arch9wavefront6targetE1EEEvSY_.has_recursion, 0
	.set _ZN7rocprim17ROCPRIM_400000_NS6detail17trampoline_kernelINS0_14default_configENS1_29binary_search_config_selectorIsiEEZNS1_14transform_implILb0ES3_S5_N6thrust23THRUST_200600_302600_NS6detail15normal_iteratorINS8_7pointerIsNS8_11hip_rocprim5par_tENS8_11use_defaultESE_EEEENSA_INSB_IiSD_SE_SE_EEEEZNS1_13binary_searchIS3_S5_NSA_INS8_10device_ptrIsEEEESG_SI_NS1_16binary_search_opENS9_16wrapped_functionINS8_6system6detail7generic6detail18binary_search_lessEbEEEE10hipError_tPvRmT1_T2_T3_mmT4_T5_P12ihipStream_tbEUlRKsE_EESV_SZ_S10_mS11_S14_bEUlT_E_NS1_11comp_targetILNS1_3genE8ELNS1_11target_archE1030ELNS1_3gpuE2ELNS1_3repE0EEENS1_30default_config_static_selectorELNS0_4arch9wavefront6targetE1EEEvSY_.has_indirect_call, 0
	.section	.AMDGPU.csdata,"",@progbits
; Kernel info:
; codeLenInByte = 0
; TotalNumSgprs: 4
; NumVgprs: 0
; ScratchSize: 0
; MemoryBound: 0
; FloatMode: 240
; IeeeMode: 1
; LDSByteSize: 0 bytes/workgroup (compile time only)
; SGPRBlocks: 0
; VGPRBlocks: 0
; NumSGPRsForWavesPerEU: 4
; NumVGPRsForWavesPerEU: 1
; Occupancy: 10
; WaveLimiterHint : 0
; COMPUTE_PGM_RSRC2:SCRATCH_EN: 0
; COMPUTE_PGM_RSRC2:USER_SGPR: 6
; COMPUTE_PGM_RSRC2:TRAP_HANDLER: 0
; COMPUTE_PGM_RSRC2:TGID_X_EN: 1
; COMPUTE_PGM_RSRC2:TGID_Y_EN: 0
; COMPUTE_PGM_RSRC2:TGID_Z_EN: 0
; COMPUTE_PGM_RSRC2:TIDIG_COMP_CNT: 0
	.section	.text._ZN7rocprim17ROCPRIM_400000_NS6detail17trampoline_kernelINS0_14default_configENS1_29binary_search_config_selectorIN6thrust23THRUST_200600_302600_NS5tupleIiiNS6_9null_typeES8_S8_S8_S8_S8_S8_S8_EEiEEZNS1_14transform_implILb0ES3_SA_NS6_6detail15normal_iteratorINS6_7pointerIS9_NS6_11hip_rocprim5par_tENS6_11use_defaultESH_EEEENSD_INSE_IiSG_SH_SH_EEEEZNS1_13binary_searchIS3_SA_NSD_INS6_10device_ptrIS9_EEEESJ_SL_NS1_16binary_search_opENSC_16wrapped_functionINS6_6system6detail7generic6detail18binary_search_lessEbEEEE10hipError_tPvRmT1_T2_T3_mmT4_T5_P12ihipStream_tbEUlRKS9_E_EESY_S12_S13_mS14_S17_bEUlT_E_NS1_11comp_targetILNS1_3genE0ELNS1_11target_archE4294967295ELNS1_3gpuE0ELNS1_3repE0EEENS1_30default_config_static_selectorELNS0_4arch9wavefront6targetE1EEEvS11_,"axG",@progbits,_ZN7rocprim17ROCPRIM_400000_NS6detail17trampoline_kernelINS0_14default_configENS1_29binary_search_config_selectorIN6thrust23THRUST_200600_302600_NS5tupleIiiNS6_9null_typeES8_S8_S8_S8_S8_S8_S8_EEiEEZNS1_14transform_implILb0ES3_SA_NS6_6detail15normal_iteratorINS6_7pointerIS9_NS6_11hip_rocprim5par_tENS6_11use_defaultESH_EEEENSD_INSE_IiSG_SH_SH_EEEEZNS1_13binary_searchIS3_SA_NSD_INS6_10device_ptrIS9_EEEESJ_SL_NS1_16binary_search_opENSC_16wrapped_functionINS6_6system6detail7generic6detail18binary_search_lessEbEEEE10hipError_tPvRmT1_T2_T3_mmT4_T5_P12ihipStream_tbEUlRKS9_E_EESY_S12_S13_mS14_S17_bEUlT_E_NS1_11comp_targetILNS1_3genE0ELNS1_11target_archE4294967295ELNS1_3gpuE0ELNS1_3repE0EEENS1_30default_config_static_selectorELNS0_4arch9wavefront6targetE1EEEvS11_,comdat
	.protected	_ZN7rocprim17ROCPRIM_400000_NS6detail17trampoline_kernelINS0_14default_configENS1_29binary_search_config_selectorIN6thrust23THRUST_200600_302600_NS5tupleIiiNS6_9null_typeES8_S8_S8_S8_S8_S8_S8_EEiEEZNS1_14transform_implILb0ES3_SA_NS6_6detail15normal_iteratorINS6_7pointerIS9_NS6_11hip_rocprim5par_tENS6_11use_defaultESH_EEEENSD_INSE_IiSG_SH_SH_EEEEZNS1_13binary_searchIS3_SA_NSD_INS6_10device_ptrIS9_EEEESJ_SL_NS1_16binary_search_opENSC_16wrapped_functionINS6_6system6detail7generic6detail18binary_search_lessEbEEEE10hipError_tPvRmT1_T2_T3_mmT4_T5_P12ihipStream_tbEUlRKS9_E_EESY_S12_S13_mS14_S17_bEUlT_E_NS1_11comp_targetILNS1_3genE0ELNS1_11target_archE4294967295ELNS1_3gpuE0ELNS1_3repE0EEENS1_30default_config_static_selectorELNS0_4arch9wavefront6targetE1EEEvS11_ ; -- Begin function _ZN7rocprim17ROCPRIM_400000_NS6detail17trampoline_kernelINS0_14default_configENS1_29binary_search_config_selectorIN6thrust23THRUST_200600_302600_NS5tupleIiiNS6_9null_typeES8_S8_S8_S8_S8_S8_S8_EEiEEZNS1_14transform_implILb0ES3_SA_NS6_6detail15normal_iteratorINS6_7pointerIS9_NS6_11hip_rocprim5par_tENS6_11use_defaultESH_EEEENSD_INSE_IiSG_SH_SH_EEEEZNS1_13binary_searchIS3_SA_NSD_INS6_10device_ptrIS9_EEEESJ_SL_NS1_16binary_search_opENSC_16wrapped_functionINS6_6system6detail7generic6detail18binary_search_lessEbEEEE10hipError_tPvRmT1_T2_T3_mmT4_T5_P12ihipStream_tbEUlRKS9_E_EESY_S12_S13_mS14_S17_bEUlT_E_NS1_11comp_targetILNS1_3genE0ELNS1_11target_archE4294967295ELNS1_3gpuE0ELNS1_3repE0EEENS1_30default_config_static_selectorELNS0_4arch9wavefront6targetE1EEEvS11_
	.globl	_ZN7rocprim17ROCPRIM_400000_NS6detail17trampoline_kernelINS0_14default_configENS1_29binary_search_config_selectorIN6thrust23THRUST_200600_302600_NS5tupleIiiNS6_9null_typeES8_S8_S8_S8_S8_S8_S8_EEiEEZNS1_14transform_implILb0ES3_SA_NS6_6detail15normal_iteratorINS6_7pointerIS9_NS6_11hip_rocprim5par_tENS6_11use_defaultESH_EEEENSD_INSE_IiSG_SH_SH_EEEEZNS1_13binary_searchIS3_SA_NSD_INS6_10device_ptrIS9_EEEESJ_SL_NS1_16binary_search_opENSC_16wrapped_functionINS6_6system6detail7generic6detail18binary_search_lessEbEEEE10hipError_tPvRmT1_T2_T3_mmT4_T5_P12ihipStream_tbEUlRKS9_E_EESY_S12_S13_mS14_S17_bEUlT_E_NS1_11comp_targetILNS1_3genE0ELNS1_11target_archE4294967295ELNS1_3gpuE0ELNS1_3repE0EEENS1_30default_config_static_selectorELNS0_4arch9wavefront6targetE1EEEvS11_
	.p2align	8
	.type	_ZN7rocprim17ROCPRIM_400000_NS6detail17trampoline_kernelINS0_14default_configENS1_29binary_search_config_selectorIN6thrust23THRUST_200600_302600_NS5tupleIiiNS6_9null_typeES8_S8_S8_S8_S8_S8_S8_EEiEEZNS1_14transform_implILb0ES3_SA_NS6_6detail15normal_iteratorINS6_7pointerIS9_NS6_11hip_rocprim5par_tENS6_11use_defaultESH_EEEENSD_INSE_IiSG_SH_SH_EEEEZNS1_13binary_searchIS3_SA_NSD_INS6_10device_ptrIS9_EEEESJ_SL_NS1_16binary_search_opENSC_16wrapped_functionINS6_6system6detail7generic6detail18binary_search_lessEbEEEE10hipError_tPvRmT1_T2_T3_mmT4_T5_P12ihipStream_tbEUlRKS9_E_EESY_S12_S13_mS14_S17_bEUlT_E_NS1_11comp_targetILNS1_3genE0ELNS1_11target_archE4294967295ELNS1_3gpuE0ELNS1_3repE0EEENS1_30default_config_static_selectorELNS0_4arch9wavefront6targetE1EEEvS11_,@function
_ZN7rocprim17ROCPRIM_400000_NS6detail17trampoline_kernelINS0_14default_configENS1_29binary_search_config_selectorIN6thrust23THRUST_200600_302600_NS5tupleIiiNS6_9null_typeES8_S8_S8_S8_S8_S8_S8_EEiEEZNS1_14transform_implILb0ES3_SA_NS6_6detail15normal_iteratorINS6_7pointerIS9_NS6_11hip_rocprim5par_tENS6_11use_defaultESH_EEEENSD_INSE_IiSG_SH_SH_EEEEZNS1_13binary_searchIS3_SA_NSD_INS6_10device_ptrIS9_EEEESJ_SL_NS1_16binary_search_opENSC_16wrapped_functionINS6_6system6detail7generic6detail18binary_search_lessEbEEEE10hipError_tPvRmT1_T2_T3_mmT4_T5_P12ihipStream_tbEUlRKS9_E_EESY_S12_S13_mS14_S17_bEUlT_E_NS1_11comp_targetILNS1_3genE0ELNS1_11target_archE4294967295ELNS1_3gpuE0ELNS1_3repE0EEENS1_30default_config_static_selectorELNS0_4arch9wavefront6targetE1EEEvS11_: ; @_ZN7rocprim17ROCPRIM_400000_NS6detail17trampoline_kernelINS0_14default_configENS1_29binary_search_config_selectorIN6thrust23THRUST_200600_302600_NS5tupleIiiNS6_9null_typeES8_S8_S8_S8_S8_S8_S8_EEiEEZNS1_14transform_implILb0ES3_SA_NS6_6detail15normal_iteratorINS6_7pointerIS9_NS6_11hip_rocprim5par_tENS6_11use_defaultESH_EEEENSD_INSE_IiSG_SH_SH_EEEEZNS1_13binary_searchIS3_SA_NSD_INS6_10device_ptrIS9_EEEESJ_SL_NS1_16binary_search_opENSC_16wrapped_functionINS6_6system6detail7generic6detail18binary_search_lessEbEEEE10hipError_tPvRmT1_T2_T3_mmT4_T5_P12ihipStream_tbEUlRKS9_E_EESY_S12_S13_mS14_S17_bEUlT_E_NS1_11comp_targetILNS1_3genE0ELNS1_11target_archE4294967295ELNS1_3gpuE0ELNS1_3repE0EEENS1_30default_config_static_selectorELNS0_4arch9wavefront6targetE1EEEvS11_
; %bb.0:
	.section	.rodata,"a",@progbits
	.p2align	6, 0x0
	.amdhsa_kernel _ZN7rocprim17ROCPRIM_400000_NS6detail17trampoline_kernelINS0_14default_configENS1_29binary_search_config_selectorIN6thrust23THRUST_200600_302600_NS5tupleIiiNS6_9null_typeES8_S8_S8_S8_S8_S8_S8_EEiEEZNS1_14transform_implILb0ES3_SA_NS6_6detail15normal_iteratorINS6_7pointerIS9_NS6_11hip_rocprim5par_tENS6_11use_defaultESH_EEEENSD_INSE_IiSG_SH_SH_EEEEZNS1_13binary_searchIS3_SA_NSD_INS6_10device_ptrIS9_EEEESJ_SL_NS1_16binary_search_opENSC_16wrapped_functionINS6_6system6detail7generic6detail18binary_search_lessEbEEEE10hipError_tPvRmT1_T2_T3_mmT4_T5_P12ihipStream_tbEUlRKS9_E_EESY_S12_S13_mS14_S17_bEUlT_E_NS1_11comp_targetILNS1_3genE0ELNS1_11target_archE4294967295ELNS1_3gpuE0ELNS1_3repE0EEENS1_30default_config_static_selectorELNS0_4arch9wavefront6targetE1EEEvS11_
		.amdhsa_group_segment_fixed_size 0
		.amdhsa_private_segment_fixed_size 0
		.amdhsa_kernarg_size 56
		.amdhsa_user_sgpr_count 6
		.amdhsa_user_sgpr_private_segment_buffer 1
		.amdhsa_user_sgpr_dispatch_ptr 0
		.amdhsa_user_sgpr_queue_ptr 0
		.amdhsa_user_sgpr_kernarg_segment_ptr 1
		.amdhsa_user_sgpr_dispatch_id 0
		.amdhsa_user_sgpr_flat_scratch_init 0
		.amdhsa_user_sgpr_private_segment_size 0
		.amdhsa_uses_dynamic_stack 0
		.amdhsa_system_sgpr_private_segment_wavefront_offset 0
		.amdhsa_system_sgpr_workgroup_id_x 1
		.amdhsa_system_sgpr_workgroup_id_y 0
		.amdhsa_system_sgpr_workgroup_id_z 0
		.amdhsa_system_sgpr_workgroup_info 0
		.amdhsa_system_vgpr_workitem_id 0
		.amdhsa_next_free_vgpr 1
		.amdhsa_next_free_sgpr 0
		.amdhsa_reserve_vcc 0
		.amdhsa_reserve_flat_scratch 0
		.amdhsa_float_round_mode_32 0
		.amdhsa_float_round_mode_16_64 0
		.amdhsa_float_denorm_mode_32 3
		.amdhsa_float_denorm_mode_16_64 3
		.amdhsa_dx10_clamp 1
		.amdhsa_ieee_mode 1
		.amdhsa_fp16_overflow 0
		.amdhsa_exception_fp_ieee_invalid_op 0
		.amdhsa_exception_fp_denorm_src 0
		.amdhsa_exception_fp_ieee_div_zero 0
		.amdhsa_exception_fp_ieee_overflow 0
		.amdhsa_exception_fp_ieee_underflow 0
		.amdhsa_exception_fp_ieee_inexact 0
		.amdhsa_exception_int_div_zero 0
	.end_amdhsa_kernel
	.section	.text._ZN7rocprim17ROCPRIM_400000_NS6detail17trampoline_kernelINS0_14default_configENS1_29binary_search_config_selectorIN6thrust23THRUST_200600_302600_NS5tupleIiiNS6_9null_typeES8_S8_S8_S8_S8_S8_S8_EEiEEZNS1_14transform_implILb0ES3_SA_NS6_6detail15normal_iteratorINS6_7pointerIS9_NS6_11hip_rocprim5par_tENS6_11use_defaultESH_EEEENSD_INSE_IiSG_SH_SH_EEEEZNS1_13binary_searchIS3_SA_NSD_INS6_10device_ptrIS9_EEEESJ_SL_NS1_16binary_search_opENSC_16wrapped_functionINS6_6system6detail7generic6detail18binary_search_lessEbEEEE10hipError_tPvRmT1_T2_T3_mmT4_T5_P12ihipStream_tbEUlRKS9_E_EESY_S12_S13_mS14_S17_bEUlT_E_NS1_11comp_targetILNS1_3genE0ELNS1_11target_archE4294967295ELNS1_3gpuE0ELNS1_3repE0EEENS1_30default_config_static_selectorELNS0_4arch9wavefront6targetE1EEEvS11_,"axG",@progbits,_ZN7rocprim17ROCPRIM_400000_NS6detail17trampoline_kernelINS0_14default_configENS1_29binary_search_config_selectorIN6thrust23THRUST_200600_302600_NS5tupleIiiNS6_9null_typeES8_S8_S8_S8_S8_S8_S8_EEiEEZNS1_14transform_implILb0ES3_SA_NS6_6detail15normal_iteratorINS6_7pointerIS9_NS6_11hip_rocprim5par_tENS6_11use_defaultESH_EEEENSD_INSE_IiSG_SH_SH_EEEEZNS1_13binary_searchIS3_SA_NSD_INS6_10device_ptrIS9_EEEESJ_SL_NS1_16binary_search_opENSC_16wrapped_functionINS6_6system6detail7generic6detail18binary_search_lessEbEEEE10hipError_tPvRmT1_T2_T3_mmT4_T5_P12ihipStream_tbEUlRKS9_E_EESY_S12_S13_mS14_S17_bEUlT_E_NS1_11comp_targetILNS1_3genE0ELNS1_11target_archE4294967295ELNS1_3gpuE0ELNS1_3repE0EEENS1_30default_config_static_selectorELNS0_4arch9wavefront6targetE1EEEvS11_,comdat
.Lfunc_end725:
	.size	_ZN7rocprim17ROCPRIM_400000_NS6detail17trampoline_kernelINS0_14default_configENS1_29binary_search_config_selectorIN6thrust23THRUST_200600_302600_NS5tupleIiiNS6_9null_typeES8_S8_S8_S8_S8_S8_S8_EEiEEZNS1_14transform_implILb0ES3_SA_NS6_6detail15normal_iteratorINS6_7pointerIS9_NS6_11hip_rocprim5par_tENS6_11use_defaultESH_EEEENSD_INSE_IiSG_SH_SH_EEEEZNS1_13binary_searchIS3_SA_NSD_INS6_10device_ptrIS9_EEEESJ_SL_NS1_16binary_search_opENSC_16wrapped_functionINS6_6system6detail7generic6detail18binary_search_lessEbEEEE10hipError_tPvRmT1_T2_T3_mmT4_T5_P12ihipStream_tbEUlRKS9_E_EESY_S12_S13_mS14_S17_bEUlT_E_NS1_11comp_targetILNS1_3genE0ELNS1_11target_archE4294967295ELNS1_3gpuE0ELNS1_3repE0EEENS1_30default_config_static_selectorELNS0_4arch9wavefront6targetE1EEEvS11_, .Lfunc_end725-_ZN7rocprim17ROCPRIM_400000_NS6detail17trampoline_kernelINS0_14default_configENS1_29binary_search_config_selectorIN6thrust23THRUST_200600_302600_NS5tupleIiiNS6_9null_typeES8_S8_S8_S8_S8_S8_S8_EEiEEZNS1_14transform_implILb0ES3_SA_NS6_6detail15normal_iteratorINS6_7pointerIS9_NS6_11hip_rocprim5par_tENS6_11use_defaultESH_EEEENSD_INSE_IiSG_SH_SH_EEEEZNS1_13binary_searchIS3_SA_NSD_INS6_10device_ptrIS9_EEEESJ_SL_NS1_16binary_search_opENSC_16wrapped_functionINS6_6system6detail7generic6detail18binary_search_lessEbEEEE10hipError_tPvRmT1_T2_T3_mmT4_T5_P12ihipStream_tbEUlRKS9_E_EESY_S12_S13_mS14_S17_bEUlT_E_NS1_11comp_targetILNS1_3genE0ELNS1_11target_archE4294967295ELNS1_3gpuE0ELNS1_3repE0EEENS1_30default_config_static_selectorELNS0_4arch9wavefront6targetE1EEEvS11_
                                        ; -- End function
	.set _ZN7rocprim17ROCPRIM_400000_NS6detail17trampoline_kernelINS0_14default_configENS1_29binary_search_config_selectorIN6thrust23THRUST_200600_302600_NS5tupleIiiNS6_9null_typeES8_S8_S8_S8_S8_S8_S8_EEiEEZNS1_14transform_implILb0ES3_SA_NS6_6detail15normal_iteratorINS6_7pointerIS9_NS6_11hip_rocprim5par_tENS6_11use_defaultESH_EEEENSD_INSE_IiSG_SH_SH_EEEEZNS1_13binary_searchIS3_SA_NSD_INS6_10device_ptrIS9_EEEESJ_SL_NS1_16binary_search_opENSC_16wrapped_functionINS6_6system6detail7generic6detail18binary_search_lessEbEEEE10hipError_tPvRmT1_T2_T3_mmT4_T5_P12ihipStream_tbEUlRKS9_E_EESY_S12_S13_mS14_S17_bEUlT_E_NS1_11comp_targetILNS1_3genE0ELNS1_11target_archE4294967295ELNS1_3gpuE0ELNS1_3repE0EEENS1_30default_config_static_selectorELNS0_4arch9wavefront6targetE1EEEvS11_.num_vgpr, 0
	.set _ZN7rocprim17ROCPRIM_400000_NS6detail17trampoline_kernelINS0_14default_configENS1_29binary_search_config_selectorIN6thrust23THRUST_200600_302600_NS5tupleIiiNS6_9null_typeES8_S8_S8_S8_S8_S8_S8_EEiEEZNS1_14transform_implILb0ES3_SA_NS6_6detail15normal_iteratorINS6_7pointerIS9_NS6_11hip_rocprim5par_tENS6_11use_defaultESH_EEEENSD_INSE_IiSG_SH_SH_EEEEZNS1_13binary_searchIS3_SA_NSD_INS6_10device_ptrIS9_EEEESJ_SL_NS1_16binary_search_opENSC_16wrapped_functionINS6_6system6detail7generic6detail18binary_search_lessEbEEEE10hipError_tPvRmT1_T2_T3_mmT4_T5_P12ihipStream_tbEUlRKS9_E_EESY_S12_S13_mS14_S17_bEUlT_E_NS1_11comp_targetILNS1_3genE0ELNS1_11target_archE4294967295ELNS1_3gpuE0ELNS1_3repE0EEENS1_30default_config_static_selectorELNS0_4arch9wavefront6targetE1EEEvS11_.num_agpr, 0
	.set _ZN7rocprim17ROCPRIM_400000_NS6detail17trampoline_kernelINS0_14default_configENS1_29binary_search_config_selectorIN6thrust23THRUST_200600_302600_NS5tupleIiiNS6_9null_typeES8_S8_S8_S8_S8_S8_S8_EEiEEZNS1_14transform_implILb0ES3_SA_NS6_6detail15normal_iteratorINS6_7pointerIS9_NS6_11hip_rocprim5par_tENS6_11use_defaultESH_EEEENSD_INSE_IiSG_SH_SH_EEEEZNS1_13binary_searchIS3_SA_NSD_INS6_10device_ptrIS9_EEEESJ_SL_NS1_16binary_search_opENSC_16wrapped_functionINS6_6system6detail7generic6detail18binary_search_lessEbEEEE10hipError_tPvRmT1_T2_T3_mmT4_T5_P12ihipStream_tbEUlRKS9_E_EESY_S12_S13_mS14_S17_bEUlT_E_NS1_11comp_targetILNS1_3genE0ELNS1_11target_archE4294967295ELNS1_3gpuE0ELNS1_3repE0EEENS1_30default_config_static_selectorELNS0_4arch9wavefront6targetE1EEEvS11_.numbered_sgpr, 0
	.set _ZN7rocprim17ROCPRIM_400000_NS6detail17trampoline_kernelINS0_14default_configENS1_29binary_search_config_selectorIN6thrust23THRUST_200600_302600_NS5tupleIiiNS6_9null_typeES8_S8_S8_S8_S8_S8_S8_EEiEEZNS1_14transform_implILb0ES3_SA_NS6_6detail15normal_iteratorINS6_7pointerIS9_NS6_11hip_rocprim5par_tENS6_11use_defaultESH_EEEENSD_INSE_IiSG_SH_SH_EEEEZNS1_13binary_searchIS3_SA_NSD_INS6_10device_ptrIS9_EEEESJ_SL_NS1_16binary_search_opENSC_16wrapped_functionINS6_6system6detail7generic6detail18binary_search_lessEbEEEE10hipError_tPvRmT1_T2_T3_mmT4_T5_P12ihipStream_tbEUlRKS9_E_EESY_S12_S13_mS14_S17_bEUlT_E_NS1_11comp_targetILNS1_3genE0ELNS1_11target_archE4294967295ELNS1_3gpuE0ELNS1_3repE0EEENS1_30default_config_static_selectorELNS0_4arch9wavefront6targetE1EEEvS11_.num_named_barrier, 0
	.set _ZN7rocprim17ROCPRIM_400000_NS6detail17trampoline_kernelINS0_14default_configENS1_29binary_search_config_selectorIN6thrust23THRUST_200600_302600_NS5tupleIiiNS6_9null_typeES8_S8_S8_S8_S8_S8_S8_EEiEEZNS1_14transform_implILb0ES3_SA_NS6_6detail15normal_iteratorINS6_7pointerIS9_NS6_11hip_rocprim5par_tENS6_11use_defaultESH_EEEENSD_INSE_IiSG_SH_SH_EEEEZNS1_13binary_searchIS3_SA_NSD_INS6_10device_ptrIS9_EEEESJ_SL_NS1_16binary_search_opENSC_16wrapped_functionINS6_6system6detail7generic6detail18binary_search_lessEbEEEE10hipError_tPvRmT1_T2_T3_mmT4_T5_P12ihipStream_tbEUlRKS9_E_EESY_S12_S13_mS14_S17_bEUlT_E_NS1_11comp_targetILNS1_3genE0ELNS1_11target_archE4294967295ELNS1_3gpuE0ELNS1_3repE0EEENS1_30default_config_static_selectorELNS0_4arch9wavefront6targetE1EEEvS11_.private_seg_size, 0
	.set _ZN7rocprim17ROCPRIM_400000_NS6detail17trampoline_kernelINS0_14default_configENS1_29binary_search_config_selectorIN6thrust23THRUST_200600_302600_NS5tupleIiiNS6_9null_typeES8_S8_S8_S8_S8_S8_S8_EEiEEZNS1_14transform_implILb0ES3_SA_NS6_6detail15normal_iteratorINS6_7pointerIS9_NS6_11hip_rocprim5par_tENS6_11use_defaultESH_EEEENSD_INSE_IiSG_SH_SH_EEEEZNS1_13binary_searchIS3_SA_NSD_INS6_10device_ptrIS9_EEEESJ_SL_NS1_16binary_search_opENSC_16wrapped_functionINS6_6system6detail7generic6detail18binary_search_lessEbEEEE10hipError_tPvRmT1_T2_T3_mmT4_T5_P12ihipStream_tbEUlRKS9_E_EESY_S12_S13_mS14_S17_bEUlT_E_NS1_11comp_targetILNS1_3genE0ELNS1_11target_archE4294967295ELNS1_3gpuE0ELNS1_3repE0EEENS1_30default_config_static_selectorELNS0_4arch9wavefront6targetE1EEEvS11_.uses_vcc, 0
	.set _ZN7rocprim17ROCPRIM_400000_NS6detail17trampoline_kernelINS0_14default_configENS1_29binary_search_config_selectorIN6thrust23THRUST_200600_302600_NS5tupleIiiNS6_9null_typeES8_S8_S8_S8_S8_S8_S8_EEiEEZNS1_14transform_implILb0ES3_SA_NS6_6detail15normal_iteratorINS6_7pointerIS9_NS6_11hip_rocprim5par_tENS6_11use_defaultESH_EEEENSD_INSE_IiSG_SH_SH_EEEEZNS1_13binary_searchIS3_SA_NSD_INS6_10device_ptrIS9_EEEESJ_SL_NS1_16binary_search_opENSC_16wrapped_functionINS6_6system6detail7generic6detail18binary_search_lessEbEEEE10hipError_tPvRmT1_T2_T3_mmT4_T5_P12ihipStream_tbEUlRKS9_E_EESY_S12_S13_mS14_S17_bEUlT_E_NS1_11comp_targetILNS1_3genE0ELNS1_11target_archE4294967295ELNS1_3gpuE0ELNS1_3repE0EEENS1_30default_config_static_selectorELNS0_4arch9wavefront6targetE1EEEvS11_.uses_flat_scratch, 0
	.set _ZN7rocprim17ROCPRIM_400000_NS6detail17trampoline_kernelINS0_14default_configENS1_29binary_search_config_selectorIN6thrust23THRUST_200600_302600_NS5tupleIiiNS6_9null_typeES8_S8_S8_S8_S8_S8_S8_EEiEEZNS1_14transform_implILb0ES3_SA_NS6_6detail15normal_iteratorINS6_7pointerIS9_NS6_11hip_rocprim5par_tENS6_11use_defaultESH_EEEENSD_INSE_IiSG_SH_SH_EEEEZNS1_13binary_searchIS3_SA_NSD_INS6_10device_ptrIS9_EEEESJ_SL_NS1_16binary_search_opENSC_16wrapped_functionINS6_6system6detail7generic6detail18binary_search_lessEbEEEE10hipError_tPvRmT1_T2_T3_mmT4_T5_P12ihipStream_tbEUlRKS9_E_EESY_S12_S13_mS14_S17_bEUlT_E_NS1_11comp_targetILNS1_3genE0ELNS1_11target_archE4294967295ELNS1_3gpuE0ELNS1_3repE0EEENS1_30default_config_static_selectorELNS0_4arch9wavefront6targetE1EEEvS11_.has_dyn_sized_stack, 0
	.set _ZN7rocprim17ROCPRIM_400000_NS6detail17trampoline_kernelINS0_14default_configENS1_29binary_search_config_selectorIN6thrust23THRUST_200600_302600_NS5tupleIiiNS6_9null_typeES8_S8_S8_S8_S8_S8_S8_EEiEEZNS1_14transform_implILb0ES3_SA_NS6_6detail15normal_iteratorINS6_7pointerIS9_NS6_11hip_rocprim5par_tENS6_11use_defaultESH_EEEENSD_INSE_IiSG_SH_SH_EEEEZNS1_13binary_searchIS3_SA_NSD_INS6_10device_ptrIS9_EEEESJ_SL_NS1_16binary_search_opENSC_16wrapped_functionINS6_6system6detail7generic6detail18binary_search_lessEbEEEE10hipError_tPvRmT1_T2_T3_mmT4_T5_P12ihipStream_tbEUlRKS9_E_EESY_S12_S13_mS14_S17_bEUlT_E_NS1_11comp_targetILNS1_3genE0ELNS1_11target_archE4294967295ELNS1_3gpuE0ELNS1_3repE0EEENS1_30default_config_static_selectorELNS0_4arch9wavefront6targetE1EEEvS11_.has_recursion, 0
	.set _ZN7rocprim17ROCPRIM_400000_NS6detail17trampoline_kernelINS0_14default_configENS1_29binary_search_config_selectorIN6thrust23THRUST_200600_302600_NS5tupleIiiNS6_9null_typeES8_S8_S8_S8_S8_S8_S8_EEiEEZNS1_14transform_implILb0ES3_SA_NS6_6detail15normal_iteratorINS6_7pointerIS9_NS6_11hip_rocprim5par_tENS6_11use_defaultESH_EEEENSD_INSE_IiSG_SH_SH_EEEEZNS1_13binary_searchIS3_SA_NSD_INS6_10device_ptrIS9_EEEESJ_SL_NS1_16binary_search_opENSC_16wrapped_functionINS6_6system6detail7generic6detail18binary_search_lessEbEEEE10hipError_tPvRmT1_T2_T3_mmT4_T5_P12ihipStream_tbEUlRKS9_E_EESY_S12_S13_mS14_S17_bEUlT_E_NS1_11comp_targetILNS1_3genE0ELNS1_11target_archE4294967295ELNS1_3gpuE0ELNS1_3repE0EEENS1_30default_config_static_selectorELNS0_4arch9wavefront6targetE1EEEvS11_.has_indirect_call, 0
	.section	.AMDGPU.csdata,"",@progbits
; Kernel info:
; codeLenInByte = 0
; TotalNumSgprs: 4
; NumVgprs: 0
; ScratchSize: 0
; MemoryBound: 0
; FloatMode: 240
; IeeeMode: 1
; LDSByteSize: 0 bytes/workgroup (compile time only)
; SGPRBlocks: 0
; VGPRBlocks: 0
; NumSGPRsForWavesPerEU: 4
; NumVGPRsForWavesPerEU: 1
; Occupancy: 10
; WaveLimiterHint : 0
; COMPUTE_PGM_RSRC2:SCRATCH_EN: 0
; COMPUTE_PGM_RSRC2:USER_SGPR: 6
; COMPUTE_PGM_RSRC2:TRAP_HANDLER: 0
; COMPUTE_PGM_RSRC2:TGID_X_EN: 1
; COMPUTE_PGM_RSRC2:TGID_Y_EN: 0
; COMPUTE_PGM_RSRC2:TGID_Z_EN: 0
; COMPUTE_PGM_RSRC2:TIDIG_COMP_CNT: 0
	.section	.text._ZN7rocprim17ROCPRIM_400000_NS6detail17trampoline_kernelINS0_14default_configENS1_29binary_search_config_selectorIN6thrust23THRUST_200600_302600_NS5tupleIiiNS6_9null_typeES8_S8_S8_S8_S8_S8_S8_EEiEEZNS1_14transform_implILb0ES3_SA_NS6_6detail15normal_iteratorINS6_7pointerIS9_NS6_11hip_rocprim5par_tENS6_11use_defaultESH_EEEENSD_INSE_IiSG_SH_SH_EEEEZNS1_13binary_searchIS3_SA_NSD_INS6_10device_ptrIS9_EEEESJ_SL_NS1_16binary_search_opENSC_16wrapped_functionINS6_6system6detail7generic6detail18binary_search_lessEbEEEE10hipError_tPvRmT1_T2_T3_mmT4_T5_P12ihipStream_tbEUlRKS9_E_EESY_S12_S13_mS14_S17_bEUlT_E_NS1_11comp_targetILNS1_3genE5ELNS1_11target_archE942ELNS1_3gpuE9ELNS1_3repE0EEENS1_30default_config_static_selectorELNS0_4arch9wavefront6targetE1EEEvS11_,"axG",@progbits,_ZN7rocprim17ROCPRIM_400000_NS6detail17trampoline_kernelINS0_14default_configENS1_29binary_search_config_selectorIN6thrust23THRUST_200600_302600_NS5tupleIiiNS6_9null_typeES8_S8_S8_S8_S8_S8_S8_EEiEEZNS1_14transform_implILb0ES3_SA_NS6_6detail15normal_iteratorINS6_7pointerIS9_NS6_11hip_rocprim5par_tENS6_11use_defaultESH_EEEENSD_INSE_IiSG_SH_SH_EEEEZNS1_13binary_searchIS3_SA_NSD_INS6_10device_ptrIS9_EEEESJ_SL_NS1_16binary_search_opENSC_16wrapped_functionINS6_6system6detail7generic6detail18binary_search_lessEbEEEE10hipError_tPvRmT1_T2_T3_mmT4_T5_P12ihipStream_tbEUlRKS9_E_EESY_S12_S13_mS14_S17_bEUlT_E_NS1_11comp_targetILNS1_3genE5ELNS1_11target_archE942ELNS1_3gpuE9ELNS1_3repE0EEENS1_30default_config_static_selectorELNS0_4arch9wavefront6targetE1EEEvS11_,comdat
	.protected	_ZN7rocprim17ROCPRIM_400000_NS6detail17trampoline_kernelINS0_14default_configENS1_29binary_search_config_selectorIN6thrust23THRUST_200600_302600_NS5tupleIiiNS6_9null_typeES8_S8_S8_S8_S8_S8_S8_EEiEEZNS1_14transform_implILb0ES3_SA_NS6_6detail15normal_iteratorINS6_7pointerIS9_NS6_11hip_rocprim5par_tENS6_11use_defaultESH_EEEENSD_INSE_IiSG_SH_SH_EEEEZNS1_13binary_searchIS3_SA_NSD_INS6_10device_ptrIS9_EEEESJ_SL_NS1_16binary_search_opENSC_16wrapped_functionINS6_6system6detail7generic6detail18binary_search_lessEbEEEE10hipError_tPvRmT1_T2_T3_mmT4_T5_P12ihipStream_tbEUlRKS9_E_EESY_S12_S13_mS14_S17_bEUlT_E_NS1_11comp_targetILNS1_3genE5ELNS1_11target_archE942ELNS1_3gpuE9ELNS1_3repE0EEENS1_30default_config_static_selectorELNS0_4arch9wavefront6targetE1EEEvS11_ ; -- Begin function _ZN7rocprim17ROCPRIM_400000_NS6detail17trampoline_kernelINS0_14default_configENS1_29binary_search_config_selectorIN6thrust23THRUST_200600_302600_NS5tupleIiiNS6_9null_typeES8_S8_S8_S8_S8_S8_S8_EEiEEZNS1_14transform_implILb0ES3_SA_NS6_6detail15normal_iteratorINS6_7pointerIS9_NS6_11hip_rocprim5par_tENS6_11use_defaultESH_EEEENSD_INSE_IiSG_SH_SH_EEEEZNS1_13binary_searchIS3_SA_NSD_INS6_10device_ptrIS9_EEEESJ_SL_NS1_16binary_search_opENSC_16wrapped_functionINS6_6system6detail7generic6detail18binary_search_lessEbEEEE10hipError_tPvRmT1_T2_T3_mmT4_T5_P12ihipStream_tbEUlRKS9_E_EESY_S12_S13_mS14_S17_bEUlT_E_NS1_11comp_targetILNS1_3genE5ELNS1_11target_archE942ELNS1_3gpuE9ELNS1_3repE0EEENS1_30default_config_static_selectorELNS0_4arch9wavefront6targetE1EEEvS11_
	.globl	_ZN7rocprim17ROCPRIM_400000_NS6detail17trampoline_kernelINS0_14default_configENS1_29binary_search_config_selectorIN6thrust23THRUST_200600_302600_NS5tupleIiiNS6_9null_typeES8_S8_S8_S8_S8_S8_S8_EEiEEZNS1_14transform_implILb0ES3_SA_NS6_6detail15normal_iteratorINS6_7pointerIS9_NS6_11hip_rocprim5par_tENS6_11use_defaultESH_EEEENSD_INSE_IiSG_SH_SH_EEEEZNS1_13binary_searchIS3_SA_NSD_INS6_10device_ptrIS9_EEEESJ_SL_NS1_16binary_search_opENSC_16wrapped_functionINS6_6system6detail7generic6detail18binary_search_lessEbEEEE10hipError_tPvRmT1_T2_T3_mmT4_T5_P12ihipStream_tbEUlRKS9_E_EESY_S12_S13_mS14_S17_bEUlT_E_NS1_11comp_targetILNS1_3genE5ELNS1_11target_archE942ELNS1_3gpuE9ELNS1_3repE0EEENS1_30default_config_static_selectorELNS0_4arch9wavefront6targetE1EEEvS11_
	.p2align	8
	.type	_ZN7rocprim17ROCPRIM_400000_NS6detail17trampoline_kernelINS0_14default_configENS1_29binary_search_config_selectorIN6thrust23THRUST_200600_302600_NS5tupleIiiNS6_9null_typeES8_S8_S8_S8_S8_S8_S8_EEiEEZNS1_14transform_implILb0ES3_SA_NS6_6detail15normal_iteratorINS6_7pointerIS9_NS6_11hip_rocprim5par_tENS6_11use_defaultESH_EEEENSD_INSE_IiSG_SH_SH_EEEEZNS1_13binary_searchIS3_SA_NSD_INS6_10device_ptrIS9_EEEESJ_SL_NS1_16binary_search_opENSC_16wrapped_functionINS6_6system6detail7generic6detail18binary_search_lessEbEEEE10hipError_tPvRmT1_T2_T3_mmT4_T5_P12ihipStream_tbEUlRKS9_E_EESY_S12_S13_mS14_S17_bEUlT_E_NS1_11comp_targetILNS1_3genE5ELNS1_11target_archE942ELNS1_3gpuE9ELNS1_3repE0EEENS1_30default_config_static_selectorELNS0_4arch9wavefront6targetE1EEEvS11_,@function
_ZN7rocprim17ROCPRIM_400000_NS6detail17trampoline_kernelINS0_14default_configENS1_29binary_search_config_selectorIN6thrust23THRUST_200600_302600_NS5tupleIiiNS6_9null_typeES8_S8_S8_S8_S8_S8_S8_EEiEEZNS1_14transform_implILb0ES3_SA_NS6_6detail15normal_iteratorINS6_7pointerIS9_NS6_11hip_rocprim5par_tENS6_11use_defaultESH_EEEENSD_INSE_IiSG_SH_SH_EEEEZNS1_13binary_searchIS3_SA_NSD_INS6_10device_ptrIS9_EEEESJ_SL_NS1_16binary_search_opENSC_16wrapped_functionINS6_6system6detail7generic6detail18binary_search_lessEbEEEE10hipError_tPvRmT1_T2_T3_mmT4_T5_P12ihipStream_tbEUlRKS9_E_EESY_S12_S13_mS14_S17_bEUlT_E_NS1_11comp_targetILNS1_3genE5ELNS1_11target_archE942ELNS1_3gpuE9ELNS1_3repE0EEENS1_30default_config_static_selectorELNS0_4arch9wavefront6targetE1EEEvS11_: ; @_ZN7rocprim17ROCPRIM_400000_NS6detail17trampoline_kernelINS0_14default_configENS1_29binary_search_config_selectorIN6thrust23THRUST_200600_302600_NS5tupleIiiNS6_9null_typeES8_S8_S8_S8_S8_S8_S8_EEiEEZNS1_14transform_implILb0ES3_SA_NS6_6detail15normal_iteratorINS6_7pointerIS9_NS6_11hip_rocprim5par_tENS6_11use_defaultESH_EEEENSD_INSE_IiSG_SH_SH_EEEEZNS1_13binary_searchIS3_SA_NSD_INS6_10device_ptrIS9_EEEESJ_SL_NS1_16binary_search_opENSC_16wrapped_functionINS6_6system6detail7generic6detail18binary_search_lessEbEEEE10hipError_tPvRmT1_T2_T3_mmT4_T5_P12ihipStream_tbEUlRKS9_E_EESY_S12_S13_mS14_S17_bEUlT_E_NS1_11comp_targetILNS1_3genE5ELNS1_11target_archE942ELNS1_3gpuE9ELNS1_3repE0EEENS1_30default_config_static_selectorELNS0_4arch9wavefront6targetE1EEEvS11_
; %bb.0:
	.section	.rodata,"a",@progbits
	.p2align	6, 0x0
	.amdhsa_kernel _ZN7rocprim17ROCPRIM_400000_NS6detail17trampoline_kernelINS0_14default_configENS1_29binary_search_config_selectorIN6thrust23THRUST_200600_302600_NS5tupleIiiNS6_9null_typeES8_S8_S8_S8_S8_S8_S8_EEiEEZNS1_14transform_implILb0ES3_SA_NS6_6detail15normal_iteratorINS6_7pointerIS9_NS6_11hip_rocprim5par_tENS6_11use_defaultESH_EEEENSD_INSE_IiSG_SH_SH_EEEEZNS1_13binary_searchIS3_SA_NSD_INS6_10device_ptrIS9_EEEESJ_SL_NS1_16binary_search_opENSC_16wrapped_functionINS6_6system6detail7generic6detail18binary_search_lessEbEEEE10hipError_tPvRmT1_T2_T3_mmT4_T5_P12ihipStream_tbEUlRKS9_E_EESY_S12_S13_mS14_S17_bEUlT_E_NS1_11comp_targetILNS1_3genE5ELNS1_11target_archE942ELNS1_3gpuE9ELNS1_3repE0EEENS1_30default_config_static_selectorELNS0_4arch9wavefront6targetE1EEEvS11_
		.amdhsa_group_segment_fixed_size 0
		.amdhsa_private_segment_fixed_size 0
		.amdhsa_kernarg_size 56
		.amdhsa_user_sgpr_count 6
		.amdhsa_user_sgpr_private_segment_buffer 1
		.amdhsa_user_sgpr_dispatch_ptr 0
		.amdhsa_user_sgpr_queue_ptr 0
		.amdhsa_user_sgpr_kernarg_segment_ptr 1
		.amdhsa_user_sgpr_dispatch_id 0
		.amdhsa_user_sgpr_flat_scratch_init 0
		.amdhsa_user_sgpr_private_segment_size 0
		.amdhsa_uses_dynamic_stack 0
		.amdhsa_system_sgpr_private_segment_wavefront_offset 0
		.amdhsa_system_sgpr_workgroup_id_x 1
		.amdhsa_system_sgpr_workgroup_id_y 0
		.amdhsa_system_sgpr_workgroup_id_z 0
		.amdhsa_system_sgpr_workgroup_info 0
		.amdhsa_system_vgpr_workitem_id 0
		.amdhsa_next_free_vgpr 1
		.amdhsa_next_free_sgpr 0
		.amdhsa_reserve_vcc 0
		.amdhsa_reserve_flat_scratch 0
		.amdhsa_float_round_mode_32 0
		.amdhsa_float_round_mode_16_64 0
		.amdhsa_float_denorm_mode_32 3
		.amdhsa_float_denorm_mode_16_64 3
		.amdhsa_dx10_clamp 1
		.amdhsa_ieee_mode 1
		.amdhsa_fp16_overflow 0
		.amdhsa_exception_fp_ieee_invalid_op 0
		.amdhsa_exception_fp_denorm_src 0
		.amdhsa_exception_fp_ieee_div_zero 0
		.amdhsa_exception_fp_ieee_overflow 0
		.amdhsa_exception_fp_ieee_underflow 0
		.amdhsa_exception_fp_ieee_inexact 0
		.amdhsa_exception_int_div_zero 0
	.end_amdhsa_kernel
	.section	.text._ZN7rocprim17ROCPRIM_400000_NS6detail17trampoline_kernelINS0_14default_configENS1_29binary_search_config_selectorIN6thrust23THRUST_200600_302600_NS5tupleIiiNS6_9null_typeES8_S8_S8_S8_S8_S8_S8_EEiEEZNS1_14transform_implILb0ES3_SA_NS6_6detail15normal_iteratorINS6_7pointerIS9_NS6_11hip_rocprim5par_tENS6_11use_defaultESH_EEEENSD_INSE_IiSG_SH_SH_EEEEZNS1_13binary_searchIS3_SA_NSD_INS6_10device_ptrIS9_EEEESJ_SL_NS1_16binary_search_opENSC_16wrapped_functionINS6_6system6detail7generic6detail18binary_search_lessEbEEEE10hipError_tPvRmT1_T2_T3_mmT4_T5_P12ihipStream_tbEUlRKS9_E_EESY_S12_S13_mS14_S17_bEUlT_E_NS1_11comp_targetILNS1_3genE5ELNS1_11target_archE942ELNS1_3gpuE9ELNS1_3repE0EEENS1_30default_config_static_selectorELNS0_4arch9wavefront6targetE1EEEvS11_,"axG",@progbits,_ZN7rocprim17ROCPRIM_400000_NS6detail17trampoline_kernelINS0_14default_configENS1_29binary_search_config_selectorIN6thrust23THRUST_200600_302600_NS5tupleIiiNS6_9null_typeES8_S8_S8_S8_S8_S8_S8_EEiEEZNS1_14transform_implILb0ES3_SA_NS6_6detail15normal_iteratorINS6_7pointerIS9_NS6_11hip_rocprim5par_tENS6_11use_defaultESH_EEEENSD_INSE_IiSG_SH_SH_EEEEZNS1_13binary_searchIS3_SA_NSD_INS6_10device_ptrIS9_EEEESJ_SL_NS1_16binary_search_opENSC_16wrapped_functionINS6_6system6detail7generic6detail18binary_search_lessEbEEEE10hipError_tPvRmT1_T2_T3_mmT4_T5_P12ihipStream_tbEUlRKS9_E_EESY_S12_S13_mS14_S17_bEUlT_E_NS1_11comp_targetILNS1_3genE5ELNS1_11target_archE942ELNS1_3gpuE9ELNS1_3repE0EEENS1_30default_config_static_selectorELNS0_4arch9wavefront6targetE1EEEvS11_,comdat
.Lfunc_end726:
	.size	_ZN7rocprim17ROCPRIM_400000_NS6detail17trampoline_kernelINS0_14default_configENS1_29binary_search_config_selectorIN6thrust23THRUST_200600_302600_NS5tupleIiiNS6_9null_typeES8_S8_S8_S8_S8_S8_S8_EEiEEZNS1_14transform_implILb0ES3_SA_NS6_6detail15normal_iteratorINS6_7pointerIS9_NS6_11hip_rocprim5par_tENS6_11use_defaultESH_EEEENSD_INSE_IiSG_SH_SH_EEEEZNS1_13binary_searchIS3_SA_NSD_INS6_10device_ptrIS9_EEEESJ_SL_NS1_16binary_search_opENSC_16wrapped_functionINS6_6system6detail7generic6detail18binary_search_lessEbEEEE10hipError_tPvRmT1_T2_T3_mmT4_T5_P12ihipStream_tbEUlRKS9_E_EESY_S12_S13_mS14_S17_bEUlT_E_NS1_11comp_targetILNS1_3genE5ELNS1_11target_archE942ELNS1_3gpuE9ELNS1_3repE0EEENS1_30default_config_static_selectorELNS0_4arch9wavefront6targetE1EEEvS11_, .Lfunc_end726-_ZN7rocprim17ROCPRIM_400000_NS6detail17trampoline_kernelINS0_14default_configENS1_29binary_search_config_selectorIN6thrust23THRUST_200600_302600_NS5tupleIiiNS6_9null_typeES8_S8_S8_S8_S8_S8_S8_EEiEEZNS1_14transform_implILb0ES3_SA_NS6_6detail15normal_iteratorINS6_7pointerIS9_NS6_11hip_rocprim5par_tENS6_11use_defaultESH_EEEENSD_INSE_IiSG_SH_SH_EEEEZNS1_13binary_searchIS3_SA_NSD_INS6_10device_ptrIS9_EEEESJ_SL_NS1_16binary_search_opENSC_16wrapped_functionINS6_6system6detail7generic6detail18binary_search_lessEbEEEE10hipError_tPvRmT1_T2_T3_mmT4_T5_P12ihipStream_tbEUlRKS9_E_EESY_S12_S13_mS14_S17_bEUlT_E_NS1_11comp_targetILNS1_3genE5ELNS1_11target_archE942ELNS1_3gpuE9ELNS1_3repE0EEENS1_30default_config_static_selectorELNS0_4arch9wavefront6targetE1EEEvS11_
                                        ; -- End function
	.set _ZN7rocprim17ROCPRIM_400000_NS6detail17trampoline_kernelINS0_14default_configENS1_29binary_search_config_selectorIN6thrust23THRUST_200600_302600_NS5tupleIiiNS6_9null_typeES8_S8_S8_S8_S8_S8_S8_EEiEEZNS1_14transform_implILb0ES3_SA_NS6_6detail15normal_iteratorINS6_7pointerIS9_NS6_11hip_rocprim5par_tENS6_11use_defaultESH_EEEENSD_INSE_IiSG_SH_SH_EEEEZNS1_13binary_searchIS3_SA_NSD_INS6_10device_ptrIS9_EEEESJ_SL_NS1_16binary_search_opENSC_16wrapped_functionINS6_6system6detail7generic6detail18binary_search_lessEbEEEE10hipError_tPvRmT1_T2_T3_mmT4_T5_P12ihipStream_tbEUlRKS9_E_EESY_S12_S13_mS14_S17_bEUlT_E_NS1_11comp_targetILNS1_3genE5ELNS1_11target_archE942ELNS1_3gpuE9ELNS1_3repE0EEENS1_30default_config_static_selectorELNS0_4arch9wavefront6targetE1EEEvS11_.num_vgpr, 0
	.set _ZN7rocprim17ROCPRIM_400000_NS6detail17trampoline_kernelINS0_14default_configENS1_29binary_search_config_selectorIN6thrust23THRUST_200600_302600_NS5tupleIiiNS6_9null_typeES8_S8_S8_S8_S8_S8_S8_EEiEEZNS1_14transform_implILb0ES3_SA_NS6_6detail15normal_iteratorINS6_7pointerIS9_NS6_11hip_rocprim5par_tENS6_11use_defaultESH_EEEENSD_INSE_IiSG_SH_SH_EEEEZNS1_13binary_searchIS3_SA_NSD_INS6_10device_ptrIS9_EEEESJ_SL_NS1_16binary_search_opENSC_16wrapped_functionINS6_6system6detail7generic6detail18binary_search_lessEbEEEE10hipError_tPvRmT1_T2_T3_mmT4_T5_P12ihipStream_tbEUlRKS9_E_EESY_S12_S13_mS14_S17_bEUlT_E_NS1_11comp_targetILNS1_3genE5ELNS1_11target_archE942ELNS1_3gpuE9ELNS1_3repE0EEENS1_30default_config_static_selectorELNS0_4arch9wavefront6targetE1EEEvS11_.num_agpr, 0
	.set _ZN7rocprim17ROCPRIM_400000_NS6detail17trampoline_kernelINS0_14default_configENS1_29binary_search_config_selectorIN6thrust23THRUST_200600_302600_NS5tupleIiiNS6_9null_typeES8_S8_S8_S8_S8_S8_S8_EEiEEZNS1_14transform_implILb0ES3_SA_NS6_6detail15normal_iteratorINS6_7pointerIS9_NS6_11hip_rocprim5par_tENS6_11use_defaultESH_EEEENSD_INSE_IiSG_SH_SH_EEEEZNS1_13binary_searchIS3_SA_NSD_INS6_10device_ptrIS9_EEEESJ_SL_NS1_16binary_search_opENSC_16wrapped_functionINS6_6system6detail7generic6detail18binary_search_lessEbEEEE10hipError_tPvRmT1_T2_T3_mmT4_T5_P12ihipStream_tbEUlRKS9_E_EESY_S12_S13_mS14_S17_bEUlT_E_NS1_11comp_targetILNS1_3genE5ELNS1_11target_archE942ELNS1_3gpuE9ELNS1_3repE0EEENS1_30default_config_static_selectorELNS0_4arch9wavefront6targetE1EEEvS11_.numbered_sgpr, 0
	.set _ZN7rocprim17ROCPRIM_400000_NS6detail17trampoline_kernelINS0_14default_configENS1_29binary_search_config_selectorIN6thrust23THRUST_200600_302600_NS5tupleIiiNS6_9null_typeES8_S8_S8_S8_S8_S8_S8_EEiEEZNS1_14transform_implILb0ES3_SA_NS6_6detail15normal_iteratorINS6_7pointerIS9_NS6_11hip_rocprim5par_tENS6_11use_defaultESH_EEEENSD_INSE_IiSG_SH_SH_EEEEZNS1_13binary_searchIS3_SA_NSD_INS6_10device_ptrIS9_EEEESJ_SL_NS1_16binary_search_opENSC_16wrapped_functionINS6_6system6detail7generic6detail18binary_search_lessEbEEEE10hipError_tPvRmT1_T2_T3_mmT4_T5_P12ihipStream_tbEUlRKS9_E_EESY_S12_S13_mS14_S17_bEUlT_E_NS1_11comp_targetILNS1_3genE5ELNS1_11target_archE942ELNS1_3gpuE9ELNS1_3repE0EEENS1_30default_config_static_selectorELNS0_4arch9wavefront6targetE1EEEvS11_.num_named_barrier, 0
	.set _ZN7rocprim17ROCPRIM_400000_NS6detail17trampoline_kernelINS0_14default_configENS1_29binary_search_config_selectorIN6thrust23THRUST_200600_302600_NS5tupleIiiNS6_9null_typeES8_S8_S8_S8_S8_S8_S8_EEiEEZNS1_14transform_implILb0ES3_SA_NS6_6detail15normal_iteratorINS6_7pointerIS9_NS6_11hip_rocprim5par_tENS6_11use_defaultESH_EEEENSD_INSE_IiSG_SH_SH_EEEEZNS1_13binary_searchIS3_SA_NSD_INS6_10device_ptrIS9_EEEESJ_SL_NS1_16binary_search_opENSC_16wrapped_functionINS6_6system6detail7generic6detail18binary_search_lessEbEEEE10hipError_tPvRmT1_T2_T3_mmT4_T5_P12ihipStream_tbEUlRKS9_E_EESY_S12_S13_mS14_S17_bEUlT_E_NS1_11comp_targetILNS1_3genE5ELNS1_11target_archE942ELNS1_3gpuE9ELNS1_3repE0EEENS1_30default_config_static_selectorELNS0_4arch9wavefront6targetE1EEEvS11_.private_seg_size, 0
	.set _ZN7rocprim17ROCPRIM_400000_NS6detail17trampoline_kernelINS0_14default_configENS1_29binary_search_config_selectorIN6thrust23THRUST_200600_302600_NS5tupleIiiNS6_9null_typeES8_S8_S8_S8_S8_S8_S8_EEiEEZNS1_14transform_implILb0ES3_SA_NS6_6detail15normal_iteratorINS6_7pointerIS9_NS6_11hip_rocprim5par_tENS6_11use_defaultESH_EEEENSD_INSE_IiSG_SH_SH_EEEEZNS1_13binary_searchIS3_SA_NSD_INS6_10device_ptrIS9_EEEESJ_SL_NS1_16binary_search_opENSC_16wrapped_functionINS6_6system6detail7generic6detail18binary_search_lessEbEEEE10hipError_tPvRmT1_T2_T3_mmT4_T5_P12ihipStream_tbEUlRKS9_E_EESY_S12_S13_mS14_S17_bEUlT_E_NS1_11comp_targetILNS1_3genE5ELNS1_11target_archE942ELNS1_3gpuE9ELNS1_3repE0EEENS1_30default_config_static_selectorELNS0_4arch9wavefront6targetE1EEEvS11_.uses_vcc, 0
	.set _ZN7rocprim17ROCPRIM_400000_NS6detail17trampoline_kernelINS0_14default_configENS1_29binary_search_config_selectorIN6thrust23THRUST_200600_302600_NS5tupleIiiNS6_9null_typeES8_S8_S8_S8_S8_S8_S8_EEiEEZNS1_14transform_implILb0ES3_SA_NS6_6detail15normal_iteratorINS6_7pointerIS9_NS6_11hip_rocprim5par_tENS6_11use_defaultESH_EEEENSD_INSE_IiSG_SH_SH_EEEEZNS1_13binary_searchIS3_SA_NSD_INS6_10device_ptrIS9_EEEESJ_SL_NS1_16binary_search_opENSC_16wrapped_functionINS6_6system6detail7generic6detail18binary_search_lessEbEEEE10hipError_tPvRmT1_T2_T3_mmT4_T5_P12ihipStream_tbEUlRKS9_E_EESY_S12_S13_mS14_S17_bEUlT_E_NS1_11comp_targetILNS1_3genE5ELNS1_11target_archE942ELNS1_3gpuE9ELNS1_3repE0EEENS1_30default_config_static_selectorELNS0_4arch9wavefront6targetE1EEEvS11_.uses_flat_scratch, 0
	.set _ZN7rocprim17ROCPRIM_400000_NS6detail17trampoline_kernelINS0_14default_configENS1_29binary_search_config_selectorIN6thrust23THRUST_200600_302600_NS5tupleIiiNS6_9null_typeES8_S8_S8_S8_S8_S8_S8_EEiEEZNS1_14transform_implILb0ES3_SA_NS6_6detail15normal_iteratorINS6_7pointerIS9_NS6_11hip_rocprim5par_tENS6_11use_defaultESH_EEEENSD_INSE_IiSG_SH_SH_EEEEZNS1_13binary_searchIS3_SA_NSD_INS6_10device_ptrIS9_EEEESJ_SL_NS1_16binary_search_opENSC_16wrapped_functionINS6_6system6detail7generic6detail18binary_search_lessEbEEEE10hipError_tPvRmT1_T2_T3_mmT4_T5_P12ihipStream_tbEUlRKS9_E_EESY_S12_S13_mS14_S17_bEUlT_E_NS1_11comp_targetILNS1_3genE5ELNS1_11target_archE942ELNS1_3gpuE9ELNS1_3repE0EEENS1_30default_config_static_selectorELNS0_4arch9wavefront6targetE1EEEvS11_.has_dyn_sized_stack, 0
	.set _ZN7rocprim17ROCPRIM_400000_NS6detail17trampoline_kernelINS0_14default_configENS1_29binary_search_config_selectorIN6thrust23THRUST_200600_302600_NS5tupleIiiNS6_9null_typeES8_S8_S8_S8_S8_S8_S8_EEiEEZNS1_14transform_implILb0ES3_SA_NS6_6detail15normal_iteratorINS6_7pointerIS9_NS6_11hip_rocprim5par_tENS6_11use_defaultESH_EEEENSD_INSE_IiSG_SH_SH_EEEEZNS1_13binary_searchIS3_SA_NSD_INS6_10device_ptrIS9_EEEESJ_SL_NS1_16binary_search_opENSC_16wrapped_functionINS6_6system6detail7generic6detail18binary_search_lessEbEEEE10hipError_tPvRmT1_T2_T3_mmT4_T5_P12ihipStream_tbEUlRKS9_E_EESY_S12_S13_mS14_S17_bEUlT_E_NS1_11comp_targetILNS1_3genE5ELNS1_11target_archE942ELNS1_3gpuE9ELNS1_3repE0EEENS1_30default_config_static_selectorELNS0_4arch9wavefront6targetE1EEEvS11_.has_recursion, 0
	.set _ZN7rocprim17ROCPRIM_400000_NS6detail17trampoline_kernelINS0_14default_configENS1_29binary_search_config_selectorIN6thrust23THRUST_200600_302600_NS5tupleIiiNS6_9null_typeES8_S8_S8_S8_S8_S8_S8_EEiEEZNS1_14transform_implILb0ES3_SA_NS6_6detail15normal_iteratorINS6_7pointerIS9_NS6_11hip_rocprim5par_tENS6_11use_defaultESH_EEEENSD_INSE_IiSG_SH_SH_EEEEZNS1_13binary_searchIS3_SA_NSD_INS6_10device_ptrIS9_EEEESJ_SL_NS1_16binary_search_opENSC_16wrapped_functionINS6_6system6detail7generic6detail18binary_search_lessEbEEEE10hipError_tPvRmT1_T2_T3_mmT4_T5_P12ihipStream_tbEUlRKS9_E_EESY_S12_S13_mS14_S17_bEUlT_E_NS1_11comp_targetILNS1_3genE5ELNS1_11target_archE942ELNS1_3gpuE9ELNS1_3repE0EEENS1_30default_config_static_selectorELNS0_4arch9wavefront6targetE1EEEvS11_.has_indirect_call, 0
	.section	.AMDGPU.csdata,"",@progbits
; Kernel info:
; codeLenInByte = 0
; TotalNumSgprs: 4
; NumVgprs: 0
; ScratchSize: 0
; MemoryBound: 0
; FloatMode: 240
; IeeeMode: 1
; LDSByteSize: 0 bytes/workgroup (compile time only)
; SGPRBlocks: 0
; VGPRBlocks: 0
; NumSGPRsForWavesPerEU: 4
; NumVGPRsForWavesPerEU: 1
; Occupancy: 10
; WaveLimiterHint : 0
; COMPUTE_PGM_RSRC2:SCRATCH_EN: 0
; COMPUTE_PGM_RSRC2:USER_SGPR: 6
; COMPUTE_PGM_RSRC2:TRAP_HANDLER: 0
; COMPUTE_PGM_RSRC2:TGID_X_EN: 1
; COMPUTE_PGM_RSRC2:TGID_Y_EN: 0
; COMPUTE_PGM_RSRC2:TGID_Z_EN: 0
; COMPUTE_PGM_RSRC2:TIDIG_COMP_CNT: 0
	.section	.text._ZN7rocprim17ROCPRIM_400000_NS6detail17trampoline_kernelINS0_14default_configENS1_29binary_search_config_selectorIN6thrust23THRUST_200600_302600_NS5tupleIiiNS6_9null_typeES8_S8_S8_S8_S8_S8_S8_EEiEEZNS1_14transform_implILb0ES3_SA_NS6_6detail15normal_iteratorINS6_7pointerIS9_NS6_11hip_rocprim5par_tENS6_11use_defaultESH_EEEENSD_INSE_IiSG_SH_SH_EEEEZNS1_13binary_searchIS3_SA_NSD_INS6_10device_ptrIS9_EEEESJ_SL_NS1_16binary_search_opENSC_16wrapped_functionINS6_6system6detail7generic6detail18binary_search_lessEbEEEE10hipError_tPvRmT1_T2_T3_mmT4_T5_P12ihipStream_tbEUlRKS9_E_EESY_S12_S13_mS14_S17_bEUlT_E_NS1_11comp_targetILNS1_3genE4ELNS1_11target_archE910ELNS1_3gpuE8ELNS1_3repE0EEENS1_30default_config_static_selectorELNS0_4arch9wavefront6targetE1EEEvS11_,"axG",@progbits,_ZN7rocprim17ROCPRIM_400000_NS6detail17trampoline_kernelINS0_14default_configENS1_29binary_search_config_selectorIN6thrust23THRUST_200600_302600_NS5tupleIiiNS6_9null_typeES8_S8_S8_S8_S8_S8_S8_EEiEEZNS1_14transform_implILb0ES3_SA_NS6_6detail15normal_iteratorINS6_7pointerIS9_NS6_11hip_rocprim5par_tENS6_11use_defaultESH_EEEENSD_INSE_IiSG_SH_SH_EEEEZNS1_13binary_searchIS3_SA_NSD_INS6_10device_ptrIS9_EEEESJ_SL_NS1_16binary_search_opENSC_16wrapped_functionINS6_6system6detail7generic6detail18binary_search_lessEbEEEE10hipError_tPvRmT1_T2_T3_mmT4_T5_P12ihipStream_tbEUlRKS9_E_EESY_S12_S13_mS14_S17_bEUlT_E_NS1_11comp_targetILNS1_3genE4ELNS1_11target_archE910ELNS1_3gpuE8ELNS1_3repE0EEENS1_30default_config_static_selectorELNS0_4arch9wavefront6targetE1EEEvS11_,comdat
	.protected	_ZN7rocprim17ROCPRIM_400000_NS6detail17trampoline_kernelINS0_14default_configENS1_29binary_search_config_selectorIN6thrust23THRUST_200600_302600_NS5tupleIiiNS6_9null_typeES8_S8_S8_S8_S8_S8_S8_EEiEEZNS1_14transform_implILb0ES3_SA_NS6_6detail15normal_iteratorINS6_7pointerIS9_NS6_11hip_rocprim5par_tENS6_11use_defaultESH_EEEENSD_INSE_IiSG_SH_SH_EEEEZNS1_13binary_searchIS3_SA_NSD_INS6_10device_ptrIS9_EEEESJ_SL_NS1_16binary_search_opENSC_16wrapped_functionINS6_6system6detail7generic6detail18binary_search_lessEbEEEE10hipError_tPvRmT1_T2_T3_mmT4_T5_P12ihipStream_tbEUlRKS9_E_EESY_S12_S13_mS14_S17_bEUlT_E_NS1_11comp_targetILNS1_3genE4ELNS1_11target_archE910ELNS1_3gpuE8ELNS1_3repE0EEENS1_30default_config_static_selectorELNS0_4arch9wavefront6targetE1EEEvS11_ ; -- Begin function _ZN7rocprim17ROCPRIM_400000_NS6detail17trampoline_kernelINS0_14default_configENS1_29binary_search_config_selectorIN6thrust23THRUST_200600_302600_NS5tupleIiiNS6_9null_typeES8_S8_S8_S8_S8_S8_S8_EEiEEZNS1_14transform_implILb0ES3_SA_NS6_6detail15normal_iteratorINS6_7pointerIS9_NS6_11hip_rocprim5par_tENS6_11use_defaultESH_EEEENSD_INSE_IiSG_SH_SH_EEEEZNS1_13binary_searchIS3_SA_NSD_INS6_10device_ptrIS9_EEEESJ_SL_NS1_16binary_search_opENSC_16wrapped_functionINS6_6system6detail7generic6detail18binary_search_lessEbEEEE10hipError_tPvRmT1_T2_T3_mmT4_T5_P12ihipStream_tbEUlRKS9_E_EESY_S12_S13_mS14_S17_bEUlT_E_NS1_11comp_targetILNS1_3genE4ELNS1_11target_archE910ELNS1_3gpuE8ELNS1_3repE0EEENS1_30default_config_static_selectorELNS0_4arch9wavefront6targetE1EEEvS11_
	.globl	_ZN7rocprim17ROCPRIM_400000_NS6detail17trampoline_kernelINS0_14default_configENS1_29binary_search_config_selectorIN6thrust23THRUST_200600_302600_NS5tupleIiiNS6_9null_typeES8_S8_S8_S8_S8_S8_S8_EEiEEZNS1_14transform_implILb0ES3_SA_NS6_6detail15normal_iteratorINS6_7pointerIS9_NS6_11hip_rocprim5par_tENS6_11use_defaultESH_EEEENSD_INSE_IiSG_SH_SH_EEEEZNS1_13binary_searchIS3_SA_NSD_INS6_10device_ptrIS9_EEEESJ_SL_NS1_16binary_search_opENSC_16wrapped_functionINS6_6system6detail7generic6detail18binary_search_lessEbEEEE10hipError_tPvRmT1_T2_T3_mmT4_T5_P12ihipStream_tbEUlRKS9_E_EESY_S12_S13_mS14_S17_bEUlT_E_NS1_11comp_targetILNS1_3genE4ELNS1_11target_archE910ELNS1_3gpuE8ELNS1_3repE0EEENS1_30default_config_static_selectorELNS0_4arch9wavefront6targetE1EEEvS11_
	.p2align	8
	.type	_ZN7rocprim17ROCPRIM_400000_NS6detail17trampoline_kernelINS0_14default_configENS1_29binary_search_config_selectorIN6thrust23THRUST_200600_302600_NS5tupleIiiNS6_9null_typeES8_S8_S8_S8_S8_S8_S8_EEiEEZNS1_14transform_implILb0ES3_SA_NS6_6detail15normal_iteratorINS6_7pointerIS9_NS6_11hip_rocprim5par_tENS6_11use_defaultESH_EEEENSD_INSE_IiSG_SH_SH_EEEEZNS1_13binary_searchIS3_SA_NSD_INS6_10device_ptrIS9_EEEESJ_SL_NS1_16binary_search_opENSC_16wrapped_functionINS6_6system6detail7generic6detail18binary_search_lessEbEEEE10hipError_tPvRmT1_T2_T3_mmT4_T5_P12ihipStream_tbEUlRKS9_E_EESY_S12_S13_mS14_S17_bEUlT_E_NS1_11comp_targetILNS1_3genE4ELNS1_11target_archE910ELNS1_3gpuE8ELNS1_3repE0EEENS1_30default_config_static_selectorELNS0_4arch9wavefront6targetE1EEEvS11_,@function
_ZN7rocprim17ROCPRIM_400000_NS6detail17trampoline_kernelINS0_14default_configENS1_29binary_search_config_selectorIN6thrust23THRUST_200600_302600_NS5tupleIiiNS6_9null_typeES8_S8_S8_S8_S8_S8_S8_EEiEEZNS1_14transform_implILb0ES3_SA_NS6_6detail15normal_iteratorINS6_7pointerIS9_NS6_11hip_rocprim5par_tENS6_11use_defaultESH_EEEENSD_INSE_IiSG_SH_SH_EEEEZNS1_13binary_searchIS3_SA_NSD_INS6_10device_ptrIS9_EEEESJ_SL_NS1_16binary_search_opENSC_16wrapped_functionINS6_6system6detail7generic6detail18binary_search_lessEbEEEE10hipError_tPvRmT1_T2_T3_mmT4_T5_P12ihipStream_tbEUlRKS9_E_EESY_S12_S13_mS14_S17_bEUlT_E_NS1_11comp_targetILNS1_3genE4ELNS1_11target_archE910ELNS1_3gpuE8ELNS1_3repE0EEENS1_30default_config_static_selectorELNS0_4arch9wavefront6targetE1EEEvS11_: ; @_ZN7rocprim17ROCPRIM_400000_NS6detail17trampoline_kernelINS0_14default_configENS1_29binary_search_config_selectorIN6thrust23THRUST_200600_302600_NS5tupleIiiNS6_9null_typeES8_S8_S8_S8_S8_S8_S8_EEiEEZNS1_14transform_implILb0ES3_SA_NS6_6detail15normal_iteratorINS6_7pointerIS9_NS6_11hip_rocprim5par_tENS6_11use_defaultESH_EEEENSD_INSE_IiSG_SH_SH_EEEEZNS1_13binary_searchIS3_SA_NSD_INS6_10device_ptrIS9_EEEESJ_SL_NS1_16binary_search_opENSC_16wrapped_functionINS6_6system6detail7generic6detail18binary_search_lessEbEEEE10hipError_tPvRmT1_T2_T3_mmT4_T5_P12ihipStream_tbEUlRKS9_E_EESY_S12_S13_mS14_S17_bEUlT_E_NS1_11comp_targetILNS1_3genE4ELNS1_11target_archE910ELNS1_3gpuE8ELNS1_3repE0EEENS1_30default_config_static_selectorELNS0_4arch9wavefront6targetE1EEEvS11_
; %bb.0:
	.section	.rodata,"a",@progbits
	.p2align	6, 0x0
	.amdhsa_kernel _ZN7rocprim17ROCPRIM_400000_NS6detail17trampoline_kernelINS0_14default_configENS1_29binary_search_config_selectorIN6thrust23THRUST_200600_302600_NS5tupleIiiNS6_9null_typeES8_S8_S8_S8_S8_S8_S8_EEiEEZNS1_14transform_implILb0ES3_SA_NS6_6detail15normal_iteratorINS6_7pointerIS9_NS6_11hip_rocprim5par_tENS6_11use_defaultESH_EEEENSD_INSE_IiSG_SH_SH_EEEEZNS1_13binary_searchIS3_SA_NSD_INS6_10device_ptrIS9_EEEESJ_SL_NS1_16binary_search_opENSC_16wrapped_functionINS6_6system6detail7generic6detail18binary_search_lessEbEEEE10hipError_tPvRmT1_T2_T3_mmT4_T5_P12ihipStream_tbEUlRKS9_E_EESY_S12_S13_mS14_S17_bEUlT_E_NS1_11comp_targetILNS1_3genE4ELNS1_11target_archE910ELNS1_3gpuE8ELNS1_3repE0EEENS1_30default_config_static_selectorELNS0_4arch9wavefront6targetE1EEEvS11_
		.amdhsa_group_segment_fixed_size 0
		.amdhsa_private_segment_fixed_size 0
		.amdhsa_kernarg_size 56
		.amdhsa_user_sgpr_count 6
		.amdhsa_user_sgpr_private_segment_buffer 1
		.amdhsa_user_sgpr_dispatch_ptr 0
		.amdhsa_user_sgpr_queue_ptr 0
		.amdhsa_user_sgpr_kernarg_segment_ptr 1
		.amdhsa_user_sgpr_dispatch_id 0
		.amdhsa_user_sgpr_flat_scratch_init 0
		.amdhsa_user_sgpr_private_segment_size 0
		.amdhsa_uses_dynamic_stack 0
		.amdhsa_system_sgpr_private_segment_wavefront_offset 0
		.amdhsa_system_sgpr_workgroup_id_x 1
		.amdhsa_system_sgpr_workgroup_id_y 0
		.amdhsa_system_sgpr_workgroup_id_z 0
		.amdhsa_system_sgpr_workgroup_info 0
		.amdhsa_system_vgpr_workitem_id 0
		.amdhsa_next_free_vgpr 1
		.amdhsa_next_free_sgpr 0
		.amdhsa_reserve_vcc 0
		.amdhsa_reserve_flat_scratch 0
		.amdhsa_float_round_mode_32 0
		.amdhsa_float_round_mode_16_64 0
		.amdhsa_float_denorm_mode_32 3
		.amdhsa_float_denorm_mode_16_64 3
		.amdhsa_dx10_clamp 1
		.amdhsa_ieee_mode 1
		.amdhsa_fp16_overflow 0
		.amdhsa_exception_fp_ieee_invalid_op 0
		.amdhsa_exception_fp_denorm_src 0
		.amdhsa_exception_fp_ieee_div_zero 0
		.amdhsa_exception_fp_ieee_overflow 0
		.amdhsa_exception_fp_ieee_underflow 0
		.amdhsa_exception_fp_ieee_inexact 0
		.amdhsa_exception_int_div_zero 0
	.end_amdhsa_kernel
	.section	.text._ZN7rocprim17ROCPRIM_400000_NS6detail17trampoline_kernelINS0_14default_configENS1_29binary_search_config_selectorIN6thrust23THRUST_200600_302600_NS5tupleIiiNS6_9null_typeES8_S8_S8_S8_S8_S8_S8_EEiEEZNS1_14transform_implILb0ES3_SA_NS6_6detail15normal_iteratorINS6_7pointerIS9_NS6_11hip_rocprim5par_tENS6_11use_defaultESH_EEEENSD_INSE_IiSG_SH_SH_EEEEZNS1_13binary_searchIS3_SA_NSD_INS6_10device_ptrIS9_EEEESJ_SL_NS1_16binary_search_opENSC_16wrapped_functionINS6_6system6detail7generic6detail18binary_search_lessEbEEEE10hipError_tPvRmT1_T2_T3_mmT4_T5_P12ihipStream_tbEUlRKS9_E_EESY_S12_S13_mS14_S17_bEUlT_E_NS1_11comp_targetILNS1_3genE4ELNS1_11target_archE910ELNS1_3gpuE8ELNS1_3repE0EEENS1_30default_config_static_selectorELNS0_4arch9wavefront6targetE1EEEvS11_,"axG",@progbits,_ZN7rocprim17ROCPRIM_400000_NS6detail17trampoline_kernelINS0_14default_configENS1_29binary_search_config_selectorIN6thrust23THRUST_200600_302600_NS5tupleIiiNS6_9null_typeES8_S8_S8_S8_S8_S8_S8_EEiEEZNS1_14transform_implILb0ES3_SA_NS6_6detail15normal_iteratorINS6_7pointerIS9_NS6_11hip_rocprim5par_tENS6_11use_defaultESH_EEEENSD_INSE_IiSG_SH_SH_EEEEZNS1_13binary_searchIS3_SA_NSD_INS6_10device_ptrIS9_EEEESJ_SL_NS1_16binary_search_opENSC_16wrapped_functionINS6_6system6detail7generic6detail18binary_search_lessEbEEEE10hipError_tPvRmT1_T2_T3_mmT4_T5_P12ihipStream_tbEUlRKS9_E_EESY_S12_S13_mS14_S17_bEUlT_E_NS1_11comp_targetILNS1_3genE4ELNS1_11target_archE910ELNS1_3gpuE8ELNS1_3repE0EEENS1_30default_config_static_selectorELNS0_4arch9wavefront6targetE1EEEvS11_,comdat
.Lfunc_end727:
	.size	_ZN7rocprim17ROCPRIM_400000_NS6detail17trampoline_kernelINS0_14default_configENS1_29binary_search_config_selectorIN6thrust23THRUST_200600_302600_NS5tupleIiiNS6_9null_typeES8_S8_S8_S8_S8_S8_S8_EEiEEZNS1_14transform_implILb0ES3_SA_NS6_6detail15normal_iteratorINS6_7pointerIS9_NS6_11hip_rocprim5par_tENS6_11use_defaultESH_EEEENSD_INSE_IiSG_SH_SH_EEEEZNS1_13binary_searchIS3_SA_NSD_INS6_10device_ptrIS9_EEEESJ_SL_NS1_16binary_search_opENSC_16wrapped_functionINS6_6system6detail7generic6detail18binary_search_lessEbEEEE10hipError_tPvRmT1_T2_T3_mmT4_T5_P12ihipStream_tbEUlRKS9_E_EESY_S12_S13_mS14_S17_bEUlT_E_NS1_11comp_targetILNS1_3genE4ELNS1_11target_archE910ELNS1_3gpuE8ELNS1_3repE0EEENS1_30default_config_static_selectorELNS0_4arch9wavefront6targetE1EEEvS11_, .Lfunc_end727-_ZN7rocprim17ROCPRIM_400000_NS6detail17trampoline_kernelINS0_14default_configENS1_29binary_search_config_selectorIN6thrust23THRUST_200600_302600_NS5tupleIiiNS6_9null_typeES8_S8_S8_S8_S8_S8_S8_EEiEEZNS1_14transform_implILb0ES3_SA_NS6_6detail15normal_iteratorINS6_7pointerIS9_NS6_11hip_rocprim5par_tENS6_11use_defaultESH_EEEENSD_INSE_IiSG_SH_SH_EEEEZNS1_13binary_searchIS3_SA_NSD_INS6_10device_ptrIS9_EEEESJ_SL_NS1_16binary_search_opENSC_16wrapped_functionINS6_6system6detail7generic6detail18binary_search_lessEbEEEE10hipError_tPvRmT1_T2_T3_mmT4_T5_P12ihipStream_tbEUlRKS9_E_EESY_S12_S13_mS14_S17_bEUlT_E_NS1_11comp_targetILNS1_3genE4ELNS1_11target_archE910ELNS1_3gpuE8ELNS1_3repE0EEENS1_30default_config_static_selectorELNS0_4arch9wavefront6targetE1EEEvS11_
                                        ; -- End function
	.set _ZN7rocprim17ROCPRIM_400000_NS6detail17trampoline_kernelINS0_14default_configENS1_29binary_search_config_selectorIN6thrust23THRUST_200600_302600_NS5tupleIiiNS6_9null_typeES8_S8_S8_S8_S8_S8_S8_EEiEEZNS1_14transform_implILb0ES3_SA_NS6_6detail15normal_iteratorINS6_7pointerIS9_NS6_11hip_rocprim5par_tENS6_11use_defaultESH_EEEENSD_INSE_IiSG_SH_SH_EEEEZNS1_13binary_searchIS3_SA_NSD_INS6_10device_ptrIS9_EEEESJ_SL_NS1_16binary_search_opENSC_16wrapped_functionINS6_6system6detail7generic6detail18binary_search_lessEbEEEE10hipError_tPvRmT1_T2_T3_mmT4_T5_P12ihipStream_tbEUlRKS9_E_EESY_S12_S13_mS14_S17_bEUlT_E_NS1_11comp_targetILNS1_3genE4ELNS1_11target_archE910ELNS1_3gpuE8ELNS1_3repE0EEENS1_30default_config_static_selectorELNS0_4arch9wavefront6targetE1EEEvS11_.num_vgpr, 0
	.set _ZN7rocprim17ROCPRIM_400000_NS6detail17trampoline_kernelINS0_14default_configENS1_29binary_search_config_selectorIN6thrust23THRUST_200600_302600_NS5tupleIiiNS6_9null_typeES8_S8_S8_S8_S8_S8_S8_EEiEEZNS1_14transform_implILb0ES3_SA_NS6_6detail15normal_iteratorINS6_7pointerIS9_NS6_11hip_rocprim5par_tENS6_11use_defaultESH_EEEENSD_INSE_IiSG_SH_SH_EEEEZNS1_13binary_searchIS3_SA_NSD_INS6_10device_ptrIS9_EEEESJ_SL_NS1_16binary_search_opENSC_16wrapped_functionINS6_6system6detail7generic6detail18binary_search_lessEbEEEE10hipError_tPvRmT1_T2_T3_mmT4_T5_P12ihipStream_tbEUlRKS9_E_EESY_S12_S13_mS14_S17_bEUlT_E_NS1_11comp_targetILNS1_3genE4ELNS1_11target_archE910ELNS1_3gpuE8ELNS1_3repE0EEENS1_30default_config_static_selectorELNS0_4arch9wavefront6targetE1EEEvS11_.num_agpr, 0
	.set _ZN7rocprim17ROCPRIM_400000_NS6detail17trampoline_kernelINS0_14default_configENS1_29binary_search_config_selectorIN6thrust23THRUST_200600_302600_NS5tupleIiiNS6_9null_typeES8_S8_S8_S8_S8_S8_S8_EEiEEZNS1_14transform_implILb0ES3_SA_NS6_6detail15normal_iteratorINS6_7pointerIS9_NS6_11hip_rocprim5par_tENS6_11use_defaultESH_EEEENSD_INSE_IiSG_SH_SH_EEEEZNS1_13binary_searchIS3_SA_NSD_INS6_10device_ptrIS9_EEEESJ_SL_NS1_16binary_search_opENSC_16wrapped_functionINS6_6system6detail7generic6detail18binary_search_lessEbEEEE10hipError_tPvRmT1_T2_T3_mmT4_T5_P12ihipStream_tbEUlRKS9_E_EESY_S12_S13_mS14_S17_bEUlT_E_NS1_11comp_targetILNS1_3genE4ELNS1_11target_archE910ELNS1_3gpuE8ELNS1_3repE0EEENS1_30default_config_static_selectorELNS0_4arch9wavefront6targetE1EEEvS11_.numbered_sgpr, 0
	.set _ZN7rocprim17ROCPRIM_400000_NS6detail17trampoline_kernelINS0_14default_configENS1_29binary_search_config_selectorIN6thrust23THRUST_200600_302600_NS5tupleIiiNS6_9null_typeES8_S8_S8_S8_S8_S8_S8_EEiEEZNS1_14transform_implILb0ES3_SA_NS6_6detail15normal_iteratorINS6_7pointerIS9_NS6_11hip_rocprim5par_tENS6_11use_defaultESH_EEEENSD_INSE_IiSG_SH_SH_EEEEZNS1_13binary_searchIS3_SA_NSD_INS6_10device_ptrIS9_EEEESJ_SL_NS1_16binary_search_opENSC_16wrapped_functionINS6_6system6detail7generic6detail18binary_search_lessEbEEEE10hipError_tPvRmT1_T2_T3_mmT4_T5_P12ihipStream_tbEUlRKS9_E_EESY_S12_S13_mS14_S17_bEUlT_E_NS1_11comp_targetILNS1_3genE4ELNS1_11target_archE910ELNS1_3gpuE8ELNS1_3repE0EEENS1_30default_config_static_selectorELNS0_4arch9wavefront6targetE1EEEvS11_.num_named_barrier, 0
	.set _ZN7rocprim17ROCPRIM_400000_NS6detail17trampoline_kernelINS0_14default_configENS1_29binary_search_config_selectorIN6thrust23THRUST_200600_302600_NS5tupleIiiNS6_9null_typeES8_S8_S8_S8_S8_S8_S8_EEiEEZNS1_14transform_implILb0ES3_SA_NS6_6detail15normal_iteratorINS6_7pointerIS9_NS6_11hip_rocprim5par_tENS6_11use_defaultESH_EEEENSD_INSE_IiSG_SH_SH_EEEEZNS1_13binary_searchIS3_SA_NSD_INS6_10device_ptrIS9_EEEESJ_SL_NS1_16binary_search_opENSC_16wrapped_functionINS6_6system6detail7generic6detail18binary_search_lessEbEEEE10hipError_tPvRmT1_T2_T3_mmT4_T5_P12ihipStream_tbEUlRKS9_E_EESY_S12_S13_mS14_S17_bEUlT_E_NS1_11comp_targetILNS1_3genE4ELNS1_11target_archE910ELNS1_3gpuE8ELNS1_3repE0EEENS1_30default_config_static_selectorELNS0_4arch9wavefront6targetE1EEEvS11_.private_seg_size, 0
	.set _ZN7rocprim17ROCPRIM_400000_NS6detail17trampoline_kernelINS0_14default_configENS1_29binary_search_config_selectorIN6thrust23THRUST_200600_302600_NS5tupleIiiNS6_9null_typeES8_S8_S8_S8_S8_S8_S8_EEiEEZNS1_14transform_implILb0ES3_SA_NS6_6detail15normal_iteratorINS6_7pointerIS9_NS6_11hip_rocprim5par_tENS6_11use_defaultESH_EEEENSD_INSE_IiSG_SH_SH_EEEEZNS1_13binary_searchIS3_SA_NSD_INS6_10device_ptrIS9_EEEESJ_SL_NS1_16binary_search_opENSC_16wrapped_functionINS6_6system6detail7generic6detail18binary_search_lessEbEEEE10hipError_tPvRmT1_T2_T3_mmT4_T5_P12ihipStream_tbEUlRKS9_E_EESY_S12_S13_mS14_S17_bEUlT_E_NS1_11comp_targetILNS1_3genE4ELNS1_11target_archE910ELNS1_3gpuE8ELNS1_3repE0EEENS1_30default_config_static_selectorELNS0_4arch9wavefront6targetE1EEEvS11_.uses_vcc, 0
	.set _ZN7rocprim17ROCPRIM_400000_NS6detail17trampoline_kernelINS0_14default_configENS1_29binary_search_config_selectorIN6thrust23THRUST_200600_302600_NS5tupleIiiNS6_9null_typeES8_S8_S8_S8_S8_S8_S8_EEiEEZNS1_14transform_implILb0ES3_SA_NS6_6detail15normal_iteratorINS6_7pointerIS9_NS6_11hip_rocprim5par_tENS6_11use_defaultESH_EEEENSD_INSE_IiSG_SH_SH_EEEEZNS1_13binary_searchIS3_SA_NSD_INS6_10device_ptrIS9_EEEESJ_SL_NS1_16binary_search_opENSC_16wrapped_functionINS6_6system6detail7generic6detail18binary_search_lessEbEEEE10hipError_tPvRmT1_T2_T3_mmT4_T5_P12ihipStream_tbEUlRKS9_E_EESY_S12_S13_mS14_S17_bEUlT_E_NS1_11comp_targetILNS1_3genE4ELNS1_11target_archE910ELNS1_3gpuE8ELNS1_3repE0EEENS1_30default_config_static_selectorELNS0_4arch9wavefront6targetE1EEEvS11_.uses_flat_scratch, 0
	.set _ZN7rocprim17ROCPRIM_400000_NS6detail17trampoline_kernelINS0_14default_configENS1_29binary_search_config_selectorIN6thrust23THRUST_200600_302600_NS5tupleIiiNS6_9null_typeES8_S8_S8_S8_S8_S8_S8_EEiEEZNS1_14transform_implILb0ES3_SA_NS6_6detail15normal_iteratorINS6_7pointerIS9_NS6_11hip_rocprim5par_tENS6_11use_defaultESH_EEEENSD_INSE_IiSG_SH_SH_EEEEZNS1_13binary_searchIS3_SA_NSD_INS6_10device_ptrIS9_EEEESJ_SL_NS1_16binary_search_opENSC_16wrapped_functionINS6_6system6detail7generic6detail18binary_search_lessEbEEEE10hipError_tPvRmT1_T2_T3_mmT4_T5_P12ihipStream_tbEUlRKS9_E_EESY_S12_S13_mS14_S17_bEUlT_E_NS1_11comp_targetILNS1_3genE4ELNS1_11target_archE910ELNS1_3gpuE8ELNS1_3repE0EEENS1_30default_config_static_selectorELNS0_4arch9wavefront6targetE1EEEvS11_.has_dyn_sized_stack, 0
	.set _ZN7rocprim17ROCPRIM_400000_NS6detail17trampoline_kernelINS0_14default_configENS1_29binary_search_config_selectorIN6thrust23THRUST_200600_302600_NS5tupleIiiNS6_9null_typeES8_S8_S8_S8_S8_S8_S8_EEiEEZNS1_14transform_implILb0ES3_SA_NS6_6detail15normal_iteratorINS6_7pointerIS9_NS6_11hip_rocprim5par_tENS6_11use_defaultESH_EEEENSD_INSE_IiSG_SH_SH_EEEEZNS1_13binary_searchIS3_SA_NSD_INS6_10device_ptrIS9_EEEESJ_SL_NS1_16binary_search_opENSC_16wrapped_functionINS6_6system6detail7generic6detail18binary_search_lessEbEEEE10hipError_tPvRmT1_T2_T3_mmT4_T5_P12ihipStream_tbEUlRKS9_E_EESY_S12_S13_mS14_S17_bEUlT_E_NS1_11comp_targetILNS1_3genE4ELNS1_11target_archE910ELNS1_3gpuE8ELNS1_3repE0EEENS1_30default_config_static_selectorELNS0_4arch9wavefront6targetE1EEEvS11_.has_recursion, 0
	.set _ZN7rocprim17ROCPRIM_400000_NS6detail17trampoline_kernelINS0_14default_configENS1_29binary_search_config_selectorIN6thrust23THRUST_200600_302600_NS5tupleIiiNS6_9null_typeES8_S8_S8_S8_S8_S8_S8_EEiEEZNS1_14transform_implILb0ES3_SA_NS6_6detail15normal_iteratorINS6_7pointerIS9_NS6_11hip_rocprim5par_tENS6_11use_defaultESH_EEEENSD_INSE_IiSG_SH_SH_EEEEZNS1_13binary_searchIS3_SA_NSD_INS6_10device_ptrIS9_EEEESJ_SL_NS1_16binary_search_opENSC_16wrapped_functionINS6_6system6detail7generic6detail18binary_search_lessEbEEEE10hipError_tPvRmT1_T2_T3_mmT4_T5_P12ihipStream_tbEUlRKS9_E_EESY_S12_S13_mS14_S17_bEUlT_E_NS1_11comp_targetILNS1_3genE4ELNS1_11target_archE910ELNS1_3gpuE8ELNS1_3repE0EEENS1_30default_config_static_selectorELNS0_4arch9wavefront6targetE1EEEvS11_.has_indirect_call, 0
	.section	.AMDGPU.csdata,"",@progbits
; Kernel info:
; codeLenInByte = 0
; TotalNumSgprs: 4
; NumVgprs: 0
; ScratchSize: 0
; MemoryBound: 0
; FloatMode: 240
; IeeeMode: 1
; LDSByteSize: 0 bytes/workgroup (compile time only)
; SGPRBlocks: 0
; VGPRBlocks: 0
; NumSGPRsForWavesPerEU: 4
; NumVGPRsForWavesPerEU: 1
; Occupancy: 10
; WaveLimiterHint : 0
; COMPUTE_PGM_RSRC2:SCRATCH_EN: 0
; COMPUTE_PGM_RSRC2:USER_SGPR: 6
; COMPUTE_PGM_RSRC2:TRAP_HANDLER: 0
; COMPUTE_PGM_RSRC2:TGID_X_EN: 1
; COMPUTE_PGM_RSRC2:TGID_Y_EN: 0
; COMPUTE_PGM_RSRC2:TGID_Z_EN: 0
; COMPUTE_PGM_RSRC2:TIDIG_COMP_CNT: 0
	.section	.text._ZN7rocprim17ROCPRIM_400000_NS6detail17trampoline_kernelINS0_14default_configENS1_29binary_search_config_selectorIN6thrust23THRUST_200600_302600_NS5tupleIiiNS6_9null_typeES8_S8_S8_S8_S8_S8_S8_EEiEEZNS1_14transform_implILb0ES3_SA_NS6_6detail15normal_iteratorINS6_7pointerIS9_NS6_11hip_rocprim5par_tENS6_11use_defaultESH_EEEENSD_INSE_IiSG_SH_SH_EEEEZNS1_13binary_searchIS3_SA_NSD_INS6_10device_ptrIS9_EEEESJ_SL_NS1_16binary_search_opENSC_16wrapped_functionINS6_6system6detail7generic6detail18binary_search_lessEbEEEE10hipError_tPvRmT1_T2_T3_mmT4_T5_P12ihipStream_tbEUlRKS9_E_EESY_S12_S13_mS14_S17_bEUlT_E_NS1_11comp_targetILNS1_3genE3ELNS1_11target_archE908ELNS1_3gpuE7ELNS1_3repE0EEENS1_30default_config_static_selectorELNS0_4arch9wavefront6targetE1EEEvS11_,"axG",@progbits,_ZN7rocprim17ROCPRIM_400000_NS6detail17trampoline_kernelINS0_14default_configENS1_29binary_search_config_selectorIN6thrust23THRUST_200600_302600_NS5tupleIiiNS6_9null_typeES8_S8_S8_S8_S8_S8_S8_EEiEEZNS1_14transform_implILb0ES3_SA_NS6_6detail15normal_iteratorINS6_7pointerIS9_NS6_11hip_rocprim5par_tENS6_11use_defaultESH_EEEENSD_INSE_IiSG_SH_SH_EEEEZNS1_13binary_searchIS3_SA_NSD_INS6_10device_ptrIS9_EEEESJ_SL_NS1_16binary_search_opENSC_16wrapped_functionINS6_6system6detail7generic6detail18binary_search_lessEbEEEE10hipError_tPvRmT1_T2_T3_mmT4_T5_P12ihipStream_tbEUlRKS9_E_EESY_S12_S13_mS14_S17_bEUlT_E_NS1_11comp_targetILNS1_3genE3ELNS1_11target_archE908ELNS1_3gpuE7ELNS1_3repE0EEENS1_30default_config_static_selectorELNS0_4arch9wavefront6targetE1EEEvS11_,comdat
	.protected	_ZN7rocprim17ROCPRIM_400000_NS6detail17trampoline_kernelINS0_14default_configENS1_29binary_search_config_selectorIN6thrust23THRUST_200600_302600_NS5tupleIiiNS6_9null_typeES8_S8_S8_S8_S8_S8_S8_EEiEEZNS1_14transform_implILb0ES3_SA_NS6_6detail15normal_iteratorINS6_7pointerIS9_NS6_11hip_rocprim5par_tENS6_11use_defaultESH_EEEENSD_INSE_IiSG_SH_SH_EEEEZNS1_13binary_searchIS3_SA_NSD_INS6_10device_ptrIS9_EEEESJ_SL_NS1_16binary_search_opENSC_16wrapped_functionINS6_6system6detail7generic6detail18binary_search_lessEbEEEE10hipError_tPvRmT1_T2_T3_mmT4_T5_P12ihipStream_tbEUlRKS9_E_EESY_S12_S13_mS14_S17_bEUlT_E_NS1_11comp_targetILNS1_3genE3ELNS1_11target_archE908ELNS1_3gpuE7ELNS1_3repE0EEENS1_30default_config_static_selectorELNS0_4arch9wavefront6targetE1EEEvS11_ ; -- Begin function _ZN7rocprim17ROCPRIM_400000_NS6detail17trampoline_kernelINS0_14default_configENS1_29binary_search_config_selectorIN6thrust23THRUST_200600_302600_NS5tupleIiiNS6_9null_typeES8_S8_S8_S8_S8_S8_S8_EEiEEZNS1_14transform_implILb0ES3_SA_NS6_6detail15normal_iteratorINS6_7pointerIS9_NS6_11hip_rocprim5par_tENS6_11use_defaultESH_EEEENSD_INSE_IiSG_SH_SH_EEEEZNS1_13binary_searchIS3_SA_NSD_INS6_10device_ptrIS9_EEEESJ_SL_NS1_16binary_search_opENSC_16wrapped_functionINS6_6system6detail7generic6detail18binary_search_lessEbEEEE10hipError_tPvRmT1_T2_T3_mmT4_T5_P12ihipStream_tbEUlRKS9_E_EESY_S12_S13_mS14_S17_bEUlT_E_NS1_11comp_targetILNS1_3genE3ELNS1_11target_archE908ELNS1_3gpuE7ELNS1_3repE0EEENS1_30default_config_static_selectorELNS0_4arch9wavefront6targetE1EEEvS11_
	.globl	_ZN7rocprim17ROCPRIM_400000_NS6detail17trampoline_kernelINS0_14default_configENS1_29binary_search_config_selectorIN6thrust23THRUST_200600_302600_NS5tupleIiiNS6_9null_typeES8_S8_S8_S8_S8_S8_S8_EEiEEZNS1_14transform_implILb0ES3_SA_NS6_6detail15normal_iteratorINS6_7pointerIS9_NS6_11hip_rocprim5par_tENS6_11use_defaultESH_EEEENSD_INSE_IiSG_SH_SH_EEEEZNS1_13binary_searchIS3_SA_NSD_INS6_10device_ptrIS9_EEEESJ_SL_NS1_16binary_search_opENSC_16wrapped_functionINS6_6system6detail7generic6detail18binary_search_lessEbEEEE10hipError_tPvRmT1_T2_T3_mmT4_T5_P12ihipStream_tbEUlRKS9_E_EESY_S12_S13_mS14_S17_bEUlT_E_NS1_11comp_targetILNS1_3genE3ELNS1_11target_archE908ELNS1_3gpuE7ELNS1_3repE0EEENS1_30default_config_static_selectorELNS0_4arch9wavefront6targetE1EEEvS11_
	.p2align	8
	.type	_ZN7rocprim17ROCPRIM_400000_NS6detail17trampoline_kernelINS0_14default_configENS1_29binary_search_config_selectorIN6thrust23THRUST_200600_302600_NS5tupleIiiNS6_9null_typeES8_S8_S8_S8_S8_S8_S8_EEiEEZNS1_14transform_implILb0ES3_SA_NS6_6detail15normal_iteratorINS6_7pointerIS9_NS6_11hip_rocprim5par_tENS6_11use_defaultESH_EEEENSD_INSE_IiSG_SH_SH_EEEEZNS1_13binary_searchIS3_SA_NSD_INS6_10device_ptrIS9_EEEESJ_SL_NS1_16binary_search_opENSC_16wrapped_functionINS6_6system6detail7generic6detail18binary_search_lessEbEEEE10hipError_tPvRmT1_T2_T3_mmT4_T5_P12ihipStream_tbEUlRKS9_E_EESY_S12_S13_mS14_S17_bEUlT_E_NS1_11comp_targetILNS1_3genE3ELNS1_11target_archE908ELNS1_3gpuE7ELNS1_3repE0EEENS1_30default_config_static_selectorELNS0_4arch9wavefront6targetE1EEEvS11_,@function
_ZN7rocprim17ROCPRIM_400000_NS6detail17trampoline_kernelINS0_14default_configENS1_29binary_search_config_selectorIN6thrust23THRUST_200600_302600_NS5tupleIiiNS6_9null_typeES8_S8_S8_S8_S8_S8_S8_EEiEEZNS1_14transform_implILb0ES3_SA_NS6_6detail15normal_iteratorINS6_7pointerIS9_NS6_11hip_rocprim5par_tENS6_11use_defaultESH_EEEENSD_INSE_IiSG_SH_SH_EEEEZNS1_13binary_searchIS3_SA_NSD_INS6_10device_ptrIS9_EEEESJ_SL_NS1_16binary_search_opENSC_16wrapped_functionINS6_6system6detail7generic6detail18binary_search_lessEbEEEE10hipError_tPvRmT1_T2_T3_mmT4_T5_P12ihipStream_tbEUlRKS9_E_EESY_S12_S13_mS14_S17_bEUlT_E_NS1_11comp_targetILNS1_3genE3ELNS1_11target_archE908ELNS1_3gpuE7ELNS1_3repE0EEENS1_30default_config_static_selectorELNS0_4arch9wavefront6targetE1EEEvS11_: ; @_ZN7rocprim17ROCPRIM_400000_NS6detail17trampoline_kernelINS0_14default_configENS1_29binary_search_config_selectorIN6thrust23THRUST_200600_302600_NS5tupleIiiNS6_9null_typeES8_S8_S8_S8_S8_S8_S8_EEiEEZNS1_14transform_implILb0ES3_SA_NS6_6detail15normal_iteratorINS6_7pointerIS9_NS6_11hip_rocprim5par_tENS6_11use_defaultESH_EEEENSD_INSE_IiSG_SH_SH_EEEEZNS1_13binary_searchIS3_SA_NSD_INS6_10device_ptrIS9_EEEESJ_SL_NS1_16binary_search_opENSC_16wrapped_functionINS6_6system6detail7generic6detail18binary_search_lessEbEEEE10hipError_tPvRmT1_T2_T3_mmT4_T5_P12ihipStream_tbEUlRKS9_E_EESY_S12_S13_mS14_S17_bEUlT_E_NS1_11comp_targetILNS1_3genE3ELNS1_11target_archE908ELNS1_3gpuE7ELNS1_3repE0EEENS1_30default_config_static_selectorELNS0_4arch9wavefront6targetE1EEEvS11_
; %bb.0:
	.section	.rodata,"a",@progbits
	.p2align	6, 0x0
	.amdhsa_kernel _ZN7rocprim17ROCPRIM_400000_NS6detail17trampoline_kernelINS0_14default_configENS1_29binary_search_config_selectorIN6thrust23THRUST_200600_302600_NS5tupleIiiNS6_9null_typeES8_S8_S8_S8_S8_S8_S8_EEiEEZNS1_14transform_implILb0ES3_SA_NS6_6detail15normal_iteratorINS6_7pointerIS9_NS6_11hip_rocprim5par_tENS6_11use_defaultESH_EEEENSD_INSE_IiSG_SH_SH_EEEEZNS1_13binary_searchIS3_SA_NSD_INS6_10device_ptrIS9_EEEESJ_SL_NS1_16binary_search_opENSC_16wrapped_functionINS6_6system6detail7generic6detail18binary_search_lessEbEEEE10hipError_tPvRmT1_T2_T3_mmT4_T5_P12ihipStream_tbEUlRKS9_E_EESY_S12_S13_mS14_S17_bEUlT_E_NS1_11comp_targetILNS1_3genE3ELNS1_11target_archE908ELNS1_3gpuE7ELNS1_3repE0EEENS1_30default_config_static_selectorELNS0_4arch9wavefront6targetE1EEEvS11_
		.amdhsa_group_segment_fixed_size 0
		.amdhsa_private_segment_fixed_size 0
		.amdhsa_kernarg_size 56
		.amdhsa_user_sgpr_count 6
		.amdhsa_user_sgpr_private_segment_buffer 1
		.amdhsa_user_sgpr_dispatch_ptr 0
		.amdhsa_user_sgpr_queue_ptr 0
		.amdhsa_user_sgpr_kernarg_segment_ptr 1
		.amdhsa_user_sgpr_dispatch_id 0
		.amdhsa_user_sgpr_flat_scratch_init 0
		.amdhsa_user_sgpr_private_segment_size 0
		.amdhsa_uses_dynamic_stack 0
		.amdhsa_system_sgpr_private_segment_wavefront_offset 0
		.amdhsa_system_sgpr_workgroup_id_x 1
		.amdhsa_system_sgpr_workgroup_id_y 0
		.amdhsa_system_sgpr_workgroup_id_z 0
		.amdhsa_system_sgpr_workgroup_info 0
		.amdhsa_system_vgpr_workitem_id 0
		.amdhsa_next_free_vgpr 1
		.amdhsa_next_free_sgpr 0
		.amdhsa_reserve_vcc 0
		.amdhsa_reserve_flat_scratch 0
		.amdhsa_float_round_mode_32 0
		.amdhsa_float_round_mode_16_64 0
		.amdhsa_float_denorm_mode_32 3
		.amdhsa_float_denorm_mode_16_64 3
		.amdhsa_dx10_clamp 1
		.amdhsa_ieee_mode 1
		.amdhsa_fp16_overflow 0
		.amdhsa_exception_fp_ieee_invalid_op 0
		.amdhsa_exception_fp_denorm_src 0
		.amdhsa_exception_fp_ieee_div_zero 0
		.amdhsa_exception_fp_ieee_overflow 0
		.amdhsa_exception_fp_ieee_underflow 0
		.amdhsa_exception_fp_ieee_inexact 0
		.amdhsa_exception_int_div_zero 0
	.end_amdhsa_kernel
	.section	.text._ZN7rocprim17ROCPRIM_400000_NS6detail17trampoline_kernelINS0_14default_configENS1_29binary_search_config_selectorIN6thrust23THRUST_200600_302600_NS5tupleIiiNS6_9null_typeES8_S8_S8_S8_S8_S8_S8_EEiEEZNS1_14transform_implILb0ES3_SA_NS6_6detail15normal_iteratorINS6_7pointerIS9_NS6_11hip_rocprim5par_tENS6_11use_defaultESH_EEEENSD_INSE_IiSG_SH_SH_EEEEZNS1_13binary_searchIS3_SA_NSD_INS6_10device_ptrIS9_EEEESJ_SL_NS1_16binary_search_opENSC_16wrapped_functionINS6_6system6detail7generic6detail18binary_search_lessEbEEEE10hipError_tPvRmT1_T2_T3_mmT4_T5_P12ihipStream_tbEUlRKS9_E_EESY_S12_S13_mS14_S17_bEUlT_E_NS1_11comp_targetILNS1_3genE3ELNS1_11target_archE908ELNS1_3gpuE7ELNS1_3repE0EEENS1_30default_config_static_selectorELNS0_4arch9wavefront6targetE1EEEvS11_,"axG",@progbits,_ZN7rocprim17ROCPRIM_400000_NS6detail17trampoline_kernelINS0_14default_configENS1_29binary_search_config_selectorIN6thrust23THRUST_200600_302600_NS5tupleIiiNS6_9null_typeES8_S8_S8_S8_S8_S8_S8_EEiEEZNS1_14transform_implILb0ES3_SA_NS6_6detail15normal_iteratorINS6_7pointerIS9_NS6_11hip_rocprim5par_tENS6_11use_defaultESH_EEEENSD_INSE_IiSG_SH_SH_EEEEZNS1_13binary_searchIS3_SA_NSD_INS6_10device_ptrIS9_EEEESJ_SL_NS1_16binary_search_opENSC_16wrapped_functionINS6_6system6detail7generic6detail18binary_search_lessEbEEEE10hipError_tPvRmT1_T2_T3_mmT4_T5_P12ihipStream_tbEUlRKS9_E_EESY_S12_S13_mS14_S17_bEUlT_E_NS1_11comp_targetILNS1_3genE3ELNS1_11target_archE908ELNS1_3gpuE7ELNS1_3repE0EEENS1_30default_config_static_selectorELNS0_4arch9wavefront6targetE1EEEvS11_,comdat
.Lfunc_end728:
	.size	_ZN7rocprim17ROCPRIM_400000_NS6detail17trampoline_kernelINS0_14default_configENS1_29binary_search_config_selectorIN6thrust23THRUST_200600_302600_NS5tupleIiiNS6_9null_typeES8_S8_S8_S8_S8_S8_S8_EEiEEZNS1_14transform_implILb0ES3_SA_NS6_6detail15normal_iteratorINS6_7pointerIS9_NS6_11hip_rocprim5par_tENS6_11use_defaultESH_EEEENSD_INSE_IiSG_SH_SH_EEEEZNS1_13binary_searchIS3_SA_NSD_INS6_10device_ptrIS9_EEEESJ_SL_NS1_16binary_search_opENSC_16wrapped_functionINS6_6system6detail7generic6detail18binary_search_lessEbEEEE10hipError_tPvRmT1_T2_T3_mmT4_T5_P12ihipStream_tbEUlRKS9_E_EESY_S12_S13_mS14_S17_bEUlT_E_NS1_11comp_targetILNS1_3genE3ELNS1_11target_archE908ELNS1_3gpuE7ELNS1_3repE0EEENS1_30default_config_static_selectorELNS0_4arch9wavefront6targetE1EEEvS11_, .Lfunc_end728-_ZN7rocprim17ROCPRIM_400000_NS6detail17trampoline_kernelINS0_14default_configENS1_29binary_search_config_selectorIN6thrust23THRUST_200600_302600_NS5tupleIiiNS6_9null_typeES8_S8_S8_S8_S8_S8_S8_EEiEEZNS1_14transform_implILb0ES3_SA_NS6_6detail15normal_iteratorINS6_7pointerIS9_NS6_11hip_rocprim5par_tENS6_11use_defaultESH_EEEENSD_INSE_IiSG_SH_SH_EEEEZNS1_13binary_searchIS3_SA_NSD_INS6_10device_ptrIS9_EEEESJ_SL_NS1_16binary_search_opENSC_16wrapped_functionINS6_6system6detail7generic6detail18binary_search_lessEbEEEE10hipError_tPvRmT1_T2_T3_mmT4_T5_P12ihipStream_tbEUlRKS9_E_EESY_S12_S13_mS14_S17_bEUlT_E_NS1_11comp_targetILNS1_3genE3ELNS1_11target_archE908ELNS1_3gpuE7ELNS1_3repE0EEENS1_30default_config_static_selectorELNS0_4arch9wavefront6targetE1EEEvS11_
                                        ; -- End function
	.set _ZN7rocprim17ROCPRIM_400000_NS6detail17trampoline_kernelINS0_14default_configENS1_29binary_search_config_selectorIN6thrust23THRUST_200600_302600_NS5tupleIiiNS6_9null_typeES8_S8_S8_S8_S8_S8_S8_EEiEEZNS1_14transform_implILb0ES3_SA_NS6_6detail15normal_iteratorINS6_7pointerIS9_NS6_11hip_rocprim5par_tENS6_11use_defaultESH_EEEENSD_INSE_IiSG_SH_SH_EEEEZNS1_13binary_searchIS3_SA_NSD_INS6_10device_ptrIS9_EEEESJ_SL_NS1_16binary_search_opENSC_16wrapped_functionINS6_6system6detail7generic6detail18binary_search_lessEbEEEE10hipError_tPvRmT1_T2_T3_mmT4_T5_P12ihipStream_tbEUlRKS9_E_EESY_S12_S13_mS14_S17_bEUlT_E_NS1_11comp_targetILNS1_3genE3ELNS1_11target_archE908ELNS1_3gpuE7ELNS1_3repE0EEENS1_30default_config_static_selectorELNS0_4arch9wavefront6targetE1EEEvS11_.num_vgpr, 0
	.set _ZN7rocprim17ROCPRIM_400000_NS6detail17trampoline_kernelINS0_14default_configENS1_29binary_search_config_selectorIN6thrust23THRUST_200600_302600_NS5tupleIiiNS6_9null_typeES8_S8_S8_S8_S8_S8_S8_EEiEEZNS1_14transform_implILb0ES3_SA_NS6_6detail15normal_iteratorINS6_7pointerIS9_NS6_11hip_rocprim5par_tENS6_11use_defaultESH_EEEENSD_INSE_IiSG_SH_SH_EEEEZNS1_13binary_searchIS3_SA_NSD_INS6_10device_ptrIS9_EEEESJ_SL_NS1_16binary_search_opENSC_16wrapped_functionINS6_6system6detail7generic6detail18binary_search_lessEbEEEE10hipError_tPvRmT1_T2_T3_mmT4_T5_P12ihipStream_tbEUlRKS9_E_EESY_S12_S13_mS14_S17_bEUlT_E_NS1_11comp_targetILNS1_3genE3ELNS1_11target_archE908ELNS1_3gpuE7ELNS1_3repE0EEENS1_30default_config_static_selectorELNS0_4arch9wavefront6targetE1EEEvS11_.num_agpr, 0
	.set _ZN7rocprim17ROCPRIM_400000_NS6detail17trampoline_kernelINS0_14default_configENS1_29binary_search_config_selectorIN6thrust23THRUST_200600_302600_NS5tupleIiiNS6_9null_typeES8_S8_S8_S8_S8_S8_S8_EEiEEZNS1_14transform_implILb0ES3_SA_NS6_6detail15normal_iteratorINS6_7pointerIS9_NS6_11hip_rocprim5par_tENS6_11use_defaultESH_EEEENSD_INSE_IiSG_SH_SH_EEEEZNS1_13binary_searchIS3_SA_NSD_INS6_10device_ptrIS9_EEEESJ_SL_NS1_16binary_search_opENSC_16wrapped_functionINS6_6system6detail7generic6detail18binary_search_lessEbEEEE10hipError_tPvRmT1_T2_T3_mmT4_T5_P12ihipStream_tbEUlRKS9_E_EESY_S12_S13_mS14_S17_bEUlT_E_NS1_11comp_targetILNS1_3genE3ELNS1_11target_archE908ELNS1_3gpuE7ELNS1_3repE0EEENS1_30default_config_static_selectorELNS0_4arch9wavefront6targetE1EEEvS11_.numbered_sgpr, 0
	.set _ZN7rocprim17ROCPRIM_400000_NS6detail17trampoline_kernelINS0_14default_configENS1_29binary_search_config_selectorIN6thrust23THRUST_200600_302600_NS5tupleIiiNS6_9null_typeES8_S8_S8_S8_S8_S8_S8_EEiEEZNS1_14transform_implILb0ES3_SA_NS6_6detail15normal_iteratorINS6_7pointerIS9_NS6_11hip_rocprim5par_tENS6_11use_defaultESH_EEEENSD_INSE_IiSG_SH_SH_EEEEZNS1_13binary_searchIS3_SA_NSD_INS6_10device_ptrIS9_EEEESJ_SL_NS1_16binary_search_opENSC_16wrapped_functionINS6_6system6detail7generic6detail18binary_search_lessEbEEEE10hipError_tPvRmT1_T2_T3_mmT4_T5_P12ihipStream_tbEUlRKS9_E_EESY_S12_S13_mS14_S17_bEUlT_E_NS1_11comp_targetILNS1_3genE3ELNS1_11target_archE908ELNS1_3gpuE7ELNS1_3repE0EEENS1_30default_config_static_selectorELNS0_4arch9wavefront6targetE1EEEvS11_.num_named_barrier, 0
	.set _ZN7rocprim17ROCPRIM_400000_NS6detail17trampoline_kernelINS0_14default_configENS1_29binary_search_config_selectorIN6thrust23THRUST_200600_302600_NS5tupleIiiNS6_9null_typeES8_S8_S8_S8_S8_S8_S8_EEiEEZNS1_14transform_implILb0ES3_SA_NS6_6detail15normal_iteratorINS6_7pointerIS9_NS6_11hip_rocprim5par_tENS6_11use_defaultESH_EEEENSD_INSE_IiSG_SH_SH_EEEEZNS1_13binary_searchIS3_SA_NSD_INS6_10device_ptrIS9_EEEESJ_SL_NS1_16binary_search_opENSC_16wrapped_functionINS6_6system6detail7generic6detail18binary_search_lessEbEEEE10hipError_tPvRmT1_T2_T3_mmT4_T5_P12ihipStream_tbEUlRKS9_E_EESY_S12_S13_mS14_S17_bEUlT_E_NS1_11comp_targetILNS1_3genE3ELNS1_11target_archE908ELNS1_3gpuE7ELNS1_3repE0EEENS1_30default_config_static_selectorELNS0_4arch9wavefront6targetE1EEEvS11_.private_seg_size, 0
	.set _ZN7rocprim17ROCPRIM_400000_NS6detail17trampoline_kernelINS0_14default_configENS1_29binary_search_config_selectorIN6thrust23THRUST_200600_302600_NS5tupleIiiNS6_9null_typeES8_S8_S8_S8_S8_S8_S8_EEiEEZNS1_14transform_implILb0ES3_SA_NS6_6detail15normal_iteratorINS6_7pointerIS9_NS6_11hip_rocprim5par_tENS6_11use_defaultESH_EEEENSD_INSE_IiSG_SH_SH_EEEEZNS1_13binary_searchIS3_SA_NSD_INS6_10device_ptrIS9_EEEESJ_SL_NS1_16binary_search_opENSC_16wrapped_functionINS6_6system6detail7generic6detail18binary_search_lessEbEEEE10hipError_tPvRmT1_T2_T3_mmT4_T5_P12ihipStream_tbEUlRKS9_E_EESY_S12_S13_mS14_S17_bEUlT_E_NS1_11comp_targetILNS1_3genE3ELNS1_11target_archE908ELNS1_3gpuE7ELNS1_3repE0EEENS1_30default_config_static_selectorELNS0_4arch9wavefront6targetE1EEEvS11_.uses_vcc, 0
	.set _ZN7rocprim17ROCPRIM_400000_NS6detail17trampoline_kernelINS0_14default_configENS1_29binary_search_config_selectorIN6thrust23THRUST_200600_302600_NS5tupleIiiNS6_9null_typeES8_S8_S8_S8_S8_S8_S8_EEiEEZNS1_14transform_implILb0ES3_SA_NS6_6detail15normal_iteratorINS6_7pointerIS9_NS6_11hip_rocprim5par_tENS6_11use_defaultESH_EEEENSD_INSE_IiSG_SH_SH_EEEEZNS1_13binary_searchIS3_SA_NSD_INS6_10device_ptrIS9_EEEESJ_SL_NS1_16binary_search_opENSC_16wrapped_functionINS6_6system6detail7generic6detail18binary_search_lessEbEEEE10hipError_tPvRmT1_T2_T3_mmT4_T5_P12ihipStream_tbEUlRKS9_E_EESY_S12_S13_mS14_S17_bEUlT_E_NS1_11comp_targetILNS1_3genE3ELNS1_11target_archE908ELNS1_3gpuE7ELNS1_3repE0EEENS1_30default_config_static_selectorELNS0_4arch9wavefront6targetE1EEEvS11_.uses_flat_scratch, 0
	.set _ZN7rocprim17ROCPRIM_400000_NS6detail17trampoline_kernelINS0_14default_configENS1_29binary_search_config_selectorIN6thrust23THRUST_200600_302600_NS5tupleIiiNS6_9null_typeES8_S8_S8_S8_S8_S8_S8_EEiEEZNS1_14transform_implILb0ES3_SA_NS6_6detail15normal_iteratorINS6_7pointerIS9_NS6_11hip_rocprim5par_tENS6_11use_defaultESH_EEEENSD_INSE_IiSG_SH_SH_EEEEZNS1_13binary_searchIS3_SA_NSD_INS6_10device_ptrIS9_EEEESJ_SL_NS1_16binary_search_opENSC_16wrapped_functionINS6_6system6detail7generic6detail18binary_search_lessEbEEEE10hipError_tPvRmT1_T2_T3_mmT4_T5_P12ihipStream_tbEUlRKS9_E_EESY_S12_S13_mS14_S17_bEUlT_E_NS1_11comp_targetILNS1_3genE3ELNS1_11target_archE908ELNS1_3gpuE7ELNS1_3repE0EEENS1_30default_config_static_selectorELNS0_4arch9wavefront6targetE1EEEvS11_.has_dyn_sized_stack, 0
	.set _ZN7rocprim17ROCPRIM_400000_NS6detail17trampoline_kernelINS0_14default_configENS1_29binary_search_config_selectorIN6thrust23THRUST_200600_302600_NS5tupleIiiNS6_9null_typeES8_S8_S8_S8_S8_S8_S8_EEiEEZNS1_14transform_implILb0ES3_SA_NS6_6detail15normal_iteratorINS6_7pointerIS9_NS6_11hip_rocprim5par_tENS6_11use_defaultESH_EEEENSD_INSE_IiSG_SH_SH_EEEEZNS1_13binary_searchIS3_SA_NSD_INS6_10device_ptrIS9_EEEESJ_SL_NS1_16binary_search_opENSC_16wrapped_functionINS6_6system6detail7generic6detail18binary_search_lessEbEEEE10hipError_tPvRmT1_T2_T3_mmT4_T5_P12ihipStream_tbEUlRKS9_E_EESY_S12_S13_mS14_S17_bEUlT_E_NS1_11comp_targetILNS1_3genE3ELNS1_11target_archE908ELNS1_3gpuE7ELNS1_3repE0EEENS1_30default_config_static_selectorELNS0_4arch9wavefront6targetE1EEEvS11_.has_recursion, 0
	.set _ZN7rocprim17ROCPRIM_400000_NS6detail17trampoline_kernelINS0_14default_configENS1_29binary_search_config_selectorIN6thrust23THRUST_200600_302600_NS5tupleIiiNS6_9null_typeES8_S8_S8_S8_S8_S8_S8_EEiEEZNS1_14transform_implILb0ES3_SA_NS6_6detail15normal_iteratorINS6_7pointerIS9_NS6_11hip_rocprim5par_tENS6_11use_defaultESH_EEEENSD_INSE_IiSG_SH_SH_EEEEZNS1_13binary_searchIS3_SA_NSD_INS6_10device_ptrIS9_EEEESJ_SL_NS1_16binary_search_opENSC_16wrapped_functionINS6_6system6detail7generic6detail18binary_search_lessEbEEEE10hipError_tPvRmT1_T2_T3_mmT4_T5_P12ihipStream_tbEUlRKS9_E_EESY_S12_S13_mS14_S17_bEUlT_E_NS1_11comp_targetILNS1_3genE3ELNS1_11target_archE908ELNS1_3gpuE7ELNS1_3repE0EEENS1_30default_config_static_selectorELNS0_4arch9wavefront6targetE1EEEvS11_.has_indirect_call, 0
	.section	.AMDGPU.csdata,"",@progbits
; Kernel info:
; codeLenInByte = 0
; TotalNumSgprs: 4
; NumVgprs: 0
; ScratchSize: 0
; MemoryBound: 0
; FloatMode: 240
; IeeeMode: 1
; LDSByteSize: 0 bytes/workgroup (compile time only)
; SGPRBlocks: 0
; VGPRBlocks: 0
; NumSGPRsForWavesPerEU: 4
; NumVGPRsForWavesPerEU: 1
; Occupancy: 10
; WaveLimiterHint : 0
; COMPUTE_PGM_RSRC2:SCRATCH_EN: 0
; COMPUTE_PGM_RSRC2:USER_SGPR: 6
; COMPUTE_PGM_RSRC2:TRAP_HANDLER: 0
; COMPUTE_PGM_RSRC2:TGID_X_EN: 1
; COMPUTE_PGM_RSRC2:TGID_Y_EN: 0
; COMPUTE_PGM_RSRC2:TGID_Z_EN: 0
; COMPUTE_PGM_RSRC2:TIDIG_COMP_CNT: 0
	.section	.text._ZN7rocprim17ROCPRIM_400000_NS6detail17trampoline_kernelINS0_14default_configENS1_29binary_search_config_selectorIN6thrust23THRUST_200600_302600_NS5tupleIiiNS6_9null_typeES8_S8_S8_S8_S8_S8_S8_EEiEEZNS1_14transform_implILb0ES3_SA_NS6_6detail15normal_iteratorINS6_7pointerIS9_NS6_11hip_rocprim5par_tENS6_11use_defaultESH_EEEENSD_INSE_IiSG_SH_SH_EEEEZNS1_13binary_searchIS3_SA_NSD_INS6_10device_ptrIS9_EEEESJ_SL_NS1_16binary_search_opENSC_16wrapped_functionINS6_6system6detail7generic6detail18binary_search_lessEbEEEE10hipError_tPvRmT1_T2_T3_mmT4_T5_P12ihipStream_tbEUlRKS9_E_EESY_S12_S13_mS14_S17_bEUlT_E_NS1_11comp_targetILNS1_3genE2ELNS1_11target_archE906ELNS1_3gpuE6ELNS1_3repE0EEENS1_30default_config_static_selectorELNS0_4arch9wavefront6targetE1EEEvS11_,"axG",@progbits,_ZN7rocprim17ROCPRIM_400000_NS6detail17trampoline_kernelINS0_14default_configENS1_29binary_search_config_selectorIN6thrust23THRUST_200600_302600_NS5tupleIiiNS6_9null_typeES8_S8_S8_S8_S8_S8_S8_EEiEEZNS1_14transform_implILb0ES3_SA_NS6_6detail15normal_iteratorINS6_7pointerIS9_NS6_11hip_rocprim5par_tENS6_11use_defaultESH_EEEENSD_INSE_IiSG_SH_SH_EEEEZNS1_13binary_searchIS3_SA_NSD_INS6_10device_ptrIS9_EEEESJ_SL_NS1_16binary_search_opENSC_16wrapped_functionINS6_6system6detail7generic6detail18binary_search_lessEbEEEE10hipError_tPvRmT1_T2_T3_mmT4_T5_P12ihipStream_tbEUlRKS9_E_EESY_S12_S13_mS14_S17_bEUlT_E_NS1_11comp_targetILNS1_3genE2ELNS1_11target_archE906ELNS1_3gpuE6ELNS1_3repE0EEENS1_30default_config_static_selectorELNS0_4arch9wavefront6targetE1EEEvS11_,comdat
	.protected	_ZN7rocprim17ROCPRIM_400000_NS6detail17trampoline_kernelINS0_14default_configENS1_29binary_search_config_selectorIN6thrust23THRUST_200600_302600_NS5tupleIiiNS6_9null_typeES8_S8_S8_S8_S8_S8_S8_EEiEEZNS1_14transform_implILb0ES3_SA_NS6_6detail15normal_iteratorINS6_7pointerIS9_NS6_11hip_rocprim5par_tENS6_11use_defaultESH_EEEENSD_INSE_IiSG_SH_SH_EEEEZNS1_13binary_searchIS3_SA_NSD_INS6_10device_ptrIS9_EEEESJ_SL_NS1_16binary_search_opENSC_16wrapped_functionINS6_6system6detail7generic6detail18binary_search_lessEbEEEE10hipError_tPvRmT1_T2_T3_mmT4_T5_P12ihipStream_tbEUlRKS9_E_EESY_S12_S13_mS14_S17_bEUlT_E_NS1_11comp_targetILNS1_3genE2ELNS1_11target_archE906ELNS1_3gpuE6ELNS1_3repE0EEENS1_30default_config_static_selectorELNS0_4arch9wavefront6targetE1EEEvS11_ ; -- Begin function _ZN7rocprim17ROCPRIM_400000_NS6detail17trampoline_kernelINS0_14default_configENS1_29binary_search_config_selectorIN6thrust23THRUST_200600_302600_NS5tupleIiiNS6_9null_typeES8_S8_S8_S8_S8_S8_S8_EEiEEZNS1_14transform_implILb0ES3_SA_NS6_6detail15normal_iteratorINS6_7pointerIS9_NS6_11hip_rocprim5par_tENS6_11use_defaultESH_EEEENSD_INSE_IiSG_SH_SH_EEEEZNS1_13binary_searchIS3_SA_NSD_INS6_10device_ptrIS9_EEEESJ_SL_NS1_16binary_search_opENSC_16wrapped_functionINS6_6system6detail7generic6detail18binary_search_lessEbEEEE10hipError_tPvRmT1_T2_T3_mmT4_T5_P12ihipStream_tbEUlRKS9_E_EESY_S12_S13_mS14_S17_bEUlT_E_NS1_11comp_targetILNS1_3genE2ELNS1_11target_archE906ELNS1_3gpuE6ELNS1_3repE0EEENS1_30default_config_static_selectorELNS0_4arch9wavefront6targetE1EEEvS11_
	.globl	_ZN7rocprim17ROCPRIM_400000_NS6detail17trampoline_kernelINS0_14default_configENS1_29binary_search_config_selectorIN6thrust23THRUST_200600_302600_NS5tupleIiiNS6_9null_typeES8_S8_S8_S8_S8_S8_S8_EEiEEZNS1_14transform_implILb0ES3_SA_NS6_6detail15normal_iteratorINS6_7pointerIS9_NS6_11hip_rocprim5par_tENS6_11use_defaultESH_EEEENSD_INSE_IiSG_SH_SH_EEEEZNS1_13binary_searchIS3_SA_NSD_INS6_10device_ptrIS9_EEEESJ_SL_NS1_16binary_search_opENSC_16wrapped_functionINS6_6system6detail7generic6detail18binary_search_lessEbEEEE10hipError_tPvRmT1_T2_T3_mmT4_T5_P12ihipStream_tbEUlRKS9_E_EESY_S12_S13_mS14_S17_bEUlT_E_NS1_11comp_targetILNS1_3genE2ELNS1_11target_archE906ELNS1_3gpuE6ELNS1_3repE0EEENS1_30default_config_static_selectorELNS0_4arch9wavefront6targetE1EEEvS11_
	.p2align	8
	.type	_ZN7rocprim17ROCPRIM_400000_NS6detail17trampoline_kernelINS0_14default_configENS1_29binary_search_config_selectorIN6thrust23THRUST_200600_302600_NS5tupleIiiNS6_9null_typeES8_S8_S8_S8_S8_S8_S8_EEiEEZNS1_14transform_implILb0ES3_SA_NS6_6detail15normal_iteratorINS6_7pointerIS9_NS6_11hip_rocprim5par_tENS6_11use_defaultESH_EEEENSD_INSE_IiSG_SH_SH_EEEEZNS1_13binary_searchIS3_SA_NSD_INS6_10device_ptrIS9_EEEESJ_SL_NS1_16binary_search_opENSC_16wrapped_functionINS6_6system6detail7generic6detail18binary_search_lessEbEEEE10hipError_tPvRmT1_T2_T3_mmT4_T5_P12ihipStream_tbEUlRKS9_E_EESY_S12_S13_mS14_S17_bEUlT_E_NS1_11comp_targetILNS1_3genE2ELNS1_11target_archE906ELNS1_3gpuE6ELNS1_3repE0EEENS1_30default_config_static_selectorELNS0_4arch9wavefront6targetE1EEEvS11_,@function
_ZN7rocprim17ROCPRIM_400000_NS6detail17trampoline_kernelINS0_14default_configENS1_29binary_search_config_selectorIN6thrust23THRUST_200600_302600_NS5tupleIiiNS6_9null_typeES8_S8_S8_S8_S8_S8_S8_EEiEEZNS1_14transform_implILb0ES3_SA_NS6_6detail15normal_iteratorINS6_7pointerIS9_NS6_11hip_rocprim5par_tENS6_11use_defaultESH_EEEENSD_INSE_IiSG_SH_SH_EEEEZNS1_13binary_searchIS3_SA_NSD_INS6_10device_ptrIS9_EEEESJ_SL_NS1_16binary_search_opENSC_16wrapped_functionINS6_6system6detail7generic6detail18binary_search_lessEbEEEE10hipError_tPvRmT1_T2_T3_mmT4_T5_P12ihipStream_tbEUlRKS9_E_EESY_S12_S13_mS14_S17_bEUlT_E_NS1_11comp_targetILNS1_3genE2ELNS1_11target_archE906ELNS1_3gpuE6ELNS1_3repE0EEENS1_30default_config_static_selectorELNS0_4arch9wavefront6targetE1EEEvS11_: ; @_ZN7rocprim17ROCPRIM_400000_NS6detail17trampoline_kernelINS0_14default_configENS1_29binary_search_config_selectorIN6thrust23THRUST_200600_302600_NS5tupleIiiNS6_9null_typeES8_S8_S8_S8_S8_S8_S8_EEiEEZNS1_14transform_implILb0ES3_SA_NS6_6detail15normal_iteratorINS6_7pointerIS9_NS6_11hip_rocprim5par_tENS6_11use_defaultESH_EEEENSD_INSE_IiSG_SH_SH_EEEEZNS1_13binary_searchIS3_SA_NSD_INS6_10device_ptrIS9_EEEESJ_SL_NS1_16binary_search_opENSC_16wrapped_functionINS6_6system6detail7generic6detail18binary_search_lessEbEEEE10hipError_tPvRmT1_T2_T3_mmT4_T5_P12ihipStream_tbEUlRKS9_E_EESY_S12_S13_mS14_S17_bEUlT_E_NS1_11comp_targetILNS1_3genE2ELNS1_11target_archE906ELNS1_3gpuE6ELNS1_3repE0EEENS1_30default_config_static_selectorELNS0_4arch9wavefront6targetE1EEEvS11_
; %bb.0:
	s_load_dwordx4 s[12:15], s[4:5], 0x0
	s_load_dwordx4 s[8:11], s[4:5], 0x18
	s_load_dwordx2 s[16:17], s[4:5], 0x28
	s_load_dword s2, s[4:5], 0x38
	s_waitcnt lgkmcnt(0)
	s_lshl_b64 s[0:1], s[14:15], 3
	s_add_u32 s20, s12, s0
	s_addc_u32 s21, s13, s1
	s_lshl_b32 s12, s6, 8
	s_add_i32 s2, s2, -1
	s_cmp_lg_u32 s6, s2
	s_mov_b32 s13, 0
	s_cbranch_scc0 .LBB729_6
; %bb.1:
	s_lshl_b64 s[0:1], s[12:13], 3
	s_add_u32 s0, s20, s0
	s_addc_u32 s1, s21, s1
	v_lshlrev_b32_e32 v1, 3, v0
	v_mov_b32_e32 v2, s1
	v_add_co_u32_e32 v1, vcc, s0, v1
	v_addc_co_u32_e32 v2, vcc, 0, v2, vcc
	flat_load_dwordx2 v[2:3], v[1:2]
	v_mov_b32_e32 v4, 0
	v_mov_b32_e32 v1, 0
	s_cmp_eq_u64 s[16:17], 0
	s_mov_b64 s[6:7], 0
	v_mov_b32_e32 v5, 0
	s_cbranch_scc1 .LBB729_5
; %bb.2:
	v_mov_b32_e32 v6, s16
	v_mov_b32_e32 v7, s17
	;; [unrolled: 1-line block ×3, first 2 shown]
.LBB729_3:                              ; =>This Inner Loop Header: Depth=1
	v_sub_co_u32_e32 v9, vcc, v6, v4
	v_subb_co_u32_e32 v10, vcc, v7, v5, vcc
	v_lshrrev_b64 v[11:12], 1, v[9:10]
	v_lshrrev_b64 v[9:10], 6, v[9:10]
	v_add_co_u32_e32 v11, vcc, v11, v4
	v_addc_co_u32_e32 v12, vcc, v12, v5, vcc
	v_add_co_u32_e32 v9, vcc, v11, v9
	v_addc_co_u32_e32 v10, vcc, v12, v10, vcc
	v_lshlrev_b64 v[11:12], 3, v[9:10]
	v_add_co_u32_e32 v11, vcc, s10, v11
	v_addc_co_u32_e32 v12, vcc, v8, v12, vcc
	global_load_dwordx2 v[11:12], v[11:12], off
	v_add_co_u32_e32 v13, vcc, 1, v9
	v_addc_co_u32_e32 v14, vcc, 0, v10, vcc
	s_waitcnt vmcnt(0) lgkmcnt(0)
	v_cmp_ge_i32_e64 s[0:1], v2, v11
	v_cmp_lt_i32_e64 s[2:3], v12, v3
	v_cmp_lt_i32_e32 vcc, v11, v2
	s_and_b64 s[0:1], s[0:1], s[2:3]
	s_or_b64 vcc, vcc, s[0:1]
	v_cndmask_b32_e32 v7, v10, v7, vcc
	v_cndmask_b32_e32 v6, v9, v6, vcc
	;; [unrolled: 1-line block ×4, first 2 shown]
	v_cmp_ge_u64_e32 vcc, v[4:5], v[6:7]
	s_or_b64 s[6:7], vcc, s[6:7]
	s_andn2_b64 exec, exec, s[6:7]
	s_cbranch_execnz .LBB729_3
; %bb.4:
	s_or_b64 exec, exec, s[6:7]
.LBB729_5:
	v_cmp_eq_u64_e64 s[6:7], s[16:17], v[4:5]
	v_cmp_ne_u64_e64 s[18:19], s[16:17], v[4:5]
	s_branch .LBB729_14
.LBB729_6:
	s_mov_b64 s[18:19], 0
	s_mov_b64 s[6:7], 0
                                        ; implicit-def: $vgpr3
                                        ; implicit-def: $vgpr4_vgpr5
	s_cbranch_execz .LBB729_14
; %bb.7:
	s_load_dword s0, s[4:5], 0x10
                                        ; implicit-def: $vgpr3
                                        ; implicit-def: $vgpr4_vgpr5
	s_waitcnt lgkmcnt(0)
	s_sub_i32 s0, s0, s12
	v_cmp_gt_u32_e32 vcc, s0, v0
	s_and_saveexec_b64 s[4:5], vcc
	s_cbranch_execz .LBB729_13
; %bb.8:
	s_lshl_b64 s[0:1], s[12:13], 3
	s_add_u32 s0, s20, s0
	s_addc_u32 s1, s21, s1
	v_lshlrev_b32_e32 v1, 3, v0
	s_waitcnt vmcnt(0)
	v_mov_b32_e32 v2, s1
	v_add_co_u32_e32 v1, vcc, s0, v1
	v_addc_co_u32_e32 v2, vcc, 0, v2, vcc
	flat_load_dwordx2 v[2:3], v[1:2]
	v_mov_b32_e32 v4, 0
	v_mov_b32_e32 v1, 0
	s_cmp_eq_u64 s[16:17], 0
	s_mov_b64 s[20:21], 0
	v_mov_b32_e32 v5, 0
	s_cbranch_scc1 .LBB729_12
; %bb.9:
	v_mov_b32_e32 v6, s16
	v_mov_b32_e32 v7, s17
	;; [unrolled: 1-line block ×3, first 2 shown]
.LBB729_10:                             ; =>This Inner Loop Header: Depth=1
	v_sub_co_u32_e32 v9, vcc, v6, v4
	v_subb_co_u32_e32 v10, vcc, v7, v5, vcc
	v_lshrrev_b64 v[11:12], 1, v[9:10]
	v_lshrrev_b64 v[9:10], 6, v[9:10]
	v_add_co_u32_e32 v11, vcc, v11, v4
	v_addc_co_u32_e32 v12, vcc, v12, v5, vcc
	v_add_co_u32_e32 v9, vcc, v11, v9
	v_addc_co_u32_e32 v10, vcc, v12, v10, vcc
	v_lshlrev_b64 v[11:12], 3, v[9:10]
	v_add_co_u32_e32 v11, vcc, s10, v11
	v_addc_co_u32_e32 v12, vcc, v8, v12, vcc
	global_load_dwordx2 v[11:12], v[11:12], off
	v_add_co_u32_e32 v13, vcc, 1, v9
	v_addc_co_u32_e32 v14, vcc, 0, v10, vcc
	s_waitcnt vmcnt(0) lgkmcnt(0)
	v_cmp_ge_i32_e64 s[0:1], v2, v11
	v_cmp_lt_i32_e64 s[2:3], v12, v3
	v_cmp_lt_i32_e32 vcc, v11, v2
	s_and_b64 s[0:1], s[0:1], s[2:3]
	s_or_b64 vcc, vcc, s[0:1]
	v_cndmask_b32_e32 v7, v10, v7, vcc
	v_cndmask_b32_e32 v6, v9, v6, vcc
	;; [unrolled: 1-line block ×4, first 2 shown]
	v_cmp_ge_u64_e32 vcc, v[4:5], v[6:7]
	s_or_b64 s[20:21], vcc, s[20:21]
	s_andn2_b64 exec, exec, s[20:21]
	s_cbranch_execnz .LBB729_10
; %bb.11:
	s_or_b64 exec, exec, s[20:21]
.LBB729_12:
	v_cmp_eq_u64_e32 vcc, s[16:17], v[4:5]
	v_cmp_ne_u64_e64 s[0:1], s[16:17], v[4:5]
	s_andn2_b64 s[2:3], s[6:7], exec
	s_and_b64 s[6:7], vcc, exec
	s_or_b64 s[6:7], s[2:3], s[6:7]
	s_andn2_b64 s[2:3], s[18:19], exec
	s_and_b64 s[0:1], s[0:1], exec
	s_or_b64 s[18:19], s[2:3], s[0:1]
.LBB729_13:
	s_or_b64 exec, exec, s[4:5]
.LBB729_14:
	v_mov_b32_e32 v6, 0
	s_and_saveexec_b64 s[4:5], s[18:19]
	s_cbranch_execnz .LBB729_17
; %bb.15:
	s_or_b64 exec, exec, s[4:5]
	s_and_saveexec_b64 s[0:1], s[6:7]
	s_cbranch_execnz .LBB729_18
.LBB729_16:
	s_endpgm
.LBB729_17:
	v_lshlrev_b64 v[4:5], 3, v[4:5]
	v_mov_b32_e32 v6, s11
	v_add_co_u32_e32 v4, vcc, s10, v4
	v_addc_co_u32_e32 v5, vcc, v6, v5, vcc
	global_load_dwordx2 v[4:5], v[4:5], off
	s_or_b64 s[6:7], s[6:7], exec
	s_waitcnt vmcnt(0) lgkmcnt(0)
	v_cmp_lt_i32_e64 s[0:1], v4, v2
	v_cmp_ge_i32_e64 s[2:3], v3, v5
	v_cmp_ge_i32_e32 vcc, v2, v4
	s_or_b64 s[0:1], s[0:1], s[2:3]
	s_and_b64 s[0:1], vcc, s[0:1]
	v_cndmask_b32_e64 v6, 0, 1, s[0:1]
	s_or_b64 exec, exec, s[4:5]
	s_and_saveexec_b64 s[0:1], s[6:7]
	s_cbranch_execz .LBB729_16
.LBB729_18:
	s_lshl_b64 s[0:1], s[14:15], 2
	s_add_u32 s2, s8, s0
	s_addc_u32 s3, s9, s1
	s_lshl_b64 s[0:1], s[12:13], 2
	s_add_u32 s0, s2, s0
	v_lshlrev_b64 v[0:1], 2, v[0:1]
	s_addc_u32 s1, s3, s1
	s_waitcnt vmcnt(0) lgkmcnt(0)
	v_mov_b32_e32 v2, s1
	v_add_co_u32_e32 v0, vcc, s0, v0
	v_addc_co_u32_e32 v1, vcc, v2, v1, vcc
	flat_store_dword v[0:1], v6
	s_endpgm
	.section	.rodata,"a",@progbits
	.p2align	6, 0x0
	.amdhsa_kernel _ZN7rocprim17ROCPRIM_400000_NS6detail17trampoline_kernelINS0_14default_configENS1_29binary_search_config_selectorIN6thrust23THRUST_200600_302600_NS5tupleIiiNS6_9null_typeES8_S8_S8_S8_S8_S8_S8_EEiEEZNS1_14transform_implILb0ES3_SA_NS6_6detail15normal_iteratorINS6_7pointerIS9_NS6_11hip_rocprim5par_tENS6_11use_defaultESH_EEEENSD_INSE_IiSG_SH_SH_EEEEZNS1_13binary_searchIS3_SA_NSD_INS6_10device_ptrIS9_EEEESJ_SL_NS1_16binary_search_opENSC_16wrapped_functionINS6_6system6detail7generic6detail18binary_search_lessEbEEEE10hipError_tPvRmT1_T2_T3_mmT4_T5_P12ihipStream_tbEUlRKS9_E_EESY_S12_S13_mS14_S17_bEUlT_E_NS1_11comp_targetILNS1_3genE2ELNS1_11target_archE906ELNS1_3gpuE6ELNS1_3repE0EEENS1_30default_config_static_selectorELNS0_4arch9wavefront6targetE1EEEvS11_
		.amdhsa_group_segment_fixed_size 0
		.amdhsa_private_segment_fixed_size 0
		.amdhsa_kernarg_size 312
		.amdhsa_user_sgpr_count 6
		.amdhsa_user_sgpr_private_segment_buffer 1
		.amdhsa_user_sgpr_dispatch_ptr 0
		.amdhsa_user_sgpr_queue_ptr 0
		.amdhsa_user_sgpr_kernarg_segment_ptr 1
		.amdhsa_user_sgpr_dispatch_id 0
		.amdhsa_user_sgpr_flat_scratch_init 0
		.amdhsa_user_sgpr_private_segment_size 0
		.amdhsa_uses_dynamic_stack 0
		.amdhsa_system_sgpr_private_segment_wavefront_offset 0
		.amdhsa_system_sgpr_workgroup_id_x 1
		.amdhsa_system_sgpr_workgroup_id_y 0
		.amdhsa_system_sgpr_workgroup_id_z 0
		.amdhsa_system_sgpr_workgroup_info 0
		.amdhsa_system_vgpr_workitem_id 0
		.amdhsa_next_free_vgpr 15
		.amdhsa_next_free_sgpr 22
		.amdhsa_reserve_vcc 1
		.amdhsa_reserve_flat_scratch 0
		.amdhsa_float_round_mode_32 0
		.amdhsa_float_round_mode_16_64 0
		.amdhsa_float_denorm_mode_32 3
		.amdhsa_float_denorm_mode_16_64 3
		.amdhsa_dx10_clamp 1
		.amdhsa_ieee_mode 1
		.amdhsa_fp16_overflow 0
		.amdhsa_exception_fp_ieee_invalid_op 0
		.amdhsa_exception_fp_denorm_src 0
		.amdhsa_exception_fp_ieee_div_zero 0
		.amdhsa_exception_fp_ieee_overflow 0
		.amdhsa_exception_fp_ieee_underflow 0
		.amdhsa_exception_fp_ieee_inexact 0
		.amdhsa_exception_int_div_zero 0
	.end_amdhsa_kernel
	.section	.text._ZN7rocprim17ROCPRIM_400000_NS6detail17trampoline_kernelINS0_14default_configENS1_29binary_search_config_selectorIN6thrust23THRUST_200600_302600_NS5tupleIiiNS6_9null_typeES8_S8_S8_S8_S8_S8_S8_EEiEEZNS1_14transform_implILb0ES3_SA_NS6_6detail15normal_iteratorINS6_7pointerIS9_NS6_11hip_rocprim5par_tENS6_11use_defaultESH_EEEENSD_INSE_IiSG_SH_SH_EEEEZNS1_13binary_searchIS3_SA_NSD_INS6_10device_ptrIS9_EEEESJ_SL_NS1_16binary_search_opENSC_16wrapped_functionINS6_6system6detail7generic6detail18binary_search_lessEbEEEE10hipError_tPvRmT1_T2_T3_mmT4_T5_P12ihipStream_tbEUlRKS9_E_EESY_S12_S13_mS14_S17_bEUlT_E_NS1_11comp_targetILNS1_3genE2ELNS1_11target_archE906ELNS1_3gpuE6ELNS1_3repE0EEENS1_30default_config_static_selectorELNS0_4arch9wavefront6targetE1EEEvS11_,"axG",@progbits,_ZN7rocprim17ROCPRIM_400000_NS6detail17trampoline_kernelINS0_14default_configENS1_29binary_search_config_selectorIN6thrust23THRUST_200600_302600_NS5tupleIiiNS6_9null_typeES8_S8_S8_S8_S8_S8_S8_EEiEEZNS1_14transform_implILb0ES3_SA_NS6_6detail15normal_iteratorINS6_7pointerIS9_NS6_11hip_rocprim5par_tENS6_11use_defaultESH_EEEENSD_INSE_IiSG_SH_SH_EEEEZNS1_13binary_searchIS3_SA_NSD_INS6_10device_ptrIS9_EEEESJ_SL_NS1_16binary_search_opENSC_16wrapped_functionINS6_6system6detail7generic6detail18binary_search_lessEbEEEE10hipError_tPvRmT1_T2_T3_mmT4_T5_P12ihipStream_tbEUlRKS9_E_EESY_S12_S13_mS14_S17_bEUlT_E_NS1_11comp_targetILNS1_3genE2ELNS1_11target_archE906ELNS1_3gpuE6ELNS1_3repE0EEENS1_30default_config_static_selectorELNS0_4arch9wavefront6targetE1EEEvS11_,comdat
.Lfunc_end729:
	.size	_ZN7rocprim17ROCPRIM_400000_NS6detail17trampoline_kernelINS0_14default_configENS1_29binary_search_config_selectorIN6thrust23THRUST_200600_302600_NS5tupleIiiNS6_9null_typeES8_S8_S8_S8_S8_S8_S8_EEiEEZNS1_14transform_implILb0ES3_SA_NS6_6detail15normal_iteratorINS6_7pointerIS9_NS6_11hip_rocprim5par_tENS6_11use_defaultESH_EEEENSD_INSE_IiSG_SH_SH_EEEEZNS1_13binary_searchIS3_SA_NSD_INS6_10device_ptrIS9_EEEESJ_SL_NS1_16binary_search_opENSC_16wrapped_functionINS6_6system6detail7generic6detail18binary_search_lessEbEEEE10hipError_tPvRmT1_T2_T3_mmT4_T5_P12ihipStream_tbEUlRKS9_E_EESY_S12_S13_mS14_S17_bEUlT_E_NS1_11comp_targetILNS1_3genE2ELNS1_11target_archE906ELNS1_3gpuE6ELNS1_3repE0EEENS1_30default_config_static_selectorELNS0_4arch9wavefront6targetE1EEEvS11_, .Lfunc_end729-_ZN7rocprim17ROCPRIM_400000_NS6detail17trampoline_kernelINS0_14default_configENS1_29binary_search_config_selectorIN6thrust23THRUST_200600_302600_NS5tupleIiiNS6_9null_typeES8_S8_S8_S8_S8_S8_S8_EEiEEZNS1_14transform_implILb0ES3_SA_NS6_6detail15normal_iteratorINS6_7pointerIS9_NS6_11hip_rocprim5par_tENS6_11use_defaultESH_EEEENSD_INSE_IiSG_SH_SH_EEEEZNS1_13binary_searchIS3_SA_NSD_INS6_10device_ptrIS9_EEEESJ_SL_NS1_16binary_search_opENSC_16wrapped_functionINS6_6system6detail7generic6detail18binary_search_lessEbEEEE10hipError_tPvRmT1_T2_T3_mmT4_T5_P12ihipStream_tbEUlRKS9_E_EESY_S12_S13_mS14_S17_bEUlT_E_NS1_11comp_targetILNS1_3genE2ELNS1_11target_archE906ELNS1_3gpuE6ELNS1_3repE0EEENS1_30default_config_static_selectorELNS0_4arch9wavefront6targetE1EEEvS11_
                                        ; -- End function
	.set _ZN7rocprim17ROCPRIM_400000_NS6detail17trampoline_kernelINS0_14default_configENS1_29binary_search_config_selectorIN6thrust23THRUST_200600_302600_NS5tupleIiiNS6_9null_typeES8_S8_S8_S8_S8_S8_S8_EEiEEZNS1_14transform_implILb0ES3_SA_NS6_6detail15normal_iteratorINS6_7pointerIS9_NS6_11hip_rocprim5par_tENS6_11use_defaultESH_EEEENSD_INSE_IiSG_SH_SH_EEEEZNS1_13binary_searchIS3_SA_NSD_INS6_10device_ptrIS9_EEEESJ_SL_NS1_16binary_search_opENSC_16wrapped_functionINS6_6system6detail7generic6detail18binary_search_lessEbEEEE10hipError_tPvRmT1_T2_T3_mmT4_T5_P12ihipStream_tbEUlRKS9_E_EESY_S12_S13_mS14_S17_bEUlT_E_NS1_11comp_targetILNS1_3genE2ELNS1_11target_archE906ELNS1_3gpuE6ELNS1_3repE0EEENS1_30default_config_static_selectorELNS0_4arch9wavefront6targetE1EEEvS11_.num_vgpr, 15
	.set _ZN7rocprim17ROCPRIM_400000_NS6detail17trampoline_kernelINS0_14default_configENS1_29binary_search_config_selectorIN6thrust23THRUST_200600_302600_NS5tupleIiiNS6_9null_typeES8_S8_S8_S8_S8_S8_S8_EEiEEZNS1_14transform_implILb0ES3_SA_NS6_6detail15normal_iteratorINS6_7pointerIS9_NS6_11hip_rocprim5par_tENS6_11use_defaultESH_EEEENSD_INSE_IiSG_SH_SH_EEEEZNS1_13binary_searchIS3_SA_NSD_INS6_10device_ptrIS9_EEEESJ_SL_NS1_16binary_search_opENSC_16wrapped_functionINS6_6system6detail7generic6detail18binary_search_lessEbEEEE10hipError_tPvRmT1_T2_T3_mmT4_T5_P12ihipStream_tbEUlRKS9_E_EESY_S12_S13_mS14_S17_bEUlT_E_NS1_11comp_targetILNS1_3genE2ELNS1_11target_archE906ELNS1_3gpuE6ELNS1_3repE0EEENS1_30default_config_static_selectorELNS0_4arch9wavefront6targetE1EEEvS11_.num_agpr, 0
	.set _ZN7rocprim17ROCPRIM_400000_NS6detail17trampoline_kernelINS0_14default_configENS1_29binary_search_config_selectorIN6thrust23THRUST_200600_302600_NS5tupleIiiNS6_9null_typeES8_S8_S8_S8_S8_S8_S8_EEiEEZNS1_14transform_implILb0ES3_SA_NS6_6detail15normal_iteratorINS6_7pointerIS9_NS6_11hip_rocprim5par_tENS6_11use_defaultESH_EEEENSD_INSE_IiSG_SH_SH_EEEEZNS1_13binary_searchIS3_SA_NSD_INS6_10device_ptrIS9_EEEESJ_SL_NS1_16binary_search_opENSC_16wrapped_functionINS6_6system6detail7generic6detail18binary_search_lessEbEEEE10hipError_tPvRmT1_T2_T3_mmT4_T5_P12ihipStream_tbEUlRKS9_E_EESY_S12_S13_mS14_S17_bEUlT_E_NS1_11comp_targetILNS1_3genE2ELNS1_11target_archE906ELNS1_3gpuE6ELNS1_3repE0EEENS1_30default_config_static_selectorELNS0_4arch9wavefront6targetE1EEEvS11_.numbered_sgpr, 22
	.set _ZN7rocprim17ROCPRIM_400000_NS6detail17trampoline_kernelINS0_14default_configENS1_29binary_search_config_selectorIN6thrust23THRUST_200600_302600_NS5tupleIiiNS6_9null_typeES8_S8_S8_S8_S8_S8_S8_EEiEEZNS1_14transform_implILb0ES3_SA_NS6_6detail15normal_iteratorINS6_7pointerIS9_NS6_11hip_rocprim5par_tENS6_11use_defaultESH_EEEENSD_INSE_IiSG_SH_SH_EEEEZNS1_13binary_searchIS3_SA_NSD_INS6_10device_ptrIS9_EEEESJ_SL_NS1_16binary_search_opENSC_16wrapped_functionINS6_6system6detail7generic6detail18binary_search_lessEbEEEE10hipError_tPvRmT1_T2_T3_mmT4_T5_P12ihipStream_tbEUlRKS9_E_EESY_S12_S13_mS14_S17_bEUlT_E_NS1_11comp_targetILNS1_3genE2ELNS1_11target_archE906ELNS1_3gpuE6ELNS1_3repE0EEENS1_30default_config_static_selectorELNS0_4arch9wavefront6targetE1EEEvS11_.num_named_barrier, 0
	.set _ZN7rocprim17ROCPRIM_400000_NS6detail17trampoline_kernelINS0_14default_configENS1_29binary_search_config_selectorIN6thrust23THRUST_200600_302600_NS5tupleIiiNS6_9null_typeES8_S8_S8_S8_S8_S8_S8_EEiEEZNS1_14transform_implILb0ES3_SA_NS6_6detail15normal_iteratorINS6_7pointerIS9_NS6_11hip_rocprim5par_tENS6_11use_defaultESH_EEEENSD_INSE_IiSG_SH_SH_EEEEZNS1_13binary_searchIS3_SA_NSD_INS6_10device_ptrIS9_EEEESJ_SL_NS1_16binary_search_opENSC_16wrapped_functionINS6_6system6detail7generic6detail18binary_search_lessEbEEEE10hipError_tPvRmT1_T2_T3_mmT4_T5_P12ihipStream_tbEUlRKS9_E_EESY_S12_S13_mS14_S17_bEUlT_E_NS1_11comp_targetILNS1_3genE2ELNS1_11target_archE906ELNS1_3gpuE6ELNS1_3repE0EEENS1_30default_config_static_selectorELNS0_4arch9wavefront6targetE1EEEvS11_.private_seg_size, 0
	.set _ZN7rocprim17ROCPRIM_400000_NS6detail17trampoline_kernelINS0_14default_configENS1_29binary_search_config_selectorIN6thrust23THRUST_200600_302600_NS5tupleIiiNS6_9null_typeES8_S8_S8_S8_S8_S8_S8_EEiEEZNS1_14transform_implILb0ES3_SA_NS6_6detail15normal_iteratorINS6_7pointerIS9_NS6_11hip_rocprim5par_tENS6_11use_defaultESH_EEEENSD_INSE_IiSG_SH_SH_EEEEZNS1_13binary_searchIS3_SA_NSD_INS6_10device_ptrIS9_EEEESJ_SL_NS1_16binary_search_opENSC_16wrapped_functionINS6_6system6detail7generic6detail18binary_search_lessEbEEEE10hipError_tPvRmT1_T2_T3_mmT4_T5_P12ihipStream_tbEUlRKS9_E_EESY_S12_S13_mS14_S17_bEUlT_E_NS1_11comp_targetILNS1_3genE2ELNS1_11target_archE906ELNS1_3gpuE6ELNS1_3repE0EEENS1_30default_config_static_selectorELNS0_4arch9wavefront6targetE1EEEvS11_.uses_vcc, 1
	.set _ZN7rocprim17ROCPRIM_400000_NS6detail17trampoline_kernelINS0_14default_configENS1_29binary_search_config_selectorIN6thrust23THRUST_200600_302600_NS5tupleIiiNS6_9null_typeES8_S8_S8_S8_S8_S8_S8_EEiEEZNS1_14transform_implILb0ES3_SA_NS6_6detail15normal_iteratorINS6_7pointerIS9_NS6_11hip_rocprim5par_tENS6_11use_defaultESH_EEEENSD_INSE_IiSG_SH_SH_EEEEZNS1_13binary_searchIS3_SA_NSD_INS6_10device_ptrIS9_EEEESJ_SL_NS1_16binary_search_opENSC_16wrapped_functionINS6_6system6detail7generic6detail18binary_search_lessEbEEEE10hipError_tPvRmT1_T2_T3_mmT4_T5_P12ihipStream_tbEUlRKS9_E_EESY_S12_S13_mS14_S17_bEUlT_E_NS1_11comp_targetILNS1_3genE2ELNS1_11target_archE906ELNS1_3gpuE6ELNS1_3repE0EEENS1_30default_config_static_selectorELNS0_4arch9wavefront6targetE1EEEvS11_.uses_flat_scratch, 0
	.set _ZN7rocprim17ROCPRIM_400000_NS6detail17trampoline_kernelINS0_14default_configENS1_29binary_search_config_selectorIN6thrust23THRUST_200600_302600_NS5tupleIiiNS6_9null_typeES8_S8_S8_S8_S8_S8_S8_EEiEEZNS1_14transform_implILb0ES3_SA_NS6_6detail15normal_iteratorINS6_7pointerIS9_NS6_11hip_rocprim5par_tENS6_11use_defaultESH_EEEENSD_INSE_IiSG_SH_SH_EEEEZNS1_13binary_searchIS3_SA_NSD_INS6_10device_ptrIS9_EEEESJ_SL_NS1_16binary_search_opENSC_16wrapped_functionINS6_6system6detail7generic6detail18binary_search_lessEbEEEE10hipError_tPvRmT1_T2_T3_mmT4_T5_P12ihipStream_tbEUlRKS9_E_EESY_S12_S13_mS14_S17_bEUlT_E_NS1_11comp_targetILNS1_3genE2ELNS1_11target_archE906ELNS1_3gpuE6ELNS1_3repE0EEENS1_30default_config_static_selectorELNS0_4arch9wavefront6targetE1EEEvS11_.has_dyn_sized_stack, 0
	.set _ZN7rocprim17ROCPRIM_400000_NS6detail17trampoline_kernelINS0_14default_configENS1_29binary_search_config_selectorIN6thrust23THRUST_200600_302600_NS5tupleIiiNS6_9null_typeES8_S8_S8_S8_S8_S8_S8_EEiEEZNS1_14transform_implILb0ES3_SA_NS6_6detail15normal_iteratorINS6_7pointerIS9_NS6_11hip_rocprim5par_tENS6_11use_defaultESH_EEEENSD_INSE_IiSG_SH_SH_EEEEZNS1_13binary_searchIS3_SA_NSD_INS6_10device_ptrIS9_EEEESJ_SL_NS1_16binary_search_opENSC_16wrapped_functionINS6_6system6detail7generic6detail18binary_search_lessEbEEEE10hipError_tPvRmT1_T2_T3_mmT4_T5_P12ihipStream_tbEUlRKS9_E_EESY_S12_S13_mS14_S17_bEUlT_E_NS1_11comp_targetILNS1_3genE2ELNS1_11target_archE906ELNS1_3gpuE6ELNS1_3repE0EEENS1_30default_config_static_selectorELNS0_4arch9wavefront6targetE1EEEvS11_.has_recursion, 0
	.set _ZN7rocprim17ROCPRIM_400000_NS6detail17trampoline_kernelINS0_14default_configENS1_29binary_search_config_selectorIN6thrust23THRUST_200600_302600_NS5tupleIiiNS6_9null_typeES8_S8_S8_S8_S8_S8_S8_EEiEEZNS1_14transform_implILb0ES3_SA_NS6_6detail15normal_iteratorINS6_7pointerIS9_NS6_11hip_rocprim5par_tENS6_11use_defaultESH_EEEENSD_INSE_IiSG_SH_SH_EEEEZNS1_13binary_searchIS3_SA_NSD_INS6_10device_ptrIS9_EEEESJ_SL_NS1_16binary_search_opENSC_16wrapped_functionINS6_6system6detail7generic6detail18binary_search_lessEbEEEE10hipError_tPvRmT1_T2_T3_mmT4_T5_P12ihipStream_tbEUlRKS9_E_EESY_S12_S13_mS14_S17_bEUlT_E_NS1_11comp_targetILNS1_3genE2ELNS1_11target_archE906ELNS1_3gpuE6ELNS1_3repE0EEENS1_30default_config_static_selectorELNS0_4arch9wavefront6targetE1EEEvS11_.has_indirect_call, 0
	.section	.AMDGPU.csdata,"",@progbits
; Kernel info:
; codeLenInByte = 768
; TotalNumSgprs: 26
; NumVgprs: 15
; ScratchSize: 0
; MemoryBound: 0
; FloatMode: 240
; IeeeMode: 1
; LDSByteSize: 0 bytes/workgroup (compile time only)
; SGPRBlocks: 3
; VGPRBlocks: 3
; NumSGPRsForWavesPerEU: 26
; NumVGPRsForWavesPerEU: 15
; Occupancy: 10
; WaveLimiterHint : 0
; COMPUTE_PGM_RSRC2:SCRATCH_EN: 0
; COMPUTE_PGM_RSRC2:USER_SGPR: 6
; COMPUTE_PGM_RSRC2:TRAP_HANDLER: 0
; COMPUTE_PGM_RSRC2:TGID_X_EN: 1
; COMPUTE_PGM_RSRC2:TGID_Y_EN: 0
; COMPUTE_PGM_RSRC2:TGID_Z_EN: 0
; COMPUTE_PGM_RSRC2:TIDIG_COMP_CNT: 0
	.section	.text._ZN7rocprim17ROCPRIM_400000_NS6detail17trampoline_kernelINS0_14default_configENS1_29binary_search_config_selectorIN6thrust23THRUST_200600_302600_NS5tupleIiiNS6_9null_typeES8_S8_S8_S8_S8_S8_S8_EEiEEZNS1_14transform_implILb0ES3_SA_NS6_6detail15normal_iteratorINS6_7pointerIS9_NS6_11hip_rocprim5par_tENS6_11use_defaultESH_EEEENSD_INSE_IiSG_SH_SH_EEEEZNS1_13binary_searchIS3_SA_NSD_INS6_10device_ptrIS9_EEEESJ_SL_NS1_16binary_search_opENSC_16wrapped_functionINS6_6system6detail7generic6detail18binary_search_lessEbEEEE10hipError_tPvRmT1_T2_T3_mmT4_T5_P12ihipStream_tbEUlRKS9_E_EESY_S12_S13_mS14_S17_bEUlT_E_NS1_11comp_targetILNS1_3genE10ELNS1_11target_archE1201ELNS1_3gpuE5ELNS1_3repE0EEENS1_30default_config_static_selectorELNS0_4arch9wavefront6targetE1EEEvS11_,"axG",@progbits,_ZN7rocprim17ROCPRIM_400000_NS6detail17trampoline_kernelINS0_14default_configENS1_29binary_search_config_selectorIN6thrust23THRUST_200600_302600_NS5tupleIiiNS6_9null_typeES8_S8_S8_S8_S8_S8_S8_EEiEEZNS1_14transform_implILb0ES3_SA_NS6_6detail15normal_iteratorINS6_7pointerIS9_NS6_11hip_rocprim5par_tENS6_11use_defaultESH_EEEENSD_INSE_IiSG_SH_SH_EEEEZNS1_13binary_searchIS3_SA_NSD_INS6_10device_ptrIS9_EEEESJ_SL_NS1_16binary_search_opENSC_16wrapped_functionINS6_6system6detail7generic6detail18binary_search_lessEbEEEE10hipError_tPvRmT1_T2_T3_mmT4_T5_P12ihipStream_tbEUlRKS9_E_EESY_S12_S13_mS14_S17_bEUlT_E_NS1_11comp_targetILNS1_3genE10ELNS1_11target_archE1201ELNS1_3gpuE5ELNS1_3repE0EEENS1_30default_config_static_selectorELNS0_4arch9wavefront6targetE1EEEvS11_,comdat
	.protected	_ZN7rocprim17ROCPRIM_400000_NS6detail17trampoline_kernelINS0_14default_configENS1_29binary_search_config_selectorIN6thrust23THRUST_200600_302600_NS5tupleIiiNS6_9null_typeES8_S8_S8_S8_S8_S8_S8_EEiEEZNS1_14transform_implILb0ES3_SA_NS6_6detail15normal_iteratorINS6_7pointerIS9_NS6_11hip_rocprim5par_tENS6_11use_defaultESH_EEEENSD_INSE_IiSG_SH_SH_EEEEZNS1_13binary_searchIS3_SA_NSD_INS6_10device_ptrIS9_EEEESJ_SL_NS1_16binary_search_opENSC_16wrapped_functionINS6_6system6detail7generic6detail18binary_search_lessEbEEEE10hipError_tPvRmT1_T2_T3_mmT4_T5_P12ihipStream_tbEUlRKS9_E_EESY_S12_S13_mS14_S17_bEUlT_E_NS1_11comp_targetILNS1_3genE10ELNS1_11target_archE1201ELNS1_3gpuE5ELNS1_3repE0EEENS1_30default_config_static_selectorELNS0_4arch9wavefront6targetE1EEEvS11_ ; -- Begin function _ZN7rocprim17ROCPRIM_400000_NS6detail17trampoline_kernelINS0_14default_configENS1_29binary_search_config_selectorIN6thrust23THRUST_200600_302600_NS5tupleIiiNS6_9null_typeES8_S8_S8_S8_S8_S8_S8_EEiEEZNS1_14transform_implILb0ES3_SA_NS6_6detail15normal_iteratorINS6_7pointerIS9_NS6_11hip_rocprim5par_tENS6_11use_defaultESH_EEEENSD_INSE_IiSG_SH_SH_EEEEZNS1_13binary_searchIS3_SA_NSD_INS6_10device_ptrIS9_EEEESJ_SL_NS1_16binary_search_opENSC_16wrapped_functionINS6_6system6detail7generic6detail18binary_search_lessEbEEEE10hipError_tPvRmT1_T2_T3_mmT4_T5_P12ihipStream_tbEUlRKS9_E_EESY_S12_S13_mS14_S17_bEUlT_E_NS1_11comp_targetILNS1_3genE10ELNS1_11target_archE1201ELNS1_3gpuE5ELNS1_3repE0EEENS1_30default_config_static_selectorELNS0_4arch9wavefront6targetE1EEEvS11_
	.globl	_ZN7rocprim17ROCPRIM_400000_NS6detail17trampoline_kernelINS0_14default_configENS1_29binary_search_config_selectorIN6thrust23THRUST_200600_302600_NS5tupleIiiNS6_9null_typeES8_S8_S8_S8_S8_S8_S8_EEiEEZNS1_14transform_implILb0ES3_SA_NS6_6detail15normal_iteratorINS6_7pointerIS9_NS6_11hip_rocprim5par_tENS6_11use_defaultESH_EEEENSD_INSE_IiSG_SH_SH_EEEEZNS1_13binary_searchIS3_SA_NSD_INS6_10device_ptrIS9_EEEESJ_SL_NS1_16binary_search_opENSC_16wrapped_functionINS6_6system6detail7generic6detail18binary_search_lessEbEEEE10hipError_tPvRmT1_T2_T3_mmT4_T5_P12ihipStream_tbEUlRKS9_E_EESY_S12_S13_mS14_S17_bEUlT_E_NS1_11comp_targetILNS1_3genE10ELNS1_11target_archE1201ELNS1_3gpuE5ELNS1_3repE0EEENS1_30default_config_static_selectorELNS0_4arch9wavefront6targetE1EEEvS11_
	.p2align	8
	.type	_ZN7rocprim17ROCPRIM_400000_NS6detail17trampoline_kernelINS0_14default_configENS1_29binary_search_config_selectorIN6thrust23THRUST_200600_302600_NS5tupleIiiNS6_9null_typeES8_S8_S8_S8_S8_S8_S8_EEiEEZNS1_14transform_implILb0ES3_SA_NS6_6detail15normal_iteratorINS6_7pointerIS9_NS6_11hip_rocprim5par_tENS6_11use_defaultESH_EEEENSD_INSE_IiSG_SH_SH_EEEEZNS1_13binary_searchIS3_SA_NSD_INS6_10device_ptrIS9_EEEESJ_SL_NS1_16binary_search_opENSC_16wrapped_functionINS6_6system6detail7generic6detail18binary_search_lessEbEEEE10hipError_tPvRmT1_T2_T3_mmT4_T5_P12ihipStream_tbEUlRKS9_E_EESY_S12_S13_mS14_S17_bEUlT_E_NS1_11comp_targetILNS1_3genE10ELNS1_11target_archE1201ELNS1_3gpuE5ELNS1_3repE0EEENS1_30default_config_static_selectorELNS0_4arch9wavefront6targetE1EEEvS11_,@function
_ZN7rocprim17ROCPRIM_400000_NS6detail17trampoline_kernelINS0_14default_configENS1_29binary_search_config_selectorIN6thrust23THRUST_200600_302600_NS5tupleIiiNS6_9null_typeES8_S8_S8_S8_S8_S8_S8_EEiEEZNS1_14transform_implILb0ES3_SA_NS6_6detail15normal_iteratorINS6_7pointerIS9_NS6_11hip_rocprim5par_tENS6_11use_defaultESH_EEEENSD_INSE_IiSG_SH_SH_EEEEZNS1_13binary_searchIS3_SA_NSD_INS6_10device_ptrIS9_EEEESJ_SL_NS1_16binary_search_opENSC_16wrapped_functionINS6_6system6detail7generic6detail18binary_search_lessEbEEEE10hipError_tPvRmT1_T2_T3_mmT4_T5_P12ihipStream_tbEUlRKS9_E_EESY_S12_S13_mS14_S17_bEUlT_E_NS1_11comp_targetILNS1_3genE10ELNS1_11target_archE1201ELNS1_3gpuE5ELNS1_3repE0EEENS1_30default_config_static_selectorELNS0_4arch9wavefront6targetE1EEEvS11_: ; @_ZN7rocprim17ROCPRIM_400000_NS6detail17trampoline_kernelINS0_14default_configENS1_29binary_search_config_selectorIN6thrust23THRUST_200600_302600_NS5tupleIiiNS6_9null_typeES8_S8_S8_S8_S8_S8_S8_EEiEEZNS1_14transform_implILb0ES3_SA_NS6_6detail15normal_iteratorINS6_7pointerIS9_NS6_11hip_rocprim5par_tENS6_11use_defaultESH_EEEENSD_INSE_IiSG_SH_SH_EEEEZNS1_13binary_searchIS3_SA_NSD_INS6_10device_ptrIS9_EEEESJ_SL_NS1_16binary_search_opENSC_16wrapped_functionINS6_6system6detail7generic6detail18binary_search_lessEbEEEE10hipError_tPvRmT1_T2_T3_mmT4_T5_P12ihipStream_tbEUlRKS9_E_EESY_S12_S13_mS14_S17_bEUlT_E_NS1_11comp_targetILNS1_3genE10ELNS1_11target_archE1201ELNS1_3gpuE5ELNS1_3repE0EEENS1_30default_config_static_selectorELNS0_4arch9wavefront6targetE1EEEvS11_
; %bb.0:
	.section	.rodata,"a",@progbits
	.p2align	6, 0x0
	.amdhsa_kernel _ZN7rocprim17ROCPRIM_400000_NS6detail17trampoline_kernelINS0_14default_configENS1_29binary_search_config_selectorIN6thrust23THRUST_200600_302600_NS5tupleIiiNS6_9null_typeES8_S8_S8_S8_S8_S8_S8_EEiEEZNS1_14transform_implILb0ES3_SA_NS6_6detail15normal_iteratorINS6_7pointerIS9_NS6_11hip_rocprim5par_tENS6_11use_defaultESH_EEEENSD_INSE_IiSG_SH_SH_EEEEZNS1_13binary_searchIS3_SA_NSD_INS6_10device_ptrIS9_EEEESJ_SL_NS1_16binary_search_opENSC_16wrapped_functionINS6_6system6detail7generic6detail18binary_search_lessEbEEEE10hipError_tPvRmT1_T2_T3_mmT4_T5_P12ihipStream_tbEUlRKS9_E_EESY_S12_S13_mS14_S17_bEUlT_E_NS1_11comp_targetILNS1_3genE10ELNS1_11target_archE1201ELNS1_3gpuE5ELNS1_3repE0EEENS1_30default_config_static_selectorELNS0_4arch9wavefront6targetE1EEEvS11_
		.amdhsa_group_segment_fixed_size 0
		.amdhsa_private_segment_fixed_size 0
		.amdhsa_kernarg_size 56
		.amdhsa_user_sgpr_count 6
		.amdhsa_user_sgpr_private_segment_buffer 1
		.amdhsa_user_sgpr_dispatch_ptr 0
		.amdhsa_user_sgpr_queue_ptr 0
		.amdhsa_user_sgpr_kernarg_segment_ptr 1
		.amdhsa_user_sgpr_dispatch_id 0
		.amdhsa_user_sgpr_flat_scratch_init 0
		.amdhsa_user_sgpr_private_segment_size 0
		.amdhsa_uses_dynamic_stack 0
		.amdhsa_system_sgpr_private_segment_wavefront_offset 0
		.amdhsa_system_sgpr_workgroup_id_x 1
		.amdhsa_system_sgpr_workgroup_id_y 0
		.amdhsa_system_sgpr_workgroup_id_z 0
		.amdhsa_system_sgpr_workgroup_info 0
		.amdhsa_system_vgpr_workitem_id 0
		.amdhsa_next_free_vgpr 1
		.amdhsa_next_free_sgpr 0
		.amdhsa_reserve_vcc 0
		.amdhsa_reserve_flat_scratch 0
		.amdhsa_float_round_mode_32 0
		.amdhsa_float_round_mode_16_64 0
		.amdhsa_float_denorm_mode_32 3
		.amdhsa_float_denorm_mode_16_64 3
		.amdhsa_dx10_clamp 1
		.amdhsa_ieee_mode 1
		.amdhsa_fp16_overflow 0
		.amdhsa_exception_fp_ieee_invalid_op 0
		.amdhsa_exception_fp_denorm_src 0
		.amdhsa_exception_fp_ieee_div_zero 0
		.amdhsa_exception_fp_ieee_overflow 0
		.amdhsa_exception_fp_ieee_underflow 0
		.amdhsa_exception_fp_ieee_inexact 0
		.amdhsa_exception_int_div_zero 0
	.end_amdhsa_kernel
	.section	.text._ZN7rocprim17ROCPRIM_400000_NS6detail17trampoline_kernelINS0_14default_configENS1_29binary_search_config_selectorIN6thrust23THRUST_200600_302600_NS5tupleIiiNS6_9null_typeES8_S8_S8_S8_S8_S8_S8_EEiEEZNS1_14transform_implILb0ES3_SA_NS6_6detail15normal_iteratorINS6_7pointerIS9_NS6_11hip_rocprim5par_tENS6_11use_defaultESH_EEEENSD_INSE_IiSG_SH_SH_EEEEZNS1_13binary_searchIS3_SA_NSD_INS6_10device_ptrIS9_EEEESJ_SL_NS1_16binary_search_opENSC_16wrapped_functionINS6_6system6detail7generic6detail18binary_search_lessEbEEEE10hipError_tPvRmT1_T2_T3_mmT4_T5_P12ihipStream_tbEUlRKS9_E_EESY_S12_S13_mS14_S17_bEUlT_E_NS1_11comp_targetILNS1_3genE10ELNS1_11target_archE1201ELNS1_3gpuE5ELNS1_3repE0EEENS1_30default_config_static_selectorELNS0_4arch9wavefront6targetE1EEEvS11_,"axG",@progbits,_ZN7rocprim17ROCPRIM_400000_NS6detail17trampoline_kernelINS0_14default_configENS1_29binary_search_config_selectorIN6thrust23THRUST_200600_302600_NS5tupleIiiNS6_9null_typeES8_S8_S8_S8_S8_S8_S8_EEiEEZNS1_14transform_implILb0ES3_SA_NS6_6detail15normal_iteratorINS6_7pointerIS9_NS6_11hip_rocprim5par_tENS6_11use_defaultESH_EEEENSD_INSE_IiSG_SH_SH_EEEEZNS1_13binary_searchIS3_SA_NSD_INS6_10device_ptrIS9_EEEESJ_SL_NS1_16binary_search_opENSC_16wrapped_functionINS6_6system6detail7generic6detail18binary_search_lessEbEEEE10hipError_tPvRmT1_T2_T3_mmT4_T5_P12ihipStream_tbEUlRKS9_E_EESY_S12_S13_mS14_S17_bEUlT_E_NS1_11comp_targetILNS1_3genE10ELNS1_11target_archE1201ELNS1_3gpuE5ELNS1_3repE0EEENS1_30default_config_static_selectorELNS0_4arch9wavefront6targetE1EEEvS11_,comdat
.Lfunc_end730:
	.size	_ZN7rocprim17ROCPRIM_400000_NS6detail17trampoline_kernelINS0_14default_configENS1_29binary_search_config_selectorIN6thrust23THRUST_200600_302600_NS5tupleIiiNS6_9null_typeES8_S8_S8_S8_S8_S8_S8_EEiEEZNS1_14transform_implILb0ES3_SA_NS6_6detail15normal_iteratorINS6_7pointerIS9_NS6_11hip_rocprim5par_tENS6_11use_defaultESH_EEEENSD_INSE_IiSG_SH_SH_EEEEZNS1_13binary_searchIS3_SA_NSD_INS6_10device_ptrIS9_EEEESJ_SL_NS1_16binary_search_opENSC_16wrapped_functionINS6_6system6detail7generic6detail18binary_search_lessEbEEEE10hipError_tPvRmT1_T2_T3_mmT4_T5_P12ihipStream_tbEUlRKS9_E_EESY_S12_S13_mS14_S17_bEUlT_E_NS1_11comp_targetILNS1_3genE10ELNS1_11target_archE1201ELNS1_3gpuE5ELNS1_3repE0EEENS1_30default_config_static_selectorELNS0_4arch9wavefront6targetE1EEEvS11_, .Lfunc_end730-_ZN7rocprim17ROCPRIM_400000_NS6detail17trampoline_kernelINS0_14default_configENS1_29binary_search_config_selectorIN6thrust23THRUST_200600_302600_NS5tupleIiiNS6_9null_typeES8_S8_S8_S8_S8_S8_S8_EEiEEZNS1_14transform_implILb0ES3_SA_NS6_6detail15normal_iteratorINS6_7pointerIS9_NS6_11hip_rocprim5par_tENS6_11use_defaultESH_EEEENSD_INSE_IiSG_SH_SH_EEEEZNS1_13binary_searchIS3_SA_NSD_INS6_10device_ptrIS9_EEEESJ_SL_NS1_16binary_search_opENSC_16wrapped_functionINS6_6system6detail7generic6detail18binary_search_lessEbEEEE10hipError_tPvRmT1_T2_T3_mmT4_T5_P12ihipStream_tbEUlRKS9_E_EESY_S12_S13_mS14_S17_bEUlT_E_NS1_11comp_targetILNS1_3genE10ELNS1_11target_archE1201ELNS1_3gpuE5ELNS1_3repE0EEENS1_30default_config_static_selectorELNS0_4arch9wavefront6targetE1EEEvS11_
                                        ; -- End function
	.set _ZN7rocprim17ROCPRIM_400000_NS6detail17trampoline_kernelINS0_14default_configENS1_29binary_search_config_selectorIN6thrust23THRUST_200600_302600_NS5tupleIiiNS6_9null_typeES8_S8_S8_S8_S8_S8_S8_EEiEEZNS1_14transform_implILb0ES3_SA_NS6_6detail15normal_iteratorINS6_7pointerIS9_NS6_11hip_rocprim5par_tENS6_11use_defaultESH_EEEENSD_INSE_IiSG_SH_SH_EEEEZNS1_13binary_searchIS3_SA_NSD_INS6_10device_ptrIS9_EEEESJ_SL_NS1_16binary_search_opENSC_16wrapped_functionINS6_6system6detail7generic6detail18binary_search_lessEbEEEE10hipError_tPvRmT1_T2_T3_mmT4_T5_P12ihipStream_tbEUlRKS9_E_EESY_S12_S13_mS14_S17_bEUlT_E_NS1_11comp_targetILNS1_3genE10ELNS1_11target_archE1201ELNS1_3gpuE5ELNS1_3repE0EEENS1_30default_config_static_selectorELNS0_4arch9wavefront6targetE1EEEvS11_.num_vgpr, 0
	.set _ZN7rocprim17ROCPRIM_400000_NS6detail17trampoline_kernelINS0_14default_configENS1_29binary_search_config_selectorIN6thrust23THRUST_200600_302600_NS5tupleIiiNS6_9null_typeES8_S8_S8_S8_S8_S8_S8_EEiEEZNS1_14transform_implILb0ES3_SA_NS6_6detail15normal_iteratorINS6_7pointerIS9_NS6_11hip_rocprim5par_tENS6_11use_defaultESH_EEEENSD_INSE_IiSG_SH_SH_EEEEZNS1_13binary_searchIS3_SA_NSD_INS6_10device_ptrIS9_EEEESJ_SL_NS1_16binary_search_opENSC_16wrapped_functionINS6_6system6detail7generic6detail18binary_search_lessEbEEEE10hipError_tPvRmT1_T2_T3_mmT4_T5_P12ihipStream_tbEUlRKS9_E_EESY_S12_S13_mS14_S17_bEUlT_E_NS1_11comp_targetILNS1_3genE10ELNS1_11target_archE1201ELNS1_3gpuE5ELNS1_3repE0EEENS1_30default_config_static_selectorELNS0_4arch9wavefront6targetE1EEEvS11_.num_agpr, 0
	.set _ZN7rocprim17ROCPRIM_400000_NS6detail17trampoline_kernelINS0_14default_configENS1_29binary_search_config_selectorIN6thrust23THRUST_200600_302600_NS5tupleIiiNS6_9null_typeES8_S8_S8_S8_S8_S8_S8_EEiEEZNS1_14transform_implILb0ES3_SA_NS6_6detail15normal_iteratorINS6_7pointerIS9_NS6_11hip_rocprim5par_tENS6_11use_defaultESH_EEEENSD_INSE_IiSG_SH_SH_EEEEZNS1_13binary_searchIS3_SA_NSD_INS6_10device_ptrIS9_EEEESJ_SL_NS1_16binary_search_opENSC_16wrapped_functionINS6_6system6detail7generic6detail18binary_search_lessEbEEEE10hipError_tPvRmT1_T2_T3_mmT4_T5_P12ihipStream_tbEUlRKS9_E_EESY_S12_S13_mS14_S17_bEUlT_E_NS1_11comp_targetILNS1_3genE10ELNS1_11target_archE1201ELNS1_3gpuE5ELNS1_3repE0EEENS1_30default_config_static_selectorELNS0_4arch9wavefront6targetE1EEEvS11_.numbered_sgpr, 0
	.set _ZN7rocprim17ROCPRIM_400000_NS6detail17trampoline_kernelINS0_14default_configENS1_29binary_search_config_selectorIN6thrust23THRUST_200600_302600_NS5tupleIiiNS6_9null_typeES8_S8_S8_S8_S8_S8_S8_EEiEEZNS1_14transform_implILb0ES3_SA_NS6_6detail15normal_iteratorINS6_7pointerIS9_NS6_11hip_rocprim5par_tENS6_11use_defaultESH_EEEENSD_INSE_IiSG_SH_SH_EEEEZNS1_13binary_searchIS3_SA_NSD_INS6_10device_ptrIS9_EEEESJ_SL_NS1_16binary_search_opENSC_16wrapped_functionINS6_6system6detail7generic6detail18binary_search_lessEbEEEE10hipError_tPvRmT1_T2_T3_mmT4_T5_P12ihipStream_tbEUlRKS9_E_EESY_S12_S13_mS14_S17_bEUlT_E_NS1_11comp_targetILNS1_3genE10ELNS1_11target_archE1201ELNS1_3gpuE5ELNS1_3repE0EEENS1_30default_config_static_selectorELNS0_4arch9wavefront6targetE1EEEvS11_.num_named_barrier, 0
	.set _ZN7rocprim17ROCPRIM_400000_NS6detail17trampoline_kernelINS0_14default_configENS1_29binary_search_config_selectorIN6thrust23THRUST_200600_302600_NS5tupleIiiNS6_9null_typeES8_S8_S8_S8_S8_S8_S8_EEiEEZNS1_14transform_implILb0ES3_SA_NS6_6detail15normal_iteratorINS6_7pointerIS9_NS6_11hip_rocprim5par_tENS6_11use_defaultESH_EEEENSD_INSE_IiSG_SH_SH_EEEEZNS1_13binary_searchIS3_SA_NSD_INS6_10device_ptrIS9_EEEESJ_SL_NS1_16binary_search_opENSC_16wrapped_functionINS6_6system6detail7generic6detail18binary_search_lessEbEEEE10hipError_tPvRmT1_T2_T3_mmT4_T5_P12ihipStream_tbEUlRKS9_E_EESY_S12_S13_mS14_S17_bEUlT_E_NS1_11comp_targetILNS1_3genE10ELNS1_11target_archE1201ELNS1_3gpuE5ELNS1_3repE0EEENS1_30default_config_static_selectorELNS0_4arch9wavefront6targetE1EEEvS11_.private_seg_size, 0
	.set _ZN7rocprim17ROCPRIM_400000_NS6detail17trampoline_kernelINS0_14default_configENS1_29binary_search_config_selectorIN6thrust23THRUST_200600_302600_NS5tupleIiiNS6_9null_typeES8_S8_S8_S8_S8_S8_S8_EEiEEZNS1_14transform_implILb0ES3_SA_NS6_6detail15normal_iteratorINS6_7pointerIS9_NS6_11hip_rocprim5par_tENS6_11use_defaultESH_EEEENSD_INSE_IiSG_SH_SH_EEEEZNS1_13binary_searchIS3_SA_NSD_INS6_10device_ptrIS9_EEEESJ_SL_NS1_16binary_search_opENSC_16wrapped_functionINS6_6system6detail7generic6detail18binary_search_lessEbEEEE10hipError_tPvRmT1_T2_T3_mmT4_T5_P12ihipStream_tbEUlRKS9_E_EESY_S12_S13_mS14_S17_bEUlT_E_NS1_11comp_targetILNS1_3genE10ELNS1_11target_archE1201ELNS1_3gpuE5ELNS1_3repE0EEENS1_30default_config_static_selectorELNS0_4arch9wavefront6targetE1EEEvS11_.uses_vcc, 0
	.set _ZN7rocprim17ROCPRIM_400000_NS6detail17trampoline_kernelINS0_14default_configENS1_29binary_search_config_selectorIN6thrust23THRUST_200600_302600_NS5tupleIiiNS6_9null_typeES8_S8_S8_S8_S8_S8_S8_EEiEEZNS1_14transform_implILb0ES3_SA_NS6_6detail15normal_iteratorINS6_7pointerIS9_NS6_11hip_rocprim5par_tENS6_11use_defaultESH_EEEENSD_INSE_IiSG_SH_SH_EEEEZNS1_13binary_searchIS3_SA_NSD_INS6_10device_ptrIS9_EEEESJ_SL_NS1_16binary_search_opENSC_16wrapped_functionINS6_6system6detail7generic6detail18binary_search_lessEbEEEE10hipError_tPvRmT1_T2_T3_mmT4_T5_P12ihipStream_tbEUlRKS9_E_EESY_S12_S13_mS14_S17_bEUlT_E_NS1_11comp_targetILNS1_3genE10ELNS1_11target_archE1201ELNS1_3gpuE5ELNS1_3repE0EEENS1_30default_config_static_selectorELNS0_4arch9wavefront6targetE1EEEvS11_.uses_flat_scratch, 0
	.set _ZN7rocprim17ROCPRIM_400000_NS6detail17trampoline_kernelINS0_14default_configENS1_29binary_search_config_selectorIN6thrust23THRUST_200600_302600_NS5tupleIiiNS6_9null_typeES8_S8_S8_S8_S8_S8_S8_EEiEEZNS1_14transform_implILb0ES3_SA_NS6_6detail15normal_iteratorINS6_7pointerIS9_NS6_11hip_rocprim5par_tENS6_11use_defaultESH_EEEENSD_INSE_IiSG_SH_SH_EEEEZNS1_13binary_searchIS3_SA_NSD_INS6_10device_ptrIS9_EEEESJ_SL_NS1_16binary_search_opENSC_16wrapped_functionINS6_6system6detail7generic6detail18binary_search_lessEbEEEE10hipError_tPvRmT1_T2_T3_mmT4_T5_P12ihipStream_tbEUlRKS9_E_EESY_S12_S13_mS14_S17_bEUlT_E_NS1_11comp_targetILNS1_3genE10ELNS1_11target_archE1201ELNS1_3gpuE5ELNS1_3repE0EEENS1_30default_config_static_selectorELNS0_4arch9wavefront6targetE1EEEvS11_.has_dyn_sized_stack, 0
	.set _ZN7rocprim17ROCPRIM_400000_NS6detail17trampoline_kernelINS0_14default_configENS1_29binary_search_config_selectorIN6thrust23THRUST_200600_302600_NS5tupleIiiNS6_9null_typeES8_S8_S8_S8_S8_S8_S8_EEiEEZNS1_14transform_implILb0ES3_SA_NS6_6detail15normal_iteratorINS6_7pointerIS9_NS6_11hip_rocprim5par_tENS6_11use_defaultESH_EEEENSD_INSE_IiSG_SH_SH_EEEEZNS1_13binary_searchIS3_SA_NSD_INS6_10device_ptrIS9_EEEESJ_SL_NS1_16binary_search_opENSC_16wrapped_functionINS6_6system6detail7generic6detail18binary_search_lessEbEEEE10hipError_tPvRmT1_T2_T3_mmT4_T5_P12ihipStream_tbEUlRKS9_E_EESY_S12_S13_mS14_S17_bEUlT_E_NS1_11comp_targetILNS1_3genE10ELNS1_11target_archE1201ELNS1_3gpuE5ELNS1_3repE0EEENS1_30default_config_static_selectorELNS0_4arch9wavefront6targetE1EEEvS11_.has_recursion, 0
	.set _ZN7rocprim17ROCPRIM_400000_NS6detail17trampoline_kernelINS0_14default_configENS1_29binary_search_config_selectorIN6thrust23THRUST_200600_302600_NS5tupleIiiNS6_9null_typeES8_S8_S8_S8_S8_S8_S8_EEiEEZNS1_14transform_implILb0ES3_SA_NS6_6detail15normal_iteratorINS6_7pointerIS9_NS6_11hip_rocprim5par_tENS6_11use_defaultESH_EEEENSD_INSE_IiSG_SH_SH_EEEEZNS1_13binary_searchIS3_SA_NSD_INS6_10device_ptrIS9_EEEESJ_SL_NS1_16binary_search_opENSC_16wrapped_functionINS6_6system6detail7generic6detail18binary_search_lessEbEEEE10hipError_tPvRmT1_T2_T3_mmT4_T5_P12ihipStream_tbEUlRKS9_E_EESY_S12_S13_mS14_S17_bEUlT_E_NS1_11comp_targetILNS1_3genE10ELNS1_11target_archE1201ELNS1_3gpuE5ELNS1_3repE0EEENS1_30default_config_static_selectorELNS0_4arch9wavefront6targetE1EEEvS11_.has_indirect_call, 0
	.section	.AMDGPU.csdata,"",@progbits
; Kernel info:
; codeLenInByte = 0
; TotalNumSgprs: 4
; NumVgprs: 0
; ScratchSize: 0
; MemoryBound: 0
; FloatMode: 240
; IeeeMode: 1
; LDSByteSize: 0 bytes/workgroup (compile time only)
; SGPRBlocks: 0
; VGPRBlocks: 0
; NumSGPRsForWavesPerEU: 4
; NumVGPRsForWavesPerEU: 1
; Occupancy: 10
; WaveLimiterHint : 0
; COMPUTE_PGM_RSRC2:SCRATCH_EN: 0
; COMPUTE_PGM_RSRC2:USER_SGPR: 6
; COMPUTE_PGM_RSRC2:TRAP_HANDLER: 0
; COMPUTE_PGM_RSRC2:TGID_X_EN: 1
; COMPUTE_PGM_RSRC2:TGID_Y_EN: 0
; COMPUTE_PGM_RSRC2:TGID_Z_EN: 0
; COMPUTE_PGM_RSRC2:TIDIG_COMP_CNT: 0
	.section	.text._ZN7rocprim17ROCPRIM_400000_NS6detail17trampoline_kernelINS0_14default_configENS1_29binary_search_config_selectorIN6thrust23THRUST_200600_302600_NS5tupleIiiNS6_9null_typeES8_S8_S8_S8_S8_S8_S8_EEiEEZNS1_14transform_implILb0ES3_SA_NS6_6detail15normal_iteratorINS6_7pointerIS9_NS6_11hip_rocprim5par_tENS6_11use_defaultESH_EEEENSD_INSE_IiSG_SH_SH_EEEEZNS1_13binary_searchIS3_SA_NSD_INS6_10device_ptrIS9_EEEESJ_SL_NS1_16binary_search_opENSC_16wrapped_functionINS6_6system6detail7generic6detail18binary_search_lessEbEEEE10hipError_tPvRmT1_T2_T3_mmT4_T5_P12ihipStream_tbEUlRKS9_E_EESY_S12_S13_mS14_S17_bEUlT_E_NS1_11comp_targetILNS1_3genE10ELNS1_11target_archE1200ELNS1_3gpuE4ELNS1_3repE0EEENS1_30default_config_static_selectorELNS0_4arch9wavefront6targetE1EEEvS11_,"axG",@progbits,_ZN7rocprim17ROCPRIM_400000_NS6detail17trampoline_kernelINS0_14default_configENS1_29binary_search_config_selectorIN6thrust23THRUST_200600_302600_NS5tupleIiiNS6_9null_typeES8_S8_S8_S8_S8_S8_S8_EEiEEZNS1_14transform_implILb0ES3_SA_NS6_6detail15normal_iteratorINS6_7pointerIS9_NS6_11hip_rocprim5par_tENS6_11use_defaultESH_EEEENSD_INSE_IiSG_SH_SH_EEEEZNS1_13binary_searchIS3_SA_NSD_INS6_10device_ptrIS9_EEEESJ_SL_NS1_16binary_search_opENSC_16wrapped_functionINS6_6system6detail7generic6detail18binary_search_lessEbEEEE10hipError_tPvRmT1_T2_T3_mmT4_T5_P12ihipStream_tbEUlRKS9_E_EESY_S12_S13_mS14_S17_bEUlT_E_NS1_11comp_targetILNS1_3genE10ELNS1_11target_archE1200ELNS1_3gpuE4ELNS1_3repE0EEENS1_30default_config_static_selectorELNS0_4arch9wavefront6targetE1EEEvS11_,comdat
	.protected	_ZN7rocprim17ROCPRIM_400000_NS6detail17trampoline_kernelINS0_14default_configENS1_29binary_search_config_selectorIN6thrust23THRUST_200600_302600_NS5tupleIiiNS6_9null_typeES8_S8_S8_S8_S8_S8_S8_EEiEEZNS1_14transform_implILb0ES3_SA_NS6_6detail15normal_iteratorINS6_7pointerIS9_NS6_11hip_rocprim5par_tENS6_11use_defaultESH_EEEENSD_INSE_IiSG_SH_SH_EEEEZNS1_13binary_searchIS3_SA_NSD_INS6_10device_ptrIS9_EEEESJ_SL_NS1_16binary_search_opENSC_16wrapped_functionINS6_6system6detail7generic6detail18binary_search_lessEbEEEE10hipError_tPvRmT1_T2_T3_mmT4_T5_P12ihipStream_tbEUlRKS9_E_EESY_S12_S13_mS14_S17_bEUlT_E_NS1_11comp_targetILNS1_3genE10ELNS1_11target_archE1200ELNS1_3gpuE4ELNS1_3repE0EEENS1_30default_config_static_selectorELNS0_4arch9wavefront6targetE1EEEvS11_ ; -- Begin function _ZN7rocprim17ROCPRIM_400000_NS6detail17trampoline_kernelINS0_14default_configENS1_29binary_search_config_selectorIN6thrust23THRUST_200600_302600_NS5tupleIiiNS6_9null_typeES8_S8_S8_S8_S8_S8_S8_EEiEEZNS1_14transform_implILb0ES3_SA_NS6_6detail15normal_iteratorINS6_7pointerIS9_NS6_11hip_rocprim5par_tENS6_11use_defaultESH_EEEENSD_INSE_IiSG_SH_SH_EEEEZNS1_13binary_searchIS3_SA_NSD_INS6_10device_ptrIS9_EEEESJ_SL_NS1_16binary_search_opENSC_16wrapped_functionINS6_6system6detail7generic6detail18binary_search_lessEbEEEE10hipError_tPvRmT1_T2_T3_mmT4_T5_P12ihipStream_tbEUlRKS9_E_EESY_S12_S13_mS14_S17_bEUlT_E_NS1_11comp_targetILNS1_3genE10ELNS1_11target_archE1200ELNS1_3gpuE4ELNS1_3repE0EEENS1_30default_config_static_selectorELNS0_4arch9wavefront6targetE1EEEvS11_
	.globl	_ZN7rocprim17ROCPRIM_400000_NS6detail17trampoline_kernelINS0_14default_configENS1_29binary_search_config_selectorIN6thrust23THRUST_200600_302600_NS5tupleIiiNS6_9null_typeES8_S8_S8_S8_S8_S8_S8_EEiEEZNS1_14transform_implILb0ES3_SA_NS6_6detail15normal_iteratorINS6_7pointerIS9_NS6_11hip_rocprim5par_tENS6_11use_defaultESH_EEEENSD_INSE_IiSG_SH_SH_EEEEZNS1_13binary_searchIS3_SA_NSD_INS6_10device_ptrIS9_EEEESJ_SL_NS1_16binary_search_opENSC_16wrapped_functionINS6_6system6detail7generic6detail18binary_search_lessEbEEEE10hipError_tPvRmT1_T2_T3_mmT4_T5_P12ihipStream_tbEUlRKS9_E_EESY_S12_S13_mS14_S17_bEUlT_E_NS1_11comp_targetILNS1_3genE10ELNS1_11target_archE1200ELNS1_3gpuE4ELNS1_3repE0EEENS1_30default_config_static_selectorELNS0_4arch9wavefront6targetE1EEEvS11_
	.p2align	8
	.type	_ZN7rocprim17ROCPRIM_400000_NS6detail17trampoline_kernelINS0_14default_configENS1_29binary_search_config_selectorIN6thrust23THRUST_200600_302600_NS5tupleIiiNS6_9null_typeES8_S8_S8_S8_S8_S8_S8_EEiEEZNS1_14transform_implILb0ES3_SA_NS6_6detail15normal_iteratorINS6_7pointerIS9_NS6_11hip_rocprim5par_tENS6_11use_defaultESH_EEEENSD_INSE_IiSG_SH_SH_EEEEZNS1_13binary_searchIS3_SA_NSD_INS6_10device_ptrIS9_EEEESJ_SL_NS1_16binary_search_opENSC_16wrapped_functionINS6_6system6detail7generic6detail18binary_search_lessEbEEEE10hipError_tPvRmT1_T2_T3_mmT4_T5_P12ihipStream_tbEUlRKS9_E_EESY_S12_S13_mS14_S17_bEUlT_E_NS1_11comp_targetILNS1_3genE10ELNS1_11target_archE1200ELNS1_3gpuE4ELNS1_3repE0EEENS1_30default_config_static_selectorELNS0_4arch9wavefront6targetE1EEEvS11_,@function
_ZN7rocprim17ROCPRIM_400000_NS6detail17trampoline_kernelINS0_14default_configENS1_29binary_search_config_selectorIN6thrust23THRUST_200600_302600_NS5tupleIiiNS6_9null_typeES8_S8_S8_S8_S8_S8_S8_EEiEEZNS1_14transform_implILb0ES3_SA_NS6_6detail15normal_iteratorINS6_7pointerIS9_NS6_11hip_rocprim5par_tENS6_11use_defaultESH_EEEENSD_INSE_IiSG_SH_SH_EEEEZNS1_13binary_searchIS3_SA_NSD_INS6_10device_ptrIS9_EEEESJ_SL_NS1_16binary_search_opENSC_16wrapped_functionINS6_6system6detail7generic6detail18binary_search_lessEbEEEE10hipError_tPvRmT1_T2_T3_mmT4_T5_P12ihipStream_tbEUlRKS9_E_EESY_S12_S13_mS14_S17_bEUlT_E_NS1_11comp_targetILNS1_3genE10ELNS1_11target_archE1200ELNS1_3gpuE4ELNS1_3repE0EEENS1_30default_config_static_selectorELNS0_4arch9wavefront6targetE1EEEvS11_: ; @_ZN7rocprim17ROCPRIM_400000_NS6detail17trampoline_kernelINS0_14default_configENS1_29binary_search_config_selectorIN6thrust23THRUST_200600_302600_NS5tupleIiiNS6_9null_typeES8_S8_S8_S8_S8_S8_S8_EEiEEZNS1_14transform_implILb0ES3_SA_NS6_6detail15normal_iteratorINS6_7pointerIS9_NS6_11hip_rocprim5par_tENS6_11use_defaultESH_EEEENSD_INSE_IiSG_SH_SH_EEEEZNS1_13binary_searchIS3_SA_NSD_INS6_10device_ptrIS9_EEEESJ_SL_NS1_16binary_search_opENSC_16wrapped_functionINS6_6system6detail7generic6detail18binary_search_lessEbEEEE10hipError_tPvRmT1_T2_T3_mmT4_T5_P12ihipStream_tbEUlRKS9_E_EESY_S12_S13_mS14_S17_bEUlT_E_NS1_11comp_targetILNS1_3genE10ELNS1_11target_archE1200ELNS1_3gpuE4ELNS1_3repE0EEENS1_30default_config_static_selectorELNS0_4arch9wavefront6targetE1EEEvS11_
; %bb.0:
	.section	.rodata,"a",@progbits
	.p2align	6, 0x0
	.amdhsa_kernel _ZN7rocprim17ROCPRIM_400000_NS6detail17trampoline_kernelINS0_14default_configENS1_29binary_search_config_selectorIN6thrust23THRUST_200600_302600_NS5tupleIiiNS6_9null_typeES8_S8_S8_S8_S8_S8_S8_EEiEEZNS1_14transform_implILb0ES3_SA_NS6_6detail15normal_iteratorINS6_7pointerIS9_NS6_11hip_rocprim5par_tENS6_11use_defaultESH_EEEENSD_INSE_IiSG_SH_SH_EEEEZNS1_13binary_searchIS3_SA_NSD_INS6_10device_ptrIS9_EEEESJ_SL_NS1_16binary_search_opENSC_16wrapped_functionINS6_6system6detail7generic6detail18binary_search_lessEbEEEE10hipError_tPvRmT1_T2_T3_mmT4_T5_P12ihipStream_tbEUlRKS9_E_EESY_S12_S13_mS14_S17_bEUlT_E_NS1_11comp_targetILNS1_3genE10ELNS1_11target_archE1200ELNS1_3gpuE4ELNS1_3repE0EEENS1_30default_config_static_selectorELNS0_4arch9wavefront6targetE1EEEvS11_
		.amdhsa_group_segment_fixed_size 0
		.amdhsa_private_segment_fixed_size 0
		.amdhsa_kernarg_size 56
		.amdhsa_user_sgpr_count 6
		.amdhsa_user_sgpr_private_segment_buffer 1
		.amdhsa_user_sgpr_dispatch_ptr 0
		.amdhsa_user_sgpr_queue_ptr 0
		.amdhsa_user_sgpr_kernarg_segment_ptr 1
		.amdhsa_user_sgpr_dispatch_id 0
		.amdhsa_user_sgpr_flat_scratch_init 0
		.amdhsa_user_sgpr_private_segment_size 0
		.amdhsa_uses_dynamic_stack 0
		.amdhsa_system_sgpr_private_segment_wavefront_offset 0
		.amdhsa_system_sgpr_workgroup_id_x 1
		.amdhsa_system_sgpr_workgroup_id_y 0
		.amdhsa_system_sgpr_workgroup_id_z 0
		.amdhsa_system_sgpr_workgroup_info 0
		.amdhsa_system_vgpr_workitem_id 0
		.amdhsa_next_free_vgpr 1
		.amdhsa_next_free_sgpr 0
		.amdhsa_reserve_vcc 0
		.amdhsa_reserve_flat_scratch 0
		.amdhsa_float_round_mode_32 0
		.amdhsa_float_round_mode_16_64 0
		.amdhsa_float_denorm_mode_32 3
		.amdhsa_float_denorm_mode_16_64 3
		.amdhsa_dx10_clamp 1
		.amdhsa_ieee_mode 1
		.amdhsa_fp16_overflow 0
		.amdhsa_exception_fp_ieee_invalid_op 0
		.amdhsa_exception_fp_denorm_src 0
		.amdhsa_exception_fp_ieee_div_zero 0
		.amdhsa_exception_fp_ieee_overflow 0
		.amdhsa_exception_fp_ieee_underflow 0
		.amdhsa_exception_fp_ieee_inexact 0
		.amdhsa_exception_int_div_zero 0
	.end_amdhsa_kernel
	.section	.text._ZN7rocprim17ROCPRIM_400000_NS6detail17trampoline_kernelINS0_14default_configENS1_29binary_search_config_selectorIN6thrust23THRUST_200600_302600_NS5tupleIiiNS6_9null_typeES8_S8_S8_S8_S8_S8_S8_EEiEEZNS1_14transform_implILb0ES3_SA_NS6_6detail15normal_iteratorINS6_7pointerIS9_NS6_11hip_rocprim5par_tENS6_11use_defaultESH_EEEENSD_INSE_IiSG_SH_SH_EEEEZNS1_13binary_searchIS3_SA_NSD_INS6_10device_ptrIS9_EEEESJ_SL_NS1_16binary_search_opENSC_16wrapped_functionINS6_6system6detail7generic6detail18binary_search_lessEbEEEE10hipError_tPvRmT1_T2_T3_mmT4_T5_P12ihipStream_tbEUlRKS9_E_EESY_S12_S13_mS14_S17_bEUlT_E_NS1_11comp_targetILNS1_3genE10ELNS1_11target_archE1200ELNS1_3gpuE4ELNS1_3repE0EEENS1_30default_config_static_selectorELNS0_4arch9wavefront6targetE1EEEvS11_,"axG",@progbits,_ZN7rocprim17ROCPRIM_400000_NS6detail17trampoline_kernelINS0_14default_configENS1_29binary_search_config_selectorIN6thrust23THRUST_200600_302600_NS5tupleIiiNS6_9null_typeES8_S8_S8_S8_S8_S8_S8_EEiEEZNS1_14transform_implILb0ES3_SA_NS6_6detail15normal_iteratorINS6_7pointerIS9_NS6_11hip_rocprim5par_tENS6_11use_defaultESH_EEEENSD_INSE_IiSG_SH_SH_EEEEZNS1_13binary_searchIS3_SA_NSD_INS6_10device_ptrIS9_EEEESJ_SL_NS1_16binary_search_opENSC_16wrapped_functionINS6_6system6detail7generic6detail18binary_search_lessEbEEEE10hipError_tPvRmT1_T2_T3_mmT4_T5_P12ihipStream_tbEUlRKS9_E_EESY_S12_S13_mS14_S17_bEUlT_E_NS1_11comp_targetILNS1_3genE10ELNS1_11target_archE1200ELNS1_3gpuE4ELNS1_3repE0EEENS1_30default_config_static_selectorELNS0_4arch9wavefront6targetE1EEEvS11_,comdat
.Lfunc_end731:
	.size	_ZN7rocprim17ROCPRIM_400000_NS6detail17trampoline_kernelINS0_14default_configENS1_29binary_search_config_selectorIN6thrust23THRUST_200600_302600_NS5tupleIiiNS6_9null_typeES8_S8_S8_S8_S8_S8_S8_EEiEEZNS1_14transform_implILb0ES3_SA_NS6_6detail15normal_iteratorINS6_7pointerIS9_NS6_11hip_rocprim5par_tENS6_11use_defaultESH_EEEENSD_INSE_IiSG_SH_SH_EEEEZNS1_13binary_searchIS3_SA_NSD_INS6_10device_ptrIS9_EEEESJ_SL_NS1_16binary_search_opENSC_16wrapped_functionINS6_6system6detail7generic6detail18binary_search_lessEbEEEE10hipError_tPvRmT1_T2_T3_mmT4_T5_P12ihipStream_tbEUlRKS9_E_EESY_S12_S13_mS14_S17_bEUlT_E_NS1_11comp_targetILNS1_3genE10ELNS1_11target_archE1200ELNS1_3gpuE4ELNS1_3repE0EEENS1_30default_config_static_selectorELNS0_4arch9wavefront6targetE1EEEvS11_, .Lfunc_end731-_ZN7rocprim17ROCPRIM_400000_NS6detail17trampoline_kernelINS0_14default_configENS1_29binary_search_config_selectorIN6thrust23THRUST_200600_302600_NS5tupleIiiNS6_9null_typeES8_S8_S8_S8_S8_S8_S8_EEiEEZNS1_14transform_implILb0ES3_SA_NS6_6detail15normal_iteratorINS6_7pointerIS9_NS6_11hip_rocprim5par_tENS6_11use_defaultESH_EEEENSD_INSE_IiSG_SH_SH_EEEEZNS1_13binary_searchIS3_SA_NSD_INS6_10device_ptrIS9_EEEESJ_SL_NS1_16binary_search_opENSC_16wrapped_functionINS6_6system6detail7generic6detail18binary_search_lessEbEEEE10hipError_tPvRmT1_T2_T3_mmT4_T5_P12ihipStream_tbEUlRKS9_E_EESY_S12_S13_mS14_S17_bEUlT_E_NS1_11comp_targetILNS1_3genE10ELNS1_11target_archE1200ELNS1_3gpuE4ELNS1_3repE0EEENS1_30default_config_static_selectorELNS0_4arch9wavefront6targetE1EEEvS11_
                                        ; -- End function
	.set _ZN7rocprim17ROCPRIM_400000_NS6detail17trampoline_kernelINS0_14default_configENS1_29binary_search_config_selectorIN6thrust23THRUST_200600_302600_NS5tupleIiiNS6_9null_typeES8_S8_S8_S8_S8_S8_S8_EEiEEZNS1_14transform_implILb0ES3_SA_NS6_6detail15normal_iteratorINS6_7pointerIS9_NS6_11hip_rocprim5par_tENS6_11use_defaultESH_EEEENSD_INSE_IiSG_SH_SH_EEEEZNS1_13binary_searchIS3_SA_NSD_INS6_10device_ptrIS9_EEEESJ_SL_NS1_16binary_search_opENSC_16wrapped_functionINS6_6system6detail7generic6detail18binary_search_lessEbEEEE10hipError_tPvRmT1_T2_T3_mmT4_T5_P12ihipStream_tbEUlRKS9_E_EESY_S12_S13_mS14_S17_bEUlT_E_NS1_11comp_targetILNS1_3genE10ELNS1_11target_archE1200ELNS1_3gpuE4ELNS1_3repE0EEENS1_30default_config_static_selectorELNS0_4arch9wavefront6targetE1EEEvS11_.num_vgpr, 0
	.set _ZN7rocprim17ROCPRIM_400000_NS6detail17trampoline_kernelINS0_14default_configENS1_29binary_search_config_selectorIN6thrust23THRUST_200600_302600_NS5tupleIiiNS6_9null_typeES8_S8_S8_S8_S8_S8_S8_EEiEEZNS1_14transform_implILb0ES3_SA_NS6_6detail15normal_iteratorINS6_7pointerIS9_NS6_11hip_rocprim5par_tENS6_11use_defaultESH_EEEENSD_INSE_IiSG_SH_SH_EEEEZNS1_13binary_searchIS3_SA_NSD_INS6_10device_ptrIS9_EEEESJ_SL_NS1_16binary_search_opENSC_16wrapped_functionINS6_6system6detail7generic6detail18binary_search_lessEbEEEE10hipError_tPvRmT1_T2_T3_mmT4_T5_P12ihipStream_tbEUlRKS9_E_EESY_S12_S13_mS14_S17_bEUlT_E_NS1_11comp_targetILNS1_3genE10ELNS1_11target_archE1200ELNS1_3gpuE4ELNS1_3repE0EEENS1_30default_config_static_selectorELNS0_4arch9wavefront6targetE1EEEvS11_.num_agpr, 0
	.set _ZN7rocprim17ROCPRIM_400000_NS6detail17trampoline_kernelINS0_14default_configENS1_29binary_search_config_selectorIN6thrust23THRUST_200600_302600_NS5tupleIiiNS6_9null_typeES8_S8_S8_S8_S8_S8_S8_EEiEEZNS1_14transform_implILb0ES3_SA_NS6_6detail15normal_iteratorINS6_7pointerIS9_NS6_11hip_rocprim5par_tENS6_11use_defaultESH_EEEENSD_INSE_IiSG_SH_SH_EEEEZNS1_13binary_searchIS3_SA_NSD_INS6_10device_ptrIS9_EEEESJ_SL_NS1_16binary_search_opENSC_16wrapped_functionINS6_6system6detail7generic6detail18binary_search_lessEbEEEE10hipError_tPvRmT1_T2_T3_mmT4_T5_P12ihipStream_tbEUlRKS9_E_EESY_S12_S13_mS14_S17_bEUlT_E_NS1_11comp_targetILNS1_3genE10ELNS1_11target_archE1200ELNS1_3gpuE4ELNS1_3repE0EEENS1_30default_config_static_selectorELNS0_4arch9wavefront6targetE1EEEvS11_.numbered_sgpr, 0
	.set _ZN7rocprim17ROCPRIM_400000_NS6detail17trampoline_kernelINS0_14default_configENS1_29binary_search_config_selectorIN6thrust23THRUST_200600_302600_NS5tupleIiiNS6_9null_typeES8_S8_S8_S8_S8_S8_S8_EEiEEZNS1_14transform_implILb0ES3_SA_NS6_6detail15normal_iteratorINS6_7pointerIS9_NS6_11hip_rocprim5par_tENS6_11use_defaultESH_EEEENSD_INSE_IiSG_SH_SH_EEEEZNS1_13binary_searchIS3_SA_NSD_INS6_10device_ptrIS9_EEEESJ_SL_NS1_16binary_search_opENSC_16wrapped_functionINS6_6system6detail7generic6detail18binary_search_lessEbEEEE10hipError_tPvRmT1_T2_T3_mmT4_T5_P12ihipStream_tbEUlRKS9_E_EESY_S12_S13_mS14_S17_bEUlT_E_NS1_11comp_targetILNS1_3genE10ELNS1_11target_archE1200ELNS1_3gpuE4ELNS1_3repE0EEENS1_30default_config_static_selectorELNS0_4arch9wavefront6targetE1EEEvS11_.num_named_barrier, 0
	.set _ZN7rocprim17ROCPRIM_400000_NS6detail17trampoline_kernelINS0_14default_configENS1_29binary_search_config_selectorIN6thrust23THRUST_200600_302600_NS5tupleIiiNS6_9null_typeES8_S8_S8_S8_S8_S8_S8_EEiEEZNS1_14transform_implILb0ES3_SA_NS6_6detail15normal_iteratorINS6_7pointerIS9_NS6_11hip_rocprim5par_tENS6_11use_defaultESH_EEEENSD_INSE_IiSG_SH_SH_EEEEZNS1_13binary_searchIS3_SA_NSD_INS6_10device_ptrIS9_EEEESJ_SL_NS1_16binary_search_opENSC_16wrapped_functionINS6_6system6detail7generic6detail18binary_search_lessEbEEEE10hipError_tPvRmT1_T2_T3_mmT4_T5_P12ihipStream_tbEUlRKS9_E_EESY_S12_S13_mS14_S17_bEUlT_E_NS1_11comp_targetILNS1_3genE10ELNS1_11target_archE1200ELNS1_3gpuE4ELNS1_3repE0EEENS1_30default_config_static_selectorELNS0_4arch9wavefront6targetE1EEEvS11_.private_seg_size, 0
	.set _ZN7rocprim17ROCPRIM_400000_NS6detail17trampoline_kernelINS0_14default_configENS1_29binary_search_config_selectorIN6thrust23THRUST_200600_302600_NS5tupleIiiNS6_9null_typeES8_S8_S8_S8_S8_S8_S8_EEiEEZNS1_14transform_implILb0ES3_SA_NS6_6detail15normal_iteratorINS6_7pointerIS9_NS6_11hip_rocprim5par_tENS6_11use_defaultESH_EEEENSD_INSE_IiSG_SH_SH_EEEEZNS1_13binary_searchIS3_SA_NSD_INS6_10device_ptrIS9_EEEESJ_SL_NS1_16binary_search_opENSC_16wrapped_functionINS6_6system6detail7generic6detail18binary_search_lessEbEEEE10hipError_tPvRmT1_T2_T3_mmT4_T5_P12ihipStream_tbEUlRKS9_E_EESY_S12_S13_mS14_S17_bEUlT_E_NS1_11comp_targetILNS1_3genE10ELNS1_11target_archE1200ELNS1_3gpuE4ELNS1_3repE0EEENS1_30default_config_static_selectorELNS0_4arch9wavefront6targetE1EEEvS11_.uses_vcc, 0
	.set _ZN7rocprim17ROCPRIM_400000_NS6detail17trampoline_kernelINS0_14default_configENS1_29binary_search_config_selectorIN6thrust23THRUST_200600_302600_NS5tupleIiiNS6_9null_typeES8_S8_S8_S8_S8_S8_S8_EEiEEZNS1_14transform_implILb0ES3_SA_NS6_6detail15normal_iteratorINS6_7pointerIS9_NS6_11hip_rocprim5par_tENS6_11use_defaultESH_EEEENSD_INSE_IiSG_SH_SH_EEEEZNS1_13binary_searchIS3_SA_NSD_INS6_10device_ptrIS9_EEEESJ_SL_NS1_16binary_search_opENSC_16wrapped_functionINS6_6system6detail7generic6detail18binary_search_lessEbEEEE10hipError_tPvRmT1_T2_T3_mmT4_T5_P12ihipStream_tbEUlRKS9_E_EESY_S12_S13_mS14_S17_bEUlT_E_NS1_11comp_targetILNS1_3genE10ELNS1_11target_archE1200ELNS1_3gpuE4ELNS1_3repE0EEENS1_30default_config_static_selectorELNS0_4arch9wavefront6targetE1EEEvS11_.uses_flat_scratch, 0
	.set _ZN7rocprim17ROCPRIM_400000_NS6detail17trampoline_kernelINS0_14default_configENS1_29binary_search_config_selectorIN6thrust23THRUST_200600_302600_NS5tupleIiiNS6_9null_typeES8_S8_S8_S8_S8_S8_S8_EEiEEZNS1_14transform_implILb0ES3_SA_NS6_6detail15normal_iteratorINS6_7pointerIS9_NS6_11hip_rocprim5par_tENS6_11use_defaultESH_EEEENSD_INSE_IiSG_SH_SH_EEEEZNS1_13binary_searchIS3_SA_NSD_INS6_10device_ptrIS9_EEEESJ_SL_NS1_16binary_search_opENSC_16wrapped_functionINS6_6system6detail7generic6detail18binary_search_lessEbEEEE10hipError_tPvRmT1_T2_T3_mmT4_T5_P12ihipStream_tbEUlRKS9_E_EESY_S12_S13_mS14_S17_bEUlT_E_NS1_11comp_targetILNS1_3genE10ELNS1_11target_archE1200ELNS1_3gpuE4ELNS1_3repE0EEENS1_30default_config_static_selectorELNS0_4arch9wavefront6targetE1EEEvS11_.has_dyn_sized_stack, 0
	.set _ZN7rocprim17ROCPRIM_400000_NS6detail17trampoline_kernelINS0_14default_configENS1_29binary_search_config_selectorIN6thrust23THRUST_200600_302600_NS5tupleIiiNS6_9null_typeES8_S8_S8_S8_S8_S8_S8_EEiEEZNS1_14transform_implILb0ES3_SA_NS6_6detail15normal_iteratorINS6_7pointerIS9_NS6_11hip_rocprim5par_tENS6_11use_defaultESH_EEEENSD_INSE_IiSG_SH_SH_EEEEZNS1_13binary_searchIS3_SA_NSD_INS6_10device_ptrIS9_EEEESJ_SL_NS1_16binary_search_opENSC_16wrapped_functionINS6_6system6detail7generic6detail18binary_search_lessEbEEEE10hipError_tPvRmT1_T2_T3_mmT4_T5_P12ihipStream_tbEUlRKS9_E_EESY_S12_S13_mS14_S17_bEUlT_E_NS1_11comp_targetILNS1_3genE10ELNS1_11target_archE1200ELNS1_3gpuE4ELNS1_3repE0EEENS1_30default_config_static_selectorELNS0_4arch9wavefront6targetE1EEEvS11_.has_recursion, 0
	.set _ZN7rocprim17ROCPRIM_400000_NS6detail17trampoline_kernelINS0_14default_configENS1_29binary_search_config_selectorIN6thrust23THRUST_200600_302600_NS5tupleIiiNS6_9null_typeES8_S8_S8_S8_S8_S8_S8_EEiEEZNS1_14transform_implILb0ES3_SA_NS6_6detail15normal_iteratorINS6_7pointerIS9_NS6_11hip_rocprim5par_tENS6_11use_defaultESH_EEEENSD_INSE_IiSG_SH_SH_EEEEZNS1_13binary_searchIS3_SA_NSD_INS6_10device_ptrIS9_EEEESJ_SL_NS1_16binary_search_opENSC_16wrapped_functionINS6_6system6detail7generic6detail18binary_search_lessEbEEEE10hipError_tPvRmT1_T2_T3_mmT4_T5_P12ihipStream_tbEUlRKS9_E_EESY_S12_S13_mS14_S17_bEUlT_E_NS1_11comp_targetILNS1_3genE10ELNS1_11target_archE1200ELNS1_3gpuE4ELNS1_3repE0EEENS1_30default_config_static_selectorELNS0_4arch9wavefront6targetE1EEEvS11_.has_indirect_call, 0
	.section	.AMDGPU.csdata,"",@progbits
; Kernel info:
; codeLenInByte = 0
; TotalNumSgprs: 4
; NumVgprs: 0
; ScratchSize: 0
; MemoryBound: 0
; FloatMode: 240
; IeeeMode: 1
; LDSByteSize: 0 bytes/workgroup (compile time only)
; SGPRBlocks: 0
; VGPRBlocks: 0
; NumSGPRsForWavesPerEU: 4
; NumVGPRsForWavesPerEU: 1
; Occupancy: 10
; WaveLimiterHint : 0
; COMPUTE_PGM_RSRC2:SCRATCH_EN: 0
; COMPUTE_PGM_RSRC2:USER_SGPR: 6
; COMPUTE_PGM_RSRC2:TRAP_HANDLER: 0
; COMPUTE_PGM_RSRC2:TGID_X_EN: 1
; COMPUTE_PGM_RSRC2:TGID_Y_EN: 0
; COMPUTE_PGM_RSRC2:TGID_Z_EN: 0
; COMPUTE_PGM_RSRC2:TIDIG_COMP_CNT: 0
	.section	.text._ZN7rocprim17ROCPRIM_400000_NS6detail17trampoline_kernelINS0_14default_configENS1_29binary_search_config_selectorIN6thrust23THRUST_200600_302600_NS5tupleIiiNS6_9null_typeES8_S8_S8_S8_S8_S8_S8_EEiEEZNS1_14transform_implILb0ES3_SA_NS6_6detail15normal_iteratorINS6_7pointerIS9_NS6_11hip_rocprim5par_tENS6_11use_defaultESH_EEEENSD_INSE_IiSG_SH_SH_EEEEZNS1_13binary_searchIS3_SA_NSD_INS6_10device_ptrIS9_EEEESJ_SL_NS1_16binary_search_opENSC_16wrapped_functionINS6_6system6detail7generic6detail18binary_search_lessEbEEEE10hipError_tPvRmT1_T2_T3_mmT4_T5_P12ihipStream_tbEUlRKS9_E_EESY_S12_S13_mS14_S17_bEUlT_E_NS1_11comp_targetILNS1_3genE9ELNS1_11target_archE1100ELNS1_3gpuE3ELNS1_3repE0EEENS1_30default_config_static_selectorELNS0_4arch9wavefront6targetE1EEEvS11_,"axG",@progbits,_ZN7rocprim17ROCPRIM_400000_NS6detail17trampoline_kernelINS0_14default_configENS1_29binary_search_config_selectorIN6thrust23THRUST_200600_302600_NS5tupleIiiNS6_9null_typeES8_S8_S8_S8_S8_S8_S8_EEiEEZNS1_14transform_implILb0ES3_SA_NS6_6detail15normal_iteratorINS6_7pointerIS9_NS6_11hip_rocprim5par_tENS6_11use_defaultESH_EEEENSD_INSE_IiSG_SH_SH_EEEEZNS1_13binary_searchIS3_SA_NSD_INS6_10device_ptrIS9_EEEESJ_SL_NS1_16binary_search_opENSC_16wrapped_functionINS6_6system6detail7generic6detail18binary_search_lessEbEEEE10hipError_tPvRmT1_T2_T3_mmT4_T5_P12ihipStream_tbEUlRKS9_E_EESY_S12_S13_mS14_S17_bEUlT_E_NS1_11comp_targetILNS1_3genE9ELNS1_11target_archE1100ELNS1_3gpuE3ELNS1_3repE0EEENS1_30default_config_static_selectorELNS0_4arch9wavefront6targetE1EEEvS11_,comdat
	.protected	_ZN7rocprim17ROCPRIM_400000_NS6detail17trampoline_kernelINS0_14default_configENS1_29binary_search_config_selectorIN6thrust23THRUST_200600_302600_NS5tupleIiiNS6_9null_typeES8_S8_S8_S8_S8_S8_S8_EEiEEZNS1_14transform_implILb0ES3_SA_NS6_6detail15normal_iteratorINS6_7pointerIS9_NS6_11hip_rocprim5par_tENS6_11use_defaultESH_EEEENSD_INSE_IiSG_SH_SH_EEEEZNS1_13binary_searchIS3_SA_NSD_INS6_10device_ptrIS9_EEEESJ_SL_NS1_16binary_search_opENSC_16wrapped_functionINS6_6system6detail7generic6detail18binary_search_lessEbEEEE10hipError_tPvRmT1_T2_T3_mmT4_T5_P12ihipStream_tbEUlRKS9_E_EESY_S12_S13_mS14_S17_bEUlT_E_NS1_11comp_targetILNS1_3genE9ELNS1_11target_archE1100ELNS1_3gpuE3ELNS1_3repE0EEENS1_30default_config_static_selectorELNS0_4arch9wavefront6targetE1EEEvS11_ ; -- Begin function _ZN7rocprim17ROCPRIM_400000_NS6detail17trampoline_kernelINS0_14default_configENS1_29binary_search_config_selectorIN6thrust23THRUST_200600_302600_NS5tupleIiiNS6_9null_typeES8_S8_S8_S8_S8_S8_S8_EEiEEZNS1_14transform_implILb0ES3_SA_NS6_6detail15normal_iteratorINS6_7pointerIS9_NS6_11hip_rocprim5par_tENS6_11use_defaultESH_EEEENSD_INSE_IiSG_SH_SH_EEEEZNS1_13binary_searchIS3_SA_NSD_INS6_10device_ptrIS9_EEEESJ_SL_NS1_16binary_search_opENSC_16wrapped_functionINS6_6system6detail7generic6detail18binary_search_lessEbEEEE10hipError_tPvRmT1_T2_T3_mmT4_T5_P12ihipStream_tbEUlRKS9_E_EESY_S12_S13_mS14_S17_bEUlT_E_NS1_11comp_targetILNS1_3genE9ELNS1_11target_archE1100ELNS1_3gpuE3ELNS1_3repE0EEENS1_30default_config_static_selectorELNS0_4arch9wavefront6targetE1EEEvS11_
	.globl	_ZN7rocprim17ROCPRIM_400000_NS6detail17trampoline_kernelINS0_14default_configENS1_29binary_search_config_selectorIN6thrust23THRUST_200600_302600_NS5tupleIiiNS6_9null_typeES8_S8_S8_S8_S8_S8_S8_EEiEEZNS1_14transform_implILb0ES3_SA_NS6_6detail15normal_iteratorINS6_7pointerIS9_NS6_11hip_rocprim5par_tENS6_11use_defaultESH_EEEENSD_INSE_IiSG_SH_SH_EEEEZNS1_13binary_searchIS3_SA_NSD_INS6_10device_ptrIS9_EEEESJ_SL_NS1_16binary_search_opENSC_16wrapped_functionINS6_6system6detail7generic6detail18binary_search_lessEbEEEE10hipError_tPvRmT1_T2_T3_mmT4_T5_P12ihipStream_tbEUlRKS9_E_EESY_S12_S13_mS14_S17_bEUlT_E_NS1_11comp_targetILNS1_3genE9ELNS1_11target_archE1100ELNS1_3gpuE3ELNS1_3repE0EEENS1_30default_config_static_selectorELNS0_4arch9wavefront6targetE1EEEvS11_
	.p2align	8
	.type	_ZN7rocprim17ROCPRIM_400000_NS6detail17trampoline_kernelINS0_14default_configENS1_29binary_search_config_selectorIN6thrust23THRUST_200600_302600_NS5tupleIiiNS6_9null_typeES8_S8_S8_S8_S8_S8_S8_EEiEEZNS1_14transform_implILb0ES3_SA_NS6_6detail15normal_iteratorINS6_7pointerIS9_NS6_11hip_rocprim5par_tENS6_11use_defaultESH_EEEENSD_INSE_IiSG_SH_SH_EEEEZNS1_13binary_searchIS3_SA_NSD_INS6_10device_ptrIS9_EEEESJ_SL_NS1_16binary_search_opENSC_16wrapped_functionINS6_6system6detail7generic6detail18binary_search_lessEbEEEE10hipError_tPvRmT1_T2_T3_mmT4_T5_P12ihipStream_tbEUlRKS9_E_EESY_S12_S13_mS14_S17_bEUlT_E_NS1_11comp_targetILNS1_3genE9ELNS1_11target_archE1100ELNS1_3gpuE3ELNS1_3repE0EEENS1_30default_config_static_selectorELNS0_4arch9wavefront6targetE1EEEvS11_,@function
_ZN7rocprim17ROCPRIM_400000_NS6detail17trampoline_kernelINS0_14default_configENS1_29binary_search_config_selectorIN6thrust23THRUST_200600_302600_NS5tupleIiiNS6_9null_typeES8_S8_S8_S8_S8_S8_S8_EEiEEZNS1_14transform_implILb0ES3_SA_NS6_6detail15normal_iteratorINS6_7pointerIS9_NS6_11hip_rocprim5par_tENS6_11use_defaultESH_EEEENSD_INSE_IiSG_SH_SH_EEEEZNS1_13binary_searchIS3_SA_NSD_INS6_10device_ptrIS9_EEEESJ_SL_NS1_16binary_search_opENSC_16wrapped_functionINS6_6system6detail7generic6detail18binary_search_lessEbEEEE10hipError_tPvRmT1_T2_T3_mmT4_T5_P12ihipStream_tbEUlRKS9_E_EESY_S12_S13_mS14_S17_bEUlT_E_NS1_11comp_targetILNS1_3genE9ELNS1_11target_archE1100ELNS1_3gpuE3ELNS1_3repE0EEENS1_30default_config_static_selectorELNS0_4arch9wavefront6targetE1EEEvS11_: ; @_ZN7rocprim17ROCPRIM_400000_NS6detail17trampoline_kernelINS0_14default_configENS1_29binary_search_config_selectorIN6thrust23THRUST_200600_302600_NS5tupleIiiNS6_9null_typeES8_S8_S8_S8_S8_S8_S8_EEiEEZNS1_14transform_implILb0ES3_SA_NS6_6detail15normal_iteratorINS6_7pointerIS9_NS6_11hip_rocprim5par_tENS6_11use_defaultESH_EEEENSD_INSE_IiSG_SH_SH_EEEEZNS1_13binary_searchIS3_SA_NSD_INS6_10device_ptrIS9_EEEESJ_SL_NS1_16binary_search_opENSC_16wrapped_functionINS6_6system6detail7generic6detail18binary_search_lessEbEEEE10hipError_tPvRmT1_T2_T3_mmT4_T5_P12ihipStream_tbEUlRKS9_E_EESY_S12_S13_mS14_S17_bEUlT_E_NS1_11comp_targetILNS1_3genE9ELNS1_11target_archE1100ELNS1_3gpuE3ELNS1_3repE0EEENS1_30default_config_static_selectorELNS0_4arch9wavefront6targetE1EEEvS11_
; %bb.0:
	.section	.rodata,"a",@progbits
	.p2align	6, 0x0
	.amdhsa_kernel _ZN7rocprim17ROCPRIM_400000_NS6detail17trampoline_kernelINS0_14default_configENS1_29binary_search_config_selectorIN6thrust23THRUST_200600_302600_NS5tupleIiiNS6_9null_typeES8_S8_S8_S8_S8_S8_S8_EEiEEZNS1_14transform_implILb0ES3_SA_NS6_6detail15normal_iteratorINS6_7pointerIS9_NS6_11hip_rocprim5par_tENS6_11use_defaultESH_EEEENSD_INSE_IiSG_SH_SH_EEEEZNS1_13binary_searchIS3_SA_NSD_INS6_10device_ptrIS9_EEEESJ_SL_NS1_16binary_search_opENSC_16wrapped_functionINS6_6system6detail7generic6detail18binary_search_lessEbEEEE10hipError_tPvRmT1_T2_T3_mmT4_T5_P12ihipStream_tbEUlRKS9_E_EESY_S12_S13_mS14_S17_bEUlT_E_NS1_11comp_targetILNS1_3genE9ELNS1_11target_archE1100ELNS1_3gpuE3ELNS1_3repE0EEENS1_30default_config_static_selectorELNS0_4arch9wavefront6targetE1EEEvS11_
		.amdhsa_group_segment_fixed_size 0
		.amdhsa_private_segment_fixed_size 0
		.amdhsa_kernarg_size 56
		.amdhsa_user_sgpr_count 6
		.amdhsa_user_sgpr_private_segment_buffer 1
		.amdhsa_user_sgpr_dispatch_ptr 0
		.amdhsa_user_sgpr_queue_ptr 0
		.amdhsa_user_sgpr_kernarg_segment_ptr 1
		.amdhsa_user_sgpr_dispatch_id 0
		.amdhsa_user_sgpr_flat_scratch_init 0
		.amdhsa_user_sgpr_private_segment_size 0
		.amdhsa_uses_dynamic_stack 0
		.amdhsa_system_sgpr_private_segment_wavefront_offset 0
		.amdhsa_system_sgpr_workgroup_id_x 1
		.amdhsa_system_sgpr_workgroup_id_y 0
		.amdhsa_system_sgpr_workgroup_id_z 0
		.amdhsa_system_sgpr_workgroup_info 0
		.amdhsa_system_vgpr_workitem_id 0
		.amdhsa_next_free_vgpr 1
		.amdhsa_next_free_sgpr 0
		.amdhsa_reserve_vcc 0
		.amdhsa_reserve_flat_scratch 0
		.amdhsa_float_round_mode_32 0
		.amdhsa_float_round_mode_16_64 0
		.amdhsa_float_denorm_mode_32 3
		.amdhsa_float_denorm_mode_16_64 3
		.amdhsa_dx10_clamp 1
		.amdhsa_ieee_mode 1
		.amdhsa_fp16_overflow 0
		.amdhsa_exception_fp_ieee_invalid_op 0
		.amdhsa_exception_fp_denorm_src 0
		.amdhsa_exception_fp_ieee_div_zero 0
		.amdhsa_exception_fp_ieee_overflow 0
		.amdhsa_exception_fp_ieee_underflow 0
		.amdhsa_exception_fp_ieee_inexact 0
		.amdhsa_exception_int_div_zero 0
	.end_amdhsa_kernel
	.section	.text._ZN7rocprim17ROCPRIM_400000_NS6detail17trampoline_kernelINS0_14default_configENS1_29binary_search_config_selectorIN6thrust23THRUST_200600_302600_NS5tupleIiiNS6_9null_typeES8_S8_S8_S8_S8_S8_S8_EEiEEZNS1_14transform_implILb0ES3_SA_NS6_6detail15normal_iteratorINS6_7pointerIS9_NS6_11hip_rocprim5par_tENS6_11use_defaultESH_EEEENSD_INSE_IiSG_SH_SH_EEEEZNS1_13binary_searchIS3_SA_NSD_INS6_10device_ptrIS9_EEEESJ_SL_NS1_16binary_search_opENSC_16wrapped_functionINS6_6system6detail7generic6detail18binary_search_lessEbEEEE10hipError_tPvRmT1_T2_T3_mmT4_T5_P12ihipStream_tbEUlRKS9_E_EESY_S12_S13_mS14_S17_bEUlT_E_NS1_11comp_targetILNS1_3genE9ELNS1_11target_archE1100ELNS1_3gpuE3ELNS1_3repE0EEENS1_30default_config_static_selectorELNS0_4arch9wavefront6targetE1EEEvS11_,"axG",@progbits,_ZN7rocprim17ROCPRIM_400000_NS6detail17trampoline_kernelINS0_14default_configENS1_29binary_search_config_selectorIN6thrust23THRUST_200600_302600_NS5tupleIiiNS6_9null_typeES8_S8_S8_S8_S8_S8_S8_EEiEEZNS1_14transform_implILb0ES3_SA_NS6_6detail15normal_iteratorINS6_7pointerIS9_NS6_11hip_rocprim5par_tENS6_11use_defaultESH_EEEENSD_INSE_IiSG_SH_SH_EEEEZNS1_13binary_searchIS3_SA_NSD_INS6_10device_ptrIS9_EEEESJ_SL_NS1_16binary_search_opENSC_16wrapped_functionINS6_6system6detail7generic6detail18binary_search_lessEbEEEE10hipError_tPvRmT1_T2_T3_mmT4_T5_P12ihipStream_tbEUlRKS9_E_EESY_S12_S13_mS14_S17_bEUlT_E_NS1_11comp_targetILNS1_3genE9ELNS1_11target_archE1100ELNS1_3gpuE3ELNS1_3repE0EEENS1_30default_config_static_selectorELNS0_4arch9wavefront6targetE1EEEvS11_,comdat
.Lfunc_end732:
	.size	_ZN7rocprim17ROCPRIM_400000_NS6detail17trampoline_kernelINS0_14default_configENS1_29binary_search_config_selectorIN6thrust23THRUST_200600_302600_NS5tupleIiiNS6_9null_typeES8_S8_S8_S8_S8_S8_S8_EEiEEZNS1_14transform_implILb0ES3_SA_NS6_6detail15normal_iteratorINS6_7pointerIS9_NS6_11hip_rocprim5par_tENS6_11use_defaultESH_EEEENSD_INSE_IiSG_SH_SH_EEEEZNS1_13binary_searchIS3_SA_NSD_INS6_10device_ptrIS9_EEEESJ_SL_NS1_16binary_search_opENSC_16wrapped_functionINS6_6system6detail7generic6detail18binary_search_lessEbEEEE10hipError_tPvRmT1_T2_T3_mmT4_T5_P12ihipStream_tbEUlRKS9_E_EESY_S12_S13_mS14_S17_bEUlT_E_NS1_11comp_targetILNS1_3genE9ELNS1_11target_archE1100ELNS1_3gpuE3ELNS1_3repE0EEENS1_30default_config_static_selectorELNS0_4arch9wavefront6targetE1EEEvS11_, .Lfunc_end732-_ZN7rocprim17ROCPRIM_400000_NS6detail17trampoline_kernelINS0_14default_configENS1_29binary_search_config_selectorIN6thrust23THRUST_200600_302600_NS5tupleIiiNS6_9null_typeES8_S8_S8_S8_S8_S8_S8_EEiEEZNS1_14transform_implILb0ES3_SA_NS6_6detail15normal_iteratorINS6_7pointerIS9_NS6_11hip_rocprim5par_tENS6_11use_defaultESH_EEEENSD_INSE_IiSG_SH_SH_EEEEZNS1_13binary_searchIS3_SA_NSD_INS6_10device_ptrIS9_EEEESJ_SL_NS1_16binary_search_opENSC_16wrapped_functionINS6_6system6detail7generic6detail18binary_search_lessEbEEEE10hipError_tPvRmT1_T2_T3_mmT4_T5_P12ihipStream_tbEUlRKS9_E_EESY_S12_S13_mS14_S17_bEUlT_E_NS1_11comp_targetILNS1_3genE9ELNS1_11target_archE1100ELNS1_3gpuE3ELNS1_3repE0EEENS1_30default_config_static_selectorELNS0_4arch9wavefront6targetE1EEEvS11_
                                        ; -- End function
	.set _ZN7rocprim17ROCPRIM_400000_NS6detail17trampoline_kernelINS0_14default_configENS1_29binary_search_config_selectorIN6thrust23THRUST_200600_302600_NS5tupleIiiNS6_9null_typeES8_S8_S8_S8_S8_S8_S8_EEiEEZNS1_14transform_implILb0ES3_SA_NS6_6detail15normal_iteratorINS6_7pointerIS9_NS6_11hip_rocprim5par_tENS6_11use_defaultESH_EEEENSD_INSE_IiSG_SH_SH_EEEEZNS1_13binary_searchIS3_SA_NSD_INS6_10device_ptrIS9_EEEESJ_SL_NS1_16binary_search_opENSC_16wrapped_functionINS6_6system6detail7generic6detail18binary_search_lessEbEEEE10hipError_tPvRmT1_T2_T3_mmT4_T5_P12ihipStream_tbEUlRKS9_E_EESY_S12_S13_mS14_S17_bEUlT_E_NS1_11comp_targetILNS1_3genE9ELNS1_11target_archE1100ELNS1_3gpuE3ELNS1_3repE0EEENS1_30default_config_static_selectorELNS0_4arch9wavefront6targetE1EEEvS11_.num_vgpr, 0
	.set _ZN7rocprim17ROCPRIM_400000_NS6detail17trampoline_kernelINS0_14default_configENS1_29binary_search_config_selectorIN6thrust23THRUST_200600_302600_NS5tupleIiiNS6_9null_typeES8_S8_S8_S8_S8_S8_S8_EEiEEZNS1_14transform_implILb0ES3_SA_NS6_6detail15normal_iteratorINS6_7pointerIS9_NS6_11hip_rocprim5par_tENS6_11use_defaultESH_EEEENSD_INSE_IiSG_SH_SH_EEEEZNS1_13binary_searchIS3_SA_NSD_INS6_10device_ptrIS9_EEEESJ_SL_NS1_16binary_search_opENSC_16wrapped_functionINS6_6system6detail7generic6detail18binary_search_lessEbEEEE10hipError_tPvRmT1_T2_T3_mmT4_T5_P12ihipStream_tbEUlRKS9_E_EESY_S12_S13_mS14_S17_bEUlT_E_NS1_11comp_targetILNS1_3genE9ELNS1_11target_archE1100ELNS1_3gpuE3ELNS1_3repE0EEENS1_30default_config_static_selectorELNS0_4arch9wavefront6targetE1EEEvS11_.num_agpr, 0
	.set _ZN7rocprim17ROCPRIM_400000_NS6detail17trampoline_kernelINS0_14default_configENS1_29binary_search_config_selectorIN6thrust23THRUST_200600_302600_NS5tupleIiiNS6_9null_typeES8_S8_S8_S8_S8_S8_S8_EEiEEZNS1_14transform_implILb0ES3_SA_NS6_6detail15normal_iteratorINS6_7pointerIS9_NS6_11hip_rocprim5par_tENS6_11use_defaultESH_EEEENSD_INSE_IiSG_SH_SH_EEEEZNS1_13binary_searchIS3_SA_NSD_INS6_10device_ptrIS9_EEEESJ_SL_NS1_16binary_search_opENSC_16wrapped_functionINS6_6system6detail7generic6detail18binary_search_lessEbEEEE10hipError_tPvRmT1_T2_T3_mmT4_T5_P12ihipStream_tbEUlRKS9_E_EESY_S12_S13_mS14_S17_bEUlT_E_NS1_11comp_targetILNS1_3genE9ELNS1_11target_archE1100ELNS1_3gpuE3ELNS1_3repE0EEENS1_30default_config_static_selectorELNS0_4arch9wavefront6targetE1EEEvS11_.numbered_sgpr, 0
	.set _ZN7rocprim17ROCPRIM_400000_NS6detail17trampoline_kernelINS0_14default_configENS1_29binary_search_config_selectorIN6thrust23THRUST_200600_302600_NS5tupleIiiNS6_9null_typeES8_S8_S8_S8_S8_S8_S8_EEiEEZNS1_14transform_implILb0ES3_SA_NS6_6detail15normal_iteratorINS6_7pointerIS9_NS6_11hip_rocprim5par_tENS6_11use_defaultESH_EEEENSD_INSE_IiSG_SH_SH_EEEEZNS1_13binary_searchIS3_SA_NSD_INS6_10device_ptrIS9_EEEESJ_SL_NS1_16binary_search_opENSC_16wrapped_functionINS6_6system6detail7generic6detail18binary_search_lessEbEEEE10hipError_tPvRmT1_T2_T3_mmT4_T5_P12ihipStream_tbEUlRKS9_E_EESY_S12_S13_mS14_S17_bEUlT_E_NS1_11comp_targetILNS1_3genE9ELNS1_11target_archE1100ELNS1_3gpuE3ELNS1_3repE0EEENS1_30default_config_static_selectorELNS0_4arch9wavefront6targetE1EEEvS11_.num_named_barrier, 0
	.set _ZN7rocprim17ROCPRIM_400000_NS6detail17trampoline_kernelINS0_14default_configENS1_29binary_search_config_selectorIN6thrust23THRUST_200600_302600_NS5tupleIiiNS6_9null_typeES8_S8_S8_S8_S8_S8_S8_EEiEEZNS1_14transform_implILb0ES3_SA_NS6_6detail15normal_iteratorINS6_7pointerIS9_NS6_11hip_rocprim5par_tENS6_11use_defaultESH_EEEENSD_INSE_IiSG_SH_SH_EEEEZNS1_13binary_searchIS3_SA_NSD_INS6_10device_ptrIS9_EEEESJ_SL_NS1_16binary_search_opENSC_16wrapped_functionINS6_6system6detail7generic6detail18binary_search_lessEbEEEE10hipError_tPvRmT1_T2_T3_mmT4_T5_P12ihipStream_tbEUlRKS9_E_EESY_S12_S13_mS14_S17_bEUlT_E_NS1_11comp_targetILNS1_3genE9ELNS1_11target_archE1100ELNS1_3gpuE3ELNS1_3repE0EEENS1_30default_config_static_selectorELNS0_4arch9wavefront6targetE1EEEvS11_.private_seg_size, 0
	.set _ZN7rocprim17ROCPRIM_400000_NS6detail17trampoline_kernelINS0_14default_configENS1_29binary_search_config_selectorIN6thrust23THRUST_200600_302600_NS5tupleIiiNS6_9null_typeES8_S8_S8_S8_S8_S8_S8_EEiEEZNS1_14transform_implILb0ES3_SA_NS6_6detail15normal_iteratorINS6_7pointerIS9_NS6_11hip_rocprim5par_tENS6_11use_defaultESH_EEEENSD_INSE_IiSG_SH_SH_EEEEZNS1_13binary_searchIS3_SA_NSD_INS6_10device_ptrIS9_EEEESJ_SL_NS1_16binary_search_opENSC_16wrapped_functionINS6_6system6detail7generic6detail18binary_search_lessEbEEEE10hipError_tPvRmT1_T2_T3_mmT4_T5_P12ihipStream_tbEUlRKS9_E_EESY_S12_S13_mS14_S17_bEUlT_E_NS1_11comp_targetILNS1_3genE9ELNS1_11target_archE1100ELNS1_3gpuE3ELNS1_3repE0EEENS1_30default_config_static_selectorELNS0_4arch9wavefront6targetE1EEEvS11_.uses_vcc, 0
	.set _ZN7rocprim17ROCPRIM_400000_NS6detail17trampoline_kernelINS0_14default_configENS1_29binary_search_config_selectorIN6thrust23THRUST_200600_302600_NS5tupleIiiNS6_9null_typeES8_S8_S8_S8_S8_S8_S8_EEiEEZNS1_14transform_implILb0ES3_SA_NS6_6detail15normal_iteratorINS6_7pointerIS9_NS6_11hip_rocprim5par_tENS6_11use_defaultESH_EEEENSD_INSE_IiSG_SH_SH_EEEEZNS1_13binary_searchIS3_SA_NSD_INS6_10device_ptrIS9_EEEESJ_SL_NS1_16binary_search_opENSC_16wrapped_functionINS6_6system6detail7generic6detail18binary_search_lessEbEEEE10hipError_tPvRmT1_T2_T3_mmT4_T5_P12ihipStream_tbEUlRKS9_E_EESY_S12_S13_mS14_S17_bEUlT_E_NS1_11comp_targetILNS1_3genE9ELNS1_11target_archE1100ELNS1_3gpuE3ELNS1_3repE0EEENS1_30default_config_static_selectorELNS0_4arch9wavefront6targetE1EEEvS11_.uses_flat_scratch, 0
	.set _ZN7rocprim17ROCPRIM_400000_NS6detail17trampoline_kernelINS0_14default_configENS1_29binary_search_config_selectorIN6thrust23THRUST_200600_302600_NS5tupleIiiNS6_9null_typeES8_S8_S8_S8_S8_S8_S8_EEiEEZNS1_14transform_implILb0ES3_SA_NS6_6detail15normal_iteratorINS6_7pointerIS9_NS6_11hip_rocprim5par_tENS6_11use_defaultESH_EEEENSD_INSE_IiSG_SH_SH_EEEEZNS1_13binary_searchIS3_SA_NSD_INS6_10device_ptrIS9_EEEESJ_SL_NS1_16binary_search_opENSC_16wrapped_functionINS6_6system6detail7generic6detail18binary_search_lessEbEEEE10hipError_tPvRmT1_T2_T3_mmT4_T5_P12ihipStream_tbEUlRKS9_E_EESY_S12_S13_mS14_S17_bEUlT_E_NS1_11comp_targetILNS1_3genE9ELNS1_11target_archE1100ELNS1_3gpuE3ELNS1_3repE0EEENS1_30default_config_static_selectorELNS0_4arch9wavefront6targetE1EEEvS11_.has_dyn_sized_stack, 0
	.set _ZN7rocprim17ROCPRIM_400000_NS6detail17trampoline_kernelINS0_14default_configENS1_29binary_search_config_selectorIN6thrust23THRUST_200600_302600_NS5tupleIiiNS6_9null_typeES8_S8_S8_S8_S8_S8_S8_EEiEEZNS1_14transform_implILb0ES3_SA_NS6_6detail15normal_iteratorINS6_7pointerIS9_NS6_11hip_rocprim5par_tENS6_11use_defaultESH_EEEENSD_INSE_IiSG_SH_SH_EEEEZNS1_13binary_searchIS3_SA_NSD_INS6_10device_ptrIS9_EEEESJ_SL_NS1_16binary_search_opENSC_16wrapped_functionINS6_6system6detail7generic6detail18binary_search_lessEbEEEE10hipError_tPvRmT1_T2_T3_mmT4_T5_P12ihipStream_tbEUlRKS9_E_EESY_S12_S13_mS14_S17_bEUlT_E_NS1_11comp_targetILNS1_3genE9ELNS1_11target_archE1100ELNS1_3gpuE3ELNS1_3repE0EEENS1_30default_config_static_selectorELNS0_4arch9wavefront6targetE1EEEvS11_.has_recursion, 0
	.set _ZN7rocprim17ROCPRIM_400000_NS6detail17trampoline_kernelINS0_14default_configENS1_29binary_search_config_selectorIN6thrust23THRUST_200600_302600_NS5tupleIiiNS6_9null_typeES8_S8_S8_S8_S8_S8_S8_EEiEEZNS1_14transform_implILb0ES3_SA_NS6_6detail15normal_iteratorINS6_7pointerIS9_NS6_11hip_rocprim5par_tENS6_11use_defaultESH_EEEENSD_INSE_IiSG_SH_SH_EEEEZNS1_13binary_searchIS3_SA_NSD_INS6_10device_ptrIS9_EEEESJ_SL_NS1_16binary_search_opENSC_16wrapped_functionINS6_6system6detail7generic6detail18binary_search_lessEbEEEE10hipError_tPvRmT1_T2_T3_mmT4_T5_P12ihipStream_tbEUlRKS9_E_EESY_S12_S13_mS14_S17_bEUlT_E_NS1_11comp_targetILNS1_3genE9ELNS1_11target_archE1100ELNS1_3gpuE3ELNS1_3repE0EEENS1_30default_config_static_selectorELNS0_4arch9wavefront6targetE1EEEvS11_.has_indirect_call, 0
	.section	.AMDGPU.csdata,"",@progbits
; Kernel info:
; codeLenInByte = 0
; TotalNumSgprs: 4
; NumVgprs: 0
; ScratchSize: 0
; MemoryBound: 0
; FloatMode: 240
; IeeeMode: 1
; LDSByteSize: 0 bytes/workgroup (compile time only)
; SGPRBlocks: 0
; VGPRBlocks: 0
; NumSGPRsForWavesPerEU: 4
; NumVGPRsForWavesPerEU: 1
; Occupancy: 10
; WaveLimiterHint : 0
; COMPUTE_PGM_RSRC2:SCRATCH_EN: 0
; COMPUTE_PGM_RSRC2:USER_SGPR: 6
; COMPUTE_PGM_RSRC2:TRAP_HANDLER: 0
; COMPUTE_PGM_RSRC2:TGID_X_EN: 1
; COMPUTE_PGM_RSRC2:TGID_Y_EN: 0
; COMPUTE_PGM_RSRC2:TGID_Z_EN: 0
; COMPUTE_PGM_RSRC2:TIDIG_COMP_CNT: 0
	.section	.text._ZN7rocprim17ROCPRIM_400000_NS6detail17trampoline_kernelINS0_14default_configENS1_29binary_search_config_selectorIN6thrust23THRUST_200600_302600_NS5tupleIiiNS6_9null_typeES8_S8_S8_S8_S8_S8_S8_EEiEEZNS1_14transform_implILb0ES3_SA_NS6_6detail15normal_iteratorINS6_7pointerIS9_NS6_11hip_rocprim5par_tENS6_11use_defaultESH_EEEENSD_INSE_IiSG_SH_SH_EEEEZNS1_13binary_searchIS3_SA_NSD_INS6_10device_ptrIS9_EEEESJ_SL_NS1_16binary_search_opENSC_16wrapped_functionINS6_6system6detail7generic6detail18binary_search_lessEbEEEE10hipError_tPvRmT1_T2_T3_mmT4_T5_P12ihipStream_tbEUlRKS9_E_EESY_S12_S13_mS14_S17_bEUlT_E_NS1_11comp_targetILNS1_3genE8ELNS1_11target_archE1030ELNS1_3gpuE2ELNS1_3repE0EEENS1_30default_config_static_selectorELNS0_4arch9wavefront6targetE1EEEvS11_,"axG",@progbits,_ZN7rocprim17ROCPRIM_400000_NS6detail17trampoline_kernelINS0_14default_configENS1_29binary_search_config_selectorIN6thrust23THRUST_200600_302600_NS5tupleIiiNS6_9null_typeES8_S8_S8_S8_S8_S8_S8_EEiEEZNS1_14transform_implILb0ES3_SA_NS6_6detail15normal_iteratorINS6_7pointerIS9_NS6_11hip_rocprim5par_tENS6_11use_defaultESH_EEEENSD_INSE_IiSG_SH_SH_EEEEZNS1_13binary_searchIS3_SA_NSD_INS6_10device_ptrIS9_EEEESJ_SL_NS1_16binary_search_opENSC_16wrapped_functionINS6_6system6detail7generic6detail18binary_search_lessEbEEEE10hipError_tPvRmT1_T2_T3_mmT4_T5_P12ihipStream_tbEUlRKS9_E_EESY_S12_S13_mS14_S17_bEUlT_E_NS1_11comp_targetILNS1_3genE8ELNS1_11target_archE1030ELNS1_3gpuE2ELNS1_3repE0EEENS1_30default_config_static_selectorELNS0_4arch9wavefront6targetE1EEEvS11_,comdat
	.protected	_ZN7rocprim17ROCPRIM_400000_NS6detail17trampoline_kernelINS0_14default_configENS1_29binary_search_config_selectorIN6thrust23THRUST_200600_302600_NS5tupleIiiNS6_9null_typeES8_S8_S8_S8_S8_S8_S8_EEiEEZNS1_14transform_implILb0ES3_SA_NS6_6detail15normal_iteratorINS6_7pointerIS9_NS6_11hip_rocprim5par_tENS6_11use_defaultESH_EEEENSD_INSE_IiSG_SH_SH_EEEEZNS1_13binary_searchIS3_SA_NSD_INS6_10device_ptrIS9_EEEESJ_SL_NS1_16binary_search_opENSC_16wrapped_functionINS6_6system6detail7generic6detail18binary_search_lessEbEEEE10hipError_tPvRmT1_T2_T3_mmT4_T5_P12ihipStream_tbEUlRKS9_E_EESY_S12_S13_mS14_S17_bEUlT_E_NS1_11comp_targetILNS1_3genE8ELNS1_11target_archE1030ELNS1_3gpuE2ELNS1_3repE0EEENS1_30default_config_static_selectorELNS0_4arch9wavefront6targetE1EEEvS11_ ; -- Begin function _ZN7rocprim17ROCPRIM_400000_NS6detail17trampoline_kernelINS0_14default_configENS1_29binary_search_config_selectorIN6thrust23THRUST_200600_302600_NS5tupleIiiNS6_9null_typeES8_S8_S8_S8_S8_S8_S8_EEiEEZNS1_14transform_implILb0ES3_SA_NS6_6detail15normal_iteratorINS6_7pointerIS9_NS6_11hip_rocprim5par_tENS6_11use_defaultESH_EEEENSD_INSE_IiSG_SH_SH_EEEEZNS1_13binary_searchIS3_SA_NSD_INS6_10device_ptrIS9_EEEESJ_SL_NS1_16binary_search_opENSC_16wrapped_functionINS6_6system6detail7generic6detail18binary_search_lessEbEEEE10hipError_tPvRmT1_T2_T3_mmT4_T5_P12ihipStream_tbEUlRKS9_E_EESY_S12_S13_mS14_S17_bEUlT_E_NS1_11comp_targetILNS1_3genE8ELNS1_11target_archE1030ELNS1_3gpuE2ELNS1_3repE0EEENS1_30default_config_static_selectorELNS0_4arch9wavefront6targetE1EEEvS11_
	.globl	_ZN7rocprim17ROCPRIM_400000_NS6detail17trampoline_kernelINS0_14default_configENS1_29binary_search_config_selectorIN6thrust23THRUST_200600_302600_NS5tupleIiiNS6_9null_typeES8_S8_S8_S8_S8_S8_S8_EEiEEZNS1_14transform_implILb0ES3_SA_NS6_6detail15normal_iteratorINS6_7pointerIS9_NS6_11hip_rocprim5par_tENS6_11use_defaultESH_EEEENSD_INSE_IiSG_SH_SH_EEEEZNS1_13binary_searchIS3_SA_NSD_INS6_10device_ptrIS9_EEEESJ_SL_NS1_16binary_search_opENSC_16wrapped_functionINS6_6system6detail7generic6detail18binary_search_lessEbEEEE10hipError_tPvRmT1_T2_T3_mmT4_T5_P12ihipStream_tbEUlRKS9_E_EESY_S12_S13_mS14_S17_bEUlT_E_NS1_11comp_targetILNS1_3genE8ELNS1_11target_archE1030ELNS1_3gpuE2ELNS1_3repE0EEENS1_30default_config_static_selectorELNS0_4arch9wavefront6targetE1EEEvS11_
	.p2align	8
	.type	_ZN7rocprim17ROCPRIM_400000_NS6detail17trampoline_kernelINS0_14default_configENS1_29binary_search_config_selectorIN6thrust23THRUST_200600_302600_NS5tupleIiiNS6_9null_typeES8_S8_S8_S8_S8_S8_S8_EEiEEZNS1_14transform_implILb0ES3_SA_NS6_6detail15normal_iteratorINS6_7pointerIS9_NS6_11hip_rocprim5par_tENS6_11use_defaultESH_EEEENSD_INSE_IiSG_SH_SH_EEEEZNS1_13binary_searchIS3_SA_NSD_INS6_10device_ptrIS9_EEEESJ_SL_NS1_16binary_search_opENSC_16wrapped_functionINS6_6system6detail7generic6detail18binary_search_lessEbEEEE10hipError_tPvRmT1_T2_T3_mmT4_T5_P12ihipStream_tbEUlRKS9_E_EESY_S12_S13_mS14_S17_bEUlT_E_NS1_11comp_targetILNS1_3genE8ELNS1_11target_archE1030ELNS1_3gpuE2ELNS1_3repE0EEENS1_30default_config_static_selectorELNS0_4arch9wavefront6targetE1EEEvS11_,@function
_ZN7rocprim17ROCPRIM_400000_NS6detail17trampoline_kernelINS0_14default_configENS1_29binary_search_config_selectorIN6thrust23THRUST_200600_302600_NS5tupleIiiNS6_9null_typeES8_S8_S8_S8_S8_S8_S8_EEiEEZNS1_14transform_implILb0ES3_SA_NS6_6detail15normal_iteratorINS6_7pointerIS9_NS6_11hip_rocprim5par_tENS6_11use_defaultESH_EEEENSD_INSE_IiSG_SH_SH_EEEEZNS1_13binary_searchIS3_SA_NSD_INS6_10device_ptrIS9_EEEESJ_SL_NS1_16binary_search_opENSC_16wrapped_functionINS6_6system6detail7generic6detail18binary_search_lessEbEEEE10hipError_tPvRmT1_T2_T3_mmT4_T5_P12ihipStream_tbEUlRKS9_E_EESY_S12_S13_mS14_S17_bEUlT_E_NS1_11comp_targetILNS1_3genE8ELNS1_11target_archE1030ELNS1_3gpuE2ELNS1_3repE0EEENS1_30default_config_static_selectorELNS0_4arch9wavefront6targetE1EEEvS11_: ; @_ZN7rocprim17ROCPRIM_400000_NS6detail17trampoline_kernelINS0_14default_configENS1_29binary_search_config_selectorIN6thrust23THRUST_200600_302600_NS5tupleIiiNS6_9null_typeES8_S8_S8_S8_S8_S8_S8_EEiEEZNS1_14transform_implILb0ES3_SA_NS6_6detail15normal_iteratorINS6_7pointerIS9_NS6_11hip_rocprim5par_tENS6_11use_defaultESH_EEEENSD_INSE_IiSG_SH_SH_EEEEZNS1_13binary_searchIS3_SA_NSD_INS6_10device_ptrIS9_EEEESJ_SL_NS1_16binary_search_opENSC_16wrapped_functionINS6_6system6detail7generic6detail18binary_search_lessEbEEEE10hipError_tPvRmT1_T2_T3_mmT4_T5_P12ihipStream_tbEUlRKS9_E_EESY_S12_S13_mS14_S17_bEUlT_E_NS1_11comp_targetILNS1_3genE8ELNS1_11target_archE1030ELNS1_3gpuE2ELNS1_3repE0EEENS1_30default_config_static_selectorELNS0_4arch9wavefront6targetE1EEEvS11_
; %bb.0:
	.section	.rodata,"a",@progbits
	.p2align	6, 0x0
	.amdhsa_kernel _ZN7rocprim17ROCPRIM_400000_NS6detail17trampoline_kernelINS0_14default_configENS1_29binary_search_config_selectorIN6thrust23THRUST_200600_302600_NS5tupleIiiNS6_9null_typeES8_S8_S8_S8_S8_S8_S8_EEiEEZNS1_14transform_implILb0ES3_SA_NS6_6detail15normal_iteratorINS6_7pointerIS9_NS6_11hip_rocprim5par_tENS6_11use_defaultESH_EEEENSD_INSE_IiSG_SH_SH_EEEEZNS1_13binary_searchIS3_SA_NSD_INS6_10device_ptrIS9_EEEESJ_SL_NS1_16binary_search_opENSC_16wrapped_functionINS6_6system6detail7generic6detail18binary_search_lessEbEEEE10hipError_tPvRmT1_T2_T3_mmT4_T5_P12ihipStream_tbEUlRKS9_E_EESY_S12_S13_mS14_S17_bEUlT_E_NS1_11comp_targetILNS1_3genE8ELNS1_11target_archE1030ELNS1_3gpuE2ELNS1_3repE0EEENS1_30default_config_static_selectorELNS0_4arch9wavefront6targetE1EEEvS11_
		.amdhsa_group_segment_fixed_size 0
		.amdhsa_private_segment_fixed_size 0
		.amdhsa_kernarg_size 56
		.amdhsa_user_sgpr_count 6
		.amdhsa_user_sgpr_private_segment_buffer 1
		.amdhsa_user_sgpr_dispatch_ptr 0
		.amdhsa_user_sgpr_queue_ptr 0
		.amdhsa_user_sgpr_kernarg_segment_ptr 1
		.amdhsa_user_sgpr_dispatch_id 0
		.amdhsa_user_sgpr_flat_scratch_init 0
		.amdhsa_user_sgpr_private_segment_size 0
		.amdhsa_uses_dynamic_stack 0
		.amdhsa_system_sgpr_private_segment_wavefront_offset 0
		.amdhsa_system_sgpr_workgroup_id_x 1
		.amdhsa_system_sgpr_workgroup_id_y 0
		.amdhsa_system_sgpr_workgroup_id_z 0
		.amdhsa_system_sgpr_workgroup_info 0
		.amdhsa_system_vgpr_workitem_id 0
		.amdhsa_next_free_vgpr 1
		.amdhsa_next_free_sgpr 0
		.amdhsa_reserve_vcc 0
		.amdhsa_reserve_flat_scratch 0
		.amdhsa_float_round_mode_32 0
		.amdhsa_float_round_mode_16_64 0
		.amdhsa_float_denorm_mode_32 3
		.amdhsa_float_denorm_mode_16_64 3
		.amdhsa_dx10_clamp 1
		.amdhsa_ieee_mode 1
		.amdhsa_fp16_overflow 0
		.amdhsa_exception_fp_ieee_invalid_op 0
		.amdhsa_exception_fp_denorm_src 0
		.amdhsa_exception_fp_ieee_div_zero 0
		.amdhsa_exception_fp_ieee_overflow 0
		.amdhsa_exception_fp_ieee_underflow 0
		.amdhsa_exception_fp_ieee_inexact 0
		.amdhsa_exception_int_div_zero 0
	.end_amdhsa_kernel
	.section	.text._ZN7rocprim17ROCPRIM_400000_NS6detail17trampoline_kernelINS0_14default_configENS1_29binary_search_config_selectorIN6thrust23THRUST_200600_302600_NS5tupleIiiNS6_9null_typeES8_S8_S8_S8_S8_S8_S8_EEiEEZNS1_14transform_implILb0ES3_SA_NS6_6detail15normal_iteratorINS6_7pointerIS9_NS6_11hip_rocprim5par_tENS6_11use_defaultESH_EEEENSD_INSE_IiSG_SH_SH_EEEEZNS1_13binary_searchIS3_SA_NSD_INS6_10device_ptrIS9_EEEESJ_SL_NS1_16binary_search_opENSC_16wrapped_functionINS6_6system6detail7generic6detail18binary_search_lessEbEEEE10hipError_tPvRmT1_T2_T3_mmT4_T5_P12ihipStream_tbEUlRKS9_E_EESY_S12_S13_mS14_S17_bEUlT_E_NS1_11comp_targetILNS1_3genE8ELNS1_11target_archE1030ELNS1_3gpuE2ELNS1_3repE0EEENS1_30default_config_static_selectorELNS0_4arch9wavefront6targetE1EEEvS11_,"axG",@progbits,_ZN7rocprim17ROCPRIM_400000_NS6detail17trampoline_kernelINS0_14default_configENS1_29binary_search_config_selectorIN6thrust23THRUST_200600_302600_NS5tupleIiiNS6_9null_typeES8_S8_S8_S8_S8_S8_S8_EEiEEZNS1_14transform_implILb0ES3_SA_NS6_6detail15normal_iteratorINS6_7pointerIS9_NS6_11hip_rocprim5par_tENS6_11use_defaultESH_EEEENSD_INSE_IiSG_SH_SH_EEEEZNS1_13binary_searchIS3_SA_NSD_INS6_10device_ptrIS9_EEEESJ_SL_NS1_16binary_search_opENSC_16wrapped_functionINS6_6system6detail7generic6detail18binary_search_lessEbEEEE10hipError_tPvRmT1_T2_T3_mmT4_T5_P12ihipStream_tbEUlRKS9_E_EESY_S12_S13_mS14_S17_bEUlT_E_NS1_11comp_targetILNS1_3genE8ELNS1_11target_archE1030ELNS1_3gpuE2ELNS1_3repE0EEENS1_30default_config_static_selectorELNS0_4arch9wavefront6targetE1EEEvS11_,comdat
.Lfunc_end733:
	.size	_ZN7rocprim17ROCPRIM_400000_NS6detail17trampoline_kernelINS0_14default_configENS1_29binary_search_config_selectorIN6thrust23THRUST_200600_302600_NS5tupleIiiNS6_9null_typeES8_S8_S8_S8_S8_S8_S8_EEiEEZNS1_14transform_implILb0ES3_SA_NS6_6detail15normal_iteratorINS6_7pointerIS9_NS6_11hip_rocprim5par_tENS6_11use_defaultESH_EEEENSD_INSE_IiSG_SH_SH_EEEEZNS1_13binary_searchIS3_SA_NSD_INS6_10device_ptrIS9_EEEESJ_SL_NS1_16binary_search_opENSC_16wrapped_functionINS6_6system6detail7generic6detail18binary_search_lessEbEEEE10hipError_tPvRmT1_T2_T3_mmT4_T5_P12ihipStream_tbEUlRKS9_E_EESY_S12_S13_mS14_S17_bEUlT_E_NS1_11comp_targetILNS1_3genE8ELNS1_11target_archE1030ELNS1_3gpuE2ELNS1_3repE0EEENS1_30default_config_static_selectorELNS0_4arch9wavefront6targetE1EEEvS11_, .Lfunc_end733-_ZN7rocprim17ROCPRIM_400000_NS6detail17trampoline_kernelINS0_14default_configENS1_29binary_search_config_selectorIN6thrust23THRUST_200600_302600_NS5tupleIiiNS6_9null_typeES8_S8_S8_S8_S8_S8_S8_EEiEEZNS1_14transform_implILb0ES3_SA_NS6_6detail15normal_iteratorINS6_7pointerIS9_NS6_11hip_rocprim5par_tENS6_11use_defaultESH_EEEENSD_INSE_IiSG_SH_SH_EEEEZNS1_13binary_searchIS3_SA_NSD_INS6_10device_ptrIS9_EEEESJ_SL_NS1_16binary_search_opENSC_16wrapped_functionINS6_6system6detail7generic6detail18binary_search_lessEbEEEE10hipError_tPvRmT1_T2_T3_mmT4_T5_P12ihipStream_tbEUlRKS9_E_EESY_S12_S13_mS14_S17_bEUlT_E_NS1_11comp_targetILNS1_3genE8ELNS1_11target_archE1030ELNS1_3gpuE2ELNS1_3repE0EEENS1_30default_config_static_selectorELNS0_4arch9wavefront6targetE1EEEvS11_
                                        ; -- End function
	.set _ZN7rocprim17ROCPRIM_400000_NS6detail17trampoline_kernelINS0_14default_configENS1_29binary_search_config_selectorIN6thrust23THRUST_200600_302600_NS5tupleIiiNS6_9null_typeES8_S8_S8_S8_S8_S8_S8_EEiEEZNS1_14transform_implILb0ES3_SA_NS6_6detail15normal_iteratorINS6_7pointerIS9_NS6_11hip_rocprim5par_tENS6_11use_defaultESH_EEEENSD_INSE_IiSG_SH_SH_EEEEZNS1_13binary_searchIS3_SA_NSD_INS6_10device_ptrIS9_EEEESJ_SL_NS1_16binary_search_opENSC_16wrapped_functionINS6_6system6detail7generic6detail18binary_search_lessEbEEEE10hipError_tPvRmT1_T2_T3_mmT4_T5_P12ihipStream_tbEUlRKS9_E_EESY_S12_S13_mS14_S17_bEUlT_E_NS1_11comp_targetILNS1_3genE8ELNS1_11target_archE1030ELNS1_3gpuE2ELNS1_3repE0EEENS1_30default_config_static_selectorELNS0_4arch9wavefront6targetE1EEEvS11_.num_vgpr, 0
	.set _ZN7rocprim17ROCPRIM_400000_NS6detail17trampoline_kernelINS0_14default_configENS1_29binary_search_config_selectorIN6thrust23THRUST_200600_302600_NS5tupleIiiNS6_9null_typeES8_S8_S8_S8_S8_S8_S8_EEiEEZNS1_14transform_implILb0ES3_SA_NS6_6detail15normal_iteratorINS6_7pointerIS9_NS6_11hip_rocprim5par_tENS6_11use_defaultESH_EEEENSD_INSE_IiSG_SH_SH_EEEEZNS1_13binary_searchIS3_SA_NSD_INS6_10device_ptrIS9_EEEESJ_SL_NS1_16binary_search_opENSC_16wrapped_functionINS6_6system6detail7generic6detail18binary_search_lessEbEEEE10hipError_tPvRmT1_T2_T3_mmT4_T5_P12ihipStream_tbEUlRKS9_E_EESY_S12_S13_mS14_S17_bEUlT_E_NS1_11comp_targetILNS1_3genE8ELNS1_11target_archE1030ELNS1_3gpuE2ELNS1_3repE0EEENS1_30default_config_static_selectorELNS0_4arch9wavefront6targetE1EEEvS11_.num_agpr, 0
	.set _ZN7rocprim17ROCPRIM_400000_NS6detail17trampoline_kernelINS0_14default_configENS1_29binary_search_config_selectorIN6thrust23THRUST_200600_302600_NS5tupleIiiNS6_9null_typeES8_S8_S8_S8_S8_S8_S8_EEiEEZNS1_14transform_implILb0ES3_SA_NS6_6detail15normal_iteratorINS6_7pointerIS9_NS6_11hip_rocprim5par_tENS6_11use_defaultESH_EEEENSD_INSE_IiSG_SH_SH_EEEEZNS1_13binary_searchIS3_SA_NSD_INS6_10device_ptrIS9_EEEESJ_SL_NS1_16binary_search_opENSC_16wrapped_functionINS6_6system6detail7generic6detail18binary_search_lessEbEEEE10hipError_tPvRmT1_T2_T3_mmT4_T5_P12ihipStream_tbEUlRKS9_E_EESY_S12_S13_mS14_S17_bEUlT_E_NS1_11comp_targetILNS1_3genE8ELNS1_11target_archE1030ELNS1_3gpuE2ELNS1_3repE0EEENS1_30default_config_static_selectorELNS0_4arch9wavefront6targetE1EEEvS11_.numbered_sgpr, 0
	.set _ZN7rocprim17ROCPRIM_400000_NS6detail17trampoline_kernelINS0_14default_configENS1_29binary_search_config_selectorIN6thrust23THRUST_200600_302600_NS5tupleIiiNS6_9null_typeES8_S8_S8_S8_S8_S8_S8_EEiEEZNS1_14transform_implILb0ES3_SA_NS6_6detail15normal_iteratorINS6_7pointerIS9_NS6_11hip_rocprim5par_tENS6_11use_defaultESH_EEEENSD_INSE_IiSG_SH_SH_EEEEZNS1_13binary_searchIS3_SA_NSD_INS6_10device_ptrIS9_EEEESJ_SL_NS1_16binary_search_opENSC_16wrapped_functionINS6_6system6detail7generic6detail18binary_search_lessEbEEEE10hipError_tPvRmT1_T2_T3_mmT4_T5_P12ihipStream_tbEUlRKS9_E_EESY_S12_S13_mS14_S17_bEUlT_E_NS1_11comp_targetILNS1_3genE8ELNS1_11target_archE1030ELNS1_3gpuE2ELNS1_3repE0EEENS1_30default_config_static_selectorELNS0_4arch9wavefront6targetE1EEEvS11_.num_named_barrier, 0
	.set _ZN7rocprim17ROCPRIM_400000_NS6detail17trampoline_kernelINS0_14default_configENS1_29binary_search_config_selectorIN6thrust23THRUST_200600_302600_NS5tupleIiiNS6_9null_typeES8_S8_S8_S8_S8_S8_S8_EEiEEZNS1_14transform_implILb0ES3_SA_NS6_6detail15normal_iteratorINS6_7pointerIS9_NS6_11hip_rocprim5par_tENS6_11use_defaultESH_EEEENSD_INSE_IiSG_SH_SH_EEEEZNS1_13binary_searchIS3_SA_NSD_INS6_10device_ptrIS9_EEEESJ_SL_NS1_16binary_search_opENSC_16wrapped_functionINS6_6system6detail7generic6detail18binary_search_lessEbEEEE10hipError_tPvRmT1_T2_T3_mmT4_T5_P12ihipStream_tbEUlRKS9_E_EESY_S12_S13_mS14_S17_bEUlT_E_NS1_11comp_targetILNS1_3genE8ELNS1_11target_archE1030ELNS1_3gpuE2ELNS1_3repE0EEENS1_30default_config_static_selectorELNS0_4arch9wavefront6targetE1EEEvS11_.private_seg_size, 0
	.set _ZN7rocprim17ROCPRIM_400000_NS6detail17trampoline_kernelINS0_14default_configENS1_29binary_search_config_selectorIN6thrust23THRUST_200600_302600_NS5tupleIiiNS6_9null_typeES8_S8_S8_S8_S8_S8_S8_EEiEEZNS1_14transform_implILb0ES3_SA_NS6_6detail15normal_iteratorINS6_7pointerIS9_NS6_11hip_rocprim5par_tENS6_11use_defaultESH_EEEENSD_INSE_IiSG_SH_SH_EEEEZNS1_13binary_searchIS3_SA_NSD_INS6_10device_ptrIS9_EEEESJ_SL_NS1_16binary_search_opENSC_16wrapped_functionINS6_6system6detail7generic6detail18binary_search_lessEbEEEE10hipError_tPvRmT1_T2_T3_mmT4_T5_P12ihipStream_tbEUlRKS9_E_EESY_S12_S13_mS14_S17_bEUlT_E_NS1_11comp_targetILNS1_3genE8ELNS1_11target_archE1030ELNS1_3gpuE2ELNS1_3repE0EEENS1_30default_config_static_selectorELNS0_4arch9wavefront6targetE1EEEvS11_.uses_vcc, 0
	.set _ZN7rocprim17ROCPRIM_400000_NS6detail17trampoline_kernelINS0_14default_configENS1_29binary_search_config_selectorIN6thrust23THRUST_200600_302600_NS5tupleIiiNS6_9null_typeES8_S8_S8_S8_S8_S8_S8_EEiEEZNS1_14transform_implILb0ES3_SA_NS6_6detail15normal_iteratorINS6_7pointerIS9_NS6_11hip_rocprim5par_tENS6_11use_defaultESH_EEEENSD_INSE_IiSG_SH_SH_EEEEZNS1_13binary_searchIS3_SA_NSD_INS6_10device_ptrIS9_EEEESJ_SL_NS1_16binary_search_opENSC_16wrapped_functionINS6_6system6detail7generic6detail18binary_search_lessEbEEEE10hipError_tPvRmT1_T2_T3_mmT4_T5_P12ihipStream_tbEUlRKS9_E_EESY_S12_S13_mS14_S17_bEUlT_E_NS1_11comp_targetILNS1_3genE8ELNS1_11target_archE1030ELNS1_3gpuE2ELNS1_3repE0EEENS1_30default_config_static_selectorELNS0_4arch9wavefront6targetE1EEEvS11_.uses_flat_scratch, 0
	.set _ZN7rocprim17ROCPRIM_400000_NS6detail17trampoline_kernelINS0_14default_configENS1_29binary_search_config_selectorIN6thrust23THRUST_200600_302600_NS5tupleIiiNS6_9null_typeES8_S8_S8_S8_S8_S8_S8_EEiEEZNS1_14transform_implILb0ES3_SA_NS6_6detail15normal_iteratorINS6_7pointerIS9_NS6_11hip_rocprim5par_tENS6_11use_defaultESH_EEEENSD_INSE_IiSG_SH_SH_EEEEZNS1_13binary_searchIS3_SA_NSD_INS6_10device_ptrIS9_EEEESJ_SL_NS1_16binary_search_opENSC_16wrapped_functionINS6_6system6detail7generic6detail18binary_search_lessEbEEEE10hipError_tPvRmT1_T2_T3_mmT4_T5_P12ihipStream_tbEUlRKS9_E_EESY_S12_S13_mS14_S17_bEUlT_E_NS1_11comp_targetILNS1_3genE8ELNS1_11target_archE1030ELNS1_3gpuE2ELNS1_3repE0EEENS1_30default_config_static_selectorELNS0_4arch9wavefront6targetE1EEEvS11_.has_dyn_sized_stack, 0
	.set _ZN7rocprim17ROCPRIM_400000_NS6detail17trampoline_kernelINS0_14default_configENS1_29binary_search_config_selectorIN6thrust23THRUST_200600_302600_NS5tupleIiiNS6_9null_typeES8_S8_S8_S8_S8_S8_S8_EEiEEZNS1_14transform_implILb0ES3_SA_NS6_6detail15normal_iteratorINS6_7pointerIS9_NS6_11hip_rocprim5par_tENS6_11use_defaultESH_EEEENSD_INSE_IiSG_SH_SH_EEEEZNS1_13binary_searchIS3_SA_NSD_INS6_10device_ptrIS9_EEEESJ_SL_NS1_16binary_search_opENSC_16wrapped_functionINS6_6system6detail7generic6detail18binary_search_lessEbEEEE10hipError_tPvRmT1_T2_T3_mmT4_T5_P12ihipStream_tbEUlRKS9_E_EESY_S12_S13_mS14_S17_bEUlT_E_NS1_11comp_targetILNS1_3genE8ELNS1_11target_archE1030ELNS1_3gpuE2ELNS1_3repE0EEENS1_30default_config_static_selectorELNS0_4arch9wavefront6targetE1EEEvS11_.has_recursion, 0
	.set _ZN7rocprim17ROCPRIM_400000_NS6detail17trampoline_kernelINS0_14default_configENS1_29binary_search_config_selectorIN6thrust23THRUST_200600_302600_NS5tupleIiiNS6_9null_typeES8_S8_S8_S8_S8_S8_S8_EEiEEZNS1_14transform_implILb0ES3_SA_NS6_6detail15normal_iteratorINS6_7pointerIS9_NS6_11hip_rocprim5par_tENS6_11use_defaultESH_EEEENSD_INSE_IiSG_SH_SH_EEEEZNS1_13binary_searchIS3_SA_NSD_INS6_10device_ptrIS9_EEEESJ_SL_NS1_16binary_search_opENSC_16wrapped_functionINS6_6system6detail7generic6detail18binary_search_lessEbEEEE10hipError_tPvRmT1_T2_T3_mmT4_T5_P12ihipStream_tbEUlRKS9_E_EESY_S12_S13_mS14_S17_bEUlT_E_NS1_11comp_targetILNS1_3genE8ELNS1_11target_archE1030ELNS1_3gpuE2ELNS1_3repE0EEENS1_30default_config_static_selectorELNS0_4arch9wavefront6targetE1EEEvS11_.has_indirect_call, 0
	.section	.AMDGPU.csdata,"",@progbits
; Kernel info:
; codeLenInByte = 0
; TotalNumSgprs: 4
; NumVgprs: 0
; ScratchSize: 0
; MemoryBound: 0
; FloatMode: 240
; IeeeMode: 1
; LDSByteSize: 0 bytes/workgroup (compile time only)
; SGPRBlocks: 0
; VGPRBlocks: 0
; NumSGPRsForWavesPerEU: 4
; NumVGPRsForWavesPerEU: 1
; Occupancy: 10
; WaveLimiterHint : 0
; COMPUTE_PGM_RSRC2:SCRATCH_EN: 0
; COMPUTE_PGM_RSRC2:USER_SGPR: 6
; COMPUTE_PGM_RSRC2:TRAP_HANDLER: 0
; COMPUTE_PGM_RSRC2:TGID_X_EN: 1
; COMPUTE_PGM_RSRC2:TGID_Y_EN: 0
; COMPUTE_PGM_RSRC2:TGID_Z_EN: 0
; COMPUTE_PGM_RSRC2:TIDIG_COMP_CNT: 0
	.section	.text._ZN7rocprim17ROCPRIM_400000_NS6detail17trampoline_kernelINS0_14default_configENS1_29binary_search_config_selectorIibEEZNS1_14transform_implILb0ES3_S5_N6thrust23THRUST_200600_302600_NS6detail15normal_iteratorINS8_10device_ptrIiEEEENSA_INSB_IbEEEEZNS1_13binary_searchIS3_S5_SD_SD_SF_NS1_16binary_search_opENS9_16wrapped_functionINS0_4lessIvEEbEEEE10hipError_tPvRmT1_T2_T3_mmT4_T5_P12ihipStream_tbEUlRKiE_EESM_SQ_SR_mSS_SV_bEUlT_E_NS1_11comp_targetILNS1_3genE0ELNS1_11target_archE4294967295ELNS1_3gpuE0ELNS1_3repE0EEENS1_30default_config_static_selectorELNS0_4arch9wavefront6targetE1EEEvSP_,"axG",@progbits,_ZN7rocprim17ROCPRIM_400000_NS6detail17trampoline_kernelINS0_14default_configENS1_29binary_search_config_selectorIibEEZNS1_14transform_implILb0ES3_S5_N6thrust23THRUST_200600_302600_NS6detail15normal_iteratorINS8_10device_ptrIiEEEENSA_INSB_IbEEEEZNS1_13binary_searchIS3_S5_SD_SD_SF_NS1_16binary_search_opENS9_16wrapped_functionINS0_4lessIvEEbEEEE10hipError_tPvRmT1_T2_T3_mmT4_T5_P12ihipStream_tbEUlRKiE_EESM_SQ_SR_mSS_SV_bEUlT_E_NS1_11comp_targetILNS1_3genE0ELNS1_11target_archE4294967295ELNS1_3gpuE0ELNS1_3repE0EEENS1_30default_config_static_selectorELNS0_4arch9wavefront6targetE1EEEvSP_,comdat
	.protected	_ZN7rocprim17ROCPRIM_400000_NS6detail17trampoline_kernelINS0_14default_configENS1_29binary_search_config_selectorIibEEZNS1_14transform_implILb0ES3_S5_N6thrust23THRUST_200600_302600_NS6detail15normal_iteratorINS8_10device_ptrIiEEEENSA_INSB_IbEEEEZNS1_13binary_searchIS3_S5_SD_SD_SF_NS1_16binary_search_opENS9_16wrapped_functionINS0_4lessIvEEbEEEE10hipError_tPvRmT1_T2_T3_mmT4_T5_P12ihipStream_tbEUlRKiE_EESM_SQ_SR_mSS_SV_bEUlT_E_NS1_11comp_targetILNS1_3genE0ELNS1_11target_archE4294967295ELNS1_3gpuE0ELNS1_3repE0EEENS1_30default_config_static_selectorELNS0_4arch9wavefront6targetE1EEEvSP_ ; -- Begin function _ZN7rocprim17ROCPRIM_400000_NS6detail17trampoline_kernelINS0_14default_configENS1_29binary_search_config_selectorIibEEZNS1_14transform_implILb0ES3_S5_N6thrust23THRUST_200600_302600_NS6detail15normal_iteratorINS8_10device_ptrIiEEEENSA_INSB_IbEEEEZNS1_13binary_searchIS3_S5_SD_SD_SF_NS1_16binary_search_opENS9_16wrapped_functionINS0_4lessIvEEbEEEE10hipError_tPvRmT1_T2_T3_mmT4_T5_P12ihipStream_tbEUlRKiE_EESM_SQ_SR_mSS_SV_bEUlT_E_NS1_11comp_targetILNS1_3genE0ELNS1_11target_archE4294967295ELNS1_3gpuE0ELNS1_3repE0EEENS1_30default_config_static_selectorELNS0_4arch9wavefront6targetE1EEEvSP_
	.globl	_ZN7rocprim17ROCPRIM_400000_NS6detail17trampoline_kernelINS0_14default_configENS1_29binary_search_config_selectorIibEEZNS1_14transform_implILb0ES3_S5_N6thrust23THRUST_200600_302600_NS6detail15normal_iteratorINS8_10device_ptrIiEEEENSA_INSB_IbEEEEZNS1_13binary_searchIS3_S5_SD_SD_SF_NS1_16binary_search_opENS9_16wrapped_functionINS0_4lessIvEEbEEEE10hipError_tPvRmT1_T2_T3_mmT4_T5_P12ihipStream_tbEUlRKiE_EESM_SQ_SR_mSS_SV_bEUlT_E_NS1_11comp_targetILNS1_3genE0ELNS1_11target_archE4294967295ELNS1_3gpuE0ELNS1_3repE0EEENS1_30default_config_static_selectorELNS0_4arch9wavefront6targetE1EEEvSP_
	.p2align	8
	.type	_ZN7rocprim17ROCPRIM_400000_NS6detail17trampoline_kernelINS0_14default_configENS1_29binary_search_config_selectorIibEEZNS1_14transform_implILb0ES3_S5_N6thrust23THRUST_200600_302600_NS6detail15normal_iteratorINS8_10device_ptrIiEEEENSA_INSB_IbEEEEZNS1_13binary_searchIS3_S5_SD_SD_SF_NS1_16binary_search_opENS9_16wrapped_functionINS0_4lessIvEEbEEEE10hipError_tPvRmT1_T2_T3_mmT4_T5_P12ihipStream_tbEUlRKiE_EESM_SQ_SR_mSS_SV_bEUlT_E_NS1_11comp_targetILNS1_3genE0ELNS1_11target_archE4294967295ELNS1_3gpuE0ELNS1_3repE0EEENS1_30default_config_static_selectorELNS0_4arch9wavefront6targetE1EEEvSP_,@function
_ZN7rocprim17ROCPRIM_400000_NS6detail17trampoline_kernelINS0_14default_configENS1_29binary_search_config_selectorIibEEZNS1_14transform_implILb0ES3_S5_N6thrust23THRUST_200600_302600_NS6detail15normal_iteratorINS8_10device_ptrIiEEEENSA_INSB_IbEEEEZNS1_13binary_searchIS3_S5_SD_SD_SF_NS1_16binary_search_opENS9_16wrapped_functionINS0_4lessIvEEbEEEE10hipError_tPvRmT1_T2_T3_mmT4_T5_P12ihipStream_tbEUlRKiE_EESM_SQ_SR_mSS_SV_bEUlT_E_NS1_11comp_targetILNS1_3genE0ELNS1_11target_archE4294967295ELNS1_3gpuE0ELNS1_3repE0EEENS1_30default_config_static_selectorELNS0_4arch9wavefront6targetE1EEEvSP_: ; @_ZN7rocprim17ROCPRIM_400000_NS6detail17trampoline_kernelINS0_14default_configENS1_29binary_search_config_selectorIibEEZNS1_14transform_implILb0ES3_S5_N6thrust23THRUST_200600_302600_NS6detail15normal_iteratorINS8_10device_ptrIiEEEENSA_INSB_IbEEEEZNS1_13binary_searchIS3_S5_SD_SD_SF_NS1_16binary_search_opENS9_16wrapped_functionINS0_4lessIvEEbEEEE10hipError_tPvRmT1_T2_T3_mmT4_T5_P12ihipStream_tbEUlRKiE_EESM_SQ_SR_mSS_SV_bEUlT_E_NS1_11comp_targetILNS1_3genE0ELNS1_11target_archE4294967295ELNS1_3gpuE0ELNS1_3repE0EEENS1_30default_config_static_selectorELNS0_4arch9wavefront6targetE1EEEvSP_
; %bb.0:
	.section	.rodata,"a",@progbits
	.p2align	6, 0x0
	.amdhsa_kernel _ZN7rocprim17ROCPRIM_400000_NS6detail17trampoline_kernelINS0_14default_configENS1_29binary_search_config_selectorIibEEZNS1_14transform_implILb0ES3_S5_N6thrust23THRUST_200600_302600_NS6detail15normal_iteratorINS8_10device_ptrIiEEEENSA_INSB_IbEEEEZNS1_13binary_searchIS3_S5_SD_SD_SF_NS1_16binary_search_opENS9_16wrapped_functionINS0_4lessIvEEbEEEE10hipError_tPvRmT1_T2_T3_mmT4_T5_P12ihipStream_tbEUlRKiE_EESM_SQ_SR_mSS_SV_bEUlT_E_NS1_11comp_targetILNS1_3genE0ELNS1_11target_archE4294967295ELNS1_3gpuE0ELNS1_3repE0EEENS1_30default_config_static_selectorELNS0_4arch9wavefront6targetE1EEEvSP_
		.amdhsa_group_segment_fixed_size 0
		.amdhsa_private_segment_fixed_size 0
		.amdhsa_kernarg_size 56
		.amdhsa_user_sgpr_count 6
		.amdhsa_user_sgpr_private_segment_buffer 1
		.amdhsa_user_sgpr_dispatch_ptr 0
		.amdhsa_user_sgpr_queue_ptr 0
		.amdhsa_user_sgpr_kernarg_segment_ptr 1
		.amdhsa_user_sgpr_dispatch_id 0
		.amdhsa_user_sgpr_flat_scratch_init 0
		.amdhsa_user_sgpr_private_segment_size 0
		.amdhsa_uses_dynamic_stack 0
		.amdhsa_system_sgpr_private_segment_wavefront_offset 0
		.amdhsa_system_sgpr_workgroup_id_x 1
		.amdhsa_system_sgpr_workgroup_id_y 0
		.amdhsa_system_sgpr_workgroup_id_z 0
		.amdhsa_system_sgpr_workgroup_info 0
		.amdhsa_system_vgpr_workitem_id 0
		.amdhsa_next_free_vgpr 1
		.amdhsa_next_free_sgpr 0
		.amdhsa_reserve_vcc 0
		.amdhsa_reserve_flat_scratch 0
		.amdhsa_float_round_mode_32 0
		.amdhsa_float_round_mode_16_64 0
		.amdhsa_float_denorm_mode_32 3
		.amdhsa_float_denorm_mode_16_64 3
		.amdhsa_dx10_clamp 1
		.amdhsa_ieee_mode 1
		.amdhsa_fp16_overflow 0
		.amdhsa_exception_fp_ieee_invalid_op 0
		.amdhsa_exception_fp_denorm_src 0
		.amdhsa_exception_fp_ieee_div_zero 0
		.amdhsa_exception_fp_ieee_overflow 0
		.amdhsa_exception_fp_ieee_underflow 0
		.amdhsa_exception_fp_ieee_inexact 0
		.amdhsa_exception_int_div_zero 0
	.end_amdhsa_kernel
	.section	.text._ZN7rocprim17ROCPRIM_400000_NS6detail17trampoline_kernelINS0_14default_configENS1_29binary_search_config_selectorIibEEZNS1_14transform_implILb0ES3_S5_N6thrust23THRUST_200600_302600_NS6detail15normal_iteratorINS8_10device_ptrIiEEEENSA_INSB_IbEEEEZNS1_13binary_searchIS3_S5_SD_SD_SF_NS1_16binary_search_opENS9_16wrapped_functionINS0_4lessIvEEbEEEE10hipError_tPvRmT1_T2_T3_mmT4_T5_P12ihipStream_tbEUlRKiE_EESM_SQ_SR_mSS_SV_bEUlT_E_NS1_11comp_targetILNS1_3genE0ELNS1_11target_archE4294967295ELNS1_3gpuE0ELNS1_3repE0EEENS1_30default_config_static_selectorELNS0_4arch9wavefront6targetE1EEEvSP_,"axG",@progbits,_ZN7rocprim17ROCPRIM_400000_NS6detail17trampoline_kernelINS0_14default_configENS1_29binary_search_config_selectorIibEEZNS1_14transform_implILb0ES3_S5_N6thrust23THRUST_200600_302600_NS6detail15normal_iteratorINS8_10device_ptrIiEEEENSA_INSB_IbEEEEZNS1_13binary_searchIS3_S5_SD_SD_SF_NS1_16binary_search_opENS9_16wrapped_functionINS0_4lessIvEEbEEEE10hipError_tPvRmT1_T2_T3_mmT4_T5_P12ihipStream_tbEUlRKiE_EESM_SQ_SR_mSS_SV_bEUlT_E_NS1_11comp_targetILNS1_3genE0ELNS1_11target_archE4294967295ELNS1_3gpuE0ELNS1_3repE0EEENS1_30default_config_static_selectorELNS0_4arch9wavefront6targetE1EEEvSP_,comdat
.Lfunc_end734:
	.size	_ZN7rocprim17ROCPRIM_400000_NS6detail17trampoline_kernelINS0_14default_configENS1_29binary_search_config_selectorIibEEZNS1_14transform_implILb0ES3_S5_N6thrust23THRUST_200600_302600_NS6detail15normal_iteratorINS8_10device_ptrIiEEEENSA_INSB_IbEEEEZNS1_13binary_searchIS3_S5_SD_SD_SF_NS1_16binary_search_opENS9_16wrapped_functionINS0_4lessIvEEbEEEE10hipError_tPvRmT1_T2_T3_mmT4_T5_P12ihipStream_tbEUlRKiE_EESM_SQ_SR_mSS_SV_bEUlT_E_NS1_11comp_targetILNS1_3genE0ELNS1_11target_archE4294967295ELNS1_3gpuE0ELNS1_3repE0EEENS1_30default_config_static_selectorELNS0_4arch9wavefront6targetE1EEEvSP_, .Lfunc_end734-_ZN7rocprim17ROCPRIM_400000_NS6detail17trampoline_kernelINS0_14default_configENS1_29binary_search_config_selectorIibEEZNS1_14transform_implILb0ES3_S5_N6thrust23THRUST_200600_302600_NS6detail15normal_iteratorINS8_10device_ptrIiEEEENSA_INSB_IbEEEEZNS1_13binary_searchIS3_S5_SD_SD_SF_NS1_16binary_search_opENS9_16wrapped_functionINS0_4lessIvEEbEEEE10hipError_tPvRmT1_T2_T3_mmT4_T5_P12ihipStream_tbEUlRKiE_EESM_SQ_SR_mSS_SV_bEUlT_E_NS1_11comp_targetILNS1_3genE0ELNS1_11target_archE4294967295ELNS1_3gpuE0ELNS1_3repE0EEENS1_30default_config_static_selectorELNS0_4arch9wavefront6targetE1EEEvSP_
                                        ; -- End function
	.set _ZN7rocprim17ROCPRIM_400000_NS6detail17trampoline_kernelINS0_14default_configENS1_29binary_search_config_selectorIibEEZNS1_14transform_implILb0ES3_S5_N6thrust23THRUST_200600_302600_NS6detail15normal_iteratorINS8_10device_ptrIiEEEENSA_INSB_IbEEEEZNS1_13binary_searchIS3_S5_SD_SD_SF_NS1_16binary_search_opENS9_16wrapped_functionINS0_4lessIvEEbEEEE10hipError_tPvRmT1_T2_T3_mmT4_T5_P12ihipStream_tbEUlRKiE_EESM_SQ_SR_mSS_SV_bEUlT_E_NS1_11comp_targetILNS1_3genE0ELNS1_11target_archE4294967295ELNS1_3gpuE0ELNS1_3repE0EEENS1_30default_config_static_selectorELNS0_4arch9wavefront6targetE1EEEvSP_.num_vgpr, 0
	.set _ZN7rocprim17ROCPRIM_400000_NS6detail17trampoline_kernelINS0_14default_configENS1_29binary_search_config_selectorIibEEZNS1_14transform_implILb0ES3_S5_N6thrust23THRUST_200600_302600_NS6detail15normal_iteratorINS8_10device_ptrIiEEEENSA_INSB_IbEEEEZNS1_13binary_searchIS3_S5_SD_SD_SF_NS1_16binary_search_opENS9_16wrapped_functionINS0_4lessIvEEbEEEE10hipError_tPvRmT1_T2_T3_mmT4_T5_P12ihipStream_tbEUlRKiE_EESM_SQ_SR_mSS_SV_bEUlT_E_NS1_11comp_targetILNS1_3genE0ELNS1_11target_archE4294967295ELNS1_3gpuE0ELNS1_3repE0EEENS1_30default_config_static_selectorELNS0_4arch9wavefront6targetE1EEEvSP_.num_agpr, 0
	.set _ZN7rocprim17ROCPRIM_400000_NS6detail17trampoline_kernelINS0_14default_configENS1_29binary_search_config_selectorIibEEZNS1_14transform_implILb0ES3_S5_N6thrust23THRUST_200600_302600_NS6detail15normal_iteratorINS8_10device_ptrIiEEEENSA_INSB_IbEEEEZNS1_13binary_searchIS3_S5_SD_SD_SF_NS1_16binary_search_opENS9_16wrapped_functionINS0_4lessIvEEbEEEE10hipError_tPvRmT1_T2_T3_mmT4_T5_P12ihipStream_tbEUlRKiE_EESM_SQ_SR_mSS_SV_bEUlT_E_NS1_11comp_targetILNS1_3genE0ELNS1_11target_archE4294967295ELNS1_3gpuE0ELNS1_3repE0EEENS1_30default_config_static_selectorELNS0_4arch9wavefront6targetE1EEEvSP_.numbered_sgpr, 0
	.set _ZN7rocprim17ROCPRIM_400000_NS6detail17trampoline_kernelINS0_14default_configENS1_29binary_search_config_selectorIibEEZNS1_14transform_implILb0ES3_S5_N6thrust23THRUST_200600_302600_NS6detail15normal_iteratorINS8_10device_ptrIiEEEENSA_INSB_IbEEEEZNS1_13binary_searchIS3_S5_SD_SD_SF_NS1_16binary_search_opENS9_16wrapped_functionINS0_4lessIvEEbEEEE10hipError_tPvRmT1_T2_T3_mmT4_T5_P12ihipStream_tbEUlRKiE_EESM_SQ_SR_mSS_SV_bEUlT_E_NS1_11comp_targetILNS1_3genE0ELNS1_11target_archE4294967295ELNS1_3gpuE0ELNS1_3repE0EEENS1_30default_config_static_selectorELNS0_4arch9wavefront6targetE1EEEvSP_.num_named_barrier, 0
	.set _ZN7rocprim17ROCPRIM_400000_NS6detail17trampoline_kernelINS0_14default_configENS1_29binary_search_config_selectorIibEEZNS1_14transform_implILb0ES3_S5_N6thrust23THRUST_200600_302600_NS6detail15normal_iteratorINS8_10device_ptrIiEEEENSA_INSB_IbEEEEZNS1_13binary_searchIS3_S5_SD_SD_SF_NS1_16binary_search_opENS9_16wrapped_functionINS0_4lessIvEEbEEEE10hipError_tPvRmT1_T2_T3_mmT4_T5_P12ihipStream_tbEUlRKiE_EESM_SQ_SR_mSS_SV_bEUlT_E_NS1_11comp_targetILNS1_3genE0ELNS1_11target_archE4294967295ELNS1_3gpuE0ELNS1_3repE0EEENS1_30default_config_static_selectorELNS0_4arch9wavefront6targetE1EEEvSP_.private_seg_size, 0
	.set _ZN7rocprim17ROCPRIM_400000_NS6detail17trampoline_kernelINS0_14default_configENS1_29binary_search_config_selectorIibEEZNS1_14transform_implILb0ES3_S5_N6thrust23THRUST_200600_302600_NS6detail15normal_iteratorINS8_10device_ptrIiEEEENSA_INSB_IbEEEEZNS1_13binary_searchIS3_S5_SD_SD_SF_NS1_16binary_search_opENS9_16wrapped_functionINS0_4lessIvEEbEEEE10hipError_tPvRmT1_T2_T3_mmT4_T5_P12ihipStream_tbEUlRKiE_EESM_SQ_SR_mSS_SV_bEUlT_E_NS1_11comp_targetILNS1_3genE0ELNS1_11target_archE4294967295ELNS1_3gpuE0ELNS1_3repE0EEENS1_30default_config_static_selectorELNS0_4arch9wavefront6targetE1EEEvSP_.uses_vcc, 0
	.set _ZN7rocprim17ROCPRIM_400000_NS6detail17trampoline_kernelINS0_14default_configENS1_29binary_search_config_selectorIibEEZNS1_14transform_implILb0ES3_S5_N6thrust23THRUST_200600_302600_NS6detail15normal_iteratorINS8_10device_ptrIiEEEENSA_INSB_IbEEEEZNS1_13binary_searchIS3_S5_SD_SD_SF_NS1_16binary_search_opENS9_16wrapped_functionINS0_4lessIvEEbEEEE10hipError_tPvRmT1_T2_T3_mmT4_T5_P12ihipStream_tbEUlRKiE_EESM_SQ_SR_mSS_SV_bEUlT_E_NS1_11comp_targetILNS1_3genE0ELNS1_11target_archE4294967295ELNS1_3gpuE0ELNS1_3repE0EEENS1_30default_config_static_selectorELNS0_4arch9wavefront6targetE1EEEvSP_.uses_flat_scratch, 0
	.set _ZN7rocprim17ROCPRIM_400000_NS6detail17trampoline_kernelINS0_14default_configENS1_29binary_search_config_selectorIibEEZNS1_14transform_implILb0ES3_S5_N6thrust23THRUST_200600_302600_NS6detail15normal_iteratorINS8_10device_ptrIiEEEENSA_INSB_IbEEEEZNS1_13binary_searchIS3_S5_SD_SD_SF_NS1_16binary_search_opENS9_16wrapped_functionINS0_4lessIvEEbEEEE10hipError_tPvRmT1_T2_T3_mmT4_T5_P12ihipStream_tbEUlRKiE_EESM_SQ_SR_mSS_SV_bEUlT_E_NS1_11comp_targetILNS1_3genE0ELNS1_11target_archE4294967295ELNS1_3gpuE0ELNS1_3repE0EEENS1_30default_config_static_selectorELNS0_4arch9wavefront6targetE1EEEvSP_.has_dyn_sized_stack, 0
	.set _ZN7rocprim17ROCPRIM_400000_NS6detail17trampoline_kernelINS0_14default_configENS1_29binary_search_config_selectorIibEEZNS1_14transform_implILb0ES3_S5_N6thrust23THRUST_200600_302600_NS6detail15normal_iteratorINS8_10device_ptrIiEEEENSA_INSB_IbEEEEZNS1_13binary_searchIS3_S5_SD_SD_SF_NS1_16binary_search_opENS9_16wrapped_functionINS0_4lessIvEEbEEEE10hipError_tPvRmT1_T2_T3_mmT4_T5_P12ihipStream_tbEUlRKiE_EESM_SQ_SR_mSS_SV_bEUlT_E_NS1_11comp_targetILNS1_3genE0ELNS1_11target_archE4294967295ELNS1_3gpuE0ELNS1_3repE0EEENS1_30default_config_static_selectorELNS0_4arch9wavefront6targetE1EEEvSP_.has_recursion, 0
	.set _ZN7rocprim17ROCPRIM_400000_NS6detail17trampoline_kernelINS0_14default_configENS1_29binary_search_config_selectorIibEEZNS1_14transform_implILb0ES3_S5_N6thrust23THRUST_200600_302600_NS6detail15normal_iteratorINS8_10device_ptrIiEEEENSA_INSB_IbEEEEZNS1_13binary_searchIS3_S5_SD_SD_SF_NS1_16binary_search_opENS9_16wrapped_functionINS0_4lessIvEEbEEEE10hipError_tPvRmT1_T2_T3_mmT4_T5_P12ihipStream_tbEUlRKiE_EESM_SQ_SR_mSS_SV_bEUlT_E_NS1_11comp_targetILNS1_3genE0ELNS1_11target_archE4294967295ELNS1_3gpuE0ELNS1_3repE0EEENS1_30default_config_static_selectorELNS0_4arch9wavefront6targetE1EEEvSP_.has_indirect_call, 0
	.section	.AMDGPU.csdata,"",@progbits
; Kernel info:
; codeLenInByte = 0
; TotalNumSgprs: 4
; NumVgprs: 0
; ScratchSize: 0
; MemoryBound: 0
; FloatMode: 240
; IeeeMode: 1
; LDSByteSize: 0 bytes/workgroup (compile time only)
; SGPRBlocks: 0
; VGPRBlocks: 0
; NumSGPRsForWavesPerEU: 4
; NumVGPRsForWavesPerEU: 1
; Occupancy: 10
; WaveLimiterHint : 0
; COMPUTE_PGM_RSRC2:SCRATCH_EN: 0
; COMPUTE_PGM_RSRC2:USER_SGPR: 6
; COMPUTE_PGM_RSRC2:TRAP_HANDLER: 0
; COMPUTE_PGM_RSRC2:TGID_X_EN: 1
; COMPUTE_PGM_RSRC2:TGID_Y_EN: 0
; COMPUTE_PGM_RSRC2:TGID_Z_EN: 0
; COMPUTE_PGM_RSRC2:TIDIG_COMP_CNT: 0
	.section	.text._ZN7rocprim17ROCPRIM_400000_NS6detail17trampoline_kernelINS0_14default_configENS1_29binary_search_config_selectorIibEEZNS1_14transform_implILb0ES3_S5_N6thrust23THRUST_200600_302600_NS6detail15normal_iteratorINS8_10device_ptrIiEEEENSA_INSB_IbEEEEZNS1_13binary_searchIS3_S5_SD_SD_SF_NS1_16binary_search_opENS9_16wrapped_functionINS0_4lessIvEEbEEEE10hipError_tPvRmT1_T2_T3_mmT4_T5_P12ihipStream_tbEUlRKiE_EESM_SQ_SR_mSS_SV_bEUlT_E_NS1_11comp_targetILNS1_3genE5ELNS1_11target_archE942ELNS1_3gpuE9ELNS1_3repE0EEENS1_30default_config_static_selectorELNS0_4arch9wavefront6targetE1EEEvSP_,"axG",@progbits,_ZN7rocprim17ROCPRIM_400000_NS6detail17trampoline_kernelINS0_14default_configENS1_29binary_search_config_selectorIibEEZNS1_14transform_implILb0ES3_S5_N6thrust23THRUST_200600_302600_NS6detail15normal_iteratorINS8_10device_ptrIiEEEENSA_INSB_IbEEEEZNS1_13binary_searchIS3_S5_SD_SD_SF_NS1_16binary_search_opENS9_16wrapped_functionINS0_4lessIvEEbEEEE10hipError_tPvRmT1_T2_T3_mmT4_T5_P12ihipStream_tbEUlRKiE_EESM_SQ_SR_mSS_SV_bEUlT_E_NS1_11comp_targetILNS1_3genE5ELNS1_11target_archE942ELNS1_3gpuE9ELNS1_3repE0EEENS1_30default_config_static_selectorELNS0_4arch9wavefront6targetE1EEEvSP_,comdat
	.protected	_ZN7rocprim17ROCPRIM_400000_NS6detail17trampoline_kernelINS0_14default_configENS1_29binary_search_config_selectorIibEEZNS1_14transform_implILb0ES3_S5_N6thrust23THRUST_200600_302600_NS6detail15normal_iteratorINS8_10device_ptrIiEEEENSA_INSB_IbEEEEZNS1_13binary_searchIS3_S5_SD_SD_SF_NS1_16binary_search_opENS9_16wrapped_functionINS0_4lessIvEEbEEEE10hipError_tPvRmT1_T2_T3_mmT4_T5_P12ihipStream_tbEUlRKiE_EESM_SQ_SR_mSS_SV_bEUlT_E_NS1_11comp_targetILNS1_3genE5ELNS1_11target_archE942ELNS1_3gpuE9ELNS1_3repE0EEENS1_30default_config_static_selectorELNS0_4arch9wavefront6targetE1EEEvSP_ ; -- Begin function _ZN7rocprim17ROCPRIM_400000_NS6detail17trampoline_kernelINS0_14default_configENS1_29binary_search_config_selectorIibEEZNS1_14transform_implILb0ES3_S5_N6thrust23THRUST_200600_302600_NS6detail15normal_iteratorINS8_10device_ptrIiEEEENSA_INSB_IbEEEEZNS1_13binary_searchIS3_S5_SD_SD_SF_NS1_16binary_search_opENS9_16wrapped_functionINS0_4lessIvEEbEEEE10hipError_tPvRmT1_T2_T3_mmT4_T5_P12ihipStream_tbEUlRKiE_EESM_SQ_SR_mSS_SV_bEUlT_E_NS1_11comp_targetILNS1_3genE5ELNS1_11target_archE942ELNS1_3gpuE9ELNS1_3repE0EEENS1_30default_config_static_selectorELNS0_4arch9wavefront6targetE1EEEvSP_
	.globl	_ZN7rocprim17ROCPRIM_400000_NS6detail17trampoline_kernelINS0_14default_configENS1_29binary_search_config_selectorIibEEZNS1_14transform_implILb0ES3_S5_N6thrust23THRUST_200600_302600_NS6detail15normal_iteratorINS8_10device_ptrIiEEEENSA_INSB_IbEEEEZNS1_13binary_searchIS3_S5_SD_SD_SF_NS1_16binary_search_opENS9_16wrapped_functionINS0_4lessIvEEbEEEE10hipError_tPvRmT1_T2_T3_mmT4_T5_P12ihipStream_tbEUlRKiE_EESM_SQ_SR_mSS_SV_bEUlT_E_NS1_11comp_targetILNS1_3genE5ELNS1_11target_archE942ELNS1_3gpuE9ELNS1_3repE0EEENS1_30default_config_static_selectorELNS0_4arch9wavefront6targetE1EEEvSP_
	.p2align	8
	.type	_ZN7rocprim17ROCPRIM_400000_NS6detail17trampoline_kernelINS0_14default_configENS1_29binary_search_config_selectorIibEEZNS1_14transform_implILb0ES3_S5_N6thrust23THRUST_200600_302600_NS6detail15normal_iteratorINS8_10device_ptrIiEEEENSA_INSB_IbEEEEZNS1_13binary_searchIS3_S5_SD_SD_SF_NS1_16binary_search_opENS9_16wrapped_functionINS0_4lessIvEEbEEEE10hipError_tPvRmT1_T2_T3_mmT4_T5_P12ihipStream_tbEUlRKiE_EESM_SQ_SR_mSS_SV_bEUlT_E_NS1_11comp_targetILNS1_3genE5ELNS1_11target_archE942ELNS1_3gpuE9ELNS1_3repE0EEENS1_30default_config_static_selectorELNS0_4arch9wavefront6targetE1EEEvSP_,@function
_ZN7rocprim17ROCPRIM_400000_NS6detail17trampoline_kernelINS0_14default_configENS1_29binary_search_config_selectorIibEEZNS1_14transform_implILb0ES3_S5_N6thrust23THRUST_200600_302600_NS6detail15normal_iteratorINS8_10device_ptrIiEEEENSA_INSB_IbEEEEZNS1_13binary_searchIS3_S5_SD_SD_SF_NS1_16binary_search_opENS9_16wrapped_functionINS0_4lessIvEEbEEEE10hipError_tPvRmT1_T2_T3_mmT4_T5_P12ihipStream_tbEUlRKiE_EESM_SQ_SR_mSS_SV_bEUlT_E_NS1_11comp_targetILNS1_3genE5ELNS1_11target_archE942ELNS1_3gpuE9ELNS1_3repE0EEENS1_30default_config_static_selectorELNS0_4arch9wavefront6targetE1EEEvSP_: ; @_ZN7rocprim17ROCPRIM_400000_NS6detail17trampoline_kernelINS0_14default_configENS1_29binary_search_config_selectorIibEEZNS1_14transform_implILb0ES3_S5_N6thrust23THRUST_200600_302600_NS6detail15normal_iteratorINS8_10device_ptrIiEEEENSA_INSB_IbEEEEZNS1_13binary_searchIS3_S5_SD_SD_SF_NS1_16binary_search_opENS9_16wrapped_functionINS0_4lessIvEEbEEEE10hipError_tPvRmT1_T2_T3_mmT4_T5_P12ihipStream_tbEUlRKiE_EESM_SQ_SR_mSS_SV_bEUlT_E_NS1_11comp_targetILNS1_3genE5ELNS1_11target_archE942ELNS1_3gpuE9ELNS1_3repE0EEENS1_30default_config_static_selectorELNS0_4arch9wavefront6targetE1EEEvSP_
; %bb.0:
	.section	.rodata,"a",@progbits
	.p2align	6, 0x0
	.amdhsa_kernel _ZN7rocprim17ROCPRIM_400000_NS6detail17trampoline_kernelINS0_14default_configENS1_29binary_search_config_selectorIibEEZNS1_14transform_implILb0ES3_S5_N6thrust23THRUST_200600_302600_NS6detail15normal_iteratorINS8_10device_ptrIiEEEENSA_INSB_IbEEEEZNS1_13binary_searchIS3_S5_SD_SD_SF_NS1_16binary_search_opENS9_16wrapped_functionINS0_4lessIvEEbEEEE10hipError_tPvRmT1_T2_T3_mmT4_T5_P12ihipStream_tbEUlRKiE_EESM_SQ_SR_mSS_SV_bEUlT_E_NS1_11comp_targetILNS1_3genE5ELNS1_11target_archE942ELNS1_3gpuE9ELNS1_3repE0EEENS1_30default_config_static_selectorELNS0_4arch9wavefront6targetE1EEEvSP_
		.amdhsa_group_segment_fixed_size 0
		.amdhsa_private_segment_fixed_size 0
		.amdhsa_kernarg_size 56
		.amdhsa_user_sgpr_count 6
		.amdhsa_user_sgpr_private_segment_buffer 1
		.amdhsa_user_sgpr_dispatch_ptr 0
		.amdhsa_user_sgpr_queue_ptr 0
		.amdhsa_user_sgpr_kernarg_segment_ptr 1
		.amdhsa_user_sgpr_dispatch_id 0
		.amdhsa_user_sgpr_flat_scratch_init 0
		.amdhsa_user_sgpr_private_segment_size 0
		.amdhsa_uses_dynamic_stack 0
		.amdhsa_system_sgpr_private_segment_wavefront_offset 0
		.amdhsa_system_sgpr_workgroup_id_x 1
		.amdhsa_system_sgpr_workgroup_id_y 0
		.amdhsa_system_sgpr_workgroup_id_z 0
		.amdhsa_system_sgpr_workgroup_info 0
		.amdhsa_system_vgpr_workitem_id 0
		.amdhsa_next_free_vgpr 1
		.amdhsa_next_free_sgpr 0
		.amdhsa_reserve_vcc 0
		.amdhsa_reserve_flat_scratch 0
		.amdhsa_float_round_mode_32 0
		.amdhsa_float_round_mode_16_64 0
		.amdhsa_float_denorm_mode_32 3
		.amdhsa_float_denorm_mode_16_64 3
		.amdhsa_dx10_clamp 1
		.amdhsa_ieee_mode 1
		.amdhsa_fp16_overflow 0
		.amdhsa_exception_fp_ieee_invalid_op 0
		.amdhsa_exception_fp_denorm_src 0
		.amdhsa_exception_fp_ieee_div_zero 0
		.amdhsa_exception_fp_ieee_overflow 0
		.amdhsa_exception_fp_ieee_underflow 0
		.amdhsa_exception_fp_ieee_inexact 0
		.amdhsa_exception_int_div_zero 0
	.end_amdhsa_kernel
	.section	.text._ZN7rocprim17ROCPRIM_400000_NS6detail17trampoline_kernelINS0_14default_configENS1_29binary_search_config_selectorIibEEZNS1_14transform_implILb0ES3_S5_N6thrust23THRUST_200600_302600_NS6detail15normal_iteratorINS8_10device_ptrIiEEEENSA_INSB_IbEEEEZNS1_13binary_searchIS3_S5_SD_SD_SF_NS1_16binary_search_opENS9_16wrapped_functionINS0_4lessIvEEbEEEE10hipError_tPvRmT1_T2_T3_mmT4_T5_P12ihipStream_tbEUlRKiE_EESM_SQ_SR_mSS_SV_bEUlT_E_NS1_11comp_targetILNS1_3genE5ELNS1_11target_archE942ELNS1_3gpuE9ELNS1_3repE0EEENS1_30default_config_static_selectorELNS0_4arch9wavefront6targetE1EEEvSP_,"axG",@progbits,_ZN7rocprim17ROCPRIM_400000_NS6detail17trampoline_kernelINS0_14default_configENS1_29binary_search_config_selectorIibEEZNS1_14transform_implILb0ES3_S5_N6thrust23THRUST_200600_302600_NS6detail15normal_iteratorINS8_10device_ptrIiEEEENSA_INSB_IbEEEEZNS1_13binary_searchIS3_S5_SD_SD_SF_NS1_16binary_search_opENS9_16wrapped_functionINS0_4lessIvEEbEEEE10hipError_tPvRmT1_T2_T3_mmT4_T5_P12ihipStream_tbEUlRKiE_EESM_SQ_SR_mSS_SV_bEUlT_E_NS1_11comp_targetILNS1_3genE5ELNS1_11target_archE942ELNS1_3gpuE9ELNS1_3repE0EEENS1_30default_config_static_selectorELNS0_4arch9wavefront6targetE1EEEvSP_,comdat
.Lfunc_end735:
	.size	_ZN7rocprim17ROCPRIM_400000_NS6detail17trampoline_kernelINS0_14default_configENS1_29binary_search_config_selectorIibEEZNS1_14transform_implILb0ES3_S5_N6thrust23THRUST_200600_302600_NS6detail15normal_iteratorINS8_10device_ptrIiEEEENSA_INSB_IbEEEEZNS1_13binary_searchIS3_S5_SD_SD_SF_NS1_16binary_search_opENS9_16wrapped_functionINS0_4lessIvEEbEEEE10hipError_tPvRmT1_T2_T3_mmT4_T5_P12ihipStream_tbEUlRKiE_EESM_SQ_SR_mSS_SV_bEUlT_E_NS1_11comp_targetILNS1_3genE5ELNS1_11target_archE942ELNS1_3gpuE9ELNS1_3repE0EEENS1_30default_config_static_selectorELNS0_4arch9wavefront6targetE1EEEvSP_, .Lfunc_end735-_ZN7rocprim17ROCPRIM_400000_NS6detail17trampoline_kernelINS0_14default_configENS1_29binary_search_config_selectorIibEEZNS1_14transform_implILb0ES3_S5_N6thrust23THRUST_200600_302600_NS6detail15normal_iteratorINS8_10device_ptrIiEEEENSA_INSB_IbEEEEZNS1_13binary_searchIS3_S5_SD_SD_SF_NS1_16binary_search_opENS9_16wrapped_functionINS0_4lessIvEEbEEEE10hipError_tPvRmT1_T2_T3_mmT4_T5_P12ihipStream_tbEUlRKiE_EESM_SQ_SR_mSS_SV_bEUlT_E_NS1_11comp_targetILNS1_3genE5ELNS1_11target_archE942ELNS1_3gpuE9ELNS1_3repE0EEENS1_30default_config_static_selectorELNS0_4arch9wavefront6targetE1EEEvSP_
                                        ; -- End function
	.set _ZN7rocprim17ROCPRIM_400000_NS6detail17trampoline_kernelINS0_14default_configENS1_29binary_search_config_selectorIibEEZNS1_14transform_implILb0ES3_S5_N6thrust23THRUST_200600_302600_NS6detail15normal_iteratorINS8_10device_ptrIiEEEENSA_INSB_IbEEEEZNS1_13binary_searchIS3_S5_SD_SD_SF_NS1_16binary_search_opENS9_16wrapped_functionINS0_4lessIvEEbEEEE10hipError_tPvRmT1_T2_T3_mmT4_T5_P12ihipStream_tbEUlRKiE_EESM_SQ_SR_mSS_SV_bEUlT_E_NS1_11comp_targetILNS1_3genE5ELNS1_11target_archE942ELNS1_3gpuE9ELNS1_3repE0EEENS1_30default_config_static_selectorELNS0_4arch9wavefront6targetE1EEEvSP_.num_vgpr, 0
	.set _ZN7rocprim17ROCPRIM_400000_NS6detail17trampoline_kernelINS0_14default_configENS1_29binary_search_config_selectorIibEEZNS1_14transform_implILb0ES3_S5_N6thrust23THRUST_200600_302600_NS6detail15normal_iteratorINS8_10device_ptrIiEEEENSA_INSB_IbEEEEZNS1_13binary_searchIS3_S5_SD_SD_SF_NS1_16binary_search_opENS9_16wrapped_functionINS0_4lessIvEEbEEEE10hipError_tPvRmT1_T2_T3_mmT4_T5_P12ihipStream_tbEUlRKiE_EESM_SQ_SR_mSS_SV_bEUlT_E_NS1_11comp_targetILNS1_3genE5ELNS1_11target_archE942ELNS1_3gpuE9ELNS1_3repE0EEENS1_30default_config_static_selectorELNS0_4arch9wavefront6targetE1EEEvSP_.num_agpr, 0
	.set _ZN7rocprim17ROCPRIM_400000_NS6detail17trampoline_kernelINS0_14default_configENS1_29binary_search_config_selectorIibEEZNS1_14transform_implILb0ES3_S5_N6thrust23THRUST_200600_302600_NS6detail15normal_iteratorINS8_10device_ptrIiEEEENSA_INSB_IbEEEEZNS1_13binary_searchIS3_S5_SD_SD_SF_NS1_16binary_search_opENS9_16wrapped_functionINS0_4lessIvEEbEEEE10hipError_tPvRmT1_T2_T3_mmT4_T5_P12ihipStream_tbEUlRKiE_EESM_SQ_SR_mSS_SV_bEUlT_E_NS1_11comp_targetILNS1_3genE5ELNS1_11target_archE942ELNS1_3gpuE9ELNS1_3repE0EEENS1_30default_config_static_selectorELNS0_4arch9wavefront6targetE1EEEvSP_.numbered_sgpr, 0
	.set _ZN7rocprim17ROCPRIM_400000_NS6detail17trampoline_kernelINS0_14default_configENS1_29binary_search_config_selectorIibEEZNS1_14transform_implILb0ES3_S5_N6thrust23THRUST_200600_302600_NS6detail15normal_iteratorINS8_10device_ptrIiEEEENSA_INSB_IbEEEEZNS1_13binary_searchIS3_S5_SD_SD_SF_NS1_16binary_search_opENS9_16wrapped_functionINS0_4lessIvEEbEEEE10hipError_tPvRmT1_T2_T3_mmT4_T5_P12ihipStream_tbEUlRKiE_EESM_SQ_SR_mSS_SV_bEUlT_E_NS1_11comp_targetILNS1_3genE5ELNS1_11target_archE942ELNS1_3gpuE9ELNS1_3repE0EEENS1_30default_config_static_selectorELNS0_4arch9wavefront6targetE1EEEvSP_.num_named_barrier, 0
	.set _ZN7rocprim17ROCPRIM_400000_NS6detail17trampoline_kernelINS0_14default_configENS1_29binary_search_config_selectorIibEEZNS1_14transform_implILb0ES3_S5_N6thrust23THRUST_200600_302600_NS6detail15normal_iteratorINS8_10device_ptrIiEEEENSA_INSB_IbEEEEZNS1_13binary_searchIS3_S5_SD_SD_SF_NS1_16binary_search_opENS9_16wrapped_functionINS0_4lessIvEEbEEEE10hipError_tPvRmT1_T2_T3_mmT4_T5_P12ihipStream_tbEUlRKiE_EESM_SQ_SR_mSS_SV_bEUlT_E_NS1_11comp_targetILNS1_3genE5ELNS1_11target_archE942ELNS1_3gpuE9ELNS1_3repE0EEENS1_30default_config_static_selectorELNS0_4arch9wavefront6targetE1EEEvSP_.private_seg_size, 0
	.set _ZN7rocprim17ROCPRIM_400000_NS6detail17trampoline_kernelINS0_14default_configENS1_29binary_search_config_selectorIibEEZNS1_14transform_implILb0ES3_S5_N6thrust23THRUST_200600_302600_NS6detail15normal_iteratorINS8_10device_ptrIiEEEENSA_INSB_IbEEEEZNS1_13binary_searchIS3_S5_SD_SD_SF_NS1_16binary_search_opENS9_16wrapped_functionINS0_4lessIvEEbEEEE10hipError_tPvRmT1_T2_T3_mmT4_T5_P12ihipStream_tbEUlRKiE_EESM_SQ_SR_mSS_SV_bEUlT_E_NS1_11comp_targetILNS1_3genE5ELNS1_11target_archE942ELNS1_3gpuE9ELNS1_3repE0EEENS1_30default_config_static_selectorELNS0_4arch9wavefront6targetE1EEEvSP_.uses_vcc, 0
	.set _ZN7rocprim17ROCPRIM_400000_NS6detail17trampoline_kernelINS0_14default_configENS1_29binary_search_config_selectorIibEEZNS1_14transform_implILb0ES3_S5_N6thrust23THRUST_200600_302600_NS6detail15normal_iteratorINS8_10device_ptrIiEEEENSA_INSB_IbEEEEZNS1_13binary_searchIS3_S5_SD_SD_SF_NS1_16binary_search_opENS9_16wrapped_functionINS0_4lessIvEEbEEEE10hipError_tPvRmT1_T2_T3_mmT4_T5_P12ihipStream_tbEUlRKiE_EESM_SQ_SR_mSS_SV_bEUlT_E_NS1_11comp_targetILNS1_3genE5ELNS1_11target_archE942ELNS1_3gpuE9ELNS1_3repE0EEENS1_30default_config_static_selectorELNS0_4arch9wavefront6targetE1EEEvSP_.uses_flat_scratch, 0
	.set _ZN7rocprim17ROCPRIM_400000_NS6detail17trampoline_kernelINS0_14default_configENS1_29binary_search_config_selectorIibEEZNS1_14transform_implILb0ES3_S5_N6thrust23THRUST_200600_302600_NS6detail15normal_iteratorINS8_10device_ptrIiEEEENSA_INSB_IbEEEEZNS1_13binary_searchIS3_S5_SD_SD_SF_NS1_16binary_search_opENS9_16wrapped_functionINS0_4lessIvEEbEEEE10hipError_tPvRmT1_T2_T3_mmT4_T5_P12ihipStream_tbEUlRKiE_EESM_SQ_SR_mSS_SV_bEUlT_E_NS1_11comp_targetILNS1_3genE5ELNS1_11target_archE942ELNS1_3gpuE9ELNS1_3repE0EEENS1_30default_config_static_selectorELNS0_4arch9wavefront6targetE1EEEvSP_.has_dyn_sized_stack, 0
	.set _ZN7rocprim17ROCPRIM_400000_NS6detail17trampoline_kernelINS0_14default_configENS1_29binary_search_config_selectorIibEEZNS1_14transform_implILb0ES3_S5_N6thrust23THRUST_200600_302600_NS6detail15normal_iteratorINS8_10device_ptrIiEEEENSA_INSB_IbEEEEZNS1_13binary_searchIS3_S5_SD_SD_SF_NS1_16binary_search_opENS9_16wrapped_functionINS0_4lessIvEEbEEEE10hipError_tPvRmT1_T2_T3_mmT4_T5_P12ihipStream_tbEUlRKiE_EESM_SQ_SR_mSS_SV_bEUlT_E_NS1_11comp_targetILNS1_3genE5ELNS1_11target_archE942ELNS1_3gpuE9ELNS1_3repE0EEENS1_30default_config_static_selectorELNS0_4arch9wavefront6targetE1EEEvSP_.has_recursion, 0
	.set _ZN7rocprim17ROCPRIM_400000_NS6detail17trampoline_kernelINS0_14default_configENS1_29binary_search_config_selectorIibEEZNS1_14transform_implILb0ES3_S5_N6thrust23THRUST_200600_302600_NS6detail15normal_iteratorINS8_10device_ptrIiEEEENSA_INSB_IbEEEEZNS1_13binary_searchIS3_S5_SD_SD_SF_NS1_16binary_search_opENS9_16wrapped_functionINS0_4lessIvEEbEEEE10hipError_tPvRmT1_T2_T3_mmT4_T5_P12ihipStream_tbEUlRKiE_EESM_SQ_SR_mSS_SV_bEUlT_E_NS1_11comp_targetILNS1_3genE5ELNS1_11target_archE942ELNS1_3gpuE9ELNS1_3repE0EEENS1_30default_config_static_selectorELNS0_4arch9wavefront6targetE1EEEvSP_.has_indirect_call, 0
	.section	.AMDGPU.csdata,"",@progbits
; Kernel info:
; codeLenInByte = 0
; TotalNumSgprs: 4
; NumVgprs: 0
; ScratchSize: 0
; MemoryBound: 0
; FloatMode: 240
; IeeeMode: 1
; LDSByteSize: 0 bytes/workgroup (compile time only)
; SGPRBlocks: 0
; VGPRBlocks: 0
; NumSGPRsForWavesPerEU: 4
; NumVGPRsForWavesPerEU: 1
; Occupancy: 10
; WaveLimiterHint : 0
; COMPUTE_PGM_RSRC2:SCRATCH_EN: 0
; COMPUTE_PGM_RSRC2:USER_SGPR: 6
; COMPUTE_PGM_RSRC2:TRAP_HANDLER: 0
; COMPUTE_PGM_RSRC2:TGID_X_EN: 1
; COMPUTE_PGM_RSRC2:TGID_Y_EN: 0
; COMPUTE_PGM_RSRC2:TGID_Z_EN: 0
; COMPUTE_PGM_RSRC2:TIDIG_COMP_CNT: 0
	.section	.text._ZN7rocprim17ROCPRIM_400000_NS6detail17trampoline_kernelINS0_14default_configENS1_29binary_search_config_selectorIibEEZNS1_14transform_implILb0ES3_S5_N6thrust23THRUST_200600_302600_NS6detail15normal_iteratorINS8_10device_ptrIiEEEENSA_INSB_IbEEEEZNS1_13binary_searchIS3_S5_SD_SD_SF_NS1_16binary_search_opENS9_16wrapped_functionINS0_4lessIvEEbEEEE10hipError_tPvRmT1_T2_T3_mmT4_T5_P12ihipStream_tbEUlRKiE_EESM_SQ_SR_mSS_SV_bEUlT_E_NS1_11comp_targetILNS1_3genE4ELNS1_11target_archE910ELNS1_3gpuE8ELNS1_3repE0EEENS1_30default_config_static_selectorELNS0_4arch9wavefront6targetE1EEEvSP_,"axG",@progbits,_ZN7rocprim17ROCPRIM_400000_NS6detail17trampoline_kernelINS0_14default_configENS1_29binary_search_config_selectorIibEEZNS1_14transform_implILb0ES3_S5_N6thrust23THRUST_200600_302600_NS6detail15normal_iteratorINS8_10device_ptrIiEEEENSA_INSB_IbEEEEZNS1_13binary_searchIS3_S5_SD_SD_SF_NS1_16binary_search_opENS9_16wrapped_functionINS0_4lessIvEEbEEEE10hipError_tPvRmT1_T2_T3_mmT4_T5_P12ihipStream_tbEUlRKiE_EESM_SQ_SR_mSS_SV_bEUlT_E_NS1_11comp_targetILNS1_3genE4ELNS1_11target_archE910ELNS1_3gpuE8ELNS1_3repE0EEENS1_30default_config_static_selectorELNS0_4arch9wavefront6targetE1EEEvSP_,comdat
	.protected	_ZN7rocprim17ROCPRIM_400000_NS6detail17trampoline_kernelINS0_14default_configENS1_29binary_search_config_selectorIibEEZNS1_14transform_implILb0ES3_S5_N6thrust23THRUST_200600_302600_NS6detail15normal_iteratorINS8_10device_ptrIiEEEENSA_INSB_IbEEEEZNS1_13binary_searchIS3_S5_SD_SD_SF_NS1_16binary_search_opENS9_16wrapped_functionINS0_4lessIvEEbEEEE10hipError_tPvRmT1_T2_T3_mmT4_T5_P12ihipStream_tbEUlRKiE_EESM_SQ_SR_mSS_SV_bEUlT_E_NS1_11comp_targetILNS1_3genE4ELNS1_11target_archE910ELNS1_3gpuE8ELNS1_3repE0EEENS1_30default_config_static_selectorELNS0_4arch9wavefront6targetE1EEEvSP_ ; -- Begin function _ZN7rocprim17ROCPRIM_400000_NS6detail17trampoline_kernelINS0_14default_configENS1_29binary_search_config_selectorIibEEZNS1_14transform_implILb0ES3_S5_N6thrust23THRUST_200600_302600_NS6detail15normal_iteratorINS8_10device_ptrIiEEEENSA_INSB_IbEEEEZNS1_13binary_searchIS3_S5_SD_SD_SF_NS1_16binary_search_opENS9_16wrapped_functionINS0_4lessIvEEbEEEE10hipError_tPvRmT1_T2_T3_mmT4_T5_P12ihipStream_tbEUlRKiE_EESM_SQ_SR_mSS_SV_bEUlT_E_NS1_11comp_targetILNS1_3genE4ELNS1_11target_archE910ELNS1_3gpuE8ELNS1_3repE0EEENS1_30default_config_static_selectorELNS0_4arch9wavefront6targetE1EEEvSP_
	.globl	_ZN7rocprim17ROCPRIM_400000_NS6detail17trampoline_kernelINS0_14default_configENS1_29binary_search_config_selectorIibEEZNS1_14transform_implILb0ES3_S5_N6thrust23THRUST_200600_302600_NS6detail15normal_iteratorINS8_10device_ptrIiEEEENSA_INSB_IbEEEEZNS1_13binary_searchIS3_S5_SD_SD_SF_NS1_16binary_search_opENS9_16wrapped_functionINS0_4lessIvEEbEEEE10hipError_tPvRmT1_T2_T3_mmT4_T5_P12ihipStream_tbEUlRKiE_EESM_SQ_SR_mSS_SV_bEUlT_E_NS1_11comp_targetILNS1_3genE4ELNS1_11target_archE910ELNS1_3gpuE8ELNS1_3repE0EEENS1_30default_config_static_selectorELNS0_4arch9wavefront6targetE1EEEvSP_
	.p2align	8
	.type	_ZN7rocprim17ROCPRIM_400000_NS6detail17trampoline_kernelINS0_14default_configENS1_29binary_search_config_selectorIibEEZNS1_14transform_implILb0ES3_S5_N6thrust23THRUST_200600_302600_NS6detail15normal_iteratorINS8_10device_ptrIiEEEENSA_INSB_IbEEEEZNS1_13binary_searchIS3_S5_SD_SD_SF_NS1_16binary_search_opENS9_16wrapped_functionINS0_4lessIvEEbEEEE10hipError_tPvRmT1_T2_T3_mmT4_T5_P12ihipStream_tbEUlRKiE_EESM_SQ_SR_mSS_SV_bEUlT_E_NS1_11comp_targetILNS1_3genE4ELNS1_11target_archE910ELNS1_3gpuE8ELNS1_3repE0EEENS1_30default_config_static_selectorELNS0_4arch9wavefront6targetE1EEEvSP_,@function
_ZN7rocprim17ROCPRIM_400000_NS6detail17trampoline_kernelINS0_14default_configENS1_29binary_search_config_selectorIibEEZNS1_14transform_implILb0ES3_S5_N6thrust23THRUST_200600_302600_NS6detail15normal_iteratorINS8_10device_ptrIiEEEENSA_INSB_IbEEEEZNS1_13binary_searchIS3_S5_SD_SD_SF_NS1_16binary_search_opENS9_16wrapped_functionINS0_4lessIvEEbEEEE10hipError_tPvRmT1_T2_T3_mmT4_T5_P12ihipStream_tbEUlRKiE_EESM_SQ_SR_mSS_SV_bEUlT_E_NS1_11comp_targetILNS1_3genE4ELNS1_11target_archE910ELNS1_3gpuE8ELNS1_3repE0EEENS1_30default_config_static_selectorELNS0_4arch9wavefront6targetE1EEEvSP_: ; @_ZN7rocprim17ROCPRIM_400000_NS6detail17trampoline_kernelINS0_14default_configENS1_29binary_search_config_selectorIibEEZNS1_14transform_implILb0ES3_S5_N6thrust23THRUST_200600_302600_NS6detail15normal_iteratorINS8_10device_ptrIiEEEENSA_INSB_IbEEEEZNS1_13binary_searchIS3_S5_SD_SD_SF_NS1_16binary_search_opENS9_16wrapped_functionINS0_4lessIvEEbEEEE10hipError_tPvRmT1_T2_T3_mmT4_T5_P12ihipStream_tbEUlRKiE_EESM_SQ_SR_mSS_SV_bEUlT_E_NS1_11comp_targetILNS1_3genE4ELNS1_11target_archE910ELNS1_3gpuE8ELNS1_3repE0EEENS1_30default_config_static_selectorELNS0_4arch9wavefront6targetE1EEEvSP_
; %bb.0:
	.section	.rodata,"a",@progbits
	.p2align	6, 0x0
	.amdhsa_kernel _ZN7rocprim17ROCPRIM_400000_NS6detail17trampoline_kernelINS0_14default_configENS1_29binary_search_config_selectorIibEEZNS1_14transform_implILb0ES3_S5_N6thrust23THRUST_200600_302600_NS6detail15normal_iteratorINS8_10device_ptrIiEEEENSA_INSB_IbEEEEZNS1_13binary_searchIS3_S5_SD_SD_SF_NS1_16binary_search_opENS9_16wrapped_functionINS0_4lessIvEEbEEEE10hipError_tPvRmT1_T2_T3_mmT4_T5_P12ihipStream_tbEUlRKiE_EESM_SQ_SR_mSS_SV_bEUlT_E_NS1_11comp_targetILNS1_3genE4ELNS1_11target_archE910ELNS1_3gpuE8ELNS1_3repE0EEENS1_30default_config_static_selectorELNS0_4arch9wavefront6targetE1EEEvSP_
		.amdhsa_group_segment_fixed_size 0
		.amdhsa_private_segment_fixed_size 0
		.amdhsa_kernarg_size 56
		.amdhsa_user_sgpr_count 6
		.amdhsa_user_sgpr_private_segment_buffer 1
		.amdhsa_user_sgpr_dispatch_ptr 0
		.amdhsa_user_sgpr_queue_ptr 0
		.amdhsa_user_sgpr_kernarg_segment_ptr 1
		.amdhsa_user_sgpr_dispatch_id 0
		.amdhsa_user_sgpr_flat_scratch_init 0
		.amdhsa_user_sgpr_private_segment_size 0
		.amdhsa_uses_dynamic_stack 0
		.amdhsa_system_sgpr_private_segment_wavefront_offset 0
		.amdhsa_system_sgpr_workgroup_id_x 1
		.amdhsa_system_sgpr_workgroup_id_y 0
		.amdhsa_system_sgpr_workgroup_id_z 0
		.amdhsa_system_sgpr_workgroup_info 0
		.amdhsa_system_vgpr_workitem_id 0
		.amdhsa_next_free_vgpr 1
		.amdhsa_next_free_sgpr 0
		.amdhsa_reserve_vcc 0
		.amdhsa_reserve_flat_scratch 0
		.amdhsa_float_round_mode_32 0
		.amdhsa_float_round_mode_16_64 0
		.amdhsa_float_denorm_mode_32 3
		.amdhsa_float_denorm_mode_16_64 3
		.amdhsa_dx10_clamp 1
		.amdhsa_ieee_mode 1
		.amdhsa_fp16_overflow 0
		.amdhsa_exception_fp_ieee_invalid_op 0
		.amdhsa_exception_fp_denorm_src 0
		.amdhsa_exception_fp_ieee_div_zero 0
		.amdhsa_exception_fp_ieee_overflow 0
		.amdhsa_exception_fp_ieee_underflow 0
		.amdhsa_exception_fp_ieee_inexact 0
		.amdhsa_exception_int_div_zero 0
	.end_amdhsa_kernel
	.section	.text._ZN7rocprim17ROCPRIM_400000_NS6detail17trampoline_kernelINS0_14default_configENS1_29binary_search_config_selectorIibEEZNS1_14transform_implILb0ES3_S5_N6thrust23THRUST_200600_302600_NS6detail15normal_iteratorINS8_10device_ptrIiEEEENSA_INSB_IbEEEEZNS1_13binary_searchIS3_S5_SD_SD_SF_NS1_16binary_search_opENS9_16wrapped_functionINS0_4lessIvEEbEEEE10hipError_tPvRmT1_T2_T3_mmT4_T5_P12ihipStream_tbEUlRKiE_EESM_SQ_SR_mSS_SV_bEUlT_E_NS1_11comp_targetILNS1_3genE4ELNS1_11target_archE910ELNS1_3gpuE8ELNS1_3repE0EEENS1_30default_config_static_selectorELNS0_4arch9wavefront6targetE1EEEvSP_,"axG",@progbits,_ZN7rocprim17ROCPRIM_400000_NS6detail17trampoline_kernelINS0_14default_configENS1_29binary_search_config_selectorIibEEZNS1_14transform_implILb0ES3_S5_N6thrust23THRUST_200600_302600_NS6detail15normal_iteratorINS8_10device_ptrIiEEEENSA_INSB_IbEEEEZNS1_13binary_searchIS3_S5_SD_SD_SF_NS1_16binary_search_opENS9_16wrapped_functionINS0_4lessIvEEbEEEE10hipError_tPvRmT1_T2_T3_mmT4_T5_P12ihipStream_tbEUlRKiE_EESM_SQ_SR_mSS_SV_bEUlT_E_NS1_11comp_targetILNS1_3genE4ELNS1_11target_archE910ELNS1_3gpuE8ELNS1_3repE0EEENS1_30default_config_static_selectorELNS0_4arch9wavefront6targetE1EEEvSP_,comdat
.Lfunc_end736:
	.size	_ZN7rocprim17ROCPRIM_400000_NS6detail17trampoline_kernelINS0_14default_configENS1_29binary_search_config_selectorIibEEZNS1_14transform_implILb0ES3_S5_N6thrust23THRUST_200600_302600_NS6detail15normal_iteratorINS8_10device_ptrIiEEEENSA_INSB_IbEEEEZNS1_13binary_searchIS3_S5_SD_SD_SF_NS1_16binary_search_opENS9_16wrapped_functionINS0_4lessIvEEbEEEE10hipError_tPvRmT1_T2_T3_mmT4_T5_P12ihipStream_tbEUlRKiE_EESM_SQ_SR_mSS_SV_bEUlT_E_NS1_11comp_targetILNS1_3genE4ELNS1_11target_archE910ELNS1_3gpuE8ELNS1_3repE0EEENS1_30default_config_static_selectorELNS0_4arch9wavefront6targetE1EEEvSP_, .Lfunc_end736-_ZN7rocprim17ROCPRIM_400000_NS6detail17trampoline_kernelINS0_14default_configENS1_29binary_search_config_selectorIibEEZNS1_14transform_implILb0ES3_S5_N6thrust23THRUST_200600_302600_NS6detail15normal_iteratorINS8_10device_ptrIiEEEENSA_INSB_IbEEEEZNS1_13binary_searchIS3_S5_SD_SD_SF_NS1_16binary_search_opENS9_16wrapped_functionINS0_4lessIvEEbEEEE10hipError_tPvRmT1_T2_T3_mmT4_T5_P12ihipStream_tbEUlRKiE_EESM_SQ_SR_mSS_SV_bEUlT_E_NS1_11comp_targetILNS1_3genE4ELNS1_11target_archE910ELNS1_3gpuE8ELNS1_3repE0EEENS1_30default_config_static_selectorELNS0_4arch9wavefront6targetE1EEEvSP_
                                        ; -- End function
	.set _ZN7rocprim17ROCPRIM_400000_NS6detail17trampoline_kernelINS0_14default_configENS1_29binary_search_config_selectorIibEEZNS1_14transform_implILb0ES3_S5_N6thrust23THRUST_200600_302600_NS6detail15normal_iteratorINS8_10device_ptrIiEEEENSA_INSB_IbEEEEZNS1_13binary_searchIS3_S5_SD_SD_SF_NS1_16binary_search_opENS9_16wrapped_functionINS0_4lessIvEEbEEEE10hipError_tPvRmT1_T2_T3_mmT4_T5_P12ihipStream_tbEUlRKiE_EESM_SQ_SR_mSS_SV_bEUlT_E_NS1_11comp_targetILNS1_3genE4ELNS1_11target_archE910ELNS1_3gpuE8ELNS1_3repE0EEENS1_30default_config_static_selectorELNS0_4arch9wavefront6targetE1EEEvSP_.num_vgpr, 0
	.set _ZN7rocprim17ROCPRIM_400000_NS6detail17trampoline_kernelINS0_14default_configENS1_29binary_search_config_selectorIibEEZNS1_14transform_implILb0ES3_S5_N6thrust23THRUST_200600_302600_NS6detail15normal_iteratorINS8_10device_ptrIiEEEENSA_INSB_IbEEEEZNS1_13binary_searchIS3_S5_SD_SD_SF_NS1_16binary_search_opENS9_16wrapped_functionINS0_4lessIvEEbEEEE10hipError_tPvRmT1_T2_T3_mmT4_T5_P12ihipStream_tbEUlRKiE_EESM_SQ_SR_mSS_SV_bEUlT_E_NS1_11comp_targetILNS1_3genE4ELNS1_11target_archE910ELNS1_3gpuE8ELNS1_3repE0EEENS1_30default_config_static_selectorELNS0_4arch9wavefront6targetE1EEEvSP_.num_agpr, 0
	.set _ZN7rocprim17ROCPRIM_400000_NS6detail17trampoline_kernelINS0_14default_configENS1_29binary_search_config_selectorIibEEZNS1_14transform_implILb0ES3_S5_N6thrust23THRUST_200600_302600_NS6detail15normal_iteratorINS8_10device_ptrIiEEEENSA_INSB_IbEEEEZNS1_13binary_searchIS3_S5_SD_SD_SF_NS1_16binary_search_opENS9_16wrapped_functionINS0_4lessIvEEbEEEE10hipError_tPvRmT1_T2_T3_mmT4_T5_P12ihipStream_tbEUlRKiE_EESM_SQ_SR_mSS_SV_bEUlT_E_NS1_11comp_targetILNS1_3genE4ELNS1_11target_archE910ELNS1_3gpuE8ELNS1_3repE0EEENS1_30default_config_static_selectorELNS0_4arch9wavefront6targetE1EEEvSP_.numbered_sgpr, 0
	.set _ZN7rocprim17ROCPRIM_400000_NS6detail17trampoline_kernelINS0_14default_configENS1_29binary_search_config_selectorIibEEZNS1_14transform_implILb0ES3_S5_N6thrust23THRUST_200600_302600_NS6detail15normal_iteratorINS8_10device_ptrIiEEEENSA_INSB_IbEEEEZNS1_13binary_searchIS3_S5_SD_SD_SF_NS1_16binary_search_opENS9_16wrapped_functionINS0_4lessIvEEbEEEE10hipError_tPvRmT1_T2_T3_mmT4_T5_P12ihipStream_tbEUlRKiE_EESM_SQ_SR_mSS_SV_bEUlT_E_NS1_11comp_targetILNS1_3genE4ELNS1_11target_archE910ELNS1_3gpuE8ELNS1_3repE0EEENS1_30default_config_static_selectorELNS0_4arch9wavefront6targetE1EEEvSP_.num_named_barrier, 0
	.set _ZN7rocprim17ROCPRIM_400000_NS6detail17trampoline_kernelINS0_14default_configENS1_29binary_search_config_selectorIibEEZNS1_14transform_implILb0ES3_S5_N6thrust23THRUST_200600_302600_NS6detail15normal_iteratorINS8_10device_ptrIiEEEENSA_INSB_IbEEEEZNS1_13binary_searchIS3_S5_SD_SD_SF_NS1_16binary_search_opENS9_16wrapped_functionINS0_4lessIvEEbEEEE10hipError_tPvRmT1_T2_T3_mmT4_T5_P12ihipStream_tbEUlRKiE_EESM_SQ_SR_mSS_SV_bEUlT_E_NS1_11comp_targetILNS1_3genE4ELNS1_11target_archE910ELNS1_3gpuE8ELNS1_3repE0EEENS1_30default_config_static_selectorELNS0_4arch9wavefront6targetE1EEEvSP_.private_seg_size, 0
	.set _ZN7rocprim17ROCPRIM_400000_NS6detail17trampoline_kernelINS0_14default_configENS1_29binary_search_config_selectorIibEEZNS1_14transform_implILb0ES3_S5_N6thrust23THRUST_200600_302600_NS6detail15normal_iteratorINS8_10device_ptrIiEEEENSA_INSB_IbEEEEZNS1_13binary_searchIS3_S5_SD_SD_SF_NS1_16binary_search_opENS9_16wrapped_functionINS0_4lessIvEEbEEEE10hipError_tPvRmT1_T2_T3_mmT4_T5_P12ihipStream_tbEUlRKiE_EESM_SQ_SR_mSS_SV_bEUlT_E_NS1_11comp_targetILNS1_3genE4ELNS1_11target_archE910ELNS1_3gpuE8ELNS1_3repE0EEENS1_30default_config_static_selectorELNS0_4arch9wavefront6targetE1EEEvSP_.uses_vcc, 0
	.set _ZN7rocprim17ROCPRIM_400000_NS6detail17trampoline_kernelINS0_14default_configENS1_29binary_search_config_selectorIibEEZNS1_14transform_implILb0ES3_S5_N6thrust23THRUST_200600_302600_NS6detail15normal_iteratorINS8_10device_ptrIiEEEENSA_INSB_IbEEEEZNS1_13binary_searchIS3_S5_SD_SD_SF_NS1_16binary_search_opENS9_16wrapped_functionINS0_4lessIvEEbEEEE10hipError_tPvRmT1_T2_T3_mmT4_T5_P12ihipStream_tbEUlRKiE_EESM_SQ_SR_mSS_SV_bEUlT_E_NS1_11comp_targetILNS1_3genE4ELNS1_11target_archE910ELNS1_3gpuE8ELNS1_3repE0EEENS1_30default_config_static_selectorELNS0_4arch9wavefront6targetE1EEEvSP_.uses_flat_scratch, 0
	.set _ZN7rocprim17ROCPRIM_400000_NS6detail17trampoline_kernelINS0_14default_configENS1_29binary_search_config_selectorIibEEZNS1_14transform_implILb0ES3_S5_N6thrust23THRUST_200600_302600_NS6detail15normal_iteratorINS8_10device_ptrIiEEEENSA_INSB_IbEEEEZNS1_13binary_searchIS3_S5_SD_SD_SF_NS1_16binary_search_opENS9_16wrapped_functionINS0_4lessIvEEbEEEE10hipError_tPvRmT1_T2_T3_mmT4_T5_P12ihipStream_tbEUlRKiE_EESM_SQ_SR_mSS_SV_bEUlT_E_NS1_11comp_targetILNS1_3genE4ELNS1_11target_archE910ELNS1_3gpuE8ELNS1_3repE0EEENS1_30default_config_static_selectorELNS0_4arch9wavefront6targetE1EEEvSP_.has_dyn_sized_stack, 0
	.set _ZN7rocprim17ROCPRIM_400000_NS6detail17trampoline_kernelINS0_14default_configENS1_29binary_search_config_selectorIibEEZNS1_14transform_implILb0ES3_S5_N6thrust23THRUST_200600_302600_NS6detail15normal_iteratorINS8_10device_ptrIiEEEENSA_INSB_IbEEEEZNS1_13binary_searchIS3_S5_SD_SD_SF_NS1_16binary_search_opENS9_16wrapped_functionINS0_4lessIvEEbEEEE10hipError_tPvRmT1_T2_T3_mmT4_T5_P12ihipStream_tbEUlRKiE_EESM_SQ_SR_mSS_SV_bEUlT_E_NS1_11comp_targetILNS1_3genE4ELNS1_11target_archE910ELNS1_3gpuE8ELNS1_3repE0EEENS1_30default_config_static_selectorELNS0_4arch9wavefront6targetE1EEEvSP_.has_recursion, 0
	.set _ZN7rocprim17ROCPRIM_400000_NS6detail17trampoline_kernelINS0_14default_configENS1_29binary_search_config_selectorIibEEZNS1_14transform_implILb0ES3_S5_N6thrust23THRUST_200600_302600_NS6detail15normal_iteratorINS8_10device_ptrIiEEEENSA_INSB_IbEEEEZNS1_13binary_searchIS3_S5_SD_SD_SF_NS1_16binary_search_opENS9_16wrapped_functionINS0_4lessIvEEbEEEE10hipError_tPvRmT1_T2_T3_mmT4_T5_P12ihipStream_tbEUlRKiE_EESM_SQ_SR_mSS_SV_bEUlT_E_NS1_11comp_targetILNS1_3genE4ELNS1_11target_archE910ELNS1_3gpuE8ELNS1_3repE0EEENS1_30default_config_static_selectorELNS0_4arch9wavefront6targetE1EEEvSP_.has_indirect_call, 0
	.section	.AMDGPU.csdata,"",@progbits
; Kernel info:
; codeLenInByte = 0
; TotalNumSgprs: 4
; NumVgprs: 0
; ScratchSize: 0
; MemoryBound: 0
; FloatMode: 240
; IeeeMode: 1
; LDSByteSize: 0 bytes/workgroup (compile time only)
; SGPRBlocks: 0
; VGPRBlocks: 0
; NumSGPRsForWavesPerEU: 4
; NumVGPRsForWavesPerEU: 1
; Occupancy: 10
; WaveLimiterHint : 0
; COMPUTE_PGM_RSRC2:SCRATCH_EN: 0
; COMPUTE_PGM_RSRC2:USER_SGPR: 6
; COMPUTE_PGM_RSRC2:TRAP_HANDLER: 0
; COMPUTE_PGM_RSRC2:TGID_X_EN: 1
; COMPUTE_PGM_RSRC2:TGID_Y_EN: 0
; COMPUTE_PGM_RSRC2:TGID_Z_EN: 0
; COMPUTE_PGM_RSRC2:TIDIG_COMP_CNT: 0
	.section	.text._ZN7rocprim17ROCPRIM_400000_NS6detail17trampoline_kernelINS0_14default_configENS1_29binary_search_config_selectorIibEEZNS1_14transform_implILb0ES3_S5_N6thrust23THRUST_200600_302600_NS6detail15normal_iteratorINS8_10device_ptrIiEEEENSA_INSB_IbEEEEZNS1_13binary_searchIS3_S5_SD_SD_SF_NS1_16binary_search_opENS9_16wrapped_functionINS0_4lessIvEEbEEEE10hipError_tPvRmT1_T2_T3_mmT4_T5_P12ihipStream_tbEUlRKiE_EESM_SQ_SR_mSS_SV_bEUlT_E_NS1_11comp_targetILNS1_3genE3ELNS1_11target_archE908ELNS1_3gpuE7ELNS1_3repE0EEENS1_30default_config_static_selectorELNS0_4arch9wavefront6targetE1EEEvSP_,"axG",@progbits,_ZN7rocprim17ROCPRIM_400000_NS6detail17trampoline_kernelINS0_14default_configENS1_29binary_search_config_selectorIibEEZNS1_14transform_implILb0ES3_S5_N6thrust23THRUST_200600_302600_NS6detail15normal_iteratorINS8_10device_ptrIiEEEENSA_INSB_IbEEEEZNS1_13binary_searchIS3_S5_SD_SD_SF_NS1_16binary_search_opENS9_16wrapped_functionINS0_4lessIvEEbEEEE10hipError_tPvRmT1_T2_T3_mmT4_T5_P12ihipStream_tbEUlRKiE_EESM_SQ_SR_mSS_SV_bEUlT_E_NS1_11comp_targetILNS1_3genE3ELNS1_11target_archE908ELNS1_3gpuE7ELNS1_3repE0EEENS1_30default_config_static_selectorELNS0_4arch9wavefront6targetE1EEEvSP_,comdat
	.protected	_ZN7rocprim17ROCPRIM_400000_NS6detail17trampoline_kernelINS0_14default_configENS1_29binary_search_config_selectorIibEEZNS1_14transform_implILb0ES3_S5_N6thrust23THRUST_200600_302600_NS6detail15normal_iteratorINS8_10device_ptrIiEEEENSA_INSB_IbEEEEZNS1_13binary_searchIS3_S5_SD_SD_SF_NS1_16binary_search_opENS9_16wrapped_functionINS0_4lessIvEEbEEEE10hipError_tPvRmT1_T2_T3_mmT4_T5_P12ihipStream_tbEUlRKiE_EESM_SQ_SR_mSS_SV_bEUlT_E_NS1_11comp_targetILNS1_3genE3ELNS1_11target_archE908ELNS1_3gpuE7ELNS1_3repE0EEENS1_30default_config_static_selectorELNS0_4arch9wavefront6targetE1EEEvSP_ ; -- Begin function _ZN7rocprim17ROCPRIM_400000_NS6detail17trampoline_kernelINS0_14default_configENS1_29binary_search_config_selectorIibEEZNS1_14transform_implILb0ES3_S5_N6thrust23THRUST_200600_302600_NS6detail15normal_iteratorINS8_10device_ptrIiEEEENSA_INSB_IbEEEEZNS1_13binary_searchIS3_S5_SD_SD_SF_NS1_16binary_search_opENS9_16wrapped_functionINS0_4lessIvEEbEEEE10hipError_tPvRmT1_T2_T3_mmT4_T5_P12ihipStream_tbEUlRKiE_EESM_SQ_SR_mSS_SV_bEUlT_E_NS1_11comp_targetILNS1_3genE3ELNS1_11target_archE908ELNS1_3gpuE7ELNS1_3repE0EEENS1_30default_config_static_selectorELNS0_4arch9wavefront6targetE1EEEvSP_
	.globl	_ZN7rocprim17ROCPRIM_400000_NS6detail17trampoline_kernelINS0_14default_configENS1_29binary_search_config_selectorIibEEZNS1_14transform_implILb0ES3_S5_N6thrust23THRUST_200600_302600_NS6detail15normal_iteratorINS8_10device_ptrIiEEEENSA_INSB_IbEEEEZNS1_13binary_searchIS3_S5_SD_SD_SF_NS1_16binary_search_opENS9_16wrapped_functionINS0_4lessIvEEbEEEE10hipError_tPvRmT1_T2_T3_mmT4_T5_P12ihipStream_tbEUlRKiE_EESM_SQ_SR_mSS_SV_bEUlT_E_NS1_11comp_targetILNS1_3genE3ELNS1_11target_archE908ELNS1_3gpuE7ELNS1_3repE0EEENS1_30default_config_static_selectorELNS0_4arch9wavefront6targetE1EEEvSP_
	.p2align	8
	.type	_ZN7rocprim17ROCPRIM_400000_NS6detail17trampoline_kernelINS0_14default_configENS1_29binary_search_config_selectorIibEEZNS1_14transform_implILb0ES3_S5_N6thrust23THRUST_200600_302600_NS6detail15normal_iteratorINS8_10device_ptrIiEEEENSA_INSB_IbEEEEZNS1_13binary_searchIS3_S5_SD_SD_SF_NS1_16binary_search_opENS9_16wrapped_functionINS0_4lessIvEEbEEEE10hipError_tPvRmT1_T2_T3_mmT4_T5_P12ihipStream_tbEUlRKiE_EESM_SQ_SR_mSS_SV_bEUlT_E_NS1_11comp_targetILNS1_3genE3ELNS1_11target_archE908ELNS1_3gpuE7ELNS1_3repE0EEENS1_30default_config_static_selectorELNS0_4arch9wavefront6targetE1EEEvSP_,@function
_ZN7rocprim17ROCPRIM_400000_NS6detail17trampoline_kernelINS0_14default_configENS1_29binary_search_config_selectorIibEEZNS1_14transform_implILb0ES3_S5_N6thrust23THRUST_200600_302600_NS6detail15normal_iteratorINS8_10device_ptrIiEEEENSA_INSB_IbEEEEZNS1_13binary_searchIS3_S5_SD_SD_SF_NS1_16binary_search_opENS9_16wrapped_functionINS0_4lessIvEEbEEEE10hipError_tPvRmT1_T2_T3_mmT4_T5_P12ihipStream_tbEUlRKiE_EESM_SQ_SR_mSS_SV_bEUlT_E_NS1_11comp_targetILNS1_3genE3ELNS1_11target_archE908ELNS1_3gpuE7ELNS1_3repE0EEENS1_30default_config_static_selectorELNS0_4arch9wavefront6targetE1EEEvSP_: ; @_ZN7rocprim17ROCPRIM_400000_NS6detail17trampoline_kernelINS0_14default_configENS1_29binary_search_config_selectorIibEEZNS1_14transform_implILb0ES3_S5_N6thrust23THRUST_200600_302600_NS6detail15normal_iteratorINS8_10device_ptrIiEEEENSA_INSB_IbEEEEZNS1_13binary_searchIS3_S5_SD_SD_SF_NS1_16binary_search_opENS9_16wrapped_functionINS0_4lessIvEEbEEEE10hipError_tPvRmT1_T2_T3_mmT4_T5_P12ihipStream_tbEUlRKiE_EESM_SQ_SR_mSS_SV_bEUlT_E_NS1_11comp_targetILNS1_3genE3ELNS1_11target_archE908ELNS1_3gpuE7ELNS1_3repE0EEENS1_30default_config_static_selectorELNS0_4arch9wavefront6targetE1EEEvSP_
; %bb.0:
	.section	.rodata,"a",@progbits
	.p2align	6, 0x0
	.amdhsa_kernel _ZN7rocprim17ROCPRIM_400000_NS6detail17trampoline_kernelINS0_14default_configENS1_29binary_search_config_selectorIibEEZNS1_14transform_implILb0ES3_S5_N6thrust23THRUST_200600_302600_NS6detail15normal_iteratorINS8_10device_ptrIiEEEENSA_INSB_IbEEEEZNS1_13binary_searchIS3_S5_SD_SD_SF_NS1_16binary_search_opENS9_16wrapped_functionINS0_4lessIvEEbEEEE10hipError_tPvRmT1_T2_T3_mmT4_T5_P12ihipStream_tbEUlRKiE_EESM_SQ_SR_mSS_SV_bEUlT_E_NS1_11comp_targetILNS1_3genE3ELNS1_11target_archE908ELNS1_3gpuE7ELNS1_3repE0EEENS1_30default_config_static_selectorELNS0_4arch9wavefront6targetE1EEEvSP_
		.amdhsa_group_segment_fixed_size 0
		.amdhsa_private_segment_fixed_size 0
		.amdhsa_kernarg_size 56
		.amdhsa_user_sgpr_count 6
		.amdhsa_user_sgpr_private_segment_buffer 1
		.amdhsa_user_sgpr_dispatch_ptr 0
		.amdhsa_user_sgpr_queue_ptr 0
		.amdhsa_user_sgpr_kernarg_segment_ptr 1
		.amdhsa_user_sgpr_dispatch_id 0
		.amdhsa_user_sgpr_flat_scratch_init 0
		.amdhsa_user_sgpr_private_segment_size 0
		.amdhsa_uses_dynamic_stack 0
		.amdhsa_system_sgpr_private_segment_wavefront_offset 0
		.amdhsa_system_sgpr_workgroup_id_x 1
		.amdhsa_system_sgpr_workgroup_id_y 0
		.amdhsa_system_sgpr_workgroup_id_z 0
		.amdhsa_system_sgpr_workgroup_info 0
		.amdhsa_system_vgpr_workitem_id 0
		.amdhsa_next_free_vgpr 1
		.amdhsa_next_free_sgpr 0
		.amdhsa_reserve_vcc 0
		.amdhsa_reserve_flat_scratch 0
		.amdhsa_float_round_mode_32 0
		.amdhsa_float_round_mode_16_64 0
		.amdhsa_float_denorm_mode_32 3
		.amdhsa_float_denorm_mode_16_64 3
		.amdhsa_dx10_clamp 1
		.amdhsa_ieee_mode 1
		.amdhsa_fp16_overflow 0
		.amdhsa_exception_fp_ieee_invalid_op 0
		.amdhsa_exception_fp_denorm_src 0
		.amdhsa_exception_fp_ieee_div_zero 0
		.amdhsa_exception_fp_ieee_overflow 0
		.amdhsa_exception_fp_ieee_underflow 0
		.amdhsa_exception_fp_ieee_inexact 0
		.amdhsa_exception_int_div_zero 0
	.end_amdhsa_kernel
	.section	.text._ZN7rocprim17ROCPRIM_400000_NS6detail17trampoline_kernelINS0_14default_configENS1_29binary_search_config_selectorIibEEZNS1_14transform_implILb0ES3_S5_N6thrust23THRUST_200600_302600_NS6detail15normal_iteratorINS8_10device_ptrIiEEEENSA_INSB_IbEEEEZNS1_13binary_searchIS3_S5_SD_SD_SF_NS1_16binary_search_opENS9_16wrapped_functionINS0_4lessIvEEbEEEE10hipError_tPvRmT1_T2_T3_mmT4_T5_P12ihipStream_tbEUlRKiE_EESM_SQ_SR_mSS_SV_bEUlT_E_NS1_11comp_targetILNS1_3genE3ELNS1_11target_archE908ELNS1_3gpuE7ELNS1_3repE0EEENS1_30default_config_static_selectorELNS0_4arch9wavefront6targetE1EEEvSP_,"axG",@progbits,_ZN7rocprim17ROCPRIM_400000_NS6detail17trampoline_kernelINS0_14default_configENS1_29binary_search_config_selectorIibEEZNS1_14transform_implILb0ES3_S5_N6thrust23THRUST_200600_302600_NS6detail15normal_iteratorINS8_10device_ptrIiEEEENSA_INSB_IbEEEEZNS1_13binary_searchIS3_S5_SD_SD_SF_NS1_16binary_search_opENS9_16wrapped_functionINS0_4lessIvEEbEEEE10hipError_tPvRmT1_T2_T3_mmT4_T5_P12ihipStream_tbEUlRKiE_EESM_SQ_SR_mSS_SV_bEUlT_E_NS1_11comp_targetILNS1_3genE3ELNS1_11target_archE908ELNS1_3gpuE7ELNS1_3repE0EEENS1_30default_config_static_selectorELNS0_4arch9wavefront6targetE1EEEvSP_,comdat
.Lfunc_end737:
	.size	_ZN7rocprim17ROCPRIM_400000_NS6detail17trampoline_kernelINS0_14default_configENS1_29binary_search_config_selectorIibEEZNS1_14transform_implILb0ES3_S5_N6thrust23THRUST_200600_302600_NS6detail15normal_iteratorINS8_10device_ptrIiEEEENSA_INSB_IbEEEEZNS1_13binary_searchIS3_S5_SD_SD_SF_NS1_16binary_search_opENS9_16wrapped_functionINS0_4lessIvEEbEEEE10hipError_tPvRmT1_T2_T3_mmT4_T5_P12ihipStream_tbEUlRKiE_EESM_SQ_SR_mSS_SV_bEUlT_E_NS1_11comp_targetILNS1_3genE3ELNS1_11target_archE908ELNS1_3gpuE7ELNS1_3repE0EEENS1_30default_config_static_selectorELNS0_4arch9wavefront6targetE1EEEvSP_, .Lfunc_end737-_ZN7rocprim17ROCPRIM_400000_NS6detail17trampoline_kernelINS0_14default_configENS1_29binary_search_config_selectorIibEEZNS1_14transform_implILb0ES3_S5_N6thrust23THRUST_200600_302600_NS6detail15normal_iteratorINS8_10device_ptrIiEEEENSA_INSB_IbEEEEZNS1_13binary_searchIS3_S5_SD_SD_SF_NS1_16binary_search_opENS9_16wrapped_functionINS0_4lessIvEEbEEEE10hipError_tPvRmT1_T2_T3_mmT4_T5_P12ihipStream_tbEUlRKiE_EESM_SQ_SR_mSS_SV_bEUlT_E_NS1_11comp_targetILNS1_3genE3ELNS1_11target_archE908ELNS1_3gpuE7ELNS1_3repE0EEENS1_30default_config_static_selectorELNS0_4arch9wavefront6targetE1EEEvSP_
                                        ; -- End function
	.set _ZN7rocprim17ROCPRIM_400000_NS6detail17trampoline_kernelINS0_14default_configENS1_29binary_search_config_selectorIibEEZNS1_14transform_implILb0ES3_S5_N6thrust23THRUST_200600_302600_NS6detail15normal_iteratorINS8_10device_ptrIiEEEENSA_INSB_IbEEEEZNS1_13binary_searchIS3_S5_SD_SD_SF_NS1_16binary_search_opENS9_16wrapped_functionINS0_4lessIvEEbEEEE10hipError_tPvRmT1_T2_T3_mmT4_T5_P12ihipStream_tbEUlRKiE_EESM_SQ_SR_mSS_SV_bEUlT_E_NS1_11comp_targetILNS1_3genE3ELNS1_11target_archE908ELNS1_3gpuE7ELNS1_3repE0EEENS1_30default_config_static_selectorELNS0_4arch9wavefront6targetE1EEEvSP_.num_vgpr, 0
	.set _ZN7rocprim17ROCPRIM_400000_NS6detail17trampoline_kernelINS0_14default_configENS1_29binary_search_config_selectorIibEEZNS1_14transform_implILb0ES3_S5_N6thrust23THRUST_200600_302600_NS6detail15normal_iteratorINS8_10device_ptrIiEEEENSA_INSB_IbEEEEZNS1_13binary_searchIS3_S5_SD_SD_SF_NS1_16binary_search_opENS9_16wrapped_functionINS0_4lessIvEEbEEEE10hipError_tPvRmT1_T2_T3_mmT4_T5_P12ihipStream_tbEUlRKiE_EESM_SQ_SR_mSS_SV_bEUlT_E_NS1_11comp_targetILNS1_3genE3ELNS1_11target_archE908ELNS1_3gpuE7ELNS1_3repE0EEENS1_30default_config_static_selectorELNS0_4arch9wavefront6targetE1EEEvSP_.num_agpr, 0
	.set _ZN7rocprim17ROCPRIM_400000_NS6detail17trampoline_kernelINS0_14default_configENS1_29binary_search_config_selectorIibEEZNS1_14transform_implILb0ES3_S5_N6thrust23THRUST_200600_302600_NS6detail15normal_iteratorINS8_10device_ptrIiEEEENSA_INSB_IbEEEEZNS1_13binary_searchIS3_S5_SD_SD_SF_NS1_16binary_search_opENS9_16wrapped_functionINS0_4lessIvEEbEEEE10hipError_tPvRmT1_T2_T3_mmT4_T5_P12ihipStream_tbEUlRKiE_EESM_SQ_SR_mSS_SV_bEUlT_E_NS1_11comp_targetILNS1_3genE3ELNS1_11target_archE908ELNS1_3gpuE7ELNS1_3repE0EEENS1_30default_config_static_selectorELNS0_4arch9wavefront6targetE1EEEvSP_.numbered_sgpr, 0
	.set _ZN7rocprim17ROCPRIM_400000_NS6detail17trampoline_kernelINS0_14default_configENS1_29binary_search_config_selectorIibEEZNS1_14transform_implILb0ES3_S5_N6thrust23THRUST_200600_302600_NS6detail15normal_iteratorINS8_10device_ptrIiEEEENSA_INSB_IbEEEEZNS1_13binary_searchIS3_S5_SD_SD_SF_NS1_16binary_search_opENS9_16wrapped_functionINS0_4lessIvEEbEEEE10hipError_tPvRmT1_T2_T3_mmT4_T5_P12ihipStream_tbEUlRKiE_EESM_SQ_SR_mSS_SV_bEUlT_E_NS1_11comp_targetILNS1_3genE3ELNS1_11target_archE908ELNS1_3gpuE7ELNS1_3repE0EEENS1_30default_config_static_selectorELNS0_4arch9wavefront6targetE1EEEvSP_.num_named_barrier, 0
	.set _ZN7rocprim17ROCPRIM_400000_NS6detail17trampoline_kernelINS0_14default_configENS1_29binary_search_config_selectorIibEEZNS1_14transform_implILb0ES3_S5_N6thrust23THRUST_200600_302600_NS6detail15normal_iteratorINS8_10device_ptrIiEEEENSA_INSB_IbEEEEZNS1_13binary_searchIS3_S5_SD_SD_SF_NS1_16binary_search_opENS9_16wrapped_functionINS0_4lessIvEEbEEEE10hipError_tPvRmT1_T2_T3_mmT4_T5_P12ihipStream_tbEUlRKiE_EESM_SQ_SR_mSS_SV_bEUlT_E_NS1_11comp_targetILNS1_3genE3ELNS1_11target_archE908ELNS1_3gpuE7ELNS1_3repE0EEENS1_30default_config_static_selectorELNS0_4arch9wavefront6targetE1EEEvSP_.private_seg_size, 0
	.set _ZN7rocprim17ROCPRIM_400000_NS6detail17trampoline_kernelINS0_14default_configENS1_29binary_search_config_selectorIibEEZNS1_14transform_implILb0ES3_S5_N6thrust23THRUST_200600_302600_NS6detail15normal_iteratorINS8_10device_ptrIiEEEENSA_INSB_IbEEEEZNS1_13binary_searchIS3_S5_SD_SD_SF_NS1_16binary_search_opENS9_16wrapped_functionINS0_4lessIvEEbEEEE10hipError_tPvRmT1_T2_T3_mmT4_T5_P12ihipStream_tbEUlRKiE_EESM_SQ_SR_mSS_SV_bEUlT_E_NS1_11comp_targetILNS1_3genE3ELNS1_11target_archE908ELNS1_3gpuE7ELNS1_3repE0EEENS1_30default_config_static_selectorELNS0_4arch9wavefront6targetE1EEEvSP_.uses_vcc, 0
	.set _ZN7rocprim17ROCPRIM_400000_NS6detail17trampoline_kernelINS0_14default_configENS1_29binary_search_config_selectorIibEEZNS1_14transform_implILb0ES3_S5_N6thrust23THRUST_200600_302600_NS6detail15normal_iteratorINS8_10device_ptrIiEEEENSA_INSB_IbEEEEZNS1_13binary_searchIS3_S5_SD_SD_SF_NS1_16binary_search_opENS9_16wrapped_functionINS0_4lessIvEEbEEEE10hipError_tPvRmT1_T2_T3_mmT4_T5_P12ihipStream_tbEUlRKiE_EESM_SQ_SR_mSS_SV_bEUlT_E_NS1_11comp_targetILNS1_3genE3ELNS1_11target_archE908ELNS1_3gpuE7ELNS1_3repE0EEENS1_30default_config_static_selectorELNS0_4arch9wavefront6targetE1EEEvSP_.uses_flat_scratch, 0
	.set _ZN7rocprim17ROCPRIM_400000_NS6detail17trampoline_kernelINS0_14default_configENS1_29binary_search_config_selectorIibEEZNS1_14transform_implILb0ES3_S5_N6thrust23THRUST_200600_302600_NS6detail15normal_iteratorINS8_10device_ptrIiEEEENSA_INSB_IbEEEEZNS1_13binary_searchIS3_S5_SD_SD_SF_NS1_16binary_search_opENS9_16wrapped_functionINS0_4lessIvEEbEEEE10hipError_tPvRmT1_T2_T3_mmT4_T5_P12ihipStream_tbEUlRKiE_EESM_SQ_SR_mSS_SV_bEUlT_E_NS1_11comp_targetILNS1_3genE3ELNS1_11target_archE908ELNS1_3gpuE7ELNS1_3repE0EEENS1_30default_config_static_selectorELNS0_4arch9wavefront6targetE1EEEvSP_.has_dyn_sized_stack, 0
	.set _ZN7rocprim17ROCPRIM_400000_NS6detail17trampoline_kernelINS0_14default_configENS1_29binary_search_config_selectorIibEEZNS1_14transform_implILb0ES3_S5_N6thrust23THRUST_200600_302600_NS6detail15normal_iteratorINS8_10device_ptrIiEEEENSA_INSB_IbEEEEZNS1_13binary_searchIS3_S5_SD_SD_SF_NS1_16binary_search_opENS9_16wrapped_functionINS0_4lessIvEEbEEEE10hipError_tPvRmT1_T2_T3_mmT4_T5_P12ihipStream_tbEUlRKiE_EESM_SQ_SR_mSS_SV_bEUlT_E_NS1_11comp_targetILNS1_3genE3ELNS1_11target_archE908ELNS1_3gpuE7ELNS1_3repE0EEENS1_30default_config_static_selectorELNS0_4arch9wavefront6targetE1EEEvSP_.has_recursion, 0
	.set _ZN7rocprim17ROCPRIM_400000_NS6detail17trampoline_kernelINS0_14default_configENS1_29binary_search_config_selectorIibEEZNS1_14transform_implILb0ES3_S5_N6thrust23THRUST_200600_302600_NS6detail15normal_iteratorINS8_10device_ptrIiEEEENSA_INSB_IbEEEEZNS1_13binary_searchIS3_S5_SD_SD_SF_NS1_16binary_search_opENS9_16wrapped_functionINS0_4lessIvEEbEEEE10hipError_tPvRmT1_T2_T3_mmT4_T5_P12ihipStream_tbEUlRKiE_EESM_SQ_SR_mSS_SV_bEUlT_E_NS1_11comp_targetILNS1_3genE3ELNS1_11target_archE908ELNS1_3gpuE7ELNS1_3repE0EEENS1_30default_config_static_selectorELNS0_4arch9wavefront6targetE1EEEvSP_.has_indirect_call, 0
	.section	.AMDGPU.csdata,"",@progbits
; Kernel info:
; codeLenInByte = 0
; TotalNumSgprs: 4
; NumVgprs: 0
; ScratchSize: 0
; MemoryBound: 0
; FloatMode: 240
; IeeeMode: 1
; LDSByteSize: 0 bytes/workgroup (compile time only)
; SGPRBlocks: 0
; VGPRBlocks: 0
; NumSGPRsForWavesPerEU: 4
; NumVGPRsForWavesPerEU: 1
; Occupancy: 10
; WaveLimiterHint : 0
; COMPUTE_PGM_RSRC2:SCRATCH_EN: 0
; COMPUTE_PGM_RSRC2:USER_SGPR: 6
; COMPUTE_PGM_RSRC2:TRAP_HANDLER: 0
; COMPUTE_PGM_RSRC2:TGID_X_EN: 1
; COMPUTE_PGM_RSRC2:TGID_Y_EN: 0
; COMPUTE_PGM_RSRC2:TGID_Z_EN: 0
; COMPUTE_PGM_RSRC2:TIDIG_COMP_CNT: 0
	.section	.text._ZN7rocprim17ROCPRIM_400000_NS6detail17trampoline_kernelINS0_14default_configENS1_29binary_search_config_selectorIibEEZNS1_14transform_implILb0ES3_S5_N6thrust23THRUST_200600_302600_NS6detail15normal_iteratorINS8_10device_ptrIiEEEENSA_INSB_IbEEEEZNS1_13binary_searchIS3_S5_SD_SD_SF_NS1_16binary_search_opENS9_16wrapped_functionINS0_4lessIvEEbEEEE10hipError_tPvRmT1_T2_T3_mmT4_T5_P12ihipStream_tbEUlRKiE_EESM_SQ_SR_mSS_SV_bEUlT_E_NS1_11comp_targetILNS1_3genE2ELNS1_11target_archE906ELNS1_3gpuE6ELNS1_3repE0EEENS1_30default_config_static_selectorELNS0_4arch9wavefront6targetE1EEEvSP_,"axG",@progbits,_ZN7rocprim17ROCPRIM_400000_NS6detail17trampoline_kernelINS0_14default_configENS1_29binary_search_config_selectorIibEEZNS1_14transform_implILb0ES3_S5_N6thrust23THRUST_200600_302600_NS6detail15normal_iteratorINS8_10device_ptrIiEEEENSA_INSB_IbEEEEZNS1_13binary_searchIS3_S5_SD_SD_SF_NS1_16binary_search_opENS9_16wrapped_functionINS0_4lessIvEEbEEEE10hipError_tPvRmT1_T2_T3_mmT4_T5_P12ihipStream_tbEUlRKiE_EESM_SQ_SR_mSS_SV_bEUlT_E_NS1_11comp_targetILNS1_3genE2ELNS1_11target_archE906ELNS1_3gpuE6ELNS1_3repE0EEENS1_30default_config_static_selectorELNS0_4arch9wavefront6targetE1EEEvSP_,comdat
	.protected	_ZN7rocprim17ROCPRIM_400000_NS6detail17trampoline_kernelINS0_14default_configENS1_29binary_search_config_selectorIibEEZNS1_14transform_implILb0ES3_S5_N6thrust23THRUST_200600_302600_NS6detail15normal_iteratorINS8_10device_ptrIiEEEENSA_INSB_IbEEEEZNS1_13binary_searchIS3_S5_SD_SD_SF_NS1_16binary_search_opENS9_16wrapped_functionINS0_4lessIvEEbEEEE10hipError_tPvRmT1_T2_T3_mmT4_T5_P12ihipStream_tbEUlRKiE_EESM_SQ_SR_mSS_SV_bEUlT_E_NS1_11comp_targetILNS1_3genE2ELNS1_11target_archE906ELNS1_3gpuE6ELNS1_3repE0EEENS1_30default_config_static_selectorELNS0_4arch9wavefront6targetE1EEEvSP_ ; -- Begin function _ZN7rocprim17ROCPRIM_400000_NS6detail17trampoline_kernelINS0_14default_configENS1_29binary_search_config_selectorIibEEZNS1_14transform_implILb0ES3_S5_N6thrust23THRUST_200600_302600_NS6detail15normal_iteratorINS8_10device_ptrIiEEEENSA_INSB_IbEEEEZNS1_13binary_searchIS3_S5_SD_SD_SF_NS1_16binary_search_opENS9_16wrapped_functionINS0_4lessIvEEbEEEE10hipError_tPvRmT1_T2_T3_mmT4_T5_P12ihipStream_tbEUlRKiE_EESM_SQ_SR_mSS_SV_bEUlT_E_NS1_11comp_targetILNS1_3genE2ELNS1_11target_archE906ELNS1_3gpuE6ELNS1_3repE0EEENS1_30default_config_static_selectorELNS0_4arch9wavefront6targetE1EEEvSP_
	.globl	_ZN7rocprim17ROCPRIM_400000_NS6detail17trampoline_kernelINS0_14default_configENS1_29binary_search_config_selectorIibEEZNS1_14transform_implILb0ES3_S5_N6thrust23THRUST_200600_302600_NS6detail15normal_iteratorINS8_10device_ptrIiEEEENSA_INSB_IbEEEEZNS1_13binary_searchIS3_S5_SD_SD_SF_NS1_16binary_search_opENS9_16wrapped_functionINS0_4lessIvEEbEEEE10hipError_tPvRmT1_T2_T3_mmT4_T5_P12ihipStream_tbEUlRKiE_EESM_SQ_SR_mSS_SV_bEUlT_E_NS1_11comp_targetILNS1_3genE2ELNS1_11target_archE906ELNS1_3gpuE6ELNS1_3repE0EEENS1_30default_config_static_selectorELNS0_4arch9wavefront6targetE1EEEvSP_
	.p2align	8
	.type	_ZN7rocprim17ROCPRIM_400000_NS6detail17trampoline_kernelINS0_14default_configENS1_29binary_search_config_selectorIibEEZNS1_14transform_implILb0ES3_S5_N6thrust23THRUST_200600_302600_NS6detail15normal_iteratorINS8_10device_ptrIiEEEENSA_INSB_IbEEEEZNS1_13binary_searchIS3_S5_SD_SD_SF_NS1_16binary_search_opENS9_16wrapped_functionINS0_4lessIvEEbEEEE10hipError_tPvRmT1_T2_T3_mmT4_T5_P12ihipStream_tbEUlRKiE_EESM_SQ_SR_mSS_SV_bEUlT_E_NS1_11comp_targetILNS1_3genE2ELNS1_11target_archE906ELNS1_3gpuE6ELNS1_3repE0EEENS1_30default_config_static_selectorELNS0_4arch9wavefront6targetE1EEEvSP_,@function
_ZN7rocprim17ROCPRIM_400000_NS6detail17trampoline_kernelINS0_14default_configENS1_29binary_search_config_selectorIibEEZNS1_14transform_implILb0ES3_S5_N6thrust23THRUST_200600_302600_NS6detail15normal_iteratorINS8_10device_ptrIiEEEENSA_INSB_IbEEEEZNS1_13binary_searchIS3_S5_SD_SD_SF_NS1_16binary_search_opENS9_16wrapped_functionINS0_4lessIvEEbEEEE10hipError_tPvRmT1_T2_T3_mmT4_T5_P12ihipStream_tbEUlRKiE_EESM_SQ_SR_mSS_SV_bEUlT_E_NS1_11comp_targetILNS1_3genE2ELNS1_11target_archE906ELNS1_3gpuE6ELNS1_3repE0EEENS1_30default_config_static_selectorELNS0_4arch9wavefront6targetE1EEEvSP_: ; @_ZN7rocprim17ROCPRIM_400000_NS6detail17trampoline_kernelINS0_14default_configENS1_29binary_search_config_selectorIibEEZNS1_14transform_implILb0ES3_S5_N6thrust23THRUST_200600_302600_NS6detail15normal_iteratorINS8_10device_ptrIiEEEENSA_INSB_IbEEEEZNS1_13binary_searchIS3_S5_SD_SD_SF_NS1_16binary_search_opENS9_16wrapped_functionINS0_4lessIvEEbEEEE10hipError_tPvRmT1_T2_T3_mmT4_T5_P12ihipStream_tbEUlRKiE_EESM_SQ_SR_mSS_SV_bEUlT_E_NS1_11comp_targetILNS1_3genE2ELNS1_11target_archE906ELNS1_3gpuE6ELNS1_3repE0EEENS1_30default_config_static_selectorELNS0_4arch9wavefront6targetE1EEEvSP_
; %bb.0:
	s_load_dwordx4 s[0:3], s[4:5], 0x0
	s_load_dwordx4 s[8:11], s[4:5], 0x18
	s_load_dwordx2 s[14:15], s[4:5], 0x28
	s_load_dword s7, s[4:5], 0x38
	s_waitcnt lgkmcnt(0)
	s_lshl_b64 s[12:13], s[2:3], 2
	s_add_u32 s18, s0, s12
	s_addc_u32 s19, s1, s13
	s_lshl_b32 s12, s6, 8
	s_add_i32 s7, s7, -1
	s_cmp_lg_u32 s6, s7
	s_mov_b32 s13, 0
	s_cbranch_scc0 .LBB738_6
; %bb.1:
	s_lshl_b64 s[0:1], s[12:13], 2
	s_add_u32 s0, s18, s0
	s_addc_u32 s1, s19, s1
	v_lshlrev_b32_e32 v1, 2, v0
	v_mov_b32_e32 v2, s1
	v_add_co_u32_e32 v1, vcc, s0, v1
	v_addc_co_u32_e32 v2, vcc, 0, v2, vcc
	flat_load_dword v6, v[1:2]
	v_mov_b32_e32 v1, 0
	v_mov_b32_e32 v5, 0
	s_cmp_eq_u64 s[14:15], 0
	s_mov_b64 s[0:1], 0
	v_mov_b32_e32 v2, 0
	s_cbranch_scc1 .LBB738_5
; %bb.2:
	v_mov_b32_e32 v3, s14
	v_mov_b32_e32 v4, s15
	;; [unrolled: 1-line block ×3, first 2 shown]
.LBB738_3:                              ; =>This Inner Loop Header: Depth=1
	v_sub_co_u32_e32 v8, vcc, v3, v1
	v_subb_co_u32_e32 v9, vcc, v4, v2, vcc
	v_lshrrev_b64 v[10:11], 1, v[8:9]
	v_lshrrev_b64 v[8:9], 6, v[8:9]
	v_add_co_u32_e32 v10, vcc, v10, v1
	v_addc_co_u32_e32 v11, vcc, v11, v2, vcc
	v_add_co_u32_e32 v8, vcc, v10, v8
	v_addc_co_u32_e32 v9, vcc, v11, v9, vcc
	v_lshlrev_b64 v[10:11], 2, v[8:9]
	v_add_co_u32_e32 v10, vcc, s10, v10
	v_addc_co_u32_e32 v11, vcc, v7, v11, vcc
	global_load_dword v10, v[10:11], off
	v_add_co_u32_e32 v11, vcc, 1, v8
	v_addc_co_u32_e32 v12, vcc, 0, v9, vcc
	s_waitcnt vmcnt(0) lgkmcnt(0)
	v_cmp_lt_i32_e32 vcc, v10, v6
	v_cndmask_b32_e32 v4, v9, v4, vcc
	v_cndmask_b32_e32 v3, v8, v3, vcc
	v_cndmask_b32_e32 v2, v2, v12, vcc
	v_cndmask_b32_e32 v1, v1, v11, vcc
	v_cmp_ge_u64_e32 vcc, v[1:2], v[3:4]
	s_or_b64 s[0:1], vcc, s[0:1]
	s_andn2_b64 exec, exec, s[0:1]
	s_cbranch_execnz .LBB738_3
; %bb.4:
	s_or_b64 exec, exec, s[0:1]
.LBB738_5:
	v_cmp_eq_u64_e64 s[6:7], s[14:15], v[1:2]
	v_cmp_ne_u64_e64 s[16:17], s[14:15], v[1:2]
	s_branch .LBB738_14
.LBB738_6:
	s_mov_b64 s[16:17], 0
	s_mov_b64 s[6:7], 0
                                        ; implicit-def: $vgpr6
                                        ; implicit-def: $vgpr1_vgpr2
                                        ; implicit-def: $vgpr5
	s_cbranch_execz .LBB738_14
; %bb.7:
	s_load_dword s0, s[4:5], 0x10
                                        ; implicit-def: $vgpr6
                                        ; implicit-def: $vgpr1_vgpr2
	s_waitcnt lgkmcnt(0)
	s_sub_i32 s0, s0, s12
	v_cmp_gt_u32_e32 vcc, s0, v0
	s_and_saveexec_b64 s[4:5], vcc
                                        ; implicit-def: $vgpr5
	s_cbranch_execz .LBB738_13
; %bb.8:
	s_lshl_b64 s[0:1], s[12:13], 2
	s_add_u32 s0, s18, s0
	s_addc_u32 s1, s19, s1
	v_lshlrev_b32_e32 v1, 2, v0
	v_mov_b32_e32 v2, s1
	v_add_co_u32_e32 v1, vcc, s0, v1
	v_addc_co_u32_e32 v2, vcc, 0, v2, vcc
	s_waitcnt vmcnt(0)
	flat_load_dword v6, v[1:2]
	v_mov_b32_e32 v1, 0
	v_mov_b32_e32 v5, 0
	s_cmp_eq_u64 s[14:15], 0
	s_mov_b64 s[0:1], 0
	v_mov_b32_e32 v2, 0
	s_cbranch_scc1 .LBB738_12
; %bb.9:
	v_mov_b32_e32 v3, s14
	v_mov_b32_e32 v4, s15
	;; [unrolled: 1-line block ×3, first 2 shown]
.LBB738_10:                             ; =>This Inner Loop Header: Depth=1
	v_sub_co_u32_e32 v8, vcc, v3, v1
	v_subb_co_u32_e32 v9, vcc, v4, v2, vcc
	v_lshrrev_b64 v[10:11], 1, v[8:9]
	v_lshrrev_b64 v[8:9], 6, v[8:9]
	v_add_co_u32_e32 v10, vcc, v10, v1
	v_addc_co_u32_e32 v11, vcc, v11, v2, vcc
	v_add_co_u32_e32 v8, vcc, v10, v8
	v_addc_co_u32_e32 v9, vcc, v11, v9, vcc
	v_lshlrev_b64 v[10:11], 2, v[8:9]
	v_add_co_u32_e32 v10, vcc, s10, v10
	v_addc_co_u32_e32 v11, vcc, v7, v11, vcc
	global_load_dword v10, v[10:11], off
	v_add_co_u32_e32 v11, vcc, 1, v8
	v_addc_co_u32_e32 v12, vcc, 0, v9, vcc
	s_waitcnt vmcnt(0) lgkmcnt(0)
	v_cmp_lt_i32_e32 vcc, v10, v6
	v_cndmask_b32_e32 v4, v9, v4, vcc
	v_cndmask_b32_e32 v3, v8, v3, vcc
	;; [unrolled: 1-line block ×4, first 2 shown]
	v_cmp_ge_u64_e32 vcc, v[1:2], v[3:4]
	s_or_b64 s[0:1], vcc, s[0:1]
	s_andn2_b64 exec, exec, s[0:1]
	s_cbranch_execnz .LBB738_10
; %bb.11:
	s_or_b64 exec, exec, s[0:1]
.LBB738_12:
	v_cmp_eq_u64_e32 vcc, s[14:15], v[1:2]
	v_cmp_ne_u64_e64 s[0:1], s[14:15], v[1:2]
	s_andn2_b64 s[6:7], s[6:7], exec
	s_and_b64 s[14:15], vcc, exec
	s_or_b64 s[6:7], s[6:7], s[14:15]
	s_andn2_b64 s[14:15], s[16:17], exec
	s_and_b64 s[0:1], s[0:1], exec
	s_or_b64 s[16:17], s[14:15], s[0:1]
.LBB738_13:
	s_or_b64 exec, exec, s[4:5]
.LBB738_14:
	s_mov_b64 s[0:1], 0
	s_and_saveexec_b64 s[4:5], s[16:17]
	s_cbranch_execnz .LBB738_17
; %bb.15:
	s_or_b64 exec, exec, s[4:5]
	s_and_saveexec_b64 s[4:5], s[6:7]
	s_cbranch_execnz .LBB738_18
.LBB738_16:
	s_endpgm
.LBB738_17:
	v_lshlrev_b64 v[1:2], 2, v[1:2]
	v_mov_b32_e32 v3, s11
	v_add_co_u32_e32 v1, vcc, s10, v1
	v_addc_co_u32_e32 v2, vcc, v3, v2, vcc
	global_load_dword v1, v[1:2], off
	s_or_b64 s[6:7], s[6:7], exec
	s_waitcnt vmcnt(0) lgkmcnt(0)
	v_cmp_ge_i32_e32 vcc, v6, v1
	s_and_b64 s[0:1], vcc, exec
	s_or_b64 exec, exec, s[4:5]
	s_and_saveexec_b64 s[4:5], s[6:7]
	s_cbranch_execz .LBB738_16
.LBB738_18:
	s_add_u32 s2, s8, s2
	s_addc_u32 s3, s9, s3
	v_cndmask_b32_e64 v2, 0, 1, s[0:1]
	s_add_u32 s0, s2, s12
	s_addc_u32 s1, s3, 0
	v_mov_b32_e32 v1, s1
	v_add_co_u32_e32 v0, vcc, s0, v0
	v_addc_co_u32_e32 v1, vcc, v1, v5, vcc
	flat_store_byte v[0:1], v2
	s_endpgm
	.section	.rodata,"a",@progbits
	.p2align	6, 0x0
	.amdhsa_kernel _ZN7rocprim17ROCPRIM_400000_NS6detail17trampoline_kernelINS0_14default_configENS1_29binary_search_config_selectorIibEEZNS1_14transform_implILb0ES3_S5_N6thrust23THRUST_200600_302600_NS6detail15normal_iteratorINS8_10device_ptrIiEEEENSA_INSB_IbEEEEZNS1_13binary_searchIS3_S5_SD_SD_SF_NS1_16binary_search_opENS9_16wrapped_functionINS0_4lessIvEEbEEEE10hipError_tPvRmT1_T2_T3_mmT4_T5_P12ihipStream_tbEUlRKiE_EESM_SQ_SR_mSS_SV_bEUlT_E_NS1_11comp_targetILNS1_3genE2ELNS1_11target_archE906ELNS1_3gpuE6ELNS1_3repE0EEENS1_30default_config_static_selectorELNS0_4arch9wavefront6targetE1EEEvSP_
		.amdhsa_group_segment_fixed_size 0
		.amdhsa_private_segment_fixed_size 0
		.amdhsa_kernarg_size 312
		.amdhsa_user_sgpr_count 6
		.amdhsa_user_sgpr_private_segment_buffer 1
		.amdhsa_user_sgpr_dispatch_ptr 0
		.amdhsa_user_sgpr_queue_ptr 0
		.amdhsa_user_sgpr_kernarg_segment_ptr 1
		.amdhsa_user_sgpr_dispatch_id 0
		.amdhsa_user_sgpr_flat_scratch_init 0
		.amdhsa_user_sgpr_private_segment_size 0
		.amdhsa_uses_dynamic_stack 0
		.amdhsa_system_sgpr_private_segment_wavefront_offset 0
		.amdhsa_system_sgpr_workgroup_id_x 1
		.amdhsa_system_sgpr_workgroup_id_y 0
		.amdhsa_system_sgpr_workgroup_id_z 0
		.amdhsa_system_sgpr_workgroup_info 0
		.amdhsa_system_vgpr_workitem_id 0
		.amdhsa_next_free_vgpr 13
		.amdhsa_next_free_sgpr 20
		.amdhsa_reserve_vcc 1
		.amdhsa_reserve_flat_scratch 0
		.amdhsa_float_round_mode_32 0
		.amdhsa_float_round_mode_16_64 0
		.amdhsa_float_denorm_mode_32 3
		.amdhsa_float_denorm_mode_16_64 3
		.amdhsa_dx10_clamp 1
		.amdhsa_ieee_mode 1
		.amdhsa_fp16_overflow 0
		.amdhsa_exception_fp_ieee_invalid_op 0
		.amdhsa_exception_fp_denorm_src 0
		.amdhsa_exception_fp_ieee_div_zero 0
		.amdhsa_exception_fp_ieee_overflow 0
		.amdhsa_exception_fp_ieee_underflow 0
		.amdhsa_exception_fp_ieee_inexact 0
		.amdhsa_exception_int_div_zero 0
	.end_amdhsa_kernel
	.section	.text._ZN7rocprim17ROCPRIM_400000_NS6detail17trampoline_kernelINS0_14default_configENS1_29binary_search_config_selectorIibEEZNS1_14transform_implILb0ES3_S5_N6thrust23THRUST_200600_302600_NS6detail15normal_iteratorINS8_10device_ptrIiEEEENSA_INSB_IbEEEEZNS1_13binary_searchIS3_S5_SD_SD_SF_NS1_16binary_search_opENS9_16wrapped_functionINS0_4lessIvEEbEEEE10hipError_tPvRmT1_T2_T3_mmT4_T5_P12ihipStream_tbEUlRKiE_EESM_SQ_SR_mSS_SV_bEUlT_E_NS1_11comp_targetILNS1_3genE2ELNS1_11target_archE906ELNS1_3gpuE6ELNS1_3repE0EEENS1_30default_config_static_selectorELNS0_4arch9wavefront6targetE1EEEvSP_,"axG",@progbits,_ZN7rocprim17ROCPRIM_400000_NS6detail17trampoline_kernelINS0_14default_configENS1_29binary_search_config_selectorIibEEZNS1_14transform_implILb0ES3_S5_N6thrust23THRUST_200600_302600_NS6detail15normal_iteratorINS8_10device_ptrIiEEEENSA_INSB_IbEEEEZNS1_13binary_searchIS3_S5_SD_SD_SF_NS1_16binary_search_opENS9_16wrapped_functionINS0_4lessIvEEbEEEE10hipError_tPvRmT1_T2_T3_mmT4_T5_P12ihipStream_tbEUlRKiE_EESM_SQ_SR_mSS_SV_bEUlT_E_NS1_11comp_targetILNS1_3genE2ELNS1_11target_archE906ELNS1_3gpuE6ELNS1_3repE0EEENS1_30default_config_static_selectorELNS0_4arch9wavefront6targetE1EEEvSP_,comdat
.Lfunc_end738:
	.size	_ZN7rocprim17ROCPRIM_400000_NS6detail17trampoline_kernelINS0_14default_configENS1_29binary_search_config_selectorIibEEZNS1_14transform_implILb0ES3_S5_N6thrust23THRUST_200600_302600_NS6detail15normal_iteratorINS8_10device_ptrIiEEEENSA_INSB_IbEEEEZNS1_13binary_searchIS3_S5_SD_SD_SF_NS1_16binary_search_opENS9_16wrapped_functionINS0_4lessIvEEbEEEE10hipError_tPvRmT1_T2_T3_mmT4_T5_P12ihipStream_tbEUlRKiE_EESM_SQ_SR_mSS_SV_bEUlT_E_NS1_11comp_targetILNS1_3genE2ELNS1_11target_archE906ELNS1_3gpuE6ELNS1_3repE0EEENS1_30default_config_static_selectorELNS0_4arch9wavefront6targetE1EEEvSP_, .Lfunc_end738-_ZN7rocprim17ROCPRIM_400000_NS6detail17trampoline_kernelINS0_14default_configENS1_29binary_search_config_selectorIibEEZNS1_14transform_implILb0ES3_S5_N6thrust23THRUST_200600_302600_NS6detail15normal_iteratorINS8_10device_ptrIiEEEENSA_INSB_IbEEEEZNS1_13binary_searchIS3_S5_SD_SD_SF_NS1_16binary_search_opENS9_16wrapped_functionINS0_4lessIvEEbEEEE10hipError_tPvRmT1_T2_T3_mmT4_T5_P12ihipStream_tbEUlRKiE_EESM_SQ_SR_mSS_SV_bEUlT_E_NS1_11comp_targetILNS1_3genE2ELNS1_11target_archE906ELNS1_3gpuE6ELNS1_3repE0EEENS1_30default_config_static_selectorELNS0_4arch9wavefront6targetE1EEEvSP_
                                        ; -- End function
	.set _ZN7rocprim17ROCPRIM_400000_NS6detail17trampoline_kernelINS0_14default_configENS1_29binary_search_config_selectorIibEEZNS1_14transform_implILb0ES3_S5_N6thrust23THRUST_200600_302600_NS6detail15normal_iteratorINS8_10device_ptrIiEEEENSA_INSB_IbEEEEZNS1_13binary_searchIS3_S5_SD_SD_SF_NS1_16binary_search_opENS9_16wrapped_functionINS0_4lessIvEEbEEEE10hipError_tPvRmT1_T2_T3_mmT4_T5_P12ihipStream_tbEUlRKiE_EESM_SQ_SR_mSS_SV_bEUlT_E_NS1_11comp_targetILNS1_3genE2ELNS1_11target_archE906ELNS1_3gpuE6ELNS1_3repE0EEENS1_30default_config_static_selectorELNS0_4arch9wavefront6targetE1EEEvSP_.num_vgpr, 13
	.set _ZN7rocprim17ROCPRIM_400000_NS6detail17trampoline_kernelINS0_14default_configENS1_29binary_search_config_selectorIibEEZNS1_14transform_implILb0ES3_S5_N6thrust23THRUST_200600_302600_NS6detail15normal_iteratorINS8_10device_ptrIiEEEENSA_INSB_IbEEEEZNS1_13binary_searchIS3_S5_SD_SD_SF_NS1_16binary_search_opENS9_16wrapped_functionINS0_4lessIvEEbEEEE10hipError_tPvRmT1_T2_T3_mmT4_T5_P12ihipStream_tbEUlRKiE_EESM_SQ_SR_mSS_SV_bEUlT_E_NS1_11comp_targetILNS1_3genE2ELNS1_11target_archE906ELNS1_3gpuE6ELNS1_3repE0EEENS1_30default_config_static_selectorELNS0_4arch9wavefront6targetE1EEEvSP_.num_agpr, 0
	.set _ZN7rocprim17ROCPRIM_400000_NS6detail17trampoline_kernelINS0_14default_configENS1_29binary_search_config_selectorIibEEZNS1_14transform_implILb0ES3_S5_N6thrust23THRUST_200600_302600_NS6detail15normal_iteratorINS8_10device_ptrIiEEEENSA_INSB_IbEEEEZNS1_13binary_searchIS3_S5_SD_SD_SF_NS1_16binary_search_opENS9_16wrapped_functionINS0_4lessIvEEbEEEE10hipError_tPvRmT1_T2_T3_mmT4_T5_P12ihipStream_tbEUlRKiE_EESM_SQ_SR_mSS_SV_bEUlT_E_NS1_11comp_targetILNS1_3genE2ELNS1_11target_archE906ELNS1_3gpuE6ELNS1_3repE0EEENS1_30default_config_static_selectorELNS0_4arch9wavefront6targetE1EEEvSP_.numbered_sgpr, 20
	.set _ZN7rocprim17ROCPRIM_400000_NS6detail17trampoline_kernelINS0_14default_configENS1_29binary_search_config_selectorIibEEZNS1_14transform_implILb0ES3_S5_N6thrust23THRUST_200600_302600_NS6detail15normal_iteratorINS8_10device_ptrIiEEEENSA_INSB_IbEEEEZNS1_13binary_searchIS3_S5_SD_SD_SF_NS1_16binary_search_opENS9_16wrapped_functionINS0_4lessIvEEbEEEE10hipError_tPvRmT1_T2_T3_mmT4_T5_P12ihipStream_tbEUlRKiE_EESM_SQ_SR_mSS_SV_bEUlT_E_NS1_11comp_targetILNS1_3genE2ELNS1_11target_archE906ELNS1_3gpuE6ELNS1_3repE0EEENS1_30default_config_static_selectorELNS0_4arch9wavefront6targetE1EEEvSP_.num_named_barrier, 0
	.set _ZN7rocprim17ROCPRIM_400000_NS6detail17trampoline_kernelINS0_14default_configENS1_29binary_search_config_selectorIibEEZNS1_14transform_implILb0ES3_S5_N6thrust23THRUST_200600_302600_NS6detail15normal_iteratorINS8_10device_ptrIiEEEENSA_INSB_IbEEEEZNS1_13binary_searchIS3_S5_SD_SD_SF_NS1_16binary_search_opENS9_16wrapped_functionINS0_4lessIvEEbEEEE10hipError_tPvRmT1_T2_T3_mmT4_T5_P12ihipStream_tbEUlRKiE_EESM_SQ_SR_mSS_SV_bEUlT_E_NS1_11comp_targetILNS1_3genE2ELNS1_11target_archE906ELNS1_3gpuE6ELNS1_3repE0EEENS1_30default_config_static_selectorELNS0_4arch9wavefront6targetE1EEEvSP_.private_seg_size, 0
	.set _ZN7rocprim17ROCPRIM_400000_NS6detail17trampoline_kernelINS0_14default_configENS1_29binary_search_config_selectorIibEEZNS1_14transform_implILb0ES3_S5_N6thrust23THRUST_200600_302600_NS6detail15normal_iteratorINS8_10device_ptrIiEEEENSA_INSB_IbEEEEZNS1_13binary_searchIS3_S5_SD_SD_SF_NS1_16binary_search_opENS9_16wrapped_functionINS0_4lessIvEEbEEEE10hipError_tPvRmT1_T2_T3_mmT4_T5_P12ihipStream_tbEUlRKiE_EESM_SQ_SR_mSS_SV_bEUlT_E_NS1_11comp_targetILNS1_3genE2ELNS1_11target_archE906ELNS1_3gpuE6ELNS1_3repE0EEENS1_30default_config_static_selectorELNS0_4arch9wavefront6targetE1EEEvSP_.uses_vcc, 1
	.set _ZN7rocprim17ROCPRIM_400000_NS6detail17trampoline_kernelINS0_14default_configENS1_29binary_search_config_selectorIibEEZNS1_14transform_implILb0ES3_S5_N6thrust23THRUST_200600_302600_NS6detail15normal_iteratorINS8_10device_ptrIiEEEENSA_INSB_IbEEEEZNS1_13binary_searchIS3_S5_SD_SD_SF_NS1_16binary_search_opENS9_16wrapped_functionINS0_4lessIvEEbEEEE10hipError_tPvRmT1_T2_T3_mmT4_T5_P12ihipStream_tbEUlRKiE_EESM_SQ_SR_mSS_SV_bEUlT_E_NS1_11comp_targetILNS1_3genE2ELNS1_11target_archE906ELNS1_3gpuE6ELNS1_3repE0EEENS1_30default_config_static_selectorELNS0_4arch9wavefront6targetE1EEEvSP_.uses_flat_scratch, 0
	.set _ZN7rocprim17ROCPRIM_400000_NS6detail17trampoline_kernelINS0_14default_configENS1_29binary_search_config_selectorIibEEZNS1_14transform_implILb0ES3_S5_N6thrust23THRUST_200600_302600_NS6detail15normal_iteratorINS8_10device_ptrIiEEEENSA_INSB_IbEEEEZNS1_13binary_searchIS3_S5_SD_SD_SF_NS1_16binary_search_opENS9_16wrapped_functionINS0_4lessIvEEbEEEE10hipError_tPvRmT1_T2_T3_mmT4_T5_P12ihipStream_tbEUlRKiE_EESM_SQ_SR_mSS_SV_bEUlT_E_NS1_11comp_targetILNS1_3genE2ELNS1_11target_archE906ELNS1_3gpuE6ELNS1_3repE0EEENS1_30default_config_static_selectorELNS0_4arch9wavefront6targetE1EEEvSP_.has_dyn_sized_stack, 0
	.set _ZN7rocprim17ROCPRIM_400000_NS6detail17trampoline_kernelINS0_14default_configENS1_29binary_search_config_selectorIibEEZNS1_14transform_implILb0ES3_S5_N6thrust23THRUST_200600_302600_NS6detail15normal_iteratorINS8_10device_ptrIiEEEENSA_INSB_IbEEEEZNS1_13binary_searchIS3_S5_SD_SD_SF_NS1_16binary_search_opENS9_16wrapped_functionINS0_4lessIvEEbEEEE10hipError_tPvRmT1_T2_T3_mmT4_T5_P12ihipStream_tbEUlRKiE_EESM_SQ_SR_mSS_SV_bEUlT_E_NS1_11comp_targetILNS1_3genE2ELNS1_11target_archE906ELNS1_3gpuE6ELNS1_3repE0EEENS1_30default_config_static_selectorELNS0_4arch9wavefront6targetE1EEEvSP_.has_recursion, 0
	.set _ZN7rocprim17ROCPRIM_400000_NS6detail17trampoline_kernelINS0_14default_configENS1_29binary_search_config_selectorIibEEZNS1_14transform_implILb0ES3_S5_N6thrust23THRUST_200600_302600_NS6detail15normal_iteratorINS8_10device_ptrIiEEEENSA_INSB_IbEEEEZNS1_13binary_searchIS3_S5_SD_SD_SF_NS1_16binary_search_opENS9_16wrapped_functionINS0_4lessIvEEbEEEE10hipError_tPvRmT1_T2_T3_mmT4_T5_P12ihipStream_tbEUlRKiE_EESM_SQ_SR_mSS_SV_bEUlT_E_NS1_11comp_targetILNS1_3genE2ELNS1_11target_archE906ELNS1_3gpuE6ELNS1_3repE0EEENS1_30default_config_static_selectorELNS0_4arch9wavefront6targetE1EEEvSP_.has_indirect_call, 0
	.section	.AMDGPU.csdata,"",@progbits
; Kernel info:
; codeLenInByte = 680
; TotalNumSgprs: 24
; NumVgprs: 13
; ScratchSize: 0
; MemoryBound: 0
; FloatMode: 240
; IeeeMode: 1
; LDSByteSize: 0 bytes/workgroup (compile time only)
; SGPRBlocks: 2
; VGPRBlocks: 3
; NumSGPRsForWavesPerEU: 24
; NumVGPRsForWavesPerEU: 13
; Occupancy: 10
; WaveLimiterHint : 0
; COMPUTE_PGM_RSRC2:SCRATCH_EN: 0
; COMPUTE_PGM_RSRC2:USER_SGPR: 6
; COMPUTE_PGM_RSRC2:TRAP_HANDLER: 0
; COMPUTE_PGM_RSRC2:TGID_X_EN: 1
; COMPUTE_PGM_RSRC2:TGID_Y_EN: 0
; COMPUTE_PGM_RSRC2:TGID_Z_EN: 0
; COMPUTE_PGM_RSRC2:TIDIG_COMP_CNT: 0
	.section	.text._ZN7rocprim17ROCPRIM_400000_NS6detail17trampoline_kernelINS0_14default_configENS1_29binary_search_config_selectorIibEEZNS1_14transform_implILb0ES3_S5_N6thrust23THRUST_200600_302600_NS6detail15normal_iteratorINS8_10device_ptrIiEEEENSA_INSB_IbEEEEZNS1_13binary_searchIS3_S5_SD_SD_SF_NS1_16binary_search_opENS9_16wrapped_functionINS0_4lessIvEEbEEEE10hipError_tPvRmT1_T2_T3_mmT4_T5_P12ihipStream_tbEUlRKiE_EESM_SQ_SR_mSS_SV_bEUlT_E_NS1_11comp_targetILNS1_3genE10ELNS1_11target_archE1201ELNS1_3gpuE5ELNS1_3repE0EEENS1_30default_config_static_selectorELNS0_4arch9wavefront6targetE1EEEvSP_,"axG",@progbits,_ZN7rocprim17ROCPRIM_400000_NS6detail17trampoline_kernelINS0_14default_configENS1_29binary_search_config_selectorIibEEZNS1_14transform_implILb0ES3_S5_N6thrust23THRUST_200600_302600_NS6detail15normal_iteratorINS8_10device_ptrIiEEEENSA_INSB_IbEEEEZNS1_13binary_searchIS3_S5_SD_SD_SF_NS1_16binary_search_opENS9_16wrapped_functionINS0_4lessIvEEbEEEE10hipError_tPvRmT1_T2_T3_mmT4_T5_P12ihipStream_tbEUlRKiE_EESM_SQ_SR_mSS_SV_bEUlT_E_NS1_11comp_targetILNS1_3genE10ELNS1_11target_archE1201ELNS1_3gpuE5ELNS1_3repE0EEENS1_30default_config_static_selectorELNS0_4arch9wavefront6targetE1EEEvSP_,comdat
	.protected	_ZN7rocprim17ROCPRIM_400000_NS6detail17trampoline_kernelINS0_14default_configENS1_29binary_search_config_selectorIibEEZNS1_14transform_implILb0ES3_S5_N6thrust23THRUST_200600_302600_NS6detail15normal_iteratorINS8_10device_ptrIiEEEENSA_INSB_IbEEEEZNS1_13binary_searchIS3_S5_SD_SD_SF_NS1_16binary_search_opENS9_16wrapped_functionINS0_4lessIvEEbEEEE10hipError_tPvRmT1_T2_T3_mmT4_T5_P12ihipStream_tbEUlRKiE_EESM_SQ_SR_mSS_SV_bEUlT_E_NS1_11comp_targetILNS1_3genE10ELNS1_11target_archE1201ELNS1_3gpuE5ELNS1_3repE0EEENS1_30default_config_static_selectorELNS0_4arch9wavefront6targetE1EEEvSP_ ; -- Begin function _ZN7rocprim17ROCPRIM_400000_NS6detail17trampoline_kernelINS0_14default_configENS1_29binary_search_config_selectorIibEEZNS1_14transform_implILb0ES3_S5_N6thrust23THRUST_200600_302600_NS6detail15normal_iteratorINS8_10device_ptrIiEEEENSA_INSB_IbEEEEZNS1_13binary_searchIS3_S5_SD_SD_SF_NS1_16binary_search_opENS9_16wrapped_functionINS0_4lessIvEEbEEEE10hipError_tPvRmT1_T2_T3_mmT4_T5_P12ihipStream_tbEUlRKiE_EESM_SQ_SR_mSS_SV_bEUlT_E_NS1_11comp_targetILNS1_3genE10ELNS1_11target_archE1201ELNS1_3gpuE5ELNS1_3repE0EEENS1_30default_config_static_selectorELNS0_4arch9wavefront6targetE1EEEvSP_
	.globl	_ZN7rocprim17ROCPRIM_400000_NS6detail17trampoline_kernelINS0_14default_configENS1_29binary_search_config_selectorIibEEZNS1_14transform_implILb0ES3_S5_N6thrust23THRUST_200600_302600_NS6detail15normal_iteratorINS8_10device_ptrIiEEEENSA_INSB_IbEEEEZNS1_13binary_searchIS3_S5_SD_SD_SF_NS1_16binary_search_opENS9_16wrapped_functionINS0_4lessIvEEbEEEE10hipError_tPvRmT1_T2_T3_mmT4_T5_P12ihipStream_tbEUlRKiE_EESM_SQ_SR_mSS_SV_bEUlT_E_NS1_11comp_targetILNS1_3genE10ELNS1_11target_archE1201ELNS1_3gpuE5ELNS1_3repE0EEENS1_30default_config_static_selectorELNS0_4arch9wavefront6targetE1EEEvSP_
	.p2align	8
	.type	_ZN7rocprim17ROCPRIM_400000_NS6detail17trampoline_kernelINS0_14default_configENS1_29binary_search_config_selectorIibEEZNS1_14transform_implILb0ES3_S5_N6thrust23THRUST_200600_302600_NS6detail15normal_iteratorINS8_10device_ptrIiEEEENSA_INSB_IbEEEEZNS1_13binary_searchIS3_S5_SD_SD_SF_NS1_16binary_search_opENS9_16wrapped_functionINS0_4lessIvEEbEEEE10hipError_tPvRmT1_T2_T3_mmT4_T5_P12ihipStream_tbEUlRKiE_EESM_SQ_SR_mSS_SV_bEUlT_E_NS1_11comp_targetILNS1_3genE10ELNS1_11target_archE1201ELNS1_3gpuE5ELNS1_3repE0EEENS1_30default_config_static_selectorELNS0_4arch9wavefront6targetE1EEEvSP_,@function
_ZN7rocprim17ROCPRIM_400000_NS6detail17trampoline_kernelINS0_14default_configENS1_29binary_search_config_selectorIibEEZNS1_14transform_implILb0ES3_S5_N6thrust23THRUST_200600_302600_NS6detail15normal_iteratorINS8_10device_ptrIiEEEENSA_INSB_IbEEEEZNS1_13binary_searchIS3_S5_SD_SD_SF_NS1_16binary_search_opENS9_16wrapped_functionINS0_4lessIvEEbEEEE10hipError_tPvRmT1_T2_T3_mmT4_T5_P12ihipStream_tbEUlRKiE_EESM_SQ_SR_mSS_SV_bEUlT_E_NS1_11comp_targetILNS1_3genE10ELNS1_11target_archE1201ELNS1_3gpuE5ELNS1_3repE0EEENS1_30default_config_static_selectorELNS0_4arch9wavefront6targetE1EEEvSP_: ; @_ZN7rocprim17ROCPRIM_400000_NS6detail17trampoline_kernelINS0_14default_configENS1_29binary_search_config_selectorIibEEZNS1_14transform_implILb0ES3_S5_N6thrust23THRUST_200600_302600_NS6detail15normal_iteratorINS8_10device_ptrIiEEEENSA_INSB_IbEEEEZNS1_13binary_searchIS3_S5_SD_SD_SF_NS1_16binary_search_opENS9_16wrapped_functionINS0_4lessIvEEbEEEE10hipError_tPvRmT1_T2_T3_mmT4_T5_P12ihipStream_tbEUlRKiE_EESM_SQ_SR_mSS_SV_bEUlT_E_NS1_11comp_targetILNS1_3genE10ELNS1_11target_archE1201ELNS1_3gpuE5ELNS1_3repE0EEENS1_30default_config_static_selectorELNS0_4arch9wavefront6targetE1EEEvSP_
; %bb.0:
	.section	.rodata,"a",@progbits
	.p2align	6, 0x0
	.amdhsa_kernel _ZN7rocprim17ROCPRIM_400000_NS6detail17trampoline_kernelINS0_14default_configENS1_29binary_search_config_selectorIibEEZNS1_14transform_implILb0ES3_S5_N6thrust23THRUST_200600_302600_NS6detail15normal_iteratorINS8_10device_ptrIiEEEENSA_INSB_IbEEEEZNS1_13binary_searchIS3_S5_SD_SD_SF_NS1_16binary_search_opENS9_16wrapped_functionINS0_4lessIvEEbEEEE10hipError_tPvRmT1_T2_T3_mmT4_T5_P12ihipStream_tbEUlRKiE_EESM_SQ_SR_mSS_SV_bEUlT_E_NS1_11comp_targetILNS1_3genE10ELNS1_11target_archE1201ELNS1_3gpuE5ELNS1_3repE0EEENS1_30default_config_static_selectorELNS0_4arch9wavefront6targetE1EEEvSP_
		.amdhsa_group_segment_fixed_size 0
		.amdhsa_private_segment_fixed_size 0
		.amdhsa_kernarg_size 56
		.amdhsa_user_sgpr_count 6
		.amdhsa_user_sgpr_private_segment_buffer 1
		.amdhsa_user_sgpr_dispatch_ptr 0
		.amdhsa_user_sgpr_queue_ptr 0
		.amdhsa_user_sgpr_kernarg_segment_ptr 1
		.amdhsa_user_sgpr_dispatch_id 0
		.amdhsa_user_sgpr_flat_scratch_init 0
		.amdhsa_user_sgpr_private_segment_size 0
		.amdhsa_uses_dynamic_stack 0
		.amdhsa_system_sgpr_private_segment_wavefront_offset 0
		.amdhsa_system_sgpr_workgroup_id_x 1
		.amdhsa_system_sgpr_workgroup_id_y 0
		.amdhsa_system_sgpr_workgroup_id_z 0
		.amdhsa_system_sgpr_workgroup_info 0
		.amdhsa_system_vgpr_workitem_id 0
		.amdhsa_next_free_vgpr 1
		.amdhsa_next_free_sgpr 0
		.amdhsa_reserve_vcc 0
		.amdhsa_reserve_flat_scratch 0
		.amdhsa_float_round_mode_32 0
		.amdhsa_float_round_mode_16_64 0
		.amdhsa_float_denorm_mode_32 3
		.amdhsa_float_denorm_mode_16_64 3
		.amdhsa_dx10_clamp 1
		.amdhsa_ieee_mode 1
		.amdhsa_fp16_overflow 0
		.amdhsa_exception_fp_ieee_invalid_op 0
		.amdhsa_exception_fp_denorm_src 0
		.amdhsa_exception_fp_ieee_div_zero 0
		.amdhsa_exception_fp_ieee_overflow 0
		.amdhsa_exception_fp_ieee_underflow 0
		.amdhsa_exception_fp_ieee_inexact 0
		.amdhsa_exception_int_div_zero 0
	.end_amdhsa_kernel
	.section	.text._ZN7rocprim17ROCPRIM_400000_NS6detail17trampoline_kernelINS0_14default_configENS1_29binary_search_config_selectorIibEEZNS1_14transform_implILb0ES3_S5_N6thrust23THRUST_200600_302600_NS6detail15normal_iteratorINS8_10device_ptrIiEEEENSA_INSB_IbEEEEZNS1_13binary_searchIS3_S5_SD_SD_SF_NS1_16binary_search_opENS9_16wrapped_functionINS0_4lessIvEEbEEEE10hipError_tPvRmT1_T2_T3_mmT4_T5_P12ihipStream_tbEUlRKiE_EESM_SQ_SR_mSS_SV_bEUlT_E_NS1_11comp_targetILNS1_3genE10ELNS1_11target_archE1201ELNS1_3gpuE5ELNS1_3repE0EEENS1_30default_config_static_selectorELNS0_4arch9wavefront6targetE1EEEvSP_,"axG",@progbits,_ZN7rocprim17ROCPRIM_400000_NS6detail17trampoline_kernelINS0_14default_configENS1_29binary_search_config_selectorIibEEZNS1_14transform_implILb0ES3_S5_N6thrust23THRUST_200600_302600_NS6detail15normal_iteratorINS8_10device_ptrIiEEEENSA_INSB_IbEEEEZNS1_13binary_searchIS3_S5_SD_SD_SF_NS1_16binary_search_opENS9_16wrapped_functionINS0_4lessIvEEbEEEE10hipError_tPvRmT1_T2_T3_mmT4_T5_P12ihipStream_tbEUlRKiE_EESM_SQ_SR_mSS_SV_bEUlT_E_NS1_11comp_targetILNS1_3genE10ELNS1_11target_archE1201ELNS1_3gpuE5ELNS1_3repE0EEENS1_30default_config_static_selectorELNS0_4arch9wavefront6targetE1EEEvSP_,comdat
.Lfunc_end739:
	.size	_ZN7rocprim17ROCPRIM_400000_NS6detail17trampoline_kernelINS0_14default_configENS1_29binary_search_config_selectorIibEEZNS1_14transform_implILb0ES3_S5_N6thrust23THRUST_200600_302600_NS6detail15normal_iteratorINS8_10device_ptrIiEEEENSA_INSB_IbEEEEZNS1_13binary_searchIS3_S5_SD_SD_SF_NS1_16binary_search_opENS9_16wrapped_functionINS0_4lessIvEEbEEEE10hipError_tPvRmT1_T2_T3_mmT4_T5_P12ihipStream_tbEUlRKiE_EESM_SQ_SR_mSS_SV_bEUlT_E_NS1_11comp_targetILNS1_3genE10ELNS1_11target_archE1201ELNS1_3gpuE5ELNS1_3repE0EEENS1_30default_config_static_selectorELNS0_4arch9wavefront6targetE1EEEvSP_, .Lfunc_end739-_ZN7rocprim17ROCPRIM_400000_NS6detail17trampoline_kernelINS0_14default_configENS1_29binary_search_config_selectorIibEEZNS1_14transform_implILb0ES3_S5_N6thrust23THRUST_200600_302600_NS6detail15normal_iteratorINS8_10device_ptrIiEEEENSA_INSB_IbEEEEZNS1_13binary_searchIS3_S5_SD_SD_SF_NS1_16binary_search_opENS9_16wrapped_functionINS0_4lessIvEEbEEEE10hipError_tPvRmT1_T2_T3_mmT4_T5_P12ihipStream_tbEUlRKiE_EESM_SQ_SR_mSS_SV_bEUlT_E_NS1_11comp_targetILNS1_3genE10ELNS1_11target_archE1201ELNS1_3gpuE5ELNS1_3repE0EEENS1_30default_config_static_selectorELNS0_4arch9wavefront6targetE1EEEvSP_
                                        ; -- End function
	.set _ZN7rocprim17ROCPRIM_400000_NS6detail17trampoline_kernelINS0_14default_configENS1_29binary_search_config_selectorIibEEZNS1_14transform_implILb0ES3_S5_N6thrust23THRUST_200600_302600_NS6detail15normal_iteratorINS8_10device_ptrIiEEEENSA_INSB_IbEEEEZNS1_13binary_searchIS3_S5_SD_SD_SF_NS1_16binary_search_opENS9_16wrapped_functionINS0_4lessIvEEbEEEE10hipError_tPvRmT1_T2_T3_mmT4_T5_P12ihipStream_tbEUlRKiE_EESM_SQ_SR_mSS_SV_bEUlT_E_NS1_11comp_targetILNS1_3genE10ELNS1_11target_archE1201ELNS1_3gpuE5ELNS1_3repE0EEENS1_30default_config_static_selectorELNS0_4arch9wavefront6targetE1EEEvSP_.num_vgpr, 0
	.set _ZN7rocprim17ROCPRIM_400000_NS6detail17trampoline_kernelINS0_14default_configENS1_29binary_search_config_selectorIibEEZNS1_14transform_implILb0ES3_S5_N6thrust23THRUST_200600_302600_NS6detail15normal_iteratorINS8_10device_ptrIiEEEENSA_INSB_IbEEEEZNS1_13binary_searchIS3_S5_SD_SD_SF_NS1_16binary_search_opENS9_16wrapped_functionINS0_4lessIvEEbEEEE10hipError_tPvRmT1_T2_T3_mmT4_T5_P12ihipStream_tbEUlRKiE_EESM_SQ_SR_mSS_SV_bEUlT_E_NS1_11comp_targetILNS1_3genE10ELNS1_11target_archE1201ELNS1_3gpuE5ELNS1_3repE0EEENS1_30default_config_static_selectorELNS0_4arch9wavefront6targetE1EEEvSP_.num_agpr, 0
	.set _ZN7rocprim17ROCPRIM_400000_NS6detail17trampoline_kernelINS0_14default_configENS1_29binary_search_config_selectorIibEEZNS1_14transform_implILb0ES3_S5_N6thrust23THRUST_200600_302600_NS6detail15normal_iteratorINS8_10device_ptrIiEEEENSA_INSB_IbEEEEZNS1_13binary_searchIS3_S5_SD_SD_SF_NS1_16binary_search_opENS9_16wrapped_functionINS0_4lessIvEEbEEEE10hipError_tPvRmT1_T2_T3_mmT4_T5_P12ihipStream_tbEUlRKiE_EESM_SQ_SR_mSS_SV_bEUlT_E_NS1_11comp_targetILNS1_3genE10ELNS1_11target_archE1201ELNS1_3gpuE5ELNS1_3repE0EEENS1_30default_config_static_selectorELNS0_4arch9wavefront6targetE1EEEvSP_.numbered_sgpr, 0
	.set _ZN7rocprim17ROCPRIM_400000_NS6detail17trampoline_kernelINS0_14default_configENS1_29binary_search_config_selectorIibEEZNS1_14transform_implILb0ES3_S5_N6thrust23THRUST_200600_302600_NS6detail15normal_iteratorINS8_10device_ptrIiEEEENSA_INSB_IbEEEEZNS1_13binary_searchIS3_S5_SD_SD_SF_NS1_16binary_search_opENS9_16wrapped_functionINS0_4lessIvEEbEEEE10hipError_tPvRmT1_T2_T3_mmT4_T5_P12ihipStream_tbEUlRKiE_EESM_SQ_SR_mSS_SV_bEUlT_E_NS1_11comp_targetILNS1_3genE10ELNS1_11target_archE1201ELNS1_3gpuE5ELNS1_3repE0EEENS1_30default_config_static_selectorELNS0_4arch9wavefront6targetE1EEEvSP_.num_named_barrier, 0
	.set _ZN7rocprim17ROCPRIM_400000_NS6detail17trampoline_kernelINS0_14default_configENS1_29binary_search_config_selectorIibEEZNS1_14transform_implILb0ES3_S5_N6thrust23THRUST_200600_302600_NS6detail15normal_iteratorINS8_10device_ptrIiEEEENSA_INSB_IbEEEEZNS1_13binary_searchIS3_S5_SD_SD_SF_NS1_16binary_search_opENS9_16wrapped_functionINS0_4lessIvEEbEEEE10hipError_tPvRmT1_T2_T3_mmT4_T5_P12ihipStream_tbEUlRKiE_EESM_SQ_SR_mSS_SV_bEUlT_E_NS1_11comp_targetILNS1_3genE10ELNS1_11target_archE1201ELNS1_3gpuE5ELNS1_3repE0EEENS1_30default_config_static_selectorELNS0_4arch9wavefront6targetE1EEEvSP_.private_seg_size, 0
	.set _ZN7rocprim17ROCPRIM_400000_NS6detail17trampoline_kernelINS0_14default_configENS1_29binary_search_config_selectorIibEEZNS1_14transform_implILb0ES3_S5_N6thrust23THRUST_200600_302600_NS6detail15normal_iteratorINS8_10device_ptrIiEEEENSA_INSB_IbEEEEZNS1_13binary_searchIS3_S5_SD_SD_SF_NS1_16binary_search_opENS9_16wrapped_functionINS0_4lessIvEEbEEEE10hipError_tPvRmT1_T2_T3_mmT4_T5_P12ihipStream_tbEUlRKiE_EESM_SQ_SR_mSS_SV_bEUlT_E_NS1_11comp_targetILNS1_3genE10ELNS1_11target_archE1201ELNS1_3gpuE5ELNS1_3repE0EEENS1_30default_config_static_selectorELNS0_4arch9wavefront6targetE1EEEvSP_.uses_vcc, 0
	.set _ZN7rocprim17ROCPRIM_400000_NS6detail17trampoline_kernelINS0_14default_configENS1_29binary_search_config_selectorIibEEZNS1_14transform_implILb0ES3_S5_N6thrust23THRUST_200600_302600_NS6detail15normal_iteratorINS8_10device_ptrIiEEEENSA_INSB_IbEEEEZNS1_13binary_searchIS3_S5_SD_SD_SF_NS1_16binary_search_opENS9_16wrapped_functionINS0_4lessIvEEbEEEE10hipError_tPvRmT1_T2_T3_mmT4_T5_P12ihipStream_tbEUlRKiE_EESM_SQ_SR_mSS_SV_bEUlT_E_NS1_11comp_targetILNS1_3genE10ELNS1_11target_archE1201ELNS1_3gpuE5ELNS1_3repE0EEENS1_30default_config_static_selectorELNS0_4arch9wavefront6targetE1EEEvSP_.uses_flat_scratch, 0
	.set _ZN7rocprim17ROCPRIM_400000_NS6detail17trampoline_kernelINS0_14default_configENS1_29binary_search_config_selectorIibEEZNS1_14transform_implILb0ES3_S5_N6thrust23THRUST_200600_302600_NS6detail15normal_iteratorINS8_10device_ptrIiEEEENSA_INSB_IbEEEEZNS1_13binary_searchIS3_S5_SD_SD_SF_NS1_16binary_search_opENS9_16wrapped_functionINS0_4lessIvEEbEEEE10hipError_tPvRmT1_T2_T3_mmT4_T5_P12ihipStream_tbEUlRKiE_EESM_SQ_SR_mSS_SV_bEUlT_E_NS1_11comp_targetILNS1_3genE10ELNS1_11target_archE1201ELNS1_3gpuE5ELNS1_3repE0EEENS1_30default_config_static_selectorELNS0_4arch9wavefront6targetE1EEEvSP_.has_dyn_sized_stack, 0
	.set _ZN7rocprim17ROCPRIM_400000_NS6detail17trampoline_kernelINS0_14default_configENS1_29binary_search_config_selectorIibEEZNS1_14transform_implILb0ES3_S5_N6thrust23THRUST_200600_302600_NS6detail15normal_iteratorINS8_10device_ptrIiEEEENSA_INSB_IbEEEEZNS1_13binary_searchIS3_S5_SD_SD_SF_NS1_16binary_search_opENS9_16wrapped_functionINS0_4lessIvEEbEEEE10hipError_tPvRmT1_T2_T3_mmT4_T5_P12ihipStream_tbEUlRKiE_EESM_SQ_SR_mSS_SV_bEUlT_E_NS1_11comp_targetILNS1_3genE10ELNS1_11target_archE1201ELNS1_3gpuE5ELNS1_3repE0EEENS1_30default_config_static_selectorELNS0_4arch9wavefront6targetE1EEEvSP_.has_recursion, 0
	.set _ZN7rocprim17ROCPRIM_400000_NS6detail17trampoline_kernelINS0_14default_configENS1_29binary_search_config_selectorIibEEZNS1_14transform_implILb0ES3_S5_N6thrust23THRUST_200600_302600_NS6detail15normal_iteratorINS8_10device_ptrIiEEEENSA_INSB_IbEEEEZNS1_13binary_searchIS3_S5_SD_SD_SF_NS1_16binary_search_opENS9_16wrapped_functionINS0_4lessIvEEbEEEE10hipError_tPvRmT1_T2_T3_mmT4_T5_P12ihipStream_tbEUlRKiE_EESM_SQ_SR_mSS_SV_bEUlT_E_NS1_11comp_targetILNS1_3genE10ELNS1_11target_archE1201ELNS1_3gpuE5ELNS1_3repE0EEENS1_30default_config_static_selectorELNS0_4arch9wavefront6targetE1EEEvSP_.has_indirect_call, 0
	.section	.AMDGPU.csdata,"",@progbits
; Kernel info:
; codeLenInByte = 0
; TotalNumSgprs: 4
; NumVgprs: 0
; ScratchSize: 0
; MemoryBound: 0
; FloatMode: 240
; IeeeMode: 1
; LDSByteSize: 0 bytes/workgroup (compile time only)
; SGPRBlocks: 0
; VGPRBlocks: 0
; NumSGPRsForWavesPerEU: 4
; NumVGPRsForWavesPerEU: 1
; Occupancy: 10
; WaveLimiterHint : 0
; COMPUTE_PGM_RSRC2:SCRATCH_EN: 0
; COMPUTE_PGM_RSRC2:USER_SGPR: 6
; COMPUTE_PGM_RSRC2:TRAP_HANDLER: 0
; COMPUTE_PGM_RSRC2:TGID_X_EN: 1
; COMPUTE_PGM_RSRC2:TGID_Y_EN: 0
; COMPUTE_PGM_RSRC2:TGID_Z_EN: 0
; COMPUTE_PGM_RSRC2:TIDIG_COMP_CNT: 0
	.section	.text._ZN7rocprim17ROCPRIM_400000_NS6detail17trampoline_kernelINS0_14default_configENS1_29binary_search_config_selectorIibEEZNS1_14transform_implILb0ES3_S5_N6thrust23THRUST_200600_302600_NS6detail15normal_iteratorINS8_10device_ptrIiEEEENSA_INSB_IbEEEEZNS1_13binary_searchIS3_S5_SD_SD_SF_NS1_16binary_search_opENS9_16wrapped_functionINS0_4lessIvEEbEEEE10hipError_tPvRmT1_T2_T3_mmT4_T5_P12ihipStream_tbEUlRKiE_EESM_SQ_SR_mSS_SV_bEUlT_E_NS1_11comp_targetILNS1_3genE10ELNS1_11target_archE1200ELNS1_3gpuE4ELNS1_3repE0EEENS1_30default_config_static_selectorELNS0_4arch9wavefront6targetE1EEEvSP_,"axG",@progbits,_ZN7rocprim17ROCPRIM_400000_NS6detail17trampoline_kernelINS0_14default_configENS1_29binary_search_config_selectorIibEEZNS1_14transform_implILb0ES3_S5_N6thrust23THRUST_200600_302600_NS6detail15normal_iteratorINS8_10device_ptrIiEEEENSA_INSB_IbEEEEZNS1_13binary_searchIS3_S5_SD_SD_SF_NS1_16binary_search_opENS9_16wrapped_functionINS0_4lessIvEEbEEEE10hipError_tPvRmT1_T2_T3_mmT4_T5_P12ihipStream_tbEUlRKiE_EESM_SQ_SR_mSS_SV_bEUlT_E_NS1_11comp_targetILNS1_3genE10ELNS1_11target_archE1200ELNS1_3gpuE4ELNS1_3repE0EEENS1_30default_config_static_selectorELNS0_4arch9wavefront6targetE1EEEvSP_,comdat
	.protected	_ZN7rocprim17ROCPRIM_400000_NS6detail17trampoline_kernelINS0_14default_configENS1_29binary_search_config_selectorIibEEZNS1_14transform_implILb0ES3_S5_N6thrust23THRUST_200600_302600_NS6detail15normal_iteratorINS8_10device_ptrIiEEEENSA_INSB_IbEEEEZNS1_13binary_searchIS3_S5_SD_SD_SF_NS1_16binary_search_opENS9_16wrapped_functionINS0_4lessIvEEbEEEE10hipError_tPvRmT1_T2_T3_mmT4_T5_P12ihipStream_tbEUlRKiE_EESM_SQ_SR_mSS_SV_bEUlT_E_NS1_11comp_targetILNS1_3genE10ELNS1_11target_archE1200ELNS1_3gpuE4ELNS1_3repE0EEENS1_30default_config_static_selectorELNS0_4arch9wavefront6targetE1EEEvSP_ ; -- Begin function _ZN7rocprim17ROCPRIM_400000_NS6detail17trampoline_kernelINS0_14default_configENS1_29binary_search_config_selectorIibEEZNS1_14transform_implILb0ES3_S5_N6thrust23THRUST_200600_302600_NS6detail15normal_iteratorINS8_10device_ptrIiEEEENSA_INSB_IbEEEEZNS1_13binary_searchIS3_S5_SD_SD_SF_NS1_16binary_search_opENS9_16wrapped_functionINS0_4lessIvEEbEEEE10hipError_tPvRmT1_T2_T3_mmT4_T5_P12ihipStream_tbEUlRKiE_EESM_SQ_SR_mSS_SV_bEUlT_E_NS1_11comp_targetILNS1_3genE10ELNS1_11target_archE1200ELNS1_3gpuE4ELNS1_3repE0EEENS1_30default_config_static_selectorELNS0_4arch9wavefront6targetE1EEEvSP_
	.globl	_ZN7rocprim17ROCPRIM_400000_NS6detail17trampoline_kernelINS0_14default_configENS1_29binary_search_config_selectorIibEEZNS1_14transform_implILb0ES3_S5_N6thrust23THRUST_200600_302600_NS6detail15normal_iteratorINS8_10device_ptrIiEEEENSA_INSB_IbEEEEZNS1_13binary_searchIS3_S5_SD_SD_SF_NS1_16binary_search_opENS9_16wrapped_functionINS0_4lessIvEEbEEEE10hipError_tPvRmT1_T2_T3_mmT4_T5_P12ihipStream_tbEUlRKiE_EESM_SQ_SR_mSS_SV_bEUlT_E_NS1_11comp_targetILNS1_3genE10ELNS1_11target_archE1200ELNS1_3gpuE4ELNS1_3repE0EEENS1_30default_config_static_selectorELNS0_4arch9wavefront6targetE1EEEvSP_
	.p2align	8
	.type	_ZN7rocprim17ROCPRIM_400000_NS6detail17trampoline_kernelINS0_14default_configENS1_29binary_search_config_selectorIibEEZNS1_14transform_implILb0ES3_S5_N6thrust23THRUST_200600_302600_NS6detail15normal_iteratorINS8_10device_ptrIiEEEENSA_INSB_IbEEEEZNS1_13binary_searchIS3_S5_SD_SD_SF_NS1_16binary_search_opENS9_16wrapped_functionINS0_4lessIvEEbEEEE10hipError_tPvRmT1_T2_T3_mmT4_T5_P12ihipStream_tbEUlRKiE_EESM_SQ_SR_mSS_SV_bEUlT_E_NS1_11comp_targetILNS1_3genE10ELNS1_11target_archE1200ELNS1_3gpuE4ELNS1_3repE0EEENS1_30default_config_static_selectorELNS0_4arch9wavefront6targetE1EEEvSP_,@function
_ZN7rocprim17ROCPRIM_400000_NS6detail17trampoline_kernelINS0_14default_configENS1_29binary_search_config_selectorIibEEZNS1_14transform_implILb0ES3_S5_N6thrust23THRUST_200600_302600_NS6detail15normal_iteratorINS8_10device_ptrIiEEEENSA_INSB_IbEEEEZNS1_13binary_searchIS3_S5_SD_SD_SF_NS1_16binary_search_opENS9_16wrapped_functionINS0_4lessIvEEbEEEE10hipError_tPvRmT1_T2_T3_mmT4_T5_P12ihipStream_tbEUlRKiE_EESM_SQ_SR_mSS_SV_bEUlT_E_NS1_11comp_targetILNS1_3genE10ELNS1_11target_archE1200ELNS1_3gpuE4ELNS1_3repE0EEENS1_30default_config_static_selectorELNS0_4arch9wavefront6targetE1EEEvSP_: ; @_ZN7rocprim17ROCPRIM_400000_NS6detail17trampoline_kernelINS0_14default_configENS1_29binary_search_config_selectorIibEEZNS1_14transform_implILb0ES3_S5_N6thrust23THRUST_200600_302600_NS6detail15normal_iteratorINS8_10device_ptrIiEEEENSA_INSB_IbEEEEZNS1_13binary_searchIS3_S5_SD_SD_SF_NS1_16binary_search_opENS9_16wrapped_functionINS0_4lessIvEEbEEEE10hipError_tPvRmT1_T2_T3_mmT4_T5_P12ihipStream_tbEUlRKiE_EESM_SQ_SR_mSS_SV_bEUlT_E_NS1_11comp_targetILNS1_3genE10ELNS1_11target_archE1200ELNS1_3gpuE4ELNS1_3repE0EEENS1_30default_config_static_selectorELNS0_4arch9wavefront6targetE1EEEvSP_
; %bb.0:
	.section	.rodata,"a",@progbits
	.p2align	6, 0x0
	.amdhsa_kernel _ZN7rocprim17ROCPRIM_400000_NS6detail17trampoline_kernelINS0_14default_configENS1_29binary_search_config_selectorIibEEZNS1_14transform_implILb0ES3_S5_N6thrust23THRUST_200600_302600_NS6detail15normal_iteratorINS8_10device_ptrIiEEEENSA_INSB_IbEEEEZNS1_13binary_searchIS3_S5_SD_SD_SF_NS1_16binary_search_opENS9_16wrapped_functionINS0_4lessIvEEbEEEE10hipError_tPvRmT1_T2_T3_mmT4_T5_P12ihipStream_tbEUlRKiE_EESM_SQ_SR_mSS_SV_bEUlT_E_NS1_11comp_targetILNS1_3genE10ELNS1_11target_archE1200ELNS1_3gpuE4ELNS1_3repE0EEENS1_30default_config_static_selectorELNS0_4arch9wavefront6targetE1EEEvSP_
		.amdhsa_group_segment_fixed_size 0
		.amdhsa_private_segment_fixed_size 0
		.amdhsa_kernarg_size 56
		.amdhsa_user_sgpr_count 6
		.amdhsa_user_sgpr_private_segment_buffer 1
		.amdhsa_user_sgpr_dispatch_ptr 0
		.amdhsa_user_sgpr_queue_ptr 0
		.amdhsa_user_sgpr_kernarg_segment_ptr 1
		.amdhsa_user_sgpr_dispatch_id 0
		.amdhsa_user_sgpr_flat_scratch_init 0
		.amdhsa_user_sgpr_private_segment_size 0
		.amdhsa_uses_dynamic_stack 0
		.amdhsa_system_sgpr_private_segment_wavefront_offset 0
		.amdhsa_system_sgpr_workgroup_id_x 1
		.amdhsa_system_sgpr_workgroup_id_y 0
		.amdhsa_system_sgpr_workgroup_id_z 0
		.amdhsa_system_sgpr_workgroup_info 0
		.amdhsa_system_vgpr_workitem_id 0
		.amdhsa_next_free_vgpr 1
		.amdhsa_next_free_sgpr 0
		.amdhsa_reserve_vcc 0
		.amdhsa_reserve_flat_scratch 0
		.amdhsa_float_round_mode_32 0
		.amdhsa_float_round_mode_16_64 0
		.amdhsa_float_denorm_mode_32 3
		.amdhsa_float_denorm_mode_16_64 3
		.amdhsa_dx10_clamp 1
		.amdhsa_ieee_mode 1
		.amdhsa_fp16_overflow 0
		.amdhsa_exception_fp_ieee_invalid_op 0
		.amdhsa_exception_fp_denorm_src 0
		.amdhsa_exception_fp_ieee_div_zero 0
		.amdhsa_exception_fp_ieee_overflow 0
		.amdhsa_exception_fp_ieee_underflow 0
		.amdhsa_exception_fp_ieee_inexact 0
		.amdhsa_exception_int_div_zero 0
	.end_amdhsa_kernel
	.section	.text._ZN7rocprim17ROCPRIM_400000_NS6detail17trampoline_kernelINS0_14default_configENS1_29binary_search_config_selectorIibEEZNS1_14transform_implILb0ES3_S5_N6thrust23THRUST_200600_302600_NS6detail15normal_iteratorINS8_10device_ptrIiEEEENSA_INSB_IbEEEEZNS1_13binary_searchIS3_S5_SD_SD_SF_NS1_16binary_search_opENS9_16wrapped_functionINS0_4lessIvEEbEEEE10hipError_tPvRmT1_T2_T3_mmT4_T5_P12ihipStream_tbEUlRKiE_EESM_SQ_SR_mSS_SV_bEUlT_E_NS1_11comp_targetILNS1_3genE10ELNS1_11target_archE1200ELNS1_3gpuE4ELNS1_3repE0EEENS1_30default_config_static_selectorELNS0_4arch9wavefront6targetE1EEEvSP_,"axG",@progbits,_ZN7rocprim17ROCPRIM_400000_NS6detail17trampoline_kernelINS0_14default_configENS1_29binary_search_config_selectorIibEEZNS1_14transform_implILb0ES3_S5_N6thrust23THRUST_200600_302600_NS6detail15normal_iteratorINS8_10device_ptrIiEEEENSA_INSB_IbEEEEZNS1_13binary_searchIS3_S5_SD_SD_SF_NS1_16binary_search_opENS9_16wrapped_functionINS0_4lessIvEEbEEEE10hipError_tPvRmT1_T2_T3_mmT4_T5_P12ihipStream_tbEUlRKiE_EESM_SQ_SR_mSS_SV_bEUlT_E_NS1_11comp_targetILNS1_3genE10ELNS1_11target_archE1200ELNS1_3gpuE4ELNS1_3repE0EEENS1_30default_config_static_selectorELNS0_4arch9wavefront6targetE1EEEvSP_,comdat
.Lfunc_end740:
	.size	_ZN7rocprim17ROCPRIM_400000_NS6detail17trampoline_kernelINS0_14default_configENS1_29binary_search_config_selectorIibEEZNS1_14transform_implILb0ES3_S5_N6thrust23THRUST_200600_302600_NS6detail15normal_iteratorINS8_10device_ptrIiEEEENSA_INSB_IbEEEEZNS1_13binary_searchIS3_S5_SD_SD_SF_NS1_16binary_search_opENS9_16wrapped_functionINS0_4lessIvEEbEEEE10hipError_tPvRmT1_T2_T3_mmT4_T5_P12ihipStream_tbEUlRKiE_EESM_SQ_SR_mSS_SV_bEUlT_E_NS1_11comp_targetILNS1_3genE10ELNS1_11target_archE1200ELNS1_3gpuE4ELNS1_3repE0EEENS1_30default_config_static_selectorELNS0_4arch9wavefront6targetE1EEEvSP_, .Lfunc_end740-_ZN7rocprim17ROCPRIM_400000_NS6detail17trampoline_kernelINS0_14default_configENS1_29binary_search_config_selectorIibEEZNS1_14transform_implILb0ES3_S5_N6thrust23THRUST_200600_302600_NS6detail15normal_iteratorINS8_10device_ptrIiEEEENSA_INSB_IbEEEEZNS1_13binary_searchIS3_S5_SD_SD_SF_NS1_16binary_search_opENS9_16wrapped_functionINS0_4lessIvEEbEEEE10hipError_tPvRmT1_T2_T3_mmT4_T5_P12ihipStream_tbEUlRKiE_EESM_SQ_SR_mSS_SV_bEUlT_E_NS1_11comp_targetILNS1_3genE10ELNS1_11target_archE1200ELNS1_3gpuE4ELNS1_3repE0EEENS1_30default_config_static_selectorELNS0_4arch9wavefront6targetE1EEEvSP_
                                        ; -- End function
	.set _ZN7rocprim17ROCPRIM_400000_NS6detail17trampoline_kernelINS0_14default_configENS1_29binary_search_config_selectorIibEEZNS1_14transform_implILb0ES3_S5_N6thrust23THRUST_200600_302600_NS6detail15normal_iteratorINS8_10device_ptrIiEEEENSA_INSB_IbEEEEZNS1_13binary_searchIS3_S5_SD_SD_SF_NS1_16binary_search_opENS9_16wrapped_functionINS0_4lessIvEEbEEEE10hipError_tPvRmT1_T2_T3_mmT4_T5_P12ihipStream_tbEUlRKiE_EESM_SQ_SR_mSS_SV_bEUlT_E_NS1_11comp_targetILNS1_3genE10ELNS1_11target_archE1200ELNS1_3gpuE4ELNS1_3repE0EEENS1_30default_config_static_selectorELNS0_4arch9wavefront6targetE1EEEvSP_.num_vgpr, 0
	.set _ZN7rocprim17ROCPRIM_400000_NS6detail17trampoline_kernelINS0_14default_configENS1_29binary_search_config_selectorIibEEZNS1_14transform_implILb0ES3_S5_N6thrust23THRUST_200600_302600_NS6detail15normal_iteratorINS8_10device_ptrIiEEEENSA_INSB_IbEEEEZNS1_13binary_searchIS3_S5_SD_SD_SF_NS1_16binary_search_opENS9_16wrapped_functionINS0_4lessIvEEbEEEE10hipError_tPvRmT1_T2_T3_mmT4_T5_P12ihipStream_tbEUlRKiE_EESM_SQ_SR_mSS_SV_bEUlT_E_NS1_11comp_targetILNS1_3genE10ELNS1_11target_archE1200ELNS1_3gpuE4ELNS1_3repE0EEENS1_30default_config_static_selectorELNS0_4arch9wavefront6targetE1EEEvSP_.num_agpr, 0
	.set _ZN7rocprim17ROCPRIM_400000_NS6detail17trampoline_kernelINS0_14default_configENS1_29binary_search_config_selectorIibEEZNS1_14transform_implILb0ES3_S5_N6thrust23THRUST_200600_302600_NS6detail15normal_iteratorINS8_10device_ptrIiEEEENSA_INSB_IbEEEEZNS1_13binary_searchIS3_S5_SD_SD_SF_NS1_16binary_search_opENS9_16wrapped_functionINS0_4lessIvEEbEEEE10hipError_tPvRmT1_T2_T3_mmT4_T5_P12ihipStream_tbEUlRKiE_EESM_SQ_SR_mSS_SV_bEUlT_E_NS1_11comp_targetILNS1_3genE10ELNS1_11target_archE1200ELNS1_3gpuE4ELNS1_3repE0EEENS1_30default_config_static_selectorELNS0_4arch9wavefront6targetE1EEEvSP_.numbered_sgpr, 0
	.set _ZN7rocprim17ROCPRIM_400000_NS6detail17trampoline_kernelINS0_14default_configENS1_29binary_search_config_selectorIibEEZNS1_14transform_implILb0ES3_S5_N6thrust23THRUST_200600_302600_NS6detail15normal_iteratorINS8_10device_ptrIiEEEENSA_INSB_IbEEEEZNS1_13binary_searchIS3_S5_SD_SD_SF_NS1_16binary_search_opENS9_16wrapped_functionINS0_4lessIvEEbEEEE10hipError_tPvRmT1_T2_T3_mmT4_T5_P12ihipStream_tbEUlRKiE_EESM_SQ_SR_mSS_SV_bEUlT_E_NS1_11comp_targetILNS1_3genE10ELNS1_11target_archE1200ELNS1_3gpuE4ELNS1_3repE0EEENS1_30default_config_static_selectorELNS0_4arch9wavefront6targetE1EEEvSP_.num_named_barrier, 0
	.set _ZN7rocprim17ROCPRIM_400000_NS6detail17trampoline_kernelINS0_14default_configENS1_29binary_search_config_selectorIibEEZNS1_14transform_implILb0ES3_S5_N6thrust23THRUST_200600_302600_NS6detail15normal_iteratorINS8_10device_ptrIiEEEENSA_INSB_IbEEEEZNS1_13binary_searchIS3_S5_SD_SD_SF_NS1_16binary_search_opENS9_16wrapped_functionINS0_4lessIvEEbEEEE10hipError_tPvRmT1_T2_T3_mmT4_T5_P12ihipStream_tbEUlRKiE_EESM_SQ_SR_mSS_SV_bEUlT_E_NS1_11comp_targetILNS1_3genE10ELNS1_11target_archE1200ELNS1_3gpuE4ELNS1_3repE0EEENS1_30default_config_static_selectorELNS0_4arch9wavefront6targetE1EEEvSP_.private_seg_size, 0
	.set _ZN7rocprim17ROCPRIM_400000_NS6detail17trampoline_kernelINS0_14default_configENS1_29binary_search_config_selectorIibEEZNS1_14transform_implILb0ES3_S5_N6thrust23THRUST_200600_302600_NS6detail15normal_iteratorINS8_10device_ptrIiEEEENSA_INSB_IbEEEEZNS1_13binary_searchIS3_S5_SD_SD_SF_NS1_16binary_search_opENS9_16wrapped_functionINS0_4lessIvEEbEEEE10hipError_tPvRmT1_T2_T3_mmT4_T5_P12ihipStream_tbEUlRKiE_EESM_SQ_SR_mSS_SV_bEUlT_E_NS1_11comp_targetILNS1_3genE10ELNS1_11target_archE1200ELNS1_3gpuE4ELNS1_3repE0EEENS1_30default_config_static_selectorELNS0_4arch9wavefront6targetE1EEEvSP_.uses_vcc, 0
	.set _ZN7rocprim17ROCPRIM_400000_NS6detail17trampoline_kernelINS0_14default_configENS1_29binary_search_config_selectorIibEEZNS1_14transform_implILb0ES3_S5_N6thrust23THRUST_200600_302600_NS6detail15normal_iteratorINS8_10device_ptrIiEEEENSA_INSB_IbEEEEZNS1_13binary_searchIS3_S5_SD_SD_SF_NS1_16binary_search_opENS9_16wrapped_functionINS0_4lessIvEEbEEEE10hipError_tPvRmT1_T2_T3_mmT4_T5_P12ihipStream_tbEUlRKiE_EESM_SQ_SR_mSS_SV_bEUlT_E_NS1_11comp_targetILNS1_3genE10ELNS1_11target_archE1200ELNS1_3gpuE4ELNS1_3repE0EEENS1_30default_config_static_selectorELNS0_4arch9wavefront6targetE1EEEvSP_.uses_flat_scratch, 0
	.set _ZN7rocprim17ROCPRIM_400000_NS6detail17trampoline_kernelINS0_14default_configENS1_29binary_search_config_selectorIibEEZNS1_14transform_implILb0ES3_S5_N6thrust23THRUST_200600_302600_NS6detail15normal_iteratorINS8_10device_ptrIiEEEENSA_INSB_IbEEEEZNS1_13binary_searchIS3_S5_SD_SD_SF_NS1_16binary_search_opENS9_16wrapped_functionINS0_4lessIvEEbEEEE10hipError_tPvRmT1_T2_T3_mmT4_T5_P12ihipStream_tbEUlRKiE_EESM_SQ_SR_mSS_SV_bEUlT_E_NS1_11comp_targetILNS1_3genE10ELNS1_11target_archE1200ELNS1_3gpuE4ELNS1_3repE0EEENS1_30default_config_static_selectorELNS0_4arch9wavefront6targetE1EEEvSP_.has_dyn_sized_stack, 0
	.set _ZN7rocprim17ROCPRIM_400000_NS6detail17trampoline_kernelINS0_14default_configENS1_29binary_search_config_selectorIibEEZNS1_14transform_implILb0ES3_S5_N6thrust23THRUST_200600_302600_NS6detail15normal_iteratorINS8_10device_ptrIiEEEENSA_INSB_IbEEEEZNS1_13binary_searchIS3_S5_SD_SD_SF_NS1_16binary_search_opENS9_16wrapped_functionINS0_4lessIvEEbEEEE10hipError_tPvRmT1_T2_T3_mmT4_T5_P12ihipStream_tbEUlRKiE_EESM_SQ_SR_mSS_SV_bEUlT_E_NS1_11comp_targetILNS1_3genE10ELNS1_11target_archE1200ELNS1_3gpuE4ELNS1_3repE0EEENS1_30default_config_static_selectorELNS0_4arch9wavefront6targetE1EEEvSP_.has_recursion, 0
	.set _ZN7rocprim17ROCPRIM_400000_NS6detail17trampoline_kernelINS0_14default_configENS1_29binary_search_config_selectorIibEEZNS1_14transform_implILb0ES3_S5_N6thrust23THRUST_200600_302600_NS6detail15normal_iteratorINS8_10device_ptrIiEEEENSA_INSB_IbEEEEZNS1_13binary_searchIS3_S5_SD_SD_SF_NS1_16binary_search_opENS9_16wrapped_functionINS0_4lessIvEEbEEEE10hipError_tPvRmT1_T2_T3_mmT4_T5_P12ihipStream_tbEUlRKiE_EESM_SQ_SR_mSS_SV_bEUlT_E_NS1_11comp_targetILNS1_3genE10ELNS1_11target_archE1200ELNS1_3gpuE4ELNS1_3repE0EEENS1_30default_config_static_selectorELNS0_4arch9wavefront6targetE1EEEvSP_.has_indirect_call, 0
	.section	.AMDGPU.csdata,"",@progbits
; Kernel info:
; codeLenInByte = 0
; TotalNumSgprs: 4
; NumVgprs: 0
; ScratchSize: 0
; MemoryBound: 0
; FloatMode: 240
; IeeeMode: 1
; LDSByteSize: 0 bytes/workgroup (compile time only)
; SGPRBlocks: 0
; VGPRBlocks: 0
; NumSGPRsForWavesPerEU: 4
; NumVGPRsForWavesPerEU: 1
; Occupancy: 10
; WaveLimiterHint : 0
; COMPUTE_PGM_RSRC2:SCRATCH_EN: 0
; COMPUTE_PGM_RSRC2:USER_SGPR: 6
; COMPUTE_PGM_RSRC2:TRAP_HANDLER: 0
; COMPUTE_PGM_RSRC2:TGID_X_EN: 1
; COMPUTE_PGM_RSRC2:TGID_Y_EN: 0
; COMPUTE_PGM_RSRC2:TGID_Z_EN: 0
; COMPUTE_PGM_RSRC2:TIDIG_COMP_CNT: 0
	.section	.text._ZN7rocprim17ROCPRIM_400000_NS6detail17trampoline_kernelINS0_14default_configENS1_29binary_search_config_selectorIibEEZNS1_14transform_implILb0ES3_S5_N6thrust23THRUST_200600_302600_NS6detail15normal_iteratorINS8_10device_ptrIiEEEENSA_INSB_IbEEEEZNS1_13binary_searchIS3_S5_SD_SD_SF_NS1_16binary_search_opENS9_16wrapped_functionINS0_4lessIvEEbEEEE10hipError_tPvRmT1_T2_T3_mmT4_T5_P12ihipStream_tbEUlRKiE_EESM_SQ_SR_mSS_SV_bEUlT_E_NS1_11comp_targetILNS1_3genE9ELNS1_11target_archE1100ELNS1_3gpuE3ELNS1_3repE0EEENS1_30default_config_static_selectorELNS0_4arch9wavefront6targetE1EEEvSP_,"axG",@progbits,_ZN7rocprim17ROCPRIM_400000_NS6detail17trampoline_kernelINS0_14default_configENS1_29binary_search_config_selectorIibEEZNS1_14transform_implILb0ES3_S5_N6thrust23THRUST_200600_302600_NS6detail15normal_iteratorINS8_10device_ptrIiEEEENSA_INSB_IbEEEEZNS1_13binary_searchIS3_S5_SD_SD_SF_NS1_16binary_search_opENS9_16wrapped_functionINS0_4lessIvEEbEEEE10hipError_tPvRmT1_T2_T3_mmT4_T5_P12ihipStream_tbEUlRKiE_EESM_SQ_SR_mSS_SV_bEUlT_E_NS1_11comp_targetILNS1_3genE9ELNS1_11target_archE1100ELNS1_3gpuE3ELNS1_3repE0EEENS1_30default_config_static_selectorELNS0_4arch9wavefront6targetE1EEEvSP_,comdat
	.protected	_ZN7rocprim17ROCPRIM_400000_NS6detail17trampoline_kernelINS0_14default_configENS1_29binary_search_config_selectorIibEEZNS1_14transform_implILb0ES3_S5_N6thrust23THRUST_200600_302600_NS6detail15normal_iteratorINS8_10device_ptrIiEEEENSA_INSB_IbEEEEZNS1_13binary_searchIS3_S5_SD_SD_SF_NS1_16binary_search_opENS9_16wrapped_functionINS0_4lessIvEEbEEEE10hipError_tPvRmT1_T2_T3_mmT4_T5_P12ihipStream_tbEUlRKiE_EESM_SQ_SR_mSS_SV_bEUlT_E_NS1_11comp_targetILNS1_3genE9ELNS1_11target_archE1100ELNS1_3gpuE3ELNS1_3repE0EEENS1_30default_config_static_selectorELNS0_4arch9wavefront6targetE1EEEvSP_ ; -- Begin function _ZN7rocprim17ROCPRIM_400000_NS6detail17trampoline_kernelINS0_14default_configENS1_29binary_search_config_selectorIibEEZNS1_14transform_implILb0ES3_S5_N6thrust23THRUST_200600_302600_NS6detail15normal_iteratorINS8_10device_ptrIiEEEENSA_INSB_IbEEEEZNS1_13binary_searchIS3_S5_SD_SD_SF_NS1_16binary_search_opENS9_16wrapped_functionINS0_4lessIvEEbEEEE10hipError_tPvRmT1_T2_T3_mmT4_T5_P12ihipStream_tbEUlRKiE_EESM_SQ_SR_mSS_SV_bEUlT_E_NS1_11comp_targetILNS1_3genE9ELNS1_11target_archE1100ELNS1_3gpuE3ELNS1_3repE0EEENS1_30default_config_static_selectorELNS0_4arch9wavefront6targetE1EEEvSP_
	.globl	_ZN7rocprim17ROCPRIM_400000_NS6detail17trampoline_kernelINS0_14default_configENS1_29binary_search_config_selectorIibEEZNS1_14transform_implILb0ES3_S5_N6thrust23THRUST_200600_302600_NS6detail15normal_iteratorINS8_10device_ptrIiEEEENSA_INSB_IbEEEEZNS1_13binary_searchIS3_S5_SD_SD_SF_NS1_16binary_search_opENS9_16wrapped_functionINS0_4lessIvEEbEEEE10hipError_tPvRmT1_T2_T3_mmT4_T5_P12ihipStream_tbEUlRKiE_EESM_SQ_SR_mSS_SV_bEUlT_E_NS1_11comp_targetILNS1_3genE9ELNS1_11target_archE1100ELNS1_3gpuE3ELNS1_3repE0EEENS1_30default_config_static_selectorELNS0_4arch9wavefront6targetE1EEEvSP_
	.p2align	8
	.type	_ZN7rocprim17ROCPRIM_400000_NS6detail17trampoline_kernelINS0_14default_configENS1_29binary_search_config_selectorIibEEZNS1_14transform_implILb0ES3_S5_N6thrust23THRUST_200600_302600_NS6detail15normal_iteratorINS8_10device_ptrIiEEEENSA_INSB_IbEEEEZNS1_13binary_searchIS3_S5_SD_SD_SF_NS1_16binary_search_opENS9_16wrapped_functionINS0_4lessIvEEbEEEE10hipError_tPvRmT1_T2_T3_mmT4_T5_P12ihipStream_tbEUlRKiE_EESM_SQ_SR_mSS_SV_bEUlT_E_NS1_11comp_targetILNS1_3genE9ELNS1_11target_archE1100ELNS1_3gpuE3ELNS1_3repE0EEENS1_30default_config_static_selectorELNS0_4arch9wavefront6targetE1EEEvSP_,@function
_ZN7rocprim17ROCPRIM_400000_NS6detail17trampoline_kernelINS0_14default_configENS1_29binary_search_config_selectorIibEEZNS1_14transform_implILb0ES3_S5_N6thrust23THRUST_200600_302600_NS6detail15normal_iteratorINS8_10device_ptrIiEEEENSA_INSB_IbEEEEZNS1_13binary_searchIS3_S5_SD_SD_SF_NS1_16binary_search_opENS9_16wrapped_functionINS0_4lessIvEEbEEEE10hipError_tPvRmT1_T2_T3_mmT4_T5_P12ihipStream_tbEUlRKiE_EESM_SQ_SR_mSS_SV_bEUlT_E_NS1_11comp_targetILNS1_3genE9ELNS1_11target_archE1100ELNS1_3gpuE3ELNS1_3repE0EEENS1_30default_config_static_selectorELNS0_4arch9wavefront6targetE1EEEvSP_: ; @_ZN7rocprim17ROCPRIM_400000_NS6detail17trampoline_kernelINS0_14default_configENS1_29binary_search_config_selectorIibEEZNS1_14transform_implILb0ES3_S5_N6thrust23THRUST_200600_302600_NS6detail15normal_iteratorINS8_10device_ptrIiEEEENSA_INSB_IbEEEEZNS1_13binary_searchIS3_S5_SD_SD_SF_NS1_16binary_search_opENS9_16wrapped_functionINS0_4lessIvEEbEEEE10hipError_tPvRmT1_T2_T3_mmT4_T5_P12ihipStream_tbEUlRKiE_EESM_SQ_SR_mSS_SV_bEUlT_E_NS1_11comp_targetILNS1_3genE9ELNS1_11target_archE1100ELNS1_3gpuE3ELNS1_3repE0EEENS1_30default_config_static_selectorELNS0_4arch9wavefront6targetE1EEEvSP_
; %bb.0:
	.section	.rodata,"a",@progbits
	.p2align	6, 0x0
	.amdhsa_kernel _ZN7rocprim17ROCPRIM_400000_NS6detail17trampoline_kernelINS0_14default_configENS1_29binary_search_config_selectorIibEEZNS1_14transform_implILb0ES3_S5_N6thrust23THRUST_200600_302600_NS6detail15normal_iteratorINS8_10device_ptrIiEEEENSA_INSB_IbEEEEZNS1_13binary_searchIS3_S5_SD_SD_SF_NS1_16binary_search_opENS9_16wrapped_functionINS0_4lessIvEEbEEEE10hipError_tPvRmT1_T2_T3_mmT4_T5_P12ihipStream_tbEUlRKiE_EESM_SQ_SR_mSS_SV_bEUlT_E_NS1_11comp_targetILNS1_3genE9ELNS1_11target_archE1100ELNS1_3gpuE3ELNS1_3repE0EEENS1_30default_config_static_selectorELNS0_4arch9wavefront6targetE1EEEvSP_
		.amdhsa_group_segment_fixed_size 0
		.amdhsa_private_segment_fixed_size 0
		.amdhsa_kernarg_size 56
		.amdhsa_user_sgpr_count 6
		.amdhsa_user_sgpr_private_segment_buffer 1
		.amdhsa_user_sgpr_dispatch_ptr 0
		.amdhsa_user_sgpr_queue_ptr 0
		.amdhsa_user_sgpr_kernarg_segment_ptr 1
		.amdhsa_user_sgpr_dispatch_id 0
		.amdhsa_user_sgpr_flat_scratch_init 0
		.amdhsa_user_sgpr_private_segment_size 0
		.amdhsa_uses_dynamic_stack 0
		.amdhsa_system_sgpr_private_segment_wavefront_offset 0
		.amdhsa_system_sgpr_workgroup_id_x 1
		.amdhsa_system_sgpr_workgroup_id_y 0
		.amdhsa_system_sgpr_workgroup_id_z 0
		.amdhsa_system_sgpr_workgroup_info 0
		.amdhsa_system_vgpr_workitem_id 0
		.amdhsa_next_free_vgpr 1
		.amdhsa_next_free_sgpr 0
		.amdhsa_reserve_vcc 0
		.amdhsa_reserve_flat_scratch 0
		.amdhsa_float_round_mode_32 0
		.amdhsa_float_round_mode_16_64 0
		.amdhsa_float_denorm_mode_32 3
		.amdhsa_float_denorm_mode_16_64 3
		.amdhsa_dx10_clamp 1
		.amdhsa_ieee_mode 1
		.amdhsa_fp16_overflow 0
		.amdhsa_exception_fp_ieee_invalid_op 0
		.amdhsa_exception_fp_denorm_src 0
		.amdhsa_exception_fp_ieee_div_zero 0
		.amdhsa_exception_fp_ieee_overflow 0
		.amdhsa_exception_fp_ieee_underflow 0
		.amdhsa_exception_fp_ieee_inexact 0
		.amdhsa_exception_int_div_zero 0
	.end_amdhsa_kernel
	.section	.text._ZN7rocprim17ROCPRIM_400000_NS6detail17trampoline_kernelINS0_14default_configENS1_29binary_search_config_selectorIibEEZNS1_14transform_implILb0ES3_S5_N6thrust23THRUST_200600_302600_NS6detail15normal_iteratorINS8_10device_ptrIiEEEENSA_INSB_IbEEEEZNS1_13binary_searchIS3_S5_SD_SD_SF_NS1_16binary_search_opENS9_16wrapped_functionINS0_4lessIvEEbEEEE10hipError_tPvRmT1_T2_T3_mmT4_T5_P12ihipStream_tbEUlRKiE_EESM_SQ_SR_mSS_SV_bEUlT_E_NS1_11comp_targetILNS1_3genE9ELNS1_11target_archE1100ELNS1_3gpuE3ELNS1_3repE0EEENS1_30default_config_static_selectorELNS0_4arch9wavefront6targetE1EEEvSP_,"axG",@progbits,_ZN7rocprim17ROCPRIM_400000_NS6detail17trampoline_kernelINS0_14default_configENS1_29binary_search_config_selectorIibEEZNS1_14transform_implILb0ES3_S5_N6thrust23THRUST_200600_302600_NS6detail15normal_iteratorINS8_10device_ptrIiEEEENSA_INSB_IbEEEEZNS1_13binary_searchIS3_S5_SD_SD_SF_NS1_16binary_search_opENS9_16wrapped_functionINS0_4lessIvEEbEEEE10hipError_tPvRmT1_T2_T3_mmT4_T5_P12ihipStream_tbEUlRKiE_EESM_SQ_SR_mSS_SV_bEUlT_E_NS1_11comp_targetILNS1_3genE9ELNS1_11target_archE1100ELNS1_3gpuE3ELNS1_3repE0EEENS1_30default_config_static_selectorELNS0_4arch9wavefront6targetE1EEEvSP_,comdat
.Lfunc_end741:
	.size	_ZN7rocprim17ROCPRIM_400000_NS6detail17trampoline_kernelINS0_14default_configENS1_29binary_search_config_selectorIibEEZNS1_14transform_implILb0ES3_S5_N6thrust23THRUST_200600_302600_NS6detail15normal_iteratorINS8_10device_ptrIiEEEENSA_INSB_IbEEEEZNS1_13binary_searchIS3_S5_SD_SD_SF_NS1_16binary_search_opENS9_16wrapped_functionINS0_4lessIvEEbEEEE10hipError_tPvRmT1_T2_T3_mmT4_T5_P12ihipStream_tbEUlRKiE_EESM_SQ_SR_mSS_SV_bEUlT_E_NS1_11comp_targetILNS1_3genE9ELNS1_11target_archE1100ELNS1_3gpuE3ELNS1_3repE0EEENS1_30default_config_static_selectorELNS0_4arch9wavefront6targetE1EEEvSP_, .Lfunc_end741-_ZN7rocprim17ROCPRIM_400000_NS6detail17trampoline_kernelINS0_14default_configENS1_29binary_search_config_selectorIibEEZNS1_14transform_implILb0ES3_S5_N6thrust23THRUST_200600_302600_NS6detail15normal_iteratorINS8_10device_ptrIiEEEENSA_INSB_IbEEEEZNS1_13binary_searchIS3_S5_SD_SD_SF_NS1_16binary_search_opENS9_16wrapped_functionINS0_4lessIvEEbEEEE10hipError_tPvRmT1_T2_T3_mmT4_T5_P12ihipStream_tbEUlRKiE_EESM_SQ_SR_mSS_SV_bEUlT_E_NS1_11comp_targetILNS1_3genE9ELNS1_11target_archE1100ELNS1_3gpuE3ELNS1_3repE0EEENS1_30default_config_static_selectorELNS0_4arch9wavefront6targetE1EEEvSP_
                                        ; -- End function
	.set _ZN7rocprim17ROCPRIM_400000_NS6detail17trampoline_kernelINS0_14default_configENS1_29binary_search_config_selectorIibEEZNS1_14transform_implILb0ES3_S5_N6thrust23THRUST_200600_302600_NS6detail15normal_iteratorINS8_10device_ptrIiEEEENSA_INSB_IbEEEEZNS1_13binary_searchIS3_S5_SD_SD_SF_NS1_16binary_search_opENS9_16wrapped_functionINS0_4lessIvEEbEEEE10hipError_tPvRmT1_T2_T3_mmT4_T5_P12ihipStream_tbEUlRKiE_EESM_SQ_SR_mSS_SV_bEUlT_E_NS1_11comp_targetILNS1_3genE9ELNS1_11target_archE1100ELNS1_3gpuE3ELNS1_3repE0EEENS1_30default_config_static_selectorELNS0_4arch9wavefront6targetE1EEEvSP_.num_vgpr, 0
	.set _ZN7rocprim17ROCPRIM_400000_NS6detail17trampoline_kernelINS0_14default_configENS1_29binary_search_config_selectorIibEEZNS1_14transform_implILb0ES3_S5_N6thrust23THRUST_200600_302600_NS6detail15normal_iteratorINS8_10device_ptrIiEEEENSA_INSB_IbEEEEZNS1_13binary_searchIS3_S5_SD_SD_SF_NS1_16binary_search_opENS9_16wrapped_functionINS0_4lessIvEEbEEEE10hipError_tPvRmT1_T2_T3_mmT4_T5_P12ihipStream_tbEUlRKiE_EESM_SQ_SR_mSS_SV_bEUlT_E_NS1_11comp_targetILNS1_3genE9ELNS1_11target_archE1100ELNS1_3gpuE3ELNS1_3repE0EEENS1_30default_config_static_selectorELNS0_4arch9wavefront6targetE1EEEvSP_.num_agpr, 0
	.set _ZN7rocprim17ROCPRIM_400000_NS6detail17trampoline_kernelINS0_14default_configENS1_29binary_search_config_selectorIibEEZNS1_14transform_implILb0ES3_S5_N6thrust23THRUST_200600_302600_NS6detail15normal_iteratorINS8_10device_ptrIiEEEENSA_INSB_IbEEEEZNS1_13binary_searchIS3_S5_SD_SD_SF_NS1_16binary_search_opENS9_16wrapped_functionINS0_4lessIvEEbEEEE10hipError_tPvRmT1_T2_T3_mmT4_T5_P12ihipStream_tbEUlRKiE_EESM_SQ_SR_mSS_SV_bEUlT_E_NS1_11comp_targetILNS1_3genE9ELNS1_11target_archE1100ELNS1_3gpuE3ELNS1_3repE0EEENS1_30default_config_static_selectorELNS0_4arch9wavefront6targetE1EEEvSP_.numbered_sgpr, 0
	.set _ZN7rocprim17ROCPRIM_400000_NS6detail17trampoline_kernelINS0_14default_configENS1_29binary_search_config_selectorIibEEZNS1_14transform_implILb0ES3_S5_N6thrust23THRUST_200600_302600_NS6detail15normal_iteratorINS8_10device_ptrIiEEEENSA_INSB_IbEEEEZNS1_13binary_searchIS3_S5_SD_SD_SF_NS1_16binary_search_opENS9_16wrapped_functionINS0_4lessIvEEbEEEE10hipError_tPvRmT1_T2_T3_mmT4_T5_P12ihipStream_tbEUlRKiE_EESM_SQ_SR_mSS_SV_bEUlT_E_NS1_11comp_targetILNS1_3genE9ELNS1_11target_archE1100ELNS1_3gpuE3ELNS1_3repE0EEENS1_30default_config_static_selectorELNS0_4arch9wavefront6targetE1EEEvSP_.num_named_barrier, 0
	.set _ZN7rocprim17ROCPRIM_400000_NS6detail17trampoline_kernelINS0_14default_configENS1_29binary_search_config_selectorIibEEZNS1_14transform_implILb0ES3_S5_N6thrust23THRUST_200600_302600_NS6detail15normal_iteratorINS8_10device_ptrIiEEEENSA_INSB_IbEEEEZNS1_13binary_searchIS3_S5_SD_SD_SF_NS1_16binary_search_opENS9_16wrapped_functionINS0_4lessIvEEbEEEE10hipError_tPvRmT1_T2_T3_mmT4_T5_P12ihipStream_tbEUlRKiE_EESM_SQ_SR_mSS_SV_bEUlT_E_NS1_11comp_targetILNS1_3genE9ELNS1_11target_archE1100ELNS1_3gpuE3ELNS1_3repE0EEENS1_30default_config_static_selectorELNS0_4arch9wavefront6targetE1EEEvSP_.private_seg_size, 0
	.set _ZN7rocprim17ROCPRIM_400000_NS6detail17trampoline_kernelINS0_14default_configENS1_29binary_search_config_selectorIibEEZNS1_14transform_implILb0ES3_S5_N6thrust23THRUST_200600_302600_NS6detail15normal_iteratorINS8_10device_ptrIiEEEENSA_INSB_IbEEEEZNS1_13binary_searchIS3_S5_SD_SD_SF_NS1_16binary_search_opENS9_16wrapped_functionINS0_4lessIvEEbEEEE10hipError_tPvRmT1_T2_T3_mmT4_T5_P12ihipStream_tbEUlRKiE_EESM_SQ_SR_mSS_SV_bEUlT_E_NS1_11comp_targetILNS1_3genE9ELNS1_11target_archE1100ELNS1_3gpuE3ELNS1_3repE0EEENS1_30default_config_static_selectorELNS0_4arch9wavefront6targetE1EEEvSP_.uses_vcc, 0
	.set _ZN7rocprim17ROCPRIM_400000_NS6detail17trampoline_kernelINS0_14default_configENS1_29binary_search_config_selectorIibEEZNS1_14transform_implILb0ES3_S5_N6thrust23THRUST_200600_302600_NS6detail15normal_iteratorINS8_10device_ptrIiEEEENSA_INSB_IbEEEEZNS1_13binary_searchIS3_S5_SD_SD_SF_NS1_16binary_search_opENS9_16wrapped_functionINS0_4lessIvEEbEEEE10hipError_tPvRmT1_T2_T3_mmT4_T5_P12ihipStream_tbEUlRKiE_EESM_SQ_SR_mSS_SV_bEUlT_E_NS1_11comp_targetILNS1_3genE9ELNS1_11target_archE1100ELNS1_3gpuE3ELNS1_3repE0EEENS1_30default_config_static_selectorELNS0_4arch9wavefront6targetE1EEEvSP_.uses_flat_scratch, 0
	.set _ZN7rocprim17ROCPRIM_400000_NS6detail17trampoline_kernelINS0_14default_configENS1_29binary_search_config_selectorIibEEZNS1_14transform_implILb0ES3_S5_N6thrust23THRUST_200600_302600_NS6detail15normal_iteratorINS8_10device_ptrIiEEEENSA_INSB_IbEEEEZNS1_13binary_searchIS3_S5_SD_SD_SF_NS1_16binary_search_opENS9_16wrapped_functionINS0_4lessIvEEbEEEE10hipError_tPvRmT1_T2_T3_mmT4_T5_P12ihipStream_tbEUlRKiE_EESM_SQ_SR_mSS_SV_bEUlT_E_NS1_11comp_targetILNS1_3genE9ELNS1_11target_archE1100ELNS1_3gpuE3ELNS1_3repE0EEENS1_30default_config_static_selectorELNS0_4arch9wavefront6targetE1EEEvSP_.has_dyn_sized_stack, 0
	.set _ZN7rocprim17ROCPRIM_400000_NS6detail17trampoline_kernelINS0_14default_configENS1_29binary_search_config_selectorIibEEZNS1_14transform_implILb0ES3_S5_N6thrust23THRUST_200600_302600_NS6detail15normal_iteratorINS8_10device_ptrIiEEEENSA_INSB_IbEEEEZNS1_13binary_searchIS3_S5_SD_SD_SF_NS1_16binary_search_opENS9_16wrapped_functionINS0_4lessIvEEbEEEE10hipError_tPvRmT1_T2_T3_mmT4_T5_P12ihipStream_tbEUlRKiE_EESM_SQ_SR_mSS_SV_bEUlT_E_NS1_11comp_targetILNS1_3genE9ELNS1_11target_archE1100ELNS1_3gpuE3ELNS1_3repE0EEENS1_30default_config_static_selectorELNS0_4arch9wavefront6targetE1EEEvSP_.has_recursion, 0
	.set _ZN7rocprim17ROCPRIM_400000_NS6detail17trampoline_kernelINS0_14default_configENS1_29binary_search_config_selectorIibEEZNS1_14transform_implILb0ES3_S5_N6thrust23THRUST_200600_302600_NS6detail15normal_iteratorINS8_10device_ptrIiEEEENSA_INSB_IbEEEEZNS1_13binary_searchIS3_S5_SD_SD_SF_NS1_16binary_search_opENS9_16wrapped_functionINS0_4lessIvEEbEEEE10hipError_tPvRmT1_T2_T3_mmT4_T5_P12ihipStream_tbEUlRKiE_EESM_SQ_SR_mSS_SV_bEUlT_E_NS1_11comp_targetILNS1_3genE9ELNS1_11target_archE1100ELNS1_3gpuE3ELNS1_3repE0EEENS1_30default_config_static_selectorELNS0_4arch9wavefront6targetE1EEEvSP_.has_indirect_call, 0
	.section	.AMDGPU.csdata,"",@progbits
; Kernel info:
; codeLenInByte = 0
; TotalNumSgprs: 4
; NumVgprs: 0
; ScratchSize: 0
; MemoryBound: 0
; FloatMode: 240
; IeeeMode: 1
; LDSByteSize: 0 bytes/workgroup (compile time only)
; SGPRBlocks: 0
; VGPRBlocks: 0
; NumSGPRsForWavesPerEU: 4
; NumVGPRsForWavesPerEU: 1
; Occupancy: 10
; WaveLimiterHint : 0
; COMPUTE_PGM_RSRC2:SCRATCH_EN: 0
; COMPUTE_PGM_RSRC2:USER_SGPR: 6
; COMPUTE_PGM_RSRC2:TRAP_HANDLER: 0
; COMPUTE_PGM_RSRC2:TGID_X_EN: 1
; COMPUTE_PGM_RSRC2:TGID_Y_EN: 0
; COMPUTE_PGM_RSRC2:TGID_Z_EN: 0
; COMPUTE_PGM_RSRC2:TIDIG_COMP_CNT: 0
	.section	.text._ZN7rocprim17ROCPRIM_400000_NS6detail17trampoline_kernelINS0_14default_configENS1_29binary_search_config_selectorIibEEZNS1_14transform_implILb0ES3_S5_N6thrust23THRUST_200600_302600_NS6detail15normal_iteratorINS8_10device_ptrIiEEEENSA_INSB_IbEEEEZNS1_13binary_searchIS3_S5_SD_SD_SF_NS1_16binary_search_opENS9_16wrapped_functionINS0_4lessIvEEbEEEE10hipError_tPvRmT1_T2_T3_mmT4_T5_P12ihipStream_tbEUlRKiE_EESM_SQ_SR_mSS_SV_bEUlT_E_NS1_11comp_targetILNS1_3genE8ELNS1_11target_archE1030ELNS1_3gpuE2ELNS1_3repE0EEENS1_30default_config_static_selectorELNS0_4arch9wavefront6targetE1EEEvSP_,"axG",@progbits,_ZN7rocprim17ROCPRIM_400000_NS6detail17trampoline_kernelINS0_14default_configENS1_29binary_search_config_selectorIibEEZNS1_14transform_implILb0ES3_S5_N6thrust23THRUST_200600_302600_NS6detail15normal_iteratorINS8_10device_ptrIiEEEENSA_INSB_IbEEEEZNS1_13binary_searchIS3_S5_SD_SD_SF_NS1_16binary_search_opENS9_16wrapped_functionINS0_4lessIvEEbEEEE10hipError_tPvRmT1_T2_T3_mmT4_T5_P12ihipStream_tbEUlRKiE_EESM_SQ_SR_mSS_SV_bEUlT_E_NS1_11comp_targetILNS1_3genE8ELNS1_11target_archE1030ELNS1_3gpuE2ELNS1_3repE0EEENS1_30default_config_static_selectorELNS0_4arch9wavefront6targetE1EEEvSP_,comdat
	.protected	_ZN7rocprim17ROCPRIM_400000_NS6detail17trampoline_kernelINS0_14default_configENS1_29binary_search_config_selectorIibEEZNS1_14transform_implILb0ES3_S5_N6thrust23THRUST_200600_302600_NS6detail15normal_iteratorINS8_10device_ptrIiEEEENSA_INSB_IbEEEEZNS1_13binary_searchIS3_S5_SD_SD_SF_NS1_16binary_search_opENS9_16wrapped_functionINS0_4lessIvEEbEEEE10hipError_tPvRmT1_T2_T3_mmT4_T5_P12ihipStream_tbEUlRKiE_EESM_SQ_SR_mSS_SV_bEUlT_E_NS1_11comp_targetILNS1_3genE8ELNS1_11target_archE1030ELNS1_3gpuE2ELNS1_3repE0EEENS1_30default_config_static_selectorELNS0_4arch9wavefront6targetE1EEEvSP_ ; -- Begin function _ZN7rocprim17ROCPRIM_400000_NS6detail17trampoline_kernelINS0_14default_configENS1_29binary_search_config_selectorIibEEZNS1_14transform_implILb0ES3_S5_N6thrust23THRUST_200600_302600_NS6detail15normal_iteratorINS8_10device_ptrIiEEEENSA_INSB_IbEEEEZNS1_13binary_searchIS3_S5_SD_SD_SF_NS1_16binary_search_opENS9_16wrapped_functionINS0_4lessIvEEbEEEE10hipError_tPvRmT1_T2_T3_mmT4_T5_P12ihipStream_tbEUlRKiE_EESM_SQ_SR_mSS_SV_bEUlT_E_NS1_11comp_targetILNS1_3genE8ELNS1_11target_archE1030ELNS1_3gpuE2ELNS1_3repE0EEENS1_30default_config_static_selectorELNS0_4arch9wavefront6targetE1EEEvSP_
	.globl	_ZN7rocprim17ROCPRIM_400000_NS6detail17trampoline_kernelINS0_14default_configENS1_29binary_search_config_selectorIibEEZNS1_14transform_implILb0ES3_S5_N6thrust23THRUST_200600_302600_NS6detail15normal_iteratorINS8_10device_ptrIiEEEENSA_INSB_IbEEEEZNS1_13binary_searchIS3_S5_SD_SD_SF_NS1_16binary_search_opENS9_16wrapped_functionINS0_4lessIvEEbEEEE10hipError_tPvRmT1_T2_T3_mmT4_T5_P12ihipStream_tbEUlRKiE_EESM_SQ_SR_mSS_SV_bEUlT_E_NS1_11comp_targetILNS1_3genE8ELNS1_11target_archE1030ELNS1_3gpuE2ELNS1_3repE0EEENS1_30default_config_static_selectorELNS0_4arch9wavefront6targetE1EEEvSP_
	.p2align	8
	.type	_ZN7rocprim17ROCPRIM_400000_NS6detail17trampoline_kernelINS0_14default_configENS1_29binary_search_config_selectorIibEEZNS1_14transform_implILb0ES3_S5_N6thrust23THRUST_200600_302600_NS6detail15normal_iteratorINS8_10device_ptrIiEEEENSA_INSB_IbEEEEZNS1_13binary_searchIS3_S5_SD_SD_SF_NS1_16binary_search_opENS9_16wrapped_functionINS0_4lessIvEEbEEEE10hipError_tPvRmT1_T2_T3_mmT4_T5_P12ihipStream_tbEUlRKiE_EESM_SQ_SR_mSS_SV_bEUlT_E_NS1_11comp_targetILNS1_3genE8ELNS1_11target_archE1030ELNS1_3gpuE2ELNS1_3repE0EEENS1_30default_config_static_selectorELNS0_4arch9wavefront6targetE1EEEvSP_,@function
_ZN7rocprim17ROCPRIM_400000_NS6detail17trampoline_kernelINS0_14default_configENS1_29binary_search_config_selectorIibEEZNS1_14transform_implILb0ES3_S5_N6thrust23THRUST_200600_302600_NS6detail15normal_iteratorINS8_10device_ptrIiEEEENSA_INSB_IbEEEEZNS1_13binary_searchIS3_S5_SD_SD_SF_NS1_16binary_search_opENS9_16wrapped_functionINS0_4lessIvEEbEEEE10hipError_tPvRmT1_T2_T3_mmT4_T5_P12ihipStream_tbEUlRKiE_EESM_SQ_SR_mSS_SV_bEUlT_E_NS1_11comp_targetILNS1_3genE8ELNS1_11target_archE1030ELNS1_3gpuE2ELNS1_3repE0EEENS1_30default_config_static_selectorELNS0_4arch9wavefront6targetE1EEEvSP_: ; @_ZN7rocprim17ROCPRIM_400000_NS6detail17trampoline_kernelINS0_14default_configENS1_29binary_search_config_selectorIibEEZNS1_14transform_implILb0ES3_S5_N6thrust23THRUST_200600_302600_NS6detail15normal_iteratorINS8_10device_ptrIiEEEENSA_INSB_IbEEEEZNS1_13binary_searchIS3_S5_SD_SD_SF_NS1_16binary_search_opENS9_16wrapped_functionINS0_4lessIvEEbEEEE10hipError_tPvRmT1_T2_T3_mmT4_T5_P12ihipStream_tbEUlRKiE_EESM_SQ_SR_mSS_SV_bEUlT_E_NS1_11comp_targetILNS1_3genE8ELNS1_11target_archE1030ELNS1_3gpuE2ELNS1_3repE0EEENS1_30default_config_static_selectorELNS0_4arch9wavefront6targetE1EEEvSP_
; %bb.0:
	.section	.rodata,"a",@progbits
	.p2align	6, 0x0
	.amdhsa_kernel _ZN7rocprim17ROCPRIM_400000_NS6detail17trampoline_kernelINS0_14default_configENS1_29binary_search_config_selectorIibEEZNS1_14transform_implILb0ES3_S5_N6thrust23THRUST_200600_302600_NS6detail15normal_iteratorINS8_10device_ptrIiEEEENSA_INSB_IbEEEEZNS1_13binary_searchIS3_S5_SD_SD_SF_NS1_16binary_search_opENS9_16wrapped_functionINS0_4lessIvEEbEEEE10hipError_tPvRmT1_T2_T3_mmT4_T5_P12ihipStream_tbEUlRKiE_EESM_SQ_SR_mSS_SV_bEUlT_E_NS1_11comp_targetILNS1_3genE8ELNS1_11target_archE1030ELNS1_3gpuE2ELNS1_3repE0EEENS1_30default_config_static_selectorELNS0_4arch9wavefront6targetE1EEEvSP_
		.amdhsa_group_segment_fixed_size 0
		.amdhsa_private_segment_fixed_size 0
		.amdhsa_kernarg_size 56
		.amdhsa_user_sgpr_count 6
		.amdhsa_user_sgpr_private_segment_buffer 1
		.amdhsa_user_sgpr_dispatch_ptr 0
		.amdhsa_user_sgpr_queue_ptr 0
		.amdhsa_user_sgpr_kernarg_segment_ptr 1
		.amdhsa_user_sgpr_dispatch_id 0
		.amdhsa_user_sgpr_flat_scratch_init 0
		.amdhsa_user_sgpr_private_segment_size 0
		.amdhsa_uses_dynamic_stack 0
		.amdhsa_system_sgpr_private_segment_wavefront_offset 0
		.amdhsa_system_sgpr_workgroup_id_x 1
		.amdhsa_system_sgpr_workgroup_id_y 0
		.amdhsa_system_sgpr_workgroup_id_z 0
		.amdhsa_system_sgpr_workgroup_info 0
		.amdhsa_system_vgpr_workitem_id 0
		.amdhsa_next_free_vgpr 1
		.amdhsa_next_free_sgpr 0
		.amdhsa_reserve_vcc 0
		.amdhsa_reserve_flat_scratch 0
		.amdhsa_float_round_mode_32 0
		.amdhsa_float_round_mode_16_64 0
		.amdhsa_float_denorm_mode_32 3
		.amdhsa_float_denorm_mode_16_64 3
		.amdhsa_dx10_clamp 1
		.amdhsa_ieee_mode 1
		.amdhsa_fp16_overflow 0
		.amdhsa_exception_fp_ieee_invalid_op 0
		.amdhsa_exception_fp_denorm_src 0
		.amdhsa_exception_fp_ieee_div_zero 0
		.amdhsa_exception_fp_ieee_overflow 0
		.amdhsa_exception_fp_ieee_underflow 0
		.amdhsa_exception_fp_ieee_inexact 0
		.amdhsa_exception_int_div_zero 0
	.end_amdhsa_kernel
	.section	.text._ZN7rocprim17ROCPRIM_400000_NS6detail17trampoline_kernelINS0_14default_configENS1_29binary_search_config_selectorIibEEZNS1_14transform_implILb0ES3_S5_N6thrust23THRUST_200600_302600_NS6detail15normal_iteratorINS8_10device_ptrIiEEEENSA_INSB_IbEEEEZNS1_13binary_searchIS3_S5_SD_SD_SF_NS1_16binary_search_opENS9_16wrapped_functionINS0_4lessIvEEbEEEE10hipError_tPvRmT1_T2_T3_mmT4_T5_P12ihipStream_tbEUlRKiE_EESM_SQ_SR_mSS_SV_bEUlT_E_NS1_11comp_targetILNS1_3genE8ELNS1_11target_archE1030ELNS1_3gpuE2ELNS1_3repE0EEENS1_30default_config_static_selectorELNS0_4arch9wavefront6targetE1EEEvSP_,"axG",@progbits,_ZN7rocprim17ROCPRIM_400000_NS6detail17trampoline_kernelINS0_14default_configENS1_29binary_search_config_selectorIibEEZNS1_14transform_implILb0ES3_S5_N6thrust23THRUST_200600_302600_NS6detail15normal_iteratorINS8_10device_ptrIiEEEENSA_INSB_IbEEEEZNS1_13binary_searchIS3_S5_SD_SD_SF_NS1_16binary_search_opENS9_16wrapped_functionINS0_4lessIvEEbEEEE10hipError_tPvRmT1_T2_T3_mmT4_T5_P12ihipStream_tbEUlRKiE_EESM_SQ_SR_mSS_SV_bEUlT_E_NS1_11comp_targetILNS1_3genE8ELNS1_11target_archE1030ELNS1_3gpuE2ELNS1_3repE0EEENS1_30default_config_static_selectorELNS0_4arch9wavefront6targetE1EEEvSP_,comdat
.Lfunc_end742:
	.size	_ZN7rocprim17ROCPRIM_400000_NS6detail17trampoline_kernelINS0_14default_configENS1_29binary_search_config_selectorIibEEZNS1_14transform_implILb0ES3_S5_N6thrust23THRUST_200600_302600_NS6detail15normal_iteratorINS8_10device_ptrIiEEEENSA_INSB_IbEEEEZNS1_13binary_searchIS3_S5_SD_SD_SF_NS1_16binary_search_opENS9_16wrapped_functionINS0_4lessIvEEbEEEE10hipError_tPvRmT1_T2_T3_mmT4_T5_P12ihipStream_tbEUlRKiE_EESM_SQ_SR_mSS_SV_bEUlT_E_NS1_11comp_targetILNS1_3genE8ELNS1_11target_archE1030ELNS1_3gpuE2ELNS1_3repE0EEENS1_30default_config_static_selectorELNS0_4arch9wavefront6targetE1EEEvSP_, .Lfunc_end742-_ZN7rocprim17ROCPRIM_400000_NS6detail17trampoline_kernelINS0_14default_configENS1_29binary_search_config_selectorIibEEZNS1_14transform_implILb0ES3_S5_N6thrust23THRUST_200600_302600_NS6detail15normal_iteratorINS8_10device_ptrIiEEEENSA_INSB_IbEEEEZNS1_13binary_searchIS3_S5_SD_SD_SF_NS1_16binary_search_opENS9_16wrapped_functionINS0_4lessIvEEbEEEE10hipError_tPvRmT1_T2_T3_mmT4_T5_P12ihipStream_tbEUlRKiE_EESM_SQ_SR_mSS_SV_bEUlT_E_NS1_11comp_targetILNS1_3genE8ELNS1_11target_archE1030ELNS1_3gpuE2ELNS1_3repE0EEENS1_30default_config_static_selectorELNS0_4arch9wavefront6targetE1EEEvSP_
                                        ; -- End function
	.set _ZN7rocprim17ROCPRIM_400000_NS6detail17trampoline_kernelINS0_14default_configENS1_29binary_search_config_selectorIibEEZNS1_14transform_implILb0ES3_S5_N6thrust23THRUST_200600_302600_NS6detail15normal_iteratorINS8_10device_ptrIiEEEENSA_INSB_IbEEEEZNS1_13binary_searchIS3_S5_SD_SD_SF_NS1_16binary_search_opENS9_16wrapped_functionINS0_4lessIvEEbEEEE10hipError_tPvRmT1_T2_T3_mmT4_T5_P12ihipStream_tbEUlRKiE_EESM_SQ_SR_mSS_SV_bEUlT_E_NS1_11comp_targetILNS1_3genE8ELNS1_11target_archE1030ELNS1_3gpuE2ELNS1_3repE0EEENS1_30default_config_static_selectorELNS0_4arch9wavefront6targetE1EEEvSP_.num_vgpr, 0
	.set _ZN7rocprim17ROCPRIM_400000_NS6detail17trampoline_kernelINS0_14default_configENS1_29binary_search_config_selectorIibEEZNS1_14transform_implILb0ES3_S5_N6thrust23THRUST_200600_302600_NS6detail15normal_iteratorINS8_10device_ptrIiEEEENSA_INSB_IbEEEEZNS1_13binary_searchIS3_S5_SD_SD_SF_NS1_16binary_search_opENS9_16wrapped_functionINS0_4lessIvEEbEEEE10hipError_tPvRmT1_T2_T3_mmT4_T5_P12ihipStream_tbEUlRKiE_EESM_SQ_SR_mSS_SV_bEUlT_E_NS1_11comp_targetILNS1_3genE8ELNS1_11target_archE1030ELNS1_3gpuE2ELNS1_3repE0EEENS1_30default_config_static_selectorELNS0_4arch9wavefront6targetE1EEEvSP_.num_agpr, 0
	.set _ZN7rocprim17ROCPRIM_400000_NS6detail17trampoline_kernelINS0_14default_configENS1_29binary_search_config_selectorIibEEZNS1_14transform_implILb0ES3_S5_N6thrust23THRUST_200600_302600_NS6detail15normal_iteratorINS8_10device_ptrIiEEEENSA_INSB_IbEEEEZNS1_13binary_searchIS3_S5_SD_SD_SF_NS1_16binary_search_opENS9_16wrapped_functionINS0_4lessIvEEbEEEE10hipError_tPvRmT1_T2_T3_mmT4_T5_P12ihipStream_tbEUlRKiE_EESM_SQ_SR_mSS_SV_bEUlT_E_NS1_11comp_targetILNS1_3genE8ELNS1_11target_archE1030ELNS1_3gpuE2ELNS1_3repE0EEENS1_30default_config_static_selectorELNS0_4arch9wavefront6targetE1EEEvSP_.numbered_sgpr, 0
	.set _ZN7rocprim17ROCPRIM_400000_NS6detail17trampoline_kernelINS0_14default_configENS1_29binary_search_config_selectorIibEEZNS1_14transform_implILb0ES3_S5_N6thrust23THRUST_200600_302600_NS6detail15normal_iteratorINS8_10device_ptrIiEEEENSA_INSB_IbEEEEZNS1_13binary_searchIS3_S5_SD_SD_SF_NS1_16binary_search_opENS9_16wrapped_functionINS0_4lessIvEEbEEEE10hipError_tPvRmT1_T2_T3_mmT4_T5_P12ihipStream_tbEUlRKiE_EESM_SQ_SR_mSS_SV_bEUlT_E_NS1_11comp_targetILNS1_3genE8ELNS1_11target_archE1030ELNS1_3gpuE2ELNS1_3repE0EEENS1_30default_config_static_selectorELNS0_4arch9wavefront6targetE1EEEvSP_.num_named_barrier, 0
	.set _ZN7rocprim17ROCPRIM_400000_NS6detail17trampoline_kernelINS0_14default_configENS1_29binary_search_config_selectorIibEEZNS1_14transform_implILb0ES3_S5_N6thrust23THRUST_200600_302600_NS6detail15normal_iteratorINS8_10device_ptrIiEEEENSA_INSB_IbEEEEZNS1_13binary_searchIS3_S5_SD_SD_SF_NS1_16binary_search_opENS9_16wrapped_functionINS0_4lessIvEEbEEEE10hipError_tPvRmT1_T2_T3_mmT4_T5_P12ihipStream_tbEUlRKiE_EESM_SQ_SR_mSS_SV_bEUlT_E_NS1_11comp_targetILNS1_3genE8ELNS1_11target_archE1030ELNS1_3gpuE2ELNS1_3repE0EEENS1_30default_config_static_selectorELNS0_4arch9wavefront6targetE1EEEvSP_.private_seg_size, 0
	.set _ZN7rocprim17ROCPRIM_400000_NS6detail17trampoline_kernelINS0_14default_configENS1_29binary_search_config_selectorIibEEZNS1_14transform_implILb0ES3_S5_N6thrust23THRUST_200600_302600_NS6detail15normal_iteratorINS8_10device_ptrIiEEEENSA_INSB_IbEEEEZNS1_13binary_searchIS3_S5_SD_SD_SF_NS1_16binary_search_opENS9_16wrapped_functionINS0_4lessIvEEbEEEE10hipError_tPvRmT1_T2_T3_mmT4_T5_P12ihipStream_tbEUlRKiE_EESM_SQ_SR_mSS_SV_bEUlT_E_NS1_11comp_targetILNS1_3genE8ELNS1_11target_archE1030ELNS1_3gpuE2ELNS1_3repE0EEENS1_30default_config_static_selectorELNS0_4arch9wavefront6targetE1EEEvSP_.uses_vcc, 0
	.set _ZN7rocprim17ROCPRIM_400000_NS6detail17trampoline_kernelINS0_14default_configENS1_29binary_search_config_selectorIibEEZNS1_14transform_implILb0ES3_S5_N6thrust23THRUST_200600_302600_NS6detail15normal_iteratorINS8_10device_ptrIiEEEENSA_INSB_IbEEEEZNS1_13binary_searchIS3_S5_SD_SD_SF_NS1_16binary_search_opENS9_16wrapped_functionINS0_4lessIvEEbEEEE10hipError_tPvRmT1_T2_T3_mmT4_T5_P12ihipStream_tbEUlRKiE_EESM_SQ_SR_mSS_SV_bEUlT_E_NS1_11comp_targetILNS1_3genE8ELNS1_11target_archE1030ELNS1_3gpuE2ELNS1_3repE0EEENS1_30default_config_static_selectorELNS0_4arch9wavefront6targetE1EEEvSP_.uses_flat_scratch, 0
	.set _ZN7rocprim17ROCPRIM_400000_NS6detail17trampoline_kernelINS0_14default_configENS1_29binary_search_config_selectorIibEEZNS1_14transform_implILb0ES3_S5_N6thrust23THRUST_200600_302600_NS6detail15normal_iteratorINS8_10device_ptrIiEEEENSA_INSB_IbEEEEZNS1_13binary_searchIS3_S5_SD_SD_SF_NS1_16binary_search_opENS9_16wrapped_functionINS0_4lessIvEEbEEEE10hipError_tPvRmT1_T2_T3_mmT4_T5_P12ihipStream_tbEUlRKiE_EESM_SQ_SR_mSS_SV_bEUlT_E_NS1_11comp_targetILNS1_3genE8ELNS1_11target_archE1030ELNS1_3gpuE2ELNS1_3repE0EEENS1_30default_config_static_selectorELNS0_4arch9wavefront6targetE1EEEvSP_.has_dyn_sized_stack, 0
	.set _ZN7rocprim17ROCPRIM_400000_NS6detail17trampoline_kernelINS0_14default_configENS1_29binary_search_config_selectorIibEEZNS1_14transform_implILb0ES3_S5_N6thrust23THRUST_200600_302600_NS6detail15normal_iteratorINS8_10device_ptrIiEEEENSA_INSB_IbEEEEZNS1_13binary_searchIS3_S5_SD_SD_SF_NS1_16binary_search_opENS9_16wrapped_functionINS0_4lessIvEEbEEEE10hipError_tPvRmT1_T2_T3_mmT4_T5_P12ihipStream_tbEUlRKiE_EESM_SQ_SR_mSS_SV_bEUlT_E_NS1_11comp_targetILNS1_3genE8ELNS1_11target_archE1030ELNS1_3gpuE2ELNS1_3repE0EEENS1_30default_config_static_selectorELNS0_4arch9wavefront6targetE1EEEvSP_.has_recursion, 0
	.set _ZN7rocprim17ROCPRIM_400000_NS6detail17trampoline_kernelINS0_14default_configENS1_29binary_search_config_selectorIibEEZNS1_14transform_implILb0ES3_S5_N6thrust23THRUST_200600_302600_NS6detail15normal_iteratorINS8_10device_ptrIiEEEENSA_INSB_IbEEEEZNS1_13binary_searchIS3_S5_SD_SD_SF_NS1_16binary_search_opENS9_16wrapped_functionINS0_4lessIvEEbEEEE10hipError_tPvRmT1_T2_T3_mmT4_T5_P12ihipStream_tbEUlRKiE_EESM_SQ_SR_mSS_SV_bEUlT_E_NS1_11comp_targetILNS1_3genE8ELNS1_11target_archE1030ELNS1_3gpuE2ELNS1_3repE0EEENS1_30default_config_static_selectorELNS0_4arch9wavefront6targetE1EEEvSP_.has_indirect_call, 0
	.section	.AMDGPU.csdata,"",@progbits
; Kernel info:
; codeLenInByte = 0
; TotalNumSgprs: 4
; NumVgprs: 0
; ScratchSize: 0
; MemoryBound: 0
; FloatMode: 240
; IeeeMode: 1
; LDSByteSize: 0 bytes/workgroup (compile time only)
; SGPRBlocks: 0
; VGPRBlocks: 0
; NumSGPRsForWavesPerEU: 4
; NumVGPRsForWavesPerEU: 1
; Occupancy: 10
; WaveLimiterHint : 0
; COMPUTE_PGM_RSRC2:SCRATCH_EN: 0
; COMPUTE_PGM_RSRC2:USER_SGPR: 6
; COMPUTE_PGM_RSRC2:TRAP_HANDLER: 0
; COMPUTE_PGM_RSRC2:TGID_X_EN: 1
; COMPUTE_PGM_RSRC2:TGID_Y_EN: 0
; COMPUTE_PGM_RSRC2:TGID_Z_EN: 0
; COMPUTE_PGM_RSRC2:TIDIG_COMP_CNT: 0
	.section	.text._ZN7rocprim17ROCPRIM_400000_NS6detail17trampoline_kernelINS0_14default_configENS1_22reduce_config_selectorIN6thrust23THRUST_200600_302600_NS5tupleIblNS6_9null_typeES8_S8_S8_S8_S8_S8_S8_EEEEZNS1_11reduce_implILb1ES3_NS6_12zip_iteratorINS7_INS6_11hip_rocprim26transform_input_iterator_tIbNSD_35transform_pair_of_input_iterators_tIbNS6_6detail15normal_iteratorINS6_10device_ptrIKbEEEESL_NS6_8equal_toIbEEEENSG_9not_fun_tINSD_8identityEEEEENSD_19counting_iterator_tIlEES8_S8_S8_S8_S8_S8_S8_S8_EEEEPS9_S9_NSD_9__find_if7functorIS9_EEEE10hipError_tPvRmT1_T2_T3_mT4_P12ihipStream_tbEUlT_E0_NS1_11comp_targetILNS1_3genE0ELNS1_11target_archE4294967295ELNS1_3gpuE0ELNS1_3repE0EEENS1_30default_config_static_selectorELNS0_4arch9wavefront6targetE1EEEvS14_,"axG",@progbits,_ZN7rocprim17ROCPRIM_400000_NS6detail17trampoline_kernelINS0_14default_configENS1_22reduce_config_selectorIN6thrust23THRUST_200600_302600_NS5tupleIblNS6_9null_typeES8_S8_S8_S8_S8_S8_S8_EEEEZNS1_11reduce_implILb1ES3_NS6_12zip_iteratorINS7_INS6_11hip_rocprim26transform_input_iterator_tIbNSD_35transform_pair_of_input_iterators_tIbNS6_6detail15normal_iteratorINS6_10device_ptrIKbEEEESL_NS6_8equal_toIbEEEENSG_9not_fun_tINSD_8identityEEEEENSD_19counting_iterator_tIlEES8_S8_S8_S8_S8_S8_S8_S8_EEEEPS9_S9_NSD_9__find_if7functorIS9_EEEE10hipError_tPvRmT1_T2_T3_mT4_P12ihipStream_tbEUlT_E0_NS1_11comp_targetILNS1_3genE0ELNS1_11target_archE4294967295ELNS1_3gpuE0ELNS1_3repE0EEENS1_30default_config_static_selectorELNS0_4arch9wavefront6targetE1EEEvS14_,comdat
	.protected	_ZN7rocprim17ROCPRIM_400000_NS6detail17trampoline_kernelINS0_14default_configENS1_22reduce_config_selectorIN6thrust23THRUST_200600_302600_NS5tupleIblNS6_9null_typeES8_S8_S8_S8_S8_S8_S8_EEEEZNS1_11reduce_implILb1ES3_NS6_12zip_iteratorINS7_INS6_11hip_rocprim26transform_input_iterator_tIbNSD_35transform_pair_of_input_iterators_tIbNS6_6detail15normal_iteratorINS6_10device_ptrIKbEEEESL_NS6_8equal_toIbEEEENSG_9not_fun_tINSD_8identityEEEEENSD_19counting_iterator_tIlEES8_S8_S8_S8_S8_S8_S8_S8_EEEEPS9_S9_NSD_9__find_if7functorIS9_EEEE10hipError_tPvRmT1_T2_T3_mT4_P12ihipStream_tbEUlT_E0_NS1_11comp_targetILNS1_3genE0ELNS1_11target_archE4294967295ELNS1_3gpuE0ELNS1_3repE0EEENS1_30default_config_static_selectorELNS0_4arch9wavefront6targetE1EEEvS14_ ; -- Begin function _ZN7rocprim17ROCPRIM_400000_NS6detail17trampoline_kernelINS0_14default_configENS1_22reduce_config_selectorIN6thrust23THRUST_200600_302600_NS5tupleIblNS6_9null_typeES8_S8_S8_S8_S8_S8_S8_EEEEZNS1_11reduce_implILb1ES3_NS6_12zip_iteratorINS7_INS6_11hip_rocprim26transform_input_iterator_tIbNSD_35transform_pair_of_input_iterators_tIbNS6_6detail15normal_iteratorINS6_10device_ptrIKbEEEESL_NS6_8equal_toIbEEEENSG_9not_fun_tINSD_8identityEEEEENSD_19counting_iterator_tIlEES8_S8_S8_S8_S8_S8_S8_S8_EEEEPS9_S9_NSD_9__find_if7functorIS9_EEEE10hipError_tPvRmT1_T2_T3_mT4_P12ihipStream_tbEUlT_E0_NS1_11comp_targetILNS1_3genE0ELNS1_11target_archE4294967295ELNS1_3gpuE0ELNS1_3repE0EEENS1_30default_config_static_selectorELNS0_4arch9wavefront6targetE1EEEvS14_
	.globl	_ZN7rocprim17ROCPRIM_400000_NS6detail17trampoline_kernelINS0_14default_configENS1_22reduce_config_selectorIN6thrust23THRUST_200600_302600_NS5tupleIblNS6_9null_typeES8_S8_S8_S8_S8_S8_S8_EEEEZNS1_11reduce_implILb1ES3_NS6_12zip_iteratorINS7_INS6_11hip_rocprim26transform_input_iterator_tIbNSD_35transform_pair_of_input_iterators_tIbNS6_6detail15normal_iteratorINS6_10device_ptrIKbEEEESL_NS6_8equal_toIbEEEENSG_9not_fun_tINSD_8identityEEEEENSD_19counting_iterator_tIlEES8_S8_S8_S8_S8_S8_S8_S8_EEEEPS9_S9_NSD_9__find_if7functorIS9_EEEE10hipError_tPvRmT1_T2_T3_mT4_P12ihipStream_tbEUlT_E0_NS1_11comp_targetILNS1_3genE0ELNS1_11target_archE4294967295ELNS1_3gpuE0ELNS1_3repE0EEENS1_30default_config_static_selectorELNS0_4arch9wavefront6targetE1EEEvS14_
	.p2align	8
	.type	_ZN7rocprim17ROCPRIM_400000_NS6detail17trampoline_kernelINS0_14default_configENS1_22reduce_config_selectorIN6thrust23THRUST_200600_302600_NS5tupleIblNS6_9null_typeES8_S8_S8_S8_S8_S8_S8_EEEEZNS1_11reduce_implILb1ES3_NS6_12zip_iteratorINS7_INS6_11hip_rocprim26transform_input_iterator_tIbNSD_35transform_pair_of_input_iterators_tIbNS6_6detail15normal_iteratorINS6_10device_ptrIKbEEEESL_NS6_8equal_toIbEEEENSG_9not_fun_tINSD_8identityEEEEENSD_19counting_iterator_tIlEES8_S8_S8_S8_S8_S8_S8_S8_EEEEPS9_S9_NSD_9__find_if7functorIS9_EEEE10hipError_tPvRmT1_T2_T3_mT4_P12ihipStream_tbEUlT_E0_NS1_11comp_targetILNS1_3genE0ELNS1_11target_archE4294967295ELNS1_3gpuE0ELNS1_3repE0EEENS1_30default_config_static_selectorELNS0_4arch9wavefront6targetE1EEEvS14_,@function
_ZN7rocprim17ROCPRIM_400000_NS6detail17trampoline_kernelINS0_14default_configENS1_22reduce_config_selectorIN6thrust23THRUST_200600_302600_NS5tupleIblNS6_9null_typeES8_S8_S8_S8_S8_S8_S8_EEEEZNS1_11reduce_implILb1ES3_NS6_12zip_iteratorINS7_INS6_11hip_rocprim26transform_input_iterator_tIbNSD_35transform_pair_of_input_iterators_tIbNS6_6detail15normal_iteratorINS6_10device_ptrIKbEEEESL_NS6_8equal_toIbEEEENSG_9not_fun_tINSD_8identityEEEEENSD_19counting_iterator_tIlEES8_S8_S8_S8_S8_S8_S8_S8_EEEEPS9_S9_NSD_9__find_if7functorIS9_EEEE10hipError_tPvRmT1_T2_T3_mT4_P12ihipStream_tbEUlT_E0_NS1_11comp_targetILNS1_3genE0ELNS1_11target_archE4294967295ELNS1_3gpuE0ELNS1_3repE0EEENS1_30default_config_static_selectorELNS0_4arch9wavefront6targetE1EEEvS14_: ; @_ZN7rocprim17ROCPRIM_400000_NS6detail17trampoline_kernelINS0_14default_configENS1_22reduce_config_selectorIN6thrust23THRUST_200600_302600_NS5tupleIblNS6_9null_typeES8_S8_S8_S8_S8_S8_S8_EEEEZNS1_11reduce_implILb1ES3_NS6_12zip_iteratorINS7_INS6_11hip_rocprim26transform_input_iterator_tIbNSD_35transform_pair_of_input_iterators_tIbNS6_6detail15normal_iteratorINS6_10device_ptrIKbEEEESL_NS6_8equal_toIbEEEENSG_9not_fun_tINSD_8identityEEEEENSD_19counting_iterator_tIlEES8_S8_S8_S8_S8_S8_S8_S8_EEEEPS9_S9_NSD_9__find_if7functorIS9_EEEE10hipError_tPvRmT1_T2_T3_mT4_P12ihipStream_tbEUlT_E0_NS1_11comp_targetILNS1_3genE0ELNS1_11target_archE4294967295ELNS1_3gpuE0ELNS1_3repE0EEENS1_30default_config_static_selectorELNS0_4arch9wavefront6targetE1EEEvS14_
; %bb.0:
	.section	.rodata,"a",@progbits
	.p2align	6, 0x0
	.amdhsa_kernel _ZN7rocprim17ROCPRIM_400000_NS6detail17trampoline_kernelINS0_14default_configENS1_22reduce_config_selectorIN6thrust23THRUST_200600_302600_NS5tupleIblNS6_9null_typeES8_S8_S8_S8_S8_S8_S8_EEEEZNS1_11reduce_implILb1ES3_NS6_12zip_iteratorINS7_INS6_11hip_rocprim26transform_input_iterator_tIbNSD_35transform_pair_of_input_iterators_tIbNS6_6detail15normal_iteratorINS6_10device_ptrIKbEEEESL_NS6_8equal_toIbEEEENSG_9not_fun_tINSD_8identityEEEEENSD_19counting_iterator_tIlEES8_S8_S8_S8_S8_S8_S8_S8_EEEEPS9_S9_NSD_9__find_if7functorIS9_EEEE10hipError_tPvRmT1_T2_T3_mT4_P12ihipStream_tbEUlT_E0_NS1_11comp_targetILNS1_3genE0ELNS1_11target_archE4294967295ELNS1_3gpuE0ELNS1_3repE0EEENS1_30default_config_static_selectorELNS0_4arch9wavefront6targetE1EEEvS14_
		.amdhsa_group_segment_fixed_size 0
		.amdhsa_private_segment_fixed_size 0
		.amdhsa_kernarg_size 104
		.amdhsa_user_sgpr_count 6
		.amdhsa_user_sgpr_private_segment_buffer 1
		.amdhsa_user_sgpr_dispatch_ptr 0
		.amdhsa_user_sgpr_queue_ptr 0
		.amdhsa_user_sgpr_kernarg_segment_ptr 1
		.amdhsa_user_sgpr_dispatch_id 0
		.amdhsa_user_sgpr_flat_scratch_init 0
		.amdhsa_user_sgpr_private_segment_size 0
		.amdhsa_uses_dynamic_stack 0
		.amdhsa_system_sgpr_private_segment_wavefront_offset 0
		.amdhsa_system_sgpr_workgroup_id_x 1
		.amdhsa_system_sgpr_workgroup_id_y 0
		.amdhsa_system_sgpr_workgroup_id_z 0
		.amdhsa_system_sgpr_workgroup_info 0
		.amdhsa_system_vgpr_workitem_id 0
		.amdhsa_next_free_vgpr 1
		.amdhsa_next_free_sgpr 0
		.amdhsa_reserve_vcc 0
		.amdhsa_reserve_flat_scratch 0
		.amdhsa_float_round_mode_32 0
		.amdhsa_float_round_mode_16_64 0
		.amdhsa_float_denorm_mode_32 3
		.amdhsa_float_denorm_mode_16_64 3
		.amdhsa_dx10_clamp 1
		.amdhsa_ieee_mode 1
		.amdhsa_fp16_overflow 0
		.amdhsa_exception_fp_ieee_invalid_op 0
		.amdhsa_exception_fp_denorm_src 0
		.amdhsa_exception_fp_ieee_div_zero 0
		.amdhsa_exception_fp_ieee_overflow 0
		.amdhsa_exception_fp_ieee_underflow 0
		.amdhsa_exception_fp_ieee_inexact 0
		.amdhsa_exception_int_div_zero 0
	.end_amdhsa_kernel
	.section	.text._ZN7rocprim17ROCPRIM_400000_NS6detail17trampoline_kernelINS0_14default_configENS1_22reduce_config_selectorIN6thrust23THRUST_200600_302600_NS5tupleIblNS6_9null_typeES8_S8_S8_S8_S8_S8_S8_EEEEZNS1_11reduce_implILb1ES3_NS6_12zip_iteratorINS7_INS6_11hip_rocprim26transform_input_iterator_tIbNSD_35transform_pair_of_input_iterators_tIbNS6_6detail15normal_iteratorINS6_10device_ptrIKbEEEESL_NS6_8equal_toIbEEEENSG_9not_fun_tINSD_8identityEEEEENSD_19counting_iterator_tIlEES8_S8_S8_S8_S8_S8_S8_S8_EEEEPS9_S9_NSD_9__find_if7functorIS9_EEEE10hipError_tPvRmT1_T2_T3_mT4_P12ihipStream_tbEUlT_E0_NS1_11comp_targetILNS1_3genE0ELNS1_11target_archE4294967295ELNS1_3gpuE0ELNS1_3repE0EEENS1_30default_config_static_selectorELNS0_4arch9wavefront6targetE1EEEvS14_,"axG",@progbits,_ZN7rocprim17ROCPRIM_400000_NS6detail17trampoline_kernelINS0_14default_configENS1_22reduce_config_selectorIN6thrust23THRUST_200600_302600_NS5tupleIblNS6_9null_typeES8_S8_S8_S8_S8_S8_S8_EEEEZNS1_11reduce_implILb1ES3_NS6_12zip_iteratorINS7_INS6_11hip_rocprim26transform_input_iterator_tIbNSD_35transform_pair_of_input_iterators_tIbNS6_6detail15normal_iteratorINS6_10device_ptrIKbEEEESL_NS6_8equal_toIbEEEENSG_9not_fun_tINSD_8identityEEEEENSD_19counting_iterator_tIlEES8_S8_S8_S8_S8_S8_S8_S8_EEEEPS9_S9_NSD_9__find_if7functorIS9_EEEE10hipError_tPvRmT1_T2_T3_mT4_P12ihipStream_tbEUlT_E0_NS1_11comp_targetILNS1_3genE0ELNS1_11target_archE4294967295ELNS1_3gpuE0ELNS1_3repE0EEENS1_30default_config_static_selectorELNS0_4arch9wavefront6targetE1EEEvS14_,comdat
.Lfunc_end743:
	.size	_ZN7rocprim17ROCPRIM_400000_NS6detail17trampoline_kernelINS0_14default_configENS1_22reduce_config_selectorIN6thrust23THRUST_200600_302600_NS5tupleIblNS6_9null_typeES8_S8_S8_S8_S8_S8_S8_EEEEZNS1_11reduce_implILb1ES3_NS6_12zip_iteratorINS7_INS6_11hip_rocprim26transform_input_iterator_tIbNSD_35transform_pair_of_input_iterators_tIbNS6_6detail15normal_iteratorINS6_10device_ptrIKbEEEESL_NS6_8equal_toIbEEEENSG_9not_fun_tINSD_8identityEEEEENSD_19counting_iterator_tIlEES8_S8_S8_S8_S8_S8_S8_S8_EEEEPS9_S9_NSD_9__find_if7functorIS9_EEEE10hipError_tPvRmT1_T2_T3_mT4_P12ihipStream_tbEUlT_E0_NS1_11comp_targetILNS1_3genE0ELNS1_11target_archE4294967295ELNS1_3gpuE0ELNS1_3repE0EEENS1_30default_config_static_selectorELNS0_4arch9wavefront6targetE1EEEvS14_, .Lfunc_end743-_ZN7rocprim17ROCPRIM_400000_NS6detail17trampoline_kernelINS0_14default_configENS1_22reduce_config_selectorIN6thrust23THRUST_200600_302600_NS5tupleIblNS6_9null_typeES8_S8_S8_S8_S8_S8_S8_EEEEZNS1_11reduce_implILb1ES3_NS6_12zip_iteratorINS7_INS6_11hip_rocprim26transform_input_iterator_tIbNSD_35transform_pair_of_input_iterators_tIbNS6_6detail15normal_iteratorINS6_10device_ptrIKbEEEESL_NS6_8equal_toIbEEEENSG_9not_fun_tINSD_8identityEEEEENSD_19counting_iterator_tIlEES8_S8_S8_S8_S8_S8_S8_S8_EEEEPS9_S9_NSD_9__find_if7functorIS9_EEEE10hipError_tPvRmT1_T2_T3_mT4_P12ihipStream_tbEUlT_E0_NS1_11comp_targetILNS1_3genE0ELNS1_11target_archE4294967295ELNS1_3gpuE0ELNS1_3repE0EEENS1_30default_config_static_selectorELNS0_4arch9wavefront6targetE1EEEvS14_
                                        ; -- End function
	.set _ZN7rocprim17ROCPRIM_400000_NS6detail17trampoline_kernelINS0_14default_configENS1_22reduce_config_selectorIN6thrust23THRUST_200600_302600_NS5tupleIblNS6_9null_typeES8_S8_S8_S8_S8_S8_S8_EEEEZNS1_11reduce_implILb1ES3_NS6_12zip_iteratorINS7_INS6_11hip_rocprim26transform_input_iterator_tIbNSD_35transform_pair_of_input_iterators_tIbNS6_6detail15normal_iteratorINS6_10device_ptrIKbEEEESL_NS6_8equal_toIbEEEENSG_9not_fun_tINSD_8identityEEEEENSD_19counting_iterator_tIlEES8_S8_S8_S8_S8_S8_S8_S8_EEEEPS9_S9_NSD_9__find_if7functorIS9_EEEE10hipError_tPvRmT1_T2_T3_mT4_P12ihipStream_tbEUlT_E0_NS1_11comp_targetILNS1_3genE0ELNS1_11target_archE4294967295ELNS1_3gpuE0ELNS1_3repE0EEENS1_30default_config_static_selectorELNS0_4arch9wavefront6targetE1EEEvS14_.num_vgpr, 0
	.set _ZN7rocprim17ROCPRIM_400000_NS6detail17trampoline_kernelINS0_14default_configENS1_22reduce_config_selectorIN6thrust23THRUST_200600_302600_NS5tupleIblNS6_9null_typeES8_S8_S8_S8_S8_S8_S8_EEEEZNS1_11reduce_implILb1ES3_NS6_12zip_iteratorINS7_INS6_11hip_rocprim26transform_input_iterator_tIbNSD_35transform_pair_of_input_iterators_tIbNS6_6detail15normal_iteratorINS6_10device_ptrIKbEEEESL_NS6_8equal_toIbEEEENSG_9not_fun_tINSD_8identityEEEEENSD_19counting_iterator_tIlEES8_S8_S8_S8_S8_S8_S8_S8_EEEEPS9_S9_NSD_9__find_if7functorIS9_EEEE10hipError_tPvRmT1_T2_T3_mT4_P12ihipStream_tbEUlT_E0_NS1_11comp_targetILNS1_3genE0ELNS1_11target_archE4294967295ELNS1_3gpuE0ELNS1_3repE0EEENS1_30default_config_static_selectorELNS0_4arch9wavefront6targetE1EEEvS14_.num_agpr, 0
	.set _ZN7rocprim17ROCPRIM_400000_NS6detail17trampoline_kernelINS0_14default_configENS1_22reduce_config_selectorIN6thrust23THRUST_200600_302600_NS5tupleIblNS6_9null_typeES8_S8_S8_S8_S8_S8_S8_EEEEZNS1_11reduce_implILb1ES3_NS6_12zip_iteratorINS7_INS6_11hip_rocprim26transform_input_iterator_tIbNSD_35transform_pair_of_input_iterators_tIbNS6_6detail15normal_iteratorINS6_10device_ptrIKbEEEESL_NS6_8equal_toIbEEEENSG_9not_fun_tINSD_8identityEEEEENSD_19counting_iterator_tIlEES8_S8_S8_S8_S8_S8_S8_S8_EEEEPS9_S9_NSD_9__find_if7functorIS9_EEEE10hipError_tPvRmT1_T2_T3_mT4_P12ihipStream_tbEUlT_E0_NS1_11comp_targetILNS1_3genE0ELNS1_11target_archE4294967295ELNS1_3gpuE0ELNS1_3repE0EEENS1_30default_config_static_selectorELNS0_4arch9wavefront6targetE1EEEvS14_.numbered_sgpr, 0
	.set _ZN7rocprim17ROCPRIM_400000_NS6detail17trampoline_kernelINS0_14default_configENS1_22reduce_config_selectorIN6thrust23THRUST_200600_302600_NS5tupleIblNS6_9null_typeES8_S8_S8_S8_S8_S8_S8_EEEEZNS1_11reduce_implILb1ES3_NS6_12zip_iteratorINS7_INS6_11hip_rocprim26transform_input_iterator_tIbNSD_35transform_pair_of_input_iterators_tIbNS6_6detail15normal_iteratorINS6_10device_ptrIKbEEEESL_NS6_8equal_toIbEEEENSG_9not_fun_tINSD_8identityEEEEENSD_19counting_iterator_tIlEES8_S8_S8_S8_S8_S8_S8_S8_EEEEPS9_S9_NSD_9__find_if7functorIS9_EEEE10hipError_tPvRmT1_T2_T3_mT4_P12ihipStream_tbEUlT_E0_NS1_11comp_targetILNS1_3genE0ELNS1_11target_archE4294967295ELNS1_3gpuE0ELNS1_3repE0EEENS1_30default_config_static_selectorELNS0_4arch9wavefront6targetE1EEEvS14_.num_named_barrier, 0
	.set _ZN7rocprim17ROCPRIM_400000_NS6detail17trampoline_kernelINS0_14default_configENS1_22reduce_config_selectorIN6thrust23THRUST_200600_302600_NS5tupleIblNS6_9null_typeES8_S8_S8_S8_S8_S8_S8_EEEEZNS1_11reduce_implILb1ES3_NS6_12zip_iteratorINS7_INS6_11hip_rocprim26transform_input_iterator_tIbNSD_35transform_pair_of_input_iterators_tIbNS6_6detail15normal_iteratorINS6_10device_ptrIKbEEEESL_NS6_8equal_toIbEEEENSG_9not_fun_tINSD_8identityEEEEENSD_19counting_iterator_tIlEES8_S8_S8_S8_S8_S8_S8_S8_EEEEPS9_S9_NSD_9__find_if7functorIS9_EEEE10hipError_tPvRmT1_T2_T3_mT4_P12ihipStream_tbEUlT_E0_NS1_11comp_targetILNS1_3genE0ELNS1_11target_archE4294967295ELNS1_3gpuE0ELNS1_3repE0EEENS1_30default_config_static_selectorELNS0_4arch9wavefront6targetE1EEEvS14_.private_seg_size, 0
	.set _ZN7rocprim17ROCPRIM_400000_NS6detail17trampoline_kernelINS0_14default_configENS1_22reduce_config_selectorIN6thrust23THRUST_200600_302600_NS5tupleIblNS6_9null_typeES8_S8_S8_S8_S8_S8_S8_EEEEZNS1_11reduce_implILb1ES3_NS6_12zip_iteratorINS7_INS6_11hip_rocprim26transform_input_iterator_tIbNSD_35transform_pair_of_input_iterators_tIbNS6_6detail15normal_iteratorINS6_10device_ptrIKbEEEESL_NS6_8equal_toIbEEEENSG_9not_fun_tINSD_8identityEEEEENSD_19counting_iterator_tIlEES8_S8_S8_S8_S8_S8_S8_S8_EEEEPS9_S9_NSD_9__find_if7functorIS9_EEEE10hipError_tPvRmT1_T2_T3_mT4_P12ihipStream_tbEUlT_E0_NS1_11comp_targetILNS1_3genE0ELNS1_11target_archE4294967295ELNS1_3gpuE0ELNS1_3repE0EEENS1_30default_config_static_selectorELNS0_4arch9wavefront6targetE1EEEvS14_.uses_vcc, 0
	.set _ZN7rocprim17ROCPRIM_400000_NS6detail17trampoline_kernelINS0_14default_configENS1_22reduce_config_selectorIN6thrust23THRUST_200600_302600_NS5tupleIblNS6_9null_typeES8_S8_S8_S8_S8_S8_S8_EEEEZNS1_11reduce_implILb1ES3_NS6_12zip_iteratorINS7_INS6_11hip_rocprim26transform_input_iterator_tIbNSD_35transform_pair_of_input_iterators_tIbNS6_6detail15normal_iteratorINS6_10device_ptrIKbEEEESL_NS6_8equal_toIbEEEENSG_9not_fun_tINSD_8identityEEEEENSD_19counting_iterator_tIlEES8_S8_S8_S8_S8_S8_S8_S8_EEEEPS9_S9_NSD_9__find_if7functorIS9_EEEE10hipError_tPvRmT1_T2_T3_mT4_P12ihipStream_tbEUlT_E0_NS1_11comp_targetILNS1_3genE0ELNS1_11target_archE4294967295ELNS1_3gpuE0ELNS1_3repE0EEENS1_30default_config_static_selectorELNS0_4arch9wavefront6targetE1EEEvS14_.uses_flat_scratch, 0
	.set _ZN7rocprim17ROCPRIM_400000_NS6detail17trampoline_kernelINS0_14default_configENS1_22reduce_config_selectorIN6thrust23THRUST_200600_302600_NS5tupleIblNS6_9null_typeES8_S8_S8_S8_S8_S8_S8_EEEEZNS1_11reduce_implILb1ES3_NS6_12zip_iteratorINS7_INS6_11hip_rocprim26transform_input_iterator_tIbNSD_35transform_pair_of_input_iterators_tIbNS6_6detail15normal_iteratorINS6_10device_ptrIKbEEEESL_NS6_8equal_toIbEEEENSG_9not_fun_tINSD_8identityEEEEENSD_19counting_iterator_tIlEES8_S8_S8_S8_S8_S8_S8_S8_EEEEPS9_S9_NSD_9__find_if7functorIS9_EEEE10hipError_tPvRmT1_T2_T3_mT4_P12ihipStream_tbEUlT_E0_NS1_11comp_targetILNS1_3genE0ELNS1_11target_archE4294967295ELNS1_3gpuE0ELNS1_3repE0EEENS1_30default_config_static_selectorELNS0_4arch9wavefront6targetE1EEEvS14_.has_dyn_sized_stack, 0
	.set _ZN7rocprim17ROCPRIM_400000_NS6detail17trampoline_kernelINS0_14default_configENS1_22reduce_config_selectorIN6thrust23THRUST_200600_302600_NS5tupleIblNS6_9null_typeES8_S8_S8_S8_S8_S8_S8_EEEEZNS1_11reduce_implILb1ES3_NS6_12zip_iteratorINS7_INS6_11hip_rocprim26transform_input_iterator_tIbNSD_35transform_pair_of_input_iterators_tIbNS6_6detail15normal_iteratorINS6_10device_ptrIKbEEEESL_NS6_8equal_toIbEEEENSG_9not_fun_tINSD_8identityEEEEENSD_19counting_iterator_tIlEES8_S8_S8_S8_S8_S8_S8_S8_EEEEPS9_S9_NSD_9__find_if7functorIS9_EEEE10hipError_tPvRmT1_T2_T3_mT4_P12ihipStream_tbEUlT_E0_NS1_11comp_targetILNS1_3genE0ELNS1_11target_archE4294967295ELNS1_3gpuE0ELNS1_3repE0EEENS1_30default_config_static_selectorELNS0_4arch9wavefront6targetE1EEEvS14_.has_recursion, 0
	.set _ZN7rocprim17ROCPRIM_400000_NS6detail17trampoline_kernelINS0_14default_configENS1_22reduce_config_selectorIN6thrust23THRUST_200600_302600_NS5tupleIblNS6_9null_typeES8_S8_S8_S8_S8_S8_S8_EEEEZNS1_11reduce_implILb1ES3_NS6_12zip_iteratorINS7_INS6_11hip_rocprim26transform_input_iterator_tIbNSD_35transform_pair_of_input_iterators_tIbNS6_6detail15normal_iteratorINS6_10device_ptrIKbEEEESL_NS6_8equal_toIbEEEENSG_9not_fun_tINSD_8identityEEEEENSD_19counting_iterator_tIlEES8_S8_S8_S8_S8_S8_S8_S8_EEEEPS9_S9_NSD_9__find_if7functorIS9_EEEE10hipError_tPvRmT1_T2_T3_mT4_P12ihipStream_tbEUlT_E0_NS1_11comp_targetILNS1_3genE0ELNS1_11target_archE4294967295ELNS1_3gpuE0ELNS1_3repE0EEENS1_30default_config_static_selectorELNS0_4arch9wavefront6targetE1EEEvS14_.has_indirect_call, 0
	.section	.AMDGPU.csdata,"",@progbits
; Kernel info:
; codeLenInByte = 0
; TotalNumSgprs: 4
; NumVgprs: 0
; ScratchSize: 0
; MemoryBound: 0
; FloatMode: 240
; IeeeMode: 1
; LDSByteSize: 0 bytes/workgroup (compile time only)
; SGPRBlocks: 0
; VGPRBlocks: 0
; NumSGPRsForWavesPerEU: 4
; NumVGPRsForWavesPerEU: 1
; Occupancy: 10
; WaveLimiterHint : 0
; COMPUTE_PGM_RSRC2:SCRATCH_EN: 0
; COMPUTE_PGM_RSRC2:USER_SGPR: 6
; COMPUTE_PGM_RSRC2:TRAP_HANDLER: 0
; COMPUTE_PGM_RSRC2:TGID_X_EN: 1
; COMPUTE_PGM_RSRC2:TGID_Y_EN: 0
; COMPUTE_PGM_RSRC2:TGID_Z_EN: 0
; COMPUTE_PGM_RSRC2:TIDIG_COMP_CNT: 0
	.section	.text._ZN7rocprim17ROCPRIM_400000_NS6detail17trampoline_kernelINS0_14default_configENS1_22reduce_config_selectorIN6thrust23THRUST_200600_302600_NS5tupleIblNS6_9null_typeES8_S8_S8_S8_S8_S8_S8_EEEEZNS1_11reduce_implILb1ES3_NS6_12zip_iteratorINS7_INS6_11hip_rocprim26transform_input_iterator_tIbNSD_35transform_pair_of_input_iterators_tIbNS6_6detail15normal_iteratorINS6_10device_ptrIKbEEEESL_NS6_8equal_toIbEEEENSG_9not_fun_tINSD_8identityEEEEENSD_19counting_iterator_tIlEES8_S8_S8_S8_S8_S8_S8_S8_EEEEPS9_S9_NSD_9__find_if7functorIS9_EEEE10hipError_tPvRmT1_T2_T3_mT4_P12ihipStream_tbEUlT_E0_NS1_11comp_targetILNS1_3genE5ELNS1_11target_archE942ELNS1_3gpuE9ELNS1_3repE0EEENS1_30default_config_static_selectorELNS0_4arch9wavefront6targetE1EEEvS14_,"axG",@progbits,_ZN7rocprim17ROCPRIM_400000_NS6detail17trampoline_kernelINS0_14default_configENS1_22reduce_config_selectorIN6thrust23THRUST_200600_302600_NS5tupleIblNS6_9null_typeES8_S8_S8_S8_S8_S8_S8_EEEEZNS1_11reduce_implILb1ES3_NS6_12zip_iteratorINS7_INS6_11hip_rocprim26transform_input_iterator_tIbNSD_35transform_pair_of_input_iterators_tIbNS6_6detail15normal_iteratorINS6_10device_ptrIKbEEEESL_NS6_8equal_toIbEEEENSG_9not_fun_tINSD_8identityEEEEENSD_19counting_iterator_tIlEES8_S8_S8_S8_S8_S8_S8_S8_EEEEPS9_S9_NSD_9__find_if7functorIS9_EEEE10hipError_tPvRmT1_T2_T3_mT4_P12ihipStream_tbEUlT_E0_NS1_11comp_targetILNS1_3genE5ELNS1_11target_archE942ELNS1_3gpuE9ELNS1_3repE0EEENS1_30default_config_static_selectorELNS0_4arch9wavefront6targetE1EEEvS14_,comdat
	.protected	_ZN7rocprim17ROCPRIM_400000_NS6detail17trampoline_kernelINS0_14default_configENS1_22reduce_config_selectorIN6thrust23THRUST_200600_302600_NS5tupleIblNS6_9null_typeES8_S8_S8_S8_S8_S8_S8_EEEEZNS1_11reduce_implILb1ES3_NS6_12zip_iteratorINS7_INS6_11hip_rocprim26transform_input_iterator_tIbNSD_35transform_pair_of_input_iterators_tIbNS6_6detail15normal_iteratorINS6_10device_ptrIKbEEEESL_NS6_8equal_toIbEEEENSG_9not_fun_tINSD_8identityEEEEENSD_19counting_iterator_tIlEES8_S8_S8_S8_S8_S8_S8_S8_EEEEPS9_S9_NSD_9__find_if7functorIS9_EEEE10hipError_tPvRmT1_T2_T3_mT4_P12ihipStream_tbEUlT_E0_NS1_11comp_targetILNS1_3genE5ELNS1_11target_archE942ELNS1_3gpuE9ELNS1_3repE0EEENS1_30default_config_static_selectorELNS0_4arch9wavefront6targetE1EEEvS14_ ; -- Begin function _ZN7rocprim17ROCPRIM_400000_NS6detail17trampoline_kernelINS0_14default_configENS1_22reduce_config_selectorIN6thrust23THRUST_200600_302600_NS5tupleIblNS6_9null_typeES8_S8_S8_S8_S8_S8_S8_EEEEZNS1_11reduce_implILb1ES3_NS6_12zip_iteratorINS7_INS6_11hip_rocprim26transform_input_iterator_tIbNSD_35transform_pair_of_input_iterators_tIbNS6_6detail15normal_iteratorINS6_10device_ptrIKbEEEESL_NS6_8equal_toIbEEEENSG_9not_fun_tINSD_8identityEEEEENSD_19counting_iterator_tIlEES8_S8_S8_S8_S8_S8_S8_S8_EEEEPS9_S9_NSD_9__find_if7functorIS9_EEEE10hipError_tPvRmT1_T2_T3_mT4_P12ihipStream_tbEUlT_E0_NS1_11comp_targetILNS1_3genE5ELNS1_11target_archE942ELNS1_3gpuE9ELNS1_3repE0EEENS1_30default_config_static_selectorELNS0_4arch9wavefront6targetE1EEEvS14_
	.globl	_ZN7rocprim17ROCPRIM_400000_NS6detail17trampoline_kernelINS0_14default_configENS1_22reduce_config_selectorIN6thrust23THRUST_200600_302600_NS5tupleIblNS6_9null_typeES8_S8_S8_S8_S8_S8_S8_EEEEZNS1_11reduce_implILb1ES3_NS6_12zip_iteratorINS7_INS6_11hip_rocprim26transform_input_iterator_tIbNSD_35transform_pair_of_input_iterators_tIbNS6_6detail15normal_iteratorINS6_10device_ptrIKbEEEESL_NS6_8equal_toIbEEEENSG_9not_fun_tINSD_8identityEEEEENSD_19counting_iterator_tIlEES8_S8_S8_S8_S8_S8_S8_S8_EEEEPS9_S9_NSD_9__find_if7functorIS9_EEEE10hipError_tPvRmT1_T2_T3_mT4_P12ihipStream_tbEUlT_E0_NS1_11comp_targetILNS1_3genE5ELNS1_11target_archE942ELNS1_3gpuE9ELNS1_3repE0EEENS1_30default_config_static_selectorELNS0_4arch9wavefront6targetE1EEEvS14_
	.p2align	8
	.type	_ZN7rocprim17ROCPRIM_400000_NS6detail17trampoline_kernelINS0_14default_configENS1_22reduce_config_selectorIN6thrust23THRUST_200600_302600_NS5tupleIblNS6_9null_typeES8_S8_S8_S8_S8_S8_S8_EEEEZNS1_11reduce_implILb1ES3_NS6_12zip_iteratorINS7_INS6_11hip_rocprim26transform_input_iterator_tIbNSD_35transform_pair_of_input_iterators_tIbNS6_6detail15normal_iteratorINS6_10device_ptrIKbEEEESL_NS6_8equal_toIbEEEENSG_9not_fun_tINSD_8identityEEEEENSD_19counting_iterator_tIlEES8_S8_S8_S8_S8_S8_S8_S8_EEEEPS9_S9_NSD_9__find_if7functorIS9_EEEE10hipError_tPvRmT1_T2_T3_mT4_P12ihipStream_tbEUlT_E0_NS1_11comp_targetILNS1_3genE5ELNS1_11target_archE942ELNS1_3gpuE9ELNS1_3repE0EEENS1_30default_config_static_selectorELNS0_4arch9wavefront6targetE1EEEvS14_,@function
_ZN7rocprim17ROCPRIM_400000_NS6detail17trampoline_kernelINS0_14default_configENS1_22reduce_config_selectorIN6thrust23THRUST_200600_302600_NS5tupleIblNS6_9null_typeES8_S8_S8_S8_S8_S8_S8_EEEEZNS1_11reduce_implILb1ES3_NS6_12zip_iteratorINS7_INS6_11hip_rocprim26transform_input_iterator_tIbNSD_35transform_pair_of_input_iterators_tIbNS6_6detail15normal_iteratorINS6_10device_ptrIKbEEEESL_NS6_8equal_toIbEEEENSG_9not_fun_tINSD_8identityEEEEENSD_19counting_iterator_tIlEES8_S8_S8_S8_S8_S8_S8_S8_EEEEPS9_S9_NSD_9__find_if7functorIS9_EEEE10hipError_tPvRmT1_T2_T3_mT4_P12ihipStream_tbEUlT_E0_NS1_11comp_targetILNS1_3genE5ELNS1_11target_archE942ELNS1_3gpuE9ELNS1_3repE0EEENS1_30default_config_static_selectorELNS0_4arch9wavefront6targetE1EEEvS14_: ; @_ZN7rocprim17ROCPRIM_400000_NS6detail17trampoline_kernelINS0_14default_configENS1_22reduce_config_selectorIN6thrust23THRUST_200600_302600_NS5tupleIblNS6_9null_typeES8_S8_S8_S8_S8_S8_S8_EEEEZNS1_11reduce_implILb1ES3_NS6_12zip_iteratorINS7_INS6_11hip_rocprim26transform_input_iterator_tIbNSD_35transform_pair_of_input_iterators_tIbNS6_6detail15normal_iteratorINS6_10device_ptrIKbEEEESL_NS6_8equal_toIbEEEENSG_9not_fun_tINSD_8identityEEEEENSD_19counting_iterator_tIlEES8_S8_S8_S8_S8_S8_S8_S8_EEEEPS9_S9_NSD_9__find_if7functorIS9_EEEE10hipError_tPvRmT1_T2_T3_mT4_P12ihipStream_tbEUlT_E0_NS1_11comp_targetILNS1_3genE5ELNS1_11target_archE942ELNS1_3gpuE9ELNS1_3repE0EEENS1_30default_config_static_selectorELNS0_4arch9wavefront6targetE1EEEvS14_
; %bb.0:
	.section	.rodata,"a",@progbits
	.p2align	6, 0x0
	.amdhsa_kernel _ZN7rocprim17ROCPRIM_400000_NS6detail17trampoline_kernelINS0_14default_configENS1_22reduce_config_selectorIN6thrust23THRUST_200600_302600_NS5tupleIblNS6_9null_typeES8_S8_S8_S8_S8_S8_S8_EEEEZNS1_11reduce_implILb1ES3_NS6_12zip_iteratorINS7_INS6_11hip_rocprim26transform_input_iterator_tIbNSD_35transform_pair_of_input_iterators_tIbNS6_6detail15normal_iteratorINS6_10device_ptrIKbEEEESL_NS6_8equal_toIbEEEENSG_9not_fun_tINSD_8identityEEEEENSD_19counting_iterator_tIlEES8_S8_S8_S8_S8_S8_S8_S8_EEEEPS9_S9_NSD_9__find_if7functorIS9_EEEE10hipError_tPvRmT1_T2_T3_mT4_P12ihipStream_tbEUlT_E0_NS1_11comp_targetILNS1_3genE5ELNS1_11target_archE942ELNS1_3gpuE9ELNS1_3repE0EEENS1_30default_config_static_selectorELNS0_4arch9wavefront6targetE1EEEvS14_
		.amdhsa_group_segment_fixed_size 0
		.amdhsa_private_segment_fixed_size 0
		.amdhsa_kernarg_size 104
		.amdhsa_user_sgpr_count 6
		.amdhsa_user_sgpr_private_segment_buffer 1
		.amdhsa_user_sgpr_dispatch_ptr 0
		.amdhsa_user_sgpr_queue_ptr 0
		.amdhsa_user_sgpr_kernarg_segment_ptr 1
		.amdhsa_user_sgpr_dispatch_id 0
		.amdhsa_user_sgpr_flat_scratch_init 0
		.amdhsa_user_sgpr_private_segment_size 0
		.amdhsa_uses_dynamic_stack 0
		.amdhsa_system_sgpr_private_segment_wavefront_offset 0
		.amdhsa_system_sgpr_workgroup_id_x 1
		.amdhsa_system_sgpr_workgroup_id_y 0
		.amdhsa_system_sgpr_workgroup_id_z 0
		.amdhsa_system_sgpr_workgroup_info 0
		.amdhsa_system_vgpr_workitem_id 0
		.amdhsa_next_free_vgpr 1
		.amdhsa_next_free_sgpr 0
		.amdhsa_reserve_vcc 0
		.amdhsa_reserve_flat_scratch 0
		.amdhsa_float_round_mode_32 0
		.amdhsa_float_round_mode_16_64 0
		.amdhsa_float_denorm_mode_32 3
		.amdhsa_float_denorm_mode_16_64 3
		.amdhsa_dx10_clamp 1
		.amdhsa_ieee_mode 1
		.amdhsa_fp16_overflow 0
		.amdhsa_exception_fp_ieee_invalid_op 0
		.amdhsa_exception_fp_denorm_src 0
		.amdhsa_exception_fp_ieee_div_zero 0
		.amdhsa_exception_fp_ieee_overflow 0
		.amdhsa_exception_fp_ieee_underflow 0
		.amdhsa_exception_fp_ieee_inexact 0
		.amdhsa_exception_int_div_zero 0
	.end_amdhsa_kernel
	.section	.text._ZN7rocprim17ROCPRIM_400000_NS6detail17trampoline_kernelINS0_14default_configENS1_22reduce_config_selectorIN6thrust23THRUST_200600_302600_NS5tupleIblNS6_9null_typeES8_S8_S8_S8_S8_S8_S8_EEEEZNS1_11reduce_implILb1ES3_NS6_12zip_iteratorINS7_INS6_11hip_rocprim26transform_input_iterator_tIbNSD_35transform_pair_of_input_iterators_tIbNS6_6detail15normal_iteratorINS6_10device_ptrIKbEEEESL_NS6_8equal_toIbEEEENSG_9not_fun_tINSD_8identityEEEEENSD_19counting_iterator_tIlEES8_S8_S8_S8_S8_S8_S8_S8_EEEEPS9_S9_NSD_9__find_if7functorIS9_EEEE10hipError_tPvRmT1_T2_T3_mT4_P12ihipStream_tbEUlT_E0_NS1_11comp_targetILNS1_3genE5ELNS1_11target_archE942ELNS1_3gpuE9ELNS1_3repE0EEENS1_30default_config_static_selectorELNS0_4arch9wavefront6targetE1EEEvS14_,"axG",@progbits,_ZN7rocprim17ROCPRIM_400000_NS6detail17trampoline_kernelINS0_14default_configENS1_22reduce_config_selectorIN6thrust23THRUST_200600_302600_NS5tupleIblNS6_9null_typeES8_S8_S8_S8_S8_S8_S8_EEEEZNS1_11reduce_implILb1ES3_NS6_12zip_iteratorINS7_INS6_11hip_rocprim26transform_input_iterator_tIbNSD_35transform_pair_of_input_iterators_tIbNS6_6detail15normal_iteratorINS6_10device_ptrIKbEEEESL_NS6_8equal_toIbEEEENSG_9not_fun_tINSD_8identityEEEEENSD_19counting_iterator_tIlEES8_S8_S8_S8_S8_S8_S8_S8_EEEEPS9_S9_NSD_9__find_if7functorIS9_EEEE10hipError_tPvRmT1_T2_T3_mT4_P12ihipStream_tbEUlT_E0_NS1_11comp_targetILNS1_3genE5ELNS1_11target_archE942ELNS1_3gpuE9ELNS1_3repE0EEENS1_30default_config_static_selectorELNS0_4arch9wavefront6targetE1EEEvS14_,comdat
.Lfunc_end744:
	.size	_ZN7rocprim17ROCPRIM_400000_NS6detail17trampoline_kernelINS0_14default_configENS1_22reduce_config_selectorIN6thrust23THRUST_200600_302600_NS5tupleIblNS6_9null_typeES8_S8_S8_S8_S8_S8_S8_EEEEZNS1_11reduce_implILb1ES3_NS6_12zip_iteratorINS7_INS6_11hip_rocprim26transform_input_iterator_tIbNSD_35transform_pair_of_input_iterators_tIbNS6_6detail15normal_iteratorINS6_10device_ptrIKbEEEESL_NS6_8equal_toIbEEEENSG_9not_fun_tINSD_8identityEEEEENSD_19counting_iterator_tIlEES8_S8_S8_S8_S8_S8_S8_S8_EEEEPS9_S9_NSD_9__find_if7functorIS9_EEEE10hipError_tPvRmT1_T2_T3_mT4_P12ihipStream_tbEUlT_E0_NS1_11comp_targetILNS1_3genE5ELNS1_11target_archE942ELNS1_3gpuE9ELNS1_3repE0EEENS1_30default_config_static_selectorELNS0_4arch9wavefront6targetE1EEEvS14_, .Lfunc_end744-_ZN7rocprim17ROCPRIM_400000_NS6detail17trampoline_kernelINS0_14default_configENS1_22reduce_config_selectorIN6thrust23THRUST_200600_302600_NS5tupleIblNS6_9null_typeES8_S8_S8_S8_S8_S8_S8_EEEEZNS1_11reduce_implILb1ES3_NS6_12zip_iteratorINS7_INS6_11hip_rocprim26transform_input_iterator_tIbNSD_35transform_pair_of_input_iterators_tIbNS6_6detail15normal_iteratorINS6_10device_ptrIKbEEEESL_NS6_8equal_toIbEEEENSG_9not_fun_tINSD_8identityEEEEENSD_19counting_iterator_tIlEES8_S8_S8_S8_S8_S8_S8_S8_EEEEPS9_S9_NSD_9__find_if7functorIS9_EEEE10hipError_tPvRmT1_T2_T3_mT4_P12ihipStream_tbEUlT_E0_NS1_11comp_targetILNS1_3genE5ELNS1_11target_archE942ELNS1_3gpuE9ELNS1_3repE0EEENS1_30default_config_static_selectorELNS0_4arch9wavefront6targetE1EEEvS14_
                                        ; -- End function
	.set _ZN7rocprim17ROCPRIM_400000_NS6detail17trampoline_kernelINS0_14default_configENS1_22reduce_config_selectorIN6thrust23THRUST_200600_302600_NS5tupleIblNS6_9null_typeES8_S8_S8_S8_S8_S8_S8_EEEEZNS1_11reduce_implILb1ES3_NS6_12zip_iteratorINS7_INS6_11hip_rocprim26transform_input_iterator_tIbNSD_35transform_pair_of_input_iterators_tIbNS6_6detail15normal_iteratorINS6_10device_ptrIKbEEEESL_NS6_8equal_toIbEEEENSG_9not_fun_tINSD_8identityEEEEENSD_19counting_iterator_tIlEES8_S8_S8_S8_S8_S8_S8_S8_EEEEPS9_S9_NSD_9__find_if7functorIS9_EEEE10hipError_tPvRmT1_T2_T3_mT4_P12ihipStream_tbEUlT_E0_NS1_11comp_targetILNS1_3genE5ELNS1_11target_archE942ELNS1_3gpuE9ELNS1_3repE0EEENS1_30default_config_static_selectorELNS0_4arch9wavefront6targetE1EEEvS14_.num_vgpr, 0
	.set _ZN7rocprim17ROCPRIM_400000_NS6detail17trampoline_kernelINS0_14default_configENS1_22reduce_config_selectorIN6thrust23THRUST_200600_302600_NS5tupleIblNS6_9null_typeES8_S8_S8_S8_S8_S8_S8_EEEEZNS1_11reduce_implILb1ES3_NS6_12zip_iteratorINS7_INS6_11hip_rocprim26transform_input_iterator_tIbNSD_35transform_pair_of_input_iterators_tIbNS6_6detail15normal_iteratorINS6_10device_ptrIKbEEEESL_NS6_8equal_toIbEEEENSG_9not_fun_tINSD_8identityEEEEENSD_19counting_iterator_tIlEES8_S8_S8_S8_S8_S8_S8_S8_EEEEPS9_S9_NSD_9__find_if7functorIS9_EEEE10hipError_tPvRmT1_T2_T3_mT4_P12ihipStream_tbEUlT_E0_NS1_11comp_targetILNS1_3genE5ELNS1_11target_archE942ELNS1_3gpuE9ELNS1_3repE0EEENS1_30default_config_static_selectorELNS0_4arch9wavefront6targetE1EEEvS14_.num_agpr, 0
	.set _ZN7rocprim17ROCPRIM_400000_NS6detail17trampoline_kernelINS0_14default_configENS1_22reduce_config_selectorIN6thrust23THRUST_200600_302600_NS5tupleIblNS6_9null_typeES8_S8_S8_S8_S8_S8_S8_EEEEZNS1_11reduce_implILb1ES3_NS6_12zip_iteratorINS7_INS6_11hip_rocprim26transform_input_iterator_tIbNSD_35transform_pair_of_input_iterators_tIbNS6_6detail15normal_iteratorINS6_10device_ptrIKbEEEESL_NS6_8equal_toIbEEEENSG_9not_fun_tINSD_8identityEEEEENSD_19counting_iterator_tIlEES8_S8_S8_S8_S8_S8_S8_S8_EEEEPS9_S9_NSD_9__find_if7functorIS9_EEEE10hipError_tPvRmT1_T2_T3_mT4_P12ihipStream_tbEUlT_E0_NS1_11comp_targetILNS1_3genE5ELNS1_11target_archE942ELNS1_3gpuE9ELNS1_3repE0EEENS1_30default_config_static_selectorELNS0_4arch9wavefront6targetE1EEEvS14_.numbered_sgpr, 0
	.set _ZN7rocprim17ROCPRIM_400000_NS6detail17trampoline_kernelINS0_14default_configENS1_22reduce_config_selectorIN6thrust23THRUST_200600_302600_NS5tupleIblNS6_9null_typeES8_S8_S8_S8_S8_S8_S8_EEEEZNS1_11reduce_implILb1ES3_NS6_12zip_iteratorINS7_INS6_11hip_rocprim26transform_input_iterator_tIbNSD_35transform_pair_of_input_iterators_tIbNS6_6detail15normal_iteratorINS6_10device_ptrIKbEEEESL_NS6_8equal_toIbEEEENSG_9not_fun_tINSD_8identityEEEEENSD_19counting_iterator_tIlEES8_S8_S8_S8_S8_S8_S8_S8_EEEEPS9_S9_NSD_9__find_if7functorIS9_EEEE10hipError_tPvRmT1_T2_T3_mT4_P12ihipStream_tbEUlT_E0_NS1_11comp_targetILNS1_3genE5ELNS1_11target_archE942ELNS1_3gpuE9ELNS1_3repE0EEENS1_30default_config_static_selectorELNS0_4arch9wavefront6targetE1EEEvS14_.num_named_barrier, 0
	.set _ZN7rocprim17ROCPRIM_400000_NS6detail17trampoline_kernelINS0_14default_configENS1_22reduce_config_selectorIN6thrust23THRUST_200600_302600_NS5tupleIblNS6_9null_typeES8_S8_S8_S8_S8_S8_S8_EEEEZNS1_11reduce_implILb1ES3_NS6_12zip_iteratorINS7_INS6_11hip_rocprim26transform_input_iterator_tIbNSD_35transform_pair_of_input_iterators_tIbNS6_6detail15normal_iteratorINS6_10device_ptrIKbEEEESL_NS6_8equal_toIbEEEENSG_9not_fun_tINSD_8identityEEEEENSD_19counting_iterator_tIlEES8_S8_S8_S8_S8_S8_S8_S8_EEEEPS9_S9_NSD_9__find_if7functorIS9_EEEE10hipError_tPvRmT1_T2_T3_mT4_P12ihipStream_tbEUlT_E0_NS1_11comp_targetILNS1_3genE5ELNS1_11target_archE942ELNS1_3gpuE9ELNS1_3repE0EEENS1_30default_config_static_selectorELNS0_4arch9wavefront6targetE1EEEvS14_.private_seg_size, 0
	.set _ZN7rocprim17ROCPRIM_400000_NS6detail17trampoline_kernelINS0_14default_configENS1_22reduce_config_selectorIN6thrust23THRUST_200600_302600_NS5tupleIblNS6_9null_typeES8_S8_S8_S8_S8_S8_S8_EEEEZNS1_11reduce_implILb1ES3_NS6_12zip_iteratorINS7_INS6_11hip_rocprim26transform_input_iterator_tIbNSD_35transform_pair_of_input_iterators_tIbNS6_6detail15normal_iteratorINS6_10device_ptrIKbEEEESL_NS6_8equal_toIbEEEENSG_9not_fun_tINSD_8identityEEEEENSD_19counting_iterator_tIlEES8_S8_S8_S8_S8_S8_S8_S8_EEEEPS9_S9_NSD_9__find_if7functorIS9_EEEE10hipError_tPvRmT1_T2_T3_mT4_P12ihipStream_tbEUlT_E0_NS1_11comp_targetILNS1_3genE5ELNS1_11target_archE942ELNS1_3gpuE9ELNS1_3repE0EEENS1_30default_config_static_selectorELNS0_4arch9wavefront6targetE1EEEvS14_.uses_vcc, 0
	.set _ZN7rocprim17ROCPRIM_400000_NS6detail17trampoline_kernelINS0_14default_configENS1_22reduce_config_selectorIN6thrust23THRUST_200600_302600_NS5tupleIblNS6_9null_typeES8_S8_S8_S8_S8_S8_S8_EEEEZNS1_11reduce_implILb1ES3_NS6_12zip_iteratorINS7_INS6_11hip_rocprim26transform_input_iterator_tIbNSD_35transform_pair_of_input_iterators_tIbNS6_6detail15normal_iteratorINS6_10device_ptrIKbEEEESL_NS6_8equal_toIbEEEENSG_9not_fun_tINSD_8identityEEEEENSD_19counting_iterator_tIlEES8_S8_S8_S8_S8_S8_S8_S8_EEEEPS9_S9_NSD_9__find_if7functorIS9_EEEE10hipError_tPvRmT1_T2_T3_mT4_P12ihipStream_tbEUlT_E0_NS1_11comp_targetILNS1_3genE5ELNS1_11target_archE942ELNS1_3gpuE9ELNS1_3repE0EEENS1_30default_config_static_selectorELNS0_4arch9wavefront6targetE1EEEvS14_.uses_flat_scratch, 0
	.set _ZN7rocprim17ROCPRIM_400000_NS6detail17trampoline_kernelINS0_14default_configENS1_22reduce_config_selectorIN6thrust23THRUST_200600_302600_NS5tupleIblNS6_9null_typeES8_S8_S8_S8_S8_S8_S8_EEEEZNS1_11reduce_implILb1ES3_NS6_12zip_iteratorINS7_INS6_11hip_rocprim26transform_input_iterator_tIbNSD_35transform_pair_of_input_iterators_tIbNS6_6detail15normal_iteratorINS6_10device_ptrIKbEEEESL_NS6_8equal_toIbEEEENSG_9not_fun_tINSD_8identityEEEEENSD_19counting_iterator_tIlEES8_S8_S8_S8_S8_S8_S8_S8_EEEEPS9_S9_NSD_9__find_if7functorIS9_EEEE10hipError_tPvRmT1_T2_T3_mT4_P12ihipStream_tbEUlT_E0_NS1_11comp_targetILNS1_3genE5ELNS1_11target_archE942ELNS1_3gpuE9ELNS1_3repE0EEENS1_30default_config_static_selectorELNS0_4arch9wavefront6targetE1EEEvS14_.has_dyn_sized_stack, 0
	.set _ZN7rocprim17ROCPRIM_400000_NS6detail17trampoline_kernelINS0_14default_configENS1_22reduce_config_selectorIN6thrust23THRUST_200600_302600_NS5tupleIblNS6_9null_typeES8_S8_S8_S8_S8_S8_S8_EEEEZNS1_11reduce_implILb1ES3_NS6_12zip_iteratorINS7_INS6_11hip_rocprim26transform_input_iterator_tIbNSD_35transform_pair_of_input_iterators_tIbNS6_6detail15normal_iteratorINS6_10device_ptrIKbEEEESL_NS6_8equal_toIbEEEENSG_9not_fun_tINSD_8identityEEEEENSD_19counting_iterator_tIlEES8_S8_S8_S8_S8_S8_S8_S8_EEEEPS9_S9_NSD_9__find_if7functorIS9_EEEE10hipError_tPvRmT1_T2_T3_mT4_P12ihipStream_tbEUlT_E0_NS1_11comp_targetILNS1_3genE5ELNS1_11target_archE942ELNS1_3gpuE9ELNS1_3repE0EEENS1_30default_config_static_selectorELNS0_4arch9wavefront6targetE1EEEvS14_.has_recursion, 0
	.set _ZN7rocprim17ROCPRIM_400000_NS6detail17trampoline_kernelINS0_14default_configENS1_22reduce_config_selectorIN6thrust23THRUST_200600_302600_NS5tupleIblNS6_9null_typeES8_S8_S8_S8_S8_S8_S8_EEEEZNS1_11reduce_implILb1ES3_NS6_12zip_iteratorINS7_INS6_11hip_rocprim26transform_input_iterator_tIbNSD_35transform_pair_of_input_iterators_tIbNS6_6detail15normal_iteratorINS6_10device_ptrIKbEEEESL_NS6_8equal_toIbEEEENSG_9not_fun_tINSD_8identityEEEEENSD_19counting_iterator_tIlEES8_S8_S8_S8_S8_S8_S8_S8_EEEEPS9_S9_NSD_9__find_if7functorIS9_EEEE10hipError_tPvRmT1_T2_T3_mT4_P12ihipStream_tbEUlT_E0_NS1_11comp_targetILNS1_3genE5ELNS1_11target_archE942ELNS1_3gpuE9ELNS1_3repE0EEENS1_30default_config_static_selectorELNS0_4arch9wavefront6targetE1EEEvS14_.has_indirect_call, 0
	.section	.AMDGPU.csdata,"",@progbits
; Kernel info:
; codeLenInByte = 0
; TotalNumSgprs: 4
; NumVgprs: 0
; ScratchSize: 0
; MemoryBound: 0
; FloatMode: 240
; IeeeMode: 1
; LDSByteSize: 0 bytes/workgroup (compile time only)
; SGPRBlocks: 0
; VGPRBlocks: 0
; NumSGPRsForWavesPerEU: 4
; NumVGPRsForWavesPerEU: 1
; Occupancy: 10
; WaveLimiterHint : 0
; COMPUTE_PGM_RSRC2:SCRATCH_EN: 0
; COMPUTE_PGM_RSRC2:USER_SGPR: 6
; COMPUTE_PGM_RSRC2:TRAP_HANDLER: 0
; COMPUTE_PGM_RSRC2:TGID_X_EN: 1
; COMPUTE_PGM_RSRC2:TGID_Y_EN: 0
; COMPUTE_PGM_RSRC2:TGID_Z_EN: 0
; COMPUTE_PGM_RSRC2:TIDIG_COMP_CNT: 0
	.section	.text._ZN7rocprim17ROCPRIM_400000_NS6detail17trampoline_kernelINS0_14default_configENS1_22reduce_config_selectorIN6thrust23THRUST_200600_302600_NS5tupleIblNS6_9null_typeES8_S8_S8_S8_S8_S8_S8_EEEEZNS1_11reduce_implILb1ES3_NS6_12zip_iteratorINS7_INS6_11hip_rocprim26transform_input_iterator_tIbNSD_35transform_pair_of_input_iterators_tIbNS6_6detail15normal_iteratorINS6_10device_ptrIKbEEEESL_NS6_8equal_toIbEEEENSG_9not_fun_tINSD_8identityEEEEENSD_19counting_iterator_tIlEES8_S8_S8_S8_S8_S8_S8_S8_EEEEPS9_S9_NSD_9__find_if7functorIS9_EEEE10hipError_tPvRmT1_T2_T3_mT4_P12ihipStream_tbEUlT_E0_NS1_11comp_targetILNS1_3genE4ELNS1_11target_archE910ELNS1_3gpuE8ELNS1_3repE0EEENS1_30default_config_static_selectorELNS0_4arch9wavefront6targetE1EEEvS14_,"axG",@progbits,_ZN7rocprim17ROCPRIM_400000_NS6detail17trampoline_kernelINS0_14default_configENS1_22reduce_config_selectorIN6thrust23THRUST_200600_302600_NS5tupleIblNS6_9null_typeES8_S8_S8_S8_S8_S8_S8_EEEEZNS1_11reduce_implILb1ES3_NS6_12zip_iteratorINS7_INS6_11hip_rocprim26transform_input_iterator_tIbNSD_35transform_pair_of_input_iterators_tIbNS6_6detail15normal_iteratorINS6_10device_ptrIKbEEEESL_NS6_8equal_toIbEEEENSG_9not_fun_tINSD_8identityEEEEENSD_19counting_iterator_tIlEES8_S8_S8_S8_S8_S8_S8_S8_EEEEPS9_S9_NSD_9__find_if7functorIS9_EEEE10hipError_tPvRmT1_T2_T3_mT4_P12ihipStream_tbEUlT_E0_NS1_11comp_targetILNS1_3genE4ELNS1_11target_archE910ELNS1_3gpuE8ELNS1_3repE0EEENS1_30default_config_static_selectorELNS0_4arch9wavefront6targetE1EEEvS14_,comdat
	.protected	_ZN7rocprim17ROCPRIM_400000_NS6detail17trampoline_kernelINS0_14default_configENS1_22reduce_config_selectorIN6thrust23THRUST_200600_302600_NS5tupleIblNS6_9null_typeES8_S8_S8_S8_S8_S8_S8_EEEEZNS1_11reduce_implILb1ES3_NS6_12zip_iteratorINS7_INS6_11hip_rocprim26transform_input_iterator_tIbNSD_35transform_pair_of_input_iterators_tIbNS6_6detail15normal_iteratorINS6_10device_ptrIKbEEEESL_NS6_8equal_toIbEEEENSG_9not_fun_tINSD_8identityEEEEENSD_19counting_iterator_tIlEES8_S8_S8_S8_S8_S8_S8_S8_EEEEPS9_S9_NSD_9__find_if7functorIS9_EEEE10hipError_tPvRmT1_T2_T3_mT4_P12ihipStream_tbEUlT_E0_NS1_11comp_targetILNS1_3genE4ELNS1_11target_archE910ELNS1_3gpuE8ELNS1_3repE0EEENS1_30default_config_static_selectorELNS0_4arch9wavefront6targetE1EEEvS14_ ; -- Begin function _ZN7rocprim17ROCPRIM_400000_NS6detail17trampoline_kernelINS0_14default_configENS1_22reduce_config_selectorIN6thrust23THRUST_200600_302600_NS5tupleIblNS6_9null_typeES8_S8_S8_S8_S8_S8_S8_EEEEZNS1_11reduce_implILb1ES3_NS6_12zip_iteratorINS7_INS6_11hip_rocprim26transform_input_iterator_tIbNSD_35transform_pair_of_input_iterators_tIbNS6_6detail15normal_iteratorINS6_10device_ptrIKbEEEESL_NS6_8equal_toIbEEEENSG_9not_fun_tINSD_8identityEEEEENSD_19counting_iterator_tIlEES8_S8_S8_S8_S8_S8_S8_S8_EEEEPS9_S9_NSD_9__find_if7functorIS9_EEEE10hipError_tPvRmT1_T2_T3_mT4_P12ihipStream_tbEUlT_E0_NS1_11comp_targetILNS1_3genE4ELNS1_11target_archE910ELNS1_3gpuE8ELNS1_3repE0EEENS1_30default_config_static_selectorELNS0_4arch9wavefront6targetE1EEEvS14_
	.globl	_ZN7rocprim17ROCPRIM_400000_NS6detail17trampoline_kernelINS0_14default_configENS1_22reduce_config_selectorIN6thrust23THRUST_200600_302600_NS5tupleIblNS6_9null_typeES8_S8_S8_S8_S8_S8_S8_EEEEZNS1_11reduce_implILb1ES3_NS6_12zip_iteratorINS7_INS6_11hip_rocprim26transform_input_iterator_tIbNSD_35transform_pair_of_input_iterators_tIbNS6_6detail15normal_iteratorINS6_10device_ptrIKbEEEESL_NS6_8equal_toIbEEEENSG_9not_fun_tINSD_8identityEEEEENSD_19counting_iterator_tIlEES8_S8_S8_S8_S8_S8_S8_S8_EEEEPS9_S9_NSD_9__find_if7functorIS9_EEEE10hipError_tPvRmT1_T2_T3_mT4_P12ihipStream_tbEUlT_E0_NS1_11comp_targetILNS1_3genE4ELNS1_11target_archE910ELNS1_3gpuE8ELNS1_3repE0EEENS1_30default_config_static_selectorELNS0_4arch9wavefront6targetE1EEEvS14_
	.p2align	8
	.type	_ZN7rocprim17ROCPRIM_400000_NS6detail17trampoline_kernelINS0_14default_configENS1_22reduce_config_selectorIN6thrust23THRUST_200600_302600_NS5tupleIblNS6_9null_typeES8_S8_S8_S8_S8_S8_S8_EEEEZNS1_11reduce_implILb1ES3_NS6_12zip_iteratorINS7_INS6_11hip_rocprim26transform_input_iterator_tIbNSD_35transform_pair_of_input_iterators_tIbNS6_6detail15normal_iteratorINS6_10device_ptrIKbEEEESL_NS6_8equal_toIbEEEENSG_9not_fun_tINSD_8identityEEEEENSD_19counting_iterator_tIlEES8_S8_S8_S8_S8_S8_S8_S8_EEEEPS9_S9_NSD_9__find_if7functorIS9_EEEE10hipError_tPvRmT1_T2_T3_mT4_P12ihipStream_tbEUlT_E0_NS1_11comp_targetILNS1_3genE4ELNS1_11target_archE910ELNS1_3gpuE8ELNS1_3repE0EEENS1_30default_config_static_selectorELNS0_4arch9wavefront6targetE1EEEvS14_,@function
_ZN7rocprim17ROCPRIM_400000_NS6detail17trampoline_kernelINS0_14default_configENS1_22reduce_config_selectorIN6thrust23THRUST_200600_302600_NS5tupleIblNS6_9null_typeES8_S8_S8_S8_S8_S8_S8_EEEEZNS1_11reduce_implILb1ES3_NS6_12zip_iteratorINS7_INS6_11hip_rocprim26transform_input_iterator_tIbNSD_35transform_pair_of_input_iterators_tIbNS6_6detail15normal_iteratorINS6_10device_ptrIKbEEEESL_NS6_8equal_toIbEEEENSG_9not_fun_tINSD_8identityEEEEENSD_19counting_iterator_tIlEES8_S8_S8_S8_S8_S8_S8_S8_EEEEPS9_S9_NSD_9__find_if7functorIS9_EEEE10hipError_tPvRmT1_T2_T3_mT4_P12ihipStream_tbEUlT_E0_NS1_11comp_targetILNS1_3genE4ELNS1_11target_archE910ELNS1_3gpuE8ELNS1_3repE0EEENS1_30default_config_static_selectorELNS0_4arch9wavefront6targetE1EEEvS14_: ; @_ZN7rocprim17ROCPRIM_400000_NS6detail17trampoline_kernelINS0_14default_configENS1_22reduce_config_selectorIN6thrust23THRUST_200600_302600_NS5tupleIblNS6_9null_typeES8_S8_S8_S8_S8_S8_S8_EEEEZNS1_11reduce_implILb1ES3_NS6_12zip_iteratorINS7_INS6_11hip_rocprim26transform_input_iterator_tIbNSD_35transform_pair_of_input_iterators_tIbNS6_6detail15normal_iteratorINS6_10device_ptrIKbEEEESL_NS6_8equal_toIbEEEENSG_9not_fun_tINSD_8identityEEEEENSD_19counting_iterator_tIlEES8_S8_S8_S8_S8_S8_S8_S8_EEEEPS9_S9_NSD_9__find_if7functorIS9_EEEE10hipError_tPvRmT1_T2_T3_mT4_P12ihipStream_tbEUlT_E0_NS1_11comp_targetILNS1_3genE4ELNS1_11target_archE910ELNS1_3gpuE8ELNS1_3repE0EEENS1_30default_config_static_selectorELNS0_4arch9wavefront6targetE1EEEvS14_
; %bb.0:
	.section	.rodata,"a",@progbits
	.p2align	6, 0x0
	.amdhsa_kernel _ZN7rocprim17ROCPRIM_400000_NS6detail17trampoline_kernelINS0_14default_configENS1_22reduce_config_selectorIN6thrust23THRUST_200600_302600_NS5tupleIblNS6_9null_typeES8_S8_S8_S8_S8_S8_S8_EEEEZNS1_11reduce_implILb1ES3_NS6_12zip_iteratorINS7_INS6_11hip_rocprim26transform_input_iterator_tIbNSD_35transform_pair_of_input_iterators_tIbNS6_6detail15normal_iteratorINS6_10device_ptrIKbEEEESL_NS6_8equal_toIbEEEENSG_9not_fun_tINSD_8identityEEEEENSD_19counting_iterator_tIlEES8_S8_S8_S8_S8_S8_S8_S8_EEEEPS9_S9_NSD_9__find_if7functorIS9_EEEE10hipError_tPvRmT1_T2_T3_mT4_P12ihipStream_tbEUlT_E0_NS1_11comp_targetILNS1_3genE4ELNS1_11target_archE910ELNS1_3gpuE8ELNS1_3repE0EEENS1_30default_config_static_selectorELNS0_4arch9wavefront6targetE1EEEvS14_
		.amdhsa_group_segment_fixed_size 0
		.amdhsa_private_segment_fixed_size 0
		.amdhsa_kernarg_size 104
		.amdhsa_user_sgpr_count 6
		.amdhsa_user_sgpr_private_segment_buffer 1
		.amdhsa_user_sgpr_dispatch_ptr 0
		.amdhsa_user_sgpr_queue_ptr 0
		.amdhsa_user_sgpr_kernarg_segment_ptr 1
		.amdhsa_user_sgpr_dispatch_id 0
		.amdhsa_user_sgpr_flat_scratch_init 0
		.amdhsa_user_sgpr_private_segment_size 0
		.amdhsa_uses_dynamic_stack 0
		.amdhsa_system_sgpr_private_segment_wavefront_offset 0
		.amdhsa_system_sgpr_workgroup_id_x 1
		.amdhsa_system_sgpr_workgroup_id_y 0
		.amdhsa_system_sgpr_workgroup_id_z 0
		.amdhsa_system_sgpr_workgroup_info 0
		.amdhsa_system_vgpr_workitem_id 0
		.amdhsa_next_free_vgpr 1
		.amdhsa_next_free_sgpr 0
		.amdhsa_reserve_vcc 0
		.amdhsa_reserve_flat_scratch 0
		.amdhsa_float_round_mode_32 0
		.amdhsa_float_round_mode_16_64 0
		.amdhsa_float_denorm_mode_32 3
		.amdhsa_float_denorm_mode_16_64 3
		.amdhsa_dx10_clamp 1
		.amdhsa_ieee_mode 1
		.amdhsa_fp16_overflow 0
		.amdhsa_exception_fp_ieee_invalid_op 0
		.amdhsa_exception_fp_denorm_src 0
		.amdhsa_exception_fp_ieee_div_zero 0
		.amdhsa_exception_fp_ieee_overflow 0
		.amdhsa_exception_fp_ieee_underflow 0
		.amdhsa_exception_fp_ieee_inexact 0
		.amdhsa_exception_int_div_zero 0
	.end_amdhsa_kernel
	.section	.text._ZN7rocprim17ROCPRIM_400000_NS6detail17trampoline_kernelINS0_14default_configENS1_22reduce_config_selectorIN6thrust23THRUST_200600_302600_NS5tupleIblNS6_9null_typeES8_S8_S8_S8_S8_S8_S8_EEEEZNS1_11reduce_implILb1ES3_NS6_12zip_iteratorINS7_INS6_11hip_rocprim26transform_input_iterator_tIbNSD_35transform_pair_of_input_iterators_tIbNS6_6detail15normal_iteratorINS6_10device_ptrIKbEEEESL_NS6_8equal_toIbEEEENSG_9not_fun_tINSD_8identityEEEEENSD_19counting_iterator_tIlEES8_S8_S8_S8_S8_S8_S8_S8_EEEEPS9_S9_NSD_9__find_if7functorIS9_EEEE10hipError_tPvRmT1_T2_T3_mT4_P12ihipStream_tbEUlT_E0_NS1_11comp_targetILNS1_3genE4ELNS1_11target_archE910ELNS1_3gpuE8ELNS1_3repE0EEENS1_30default_config_static_selectorELNS0_4arch9wavefront6targetE1EEEvS14_,"axG",@progbits,_ZN7rocprim17ROCPRIM_400000_NS6detail17trampoline_kernelINS0_14default_configENS1_22reduce_config_selectorIN6thrust23THRUST_200600_302600_NS5tupleIblNS6_9null_typeES8_S8_S8_S8_S8_S8_S8_EEEEZNS1_11reduce_implILb1ES3_NS6_12zip_iteratorINS7_INS6_11hip_rocprim26transform_input_iterator_tIbNSD_35transform_pair_of_input_iterators_tIbNS6_6detail15normal_iteratorINS6_10device_ptrIKbEEEESL_NS6_8equal_toIbEEEENSG_9not_fun_tINSD_8identityEEEEENSD_19counting_iterator_tIlEES8_S8_S8_S8_S8_S8_S8_S8_EEEEPS9_S9_NSD_9__find_if7functorIS9_EEEE10hipError_tPvRmT1_T2_T3_mT4_P12ihipStream_tbEUlT_E0_NS1_11comp_targetILNS1_3genE4ELNS1_11target_archE910ELNS1_3gpuE8ELNS1_3repE0EEENS1_30default_config_static_selectorELNS0_4arch9wavefront6targetE1EEEvS14_,comdat
.Lfunc_end745:
	.size	_ZN7rocprim17ROCPRIM_400000_NS6detail17trampoline_kernelINS0_14default_configENS1_22reduce_config_selectorIN6thrust23THRUST_200600_302600_NS5tupleIblNS6_9null_typeES8_S8_S8_S8_S8_S8_S8_EEEEZNS1_11reduce_implILb1ES3_NS6_12zip_iteratorINS7_INS6_11hip_rocprim26transform_input_iterator_tIbNSD_35transform_pair_of_input_iterators_tIbNS6_6detail15normal_iteratorINS6_10device_ptrIKbEEEESL_NS6_8equal_toIbEEEENSG_9not_fun_tINSD_8identityEEEEENSD_19counting_iterator_tIlEES8_S8_S8_S8_S8_S8_S8_S8_EEEEPS9_S9_NSD_9__find_if7functorIS9_EEEE10hipError_tPvRmT1_T2_T3_mT4_P12ihipStream_tbEUlT_E0_NS1_11comp_targetILNS1_3genE4ELNS1_11target_archE910ELNS1_3gpuE8ELNS1_3repE0EEENS1_30default_config_static_selectorELNS0_4arch9wavefront6targetE1EEEvS14_, .Lfunc_end745-_ZN7rocprim17ROCPRIM_400000_NS6detail17trampoline_kernelINS0_14default_configENS1_22reduce_config_selectorIN6thrust23THRUST_200600_302600_NS5tupleIblNS6_9null_typeES8_S8_S8_S8_S8_S8_S8_EEEEZNS1_11reduce_implILb1ES3_NS6_12zip_iteratorINS7_INS6_11hip_rocprim26transform_input_iterator_tIbNSD_35transform_pair_of_input_iterators_tIbNS6_6detail15normal_iteratorINS6_10device_ptrIKbEEEESL_NS6_8equal_toIbEEEENSG_9not_fun_tINSD_8identityEEEEENSD_19counting_iterator_tIlEES8_S8_S8_S8_S8_S8_S8_S8_EEEEPS9_S9_NSD_9__find_if7functorIS9_EEEE10hipError_tPvRmT1_T2_T3_mT4_P12ihipStream_tbEUlT_E0_NS1_11comp_targetILNS1_3genE4ELNS1_11target_archE910ELNS1_3gpuE8ELNS1_3repE0EEENS1_30default_config_static_selectorELNS0_4arch9wavefront6targetE1EEEvS14_
                                        ; -- End function
	.set _ZN7rocprim17ROCPRIM_400000_NS6detail17trampoline_kernelINS0_14default_configENS1_22reduce_config_selectorIN6thrust23THRUST_200600_302600_NS5tupleIblNS6_9null_typeES8_S8_S8_S8_S8_S8_S8_EEEEZNS1_11reduce_implILb1ES3_NS6_12zip_iteratorINS7_INS6_11hip_rocprim26transform_input_iterator_tIbNSD_35transform_pair_of_input_iterators_tIbNS6_6detail15normal_iteratorINS6_10device_ptrIKbEEEESL_NS6_8equal_toIbEEEENSG_9not_fun_tINSD_8identityEEEEENSD_19counting_iterator_tIlEES8_S8_S8_S8_S8_S8_S8_S8_EEEEPS9_S9_NSD_9__find_if7functorIS9_EEEE10hipError_tPvRmT1_T2_T3_mT4_P12ihipStream_tbEUlT_E0_NS1_11comp_targetILNS1_3genE4ELNS1_11target_archE910ELNS1_3gpuE8ELNS1_3repE0EEENS1_30default_config_static_selectorELNS0_4arch9wavefront6targetE1EEEvS14_.num_vgpr, 0
	.set _ZN7rocprim17ROCPRIM_400000_NS6detail17trampoline_kernelINS0_14default_configENS1_22reduce_config_selectorIN6thrust23THRUST_200600_302600_NS5tupleIblNS6_9null_typeES8_S8_S8_S8_S8_S8_S8_EEEEZNS1_11reduce_implILb1ES3_NS6_12zip_iteratorINS7_INS6_11hip_rocprim26transform_input_iterator_tIbNSD_35transform_pair_of_input_iterators_tIbNS6_6detail15normal_iteratorINS6_10device_ptrIKbEEEESL_NS6_8equal_toIbEEEENSG_9not_fun_tINSD_8identityEEEEENSD_19counting_iterator_tIlEES8_S8_S8_S8_S8_S8_S8_S8_EEEEPS9_S9_NSD_9__find_if7functorIS9_EEEE10hipError_tPvRmT1_T2_T3_mT4_P12ihipStream_tbEUlT_E0_NS1_11comp_targetILNS1_3genE4ELNS1_11target_archE910ELNS1_3gpuE8ELNS1_3repE0EEENS1_30default_config_static_selectorELNS0_4arch9wavefront6targetE1EEEvS14_.num_agpr, 0
	.set _ZN7rocprim17ROCPRIM_400000_NS6detail17trampoline_kernelINS0_14default_configENS1_22reduce_config_selectorIN6thrust23THRUST_200600_302600_NS5tupleIblNS6_9null_typeES8_S8_S8_S8_S8_S8_S8_EEEEZNS1_11reduce_implILb1ES3_NS6_12zip_iteratorINS7_INS6_11hip_rocprim26transform_input_iterator_tIbNSD_35transform_pair_of_input_iterators_tIbNS6_6detail15normal_iteratorINS6_10device_ptrIKbEEEESL_NS6_8equal_toIbEEEENSG_9not_fun_tINSD_8identityEEEEENSD_19counting_iterator_tIlEES8_S8_S8_S8_S8_S8_S8_S8_EEEEPS9_S9_NSD_9__find_if7functorIS9_EEEE10hipError_tPvRmT1_T2_T3_mT4_P12ihipStream_tbEUlT_E0_NS1_11comp_targetILNS1_3genE4ELNS1_11target_archE910ELNS1_3gpuE8ELNS1_3repE0EEENS1_30default_config_static_selectorELNS0_4arch9wavefront6targetE1EEEvS14_.numbered_sgpr, 0
	.set _ZN7rocprim17ROCPRIM_400000_NS6detail17trampoline_kernelINS0_14default_configENS1_22reduce_config_selectorIN6thrust23THRUST_200600_302600_NS5tupleIblNS6_9null_typeES8_S8_S8_S8_S8_S8_S8_EEEEZNS1_11reduce_implILb1ES3_NS6_12zip_iteratorINS7_INS6_11hip_rocprim26transform_input_iterator_tIbNSD_35transform_pair_of_input_iterators_tIbNS6_6detail15normal_iteratorINS6_10device_ptrIKbEEEESL_NS6_8equal_toIbEEEENSG_9not_fun_tINSD_8identityEEEEENSD_19counting_iterator_tIlEES8_S8_S8_S8_S8_S8_S8_S8_EEEEPS9_S9_NSD_9__find_if7functorIS9_EEEE10hipError_tPvRmT1_T2_T3_mT4_P12ihipStream_tbEUlT_E0_NS1_11comp_targetILNS1_3genE4ELNS1_11target_archE910ELNS1_3gpuE8ELNS1_3repE0EEENS1_30default_config_static_selectorELNS0_4arch9wavefront6targetE1EEEvS14_.num_named_barrier, 0
	.set _ZN7rocprim17ROCPRIM_400000_NS6detail17trampoline_kernelINS0_14default_configENS1_22reduce_config_selectorIN6thrust23THRUST_200600_302600_NS5tupleIblNS6_9null_typeES8_S8_S8_S8_S8_S8_S8_EEEEZNS1_11reduce_implILb1ES3_NS6_12zip_iteratorINS7_INS6_11hip_rocprim26transform_input_iterator_tIbNSD_35transform_pair_of_input_iterators_tIbNS6_6detail15normal_iteratorINS6_10device_ptrIKbEEEESL_NS6_8equal_toIbEEEENSG_9not_fun_tINSD_8identityEEEEENSD_19counting_iterator_tIlEES8_S8_S8_S8_S8_S8_S8_S8_EEEEPS9_S9_NSD_9__find_if7functorIS9_EEEE10hipError_tPvRmT1_T2_T3_mT4_P12ihipStream_tbEUlT_E0_NS1_11comp_targetILNS1_3genE4ELNS1_11target_archE910ELNS1_3gpuE8ELNS1_3repE0EEENS1_30default_config_static_selectorELNS0_4arch9wavefront6targetE1EEEvS14_.private_seg_size, 0
	.set _ZN7rocprim17ROCPRIM_400000_NS6detail17trampoline_kernelINS0_14default_configENS1_22reduce_config_selectorIN6thrust23THRUST_200600_302600_NS5tupleIblNS6_9null_typeES8_S8_S8_S8_S8_S8_S8_EEEEZNS1_11reduce_implILb1ES3_NS6_12zip_iteratorINS7_INS6_11hip_rocprim26transform_input_iterator_tIbNSD_35transform_pair_of_input_iterators_tIbNS6_6detail15normal_iteratorINS6_10device_ptrIKbEEEESL_NS6_8equal_toIbEEEENSG_9not_fun_tINSD_8identityEEEEENSD_19counting_iterator_tIlEES8_S8_S8_S8_S8_S8_S8_S8_EEEEPS9_S9_NSD_9__find_if7functorIS9_EEEE10hipError_tPvRmT1_T2_T3_mT4_P12ihipStream_tbEUlT_E0_NS1_11comp_targetILNS1_3genE4ELNS1_11target_archE910ELNS1_3gpuE8ELNS1_3repE0EEENS1_30default_config_static_selectorELNS0_4arch9wavefront6targetE1EEEvS14_.uses_vcc, 0
	.set _ZN7rocprim17ROCPRIM_400000_NS6detail17trampoline_kernelINS0_14default_configENS1_22reduce_config_selectorIN6thrust23THRUST_200600_302600_NS5tupleIblNS6_9null_typeES8_S8_S8_S8_S8_S8_S8_EEEEZNS1_11reduce_implILb1ES3_NS6_12zip_iteratorINS7_INS6_11hip_rocprim26transform_input_iterator_tIbNSD_35transform_pair_of_input_iterators_tIbNS6_6detail15normal_iteratorINS6_10device_ptrIKbEEEESL_NS6_8equal_toIbEEEENSG_9not_fun_tINSD_8identityEEEEENSD_19counting_iterator_tIlEES8_S8_S8_S8_S8_S8_S8_S8_EEEEPS9_S9_NSD_9__find_if7functorIS9_EEEE10hipError_tPvRmT1_T2_T3_mT4_P12ihipStream_tbEUlT_E0_NS1_11comp_targetILNS1_3genE4ELNS1_11target_archE910ELNS1_3gpuE8ELNS1_3repE0EEENS1_30default_config_static_selectorELNS0_4arch9wavefront6targetE1EEEvS14_.uses_flat_scratch, 0
	.set _ZN7rocprim17ROCPRIM_400000_NS6detail17trampoline_kernelINS0_14default_configENS1_22reduce_config_selectorIN6thrust23THRUST_200600_302600_NS5tupleIblNS6_9null_typeES8_S8_S8_S8_S8_S8_S8_EEEEZNS1_11reduce_implILb1ES3_NS6_12zip_iteratorINS7_INS6_11hip_rocprim26transform_input_iterator_tIbNSD_35transform_pair_of_input_iterators_tIbNS6_6detail15normal_iteratorINS6_10device_ptrIKbEEEESL_NS6_8equal_toIbEEEENSG_9not_fun_tINSD_8identityEEEEENSD_19counting_iterator_tIlEES8_S8_S8_S8_S8_S8_S8_S8_EEEEPS9_S9_NSD_9__find_if7functorIS9_EEEE10hipError_tPvRmT1_T2_T3_mT4_P12ihipStream_tbEUlT_E0_NS1_11comp_targetILNS1_3genE4ELNS1_11target_archE910ELNS1_3gpuE8ELNS1_3repE0EEENS1_30default_config_static_selectorELNS0_4arch9wavefront6targetE1EEEvS14_.has_dyn_sized_stack, 0
	.set _ZN7rocprim17ROCPRIM_400000_NS6detail17trampoline_kernelINS0_14default_configENS1_22reduce_config_selectorIN6thrust23THRUST_200600_302600_NS5tupleIblNS6_9null_typeES8_S8_S8_S8_S8_S8_S8_EEEEZNS1_11reduce_implILb1ES3_NS6_12zip_iteratorINS7_INS6_11hip_rocprim26transform_input_iterator_tIbNSD_35transform_pair_of_input_iterators_tIbNS6_6detail15normal_iteratorINS6_10device_ptrIKbEEEESL_NS6_8equal_toIbEEEENSG_9not_fun_tINSD_8identityEEEEENSD_19counting_iterator_tIlEES8_S8_S8_S8_S8_S8_S8_S8_EEEEPS9_S9_NSD_9__find_if7functorIS9_EEEE10hipError_tPvRmT1_T2_T3_mT4_P12ihipStream_tbEUlT_E0_NS1_11comp_targetILNS1_3genE4ELNS1_11target_archE910ELNS1_3gpuE8ELNS1_3repE0EEENS1_30default_config_static_selectorELNS0_4arch9wavefront6targetE1EEEvS14_.has_recursion, 0
	.set _ZN7rocprim17ROCPRIM_400000_NS6detail17trampoline_kernelINS0_14default_configENS1_22reduce_config_selectorIN6thrust23THRUST_200600_302600_NS5tupleIblNS6_9null_typeES8_S8_S8_S8_S8_S8_S8_EEEEZNS1_11reduce_implILb1ES3_NS6_12zip_iteratorINS7_INS6_11hip_rocprim26transform_input_iterator_tIbNSD_35transform_pair_of_input_iterators_tIbNS6_6detail15normal_iteratorINS6_10device_ptrIKbEEEESL_NS6_8equal_toIbEEEENSG_9not_fun_tINSD_8identityEEEEENSD_19counting_iterator_tIlEES8_S8_S8_S8_S8_S8_S8_S8_EEEEPS9_S9_NSD_9__find_if7functorIS9_EEEE10hipError_tPvRmT1_T2_T3_mT4_P12ihipStream_tbEUlT_E0_NS1_11comp_targetILNS1_3genE4ELNS1_11target_archE910ELNS1_3gpuE8ELNS1_3repE0EEENS1_30default_config_static_selectorELNS0_4arch9wavefront6targetE1EEEvS14_.has_indirect_call, 0
	.section	.AMDGPU.csdata,"",@progbits
; Kernel info:
; codeLenInByte = 0
; TotalNumSgprs: 4
; NumVgprs: 0
; ScratchSize: 0
; MemoryBound: 0
; FloatMode: 240
; IeeeMode: 1
; LDSByteSize: 0 bytes/workgroup (compile time only)
; SGPRBlocks: 0
; VGPRBlocks: 0
; NumSGPRsForWavesPerEU: 4
; NumVGPRsForWavesPerEU: 1
; Occupancy: 10
; WaveLimiterHint : 0
; COMPUTE_PGM_RSRC2:SCRATCH_EN: 0
; COMPUTE_PGM_RSRC2:USER_SGPR: 6
; COMPUTE_PGM_RSRC2:TRAP_HANDLER: 0
; COMPUTE_PGM_RSRC2:TGID_X_EN: 1
; COMPUTE_PGM_RSRC2:TGID_Y_EN: 0
; COMPUTE_PGM_RSRC2:TGID_Z_EN: 0
; COMPUTE_PGM_RSRC2:TIDIG_COMP_CNT: 0
	.section	.text._ZN7rocprim17ROCPRIM_400000_NS6detail17trampoline_kernelINS0_14default_configENS1_22reduce_config_selectorIN6thrust23THRUST_200600_302600_NS5tupleIblNS6_9null_typeES8_S8_S8_S8_S8_S8_S8_EEEEZNS1_11reduce_implILb1ES3_NS6_12zip_iteratorINS7_INS6_11hip_rocprim26transform_input_iterator_tIbNSD_35transform_pair_of_input_iterators_tIbNS6_6detail15normal_iteratorINS6_10device_ptrIKbEEEESL_NS6_8equal_toIbEEEENSG_9not_fun_tINSD_8identityEEEEENSD_19counting_iterator_tIlEES8_S8_S8_S8_S8_S8_S8_S8_EEEEPS9_S9_NSD_9__find_if7functorIS9_EEEE10hipError_tPvRmT1_T2_T3_mT4_P12ihipStream_tbEUlT_E0_NS1_11comp_targetILNS1_3genE3ELNS1_11target_archE908ELNS1_3gpuE7ELNS1_3repE0EEENS1_30default_config_static_selectorELNS0_4arch9wavefront6targetE1EEEvS14_,"axG",@progbits,_ZN7rocprim17ROCPRIM_400000_NS6detail17trampoline_kernelINS0_14default_configENS1_22reduce_config_selectorIN6thrust23THRUST_200600_302600_NS5tupleIblNS6_9null_typeES8_S8_S8_S8_S8_S8_S8_EEEEZNS1_11reduce_implILb1ES3_NS6_12zip_iteratorINS7_INS6_11hip_rocprim26transform_input_iterator_tIbNSD_35transform_pair_of_input_iterators_tIbNS6_6detail15normal_iteratorINS6_10device_ptrIKbEEEESL_NS6_8equal_toIbEEEENSG_9not_fun_tINSD_8identityEEEEENSD_19counting_iterator_tIlEES8_S8_S8_S8_S8_S8_S8_S8_EEEEPS9_S9_NSD_9__find_if7functorIS9_EEEE10hipError_tPvRmT1_T2_T3_mT4_P12ihipStream_tbEUlT_E0_NS1_11comp_targetILNS1_3genE3ELNS1_11target_archE908ELNS1_3gpuE7ELNS1_3repE0EEENS1_30default_config_static_selectorELNS0_4arch9wavefront6targetE1EEEvS14_,comdat
	.protected	_ZN7rocprim17ROCPRIM_400000_NS6detail17trampoline_kernelINS0_14default_configENS1_22reduce_config_selectorIN6thrust23THRUST_200600_302600_NS5tupleIblNS6_9null_typeES8_S8_S8_S8_S8_S8_S8_EEEEZNS1_11reduce_implILb1ES3_NS6_12zip_iteratorINS7_INS6_11hip_rocprim26transform_input_iterator_tIbNSD_35transform_pair_of_input_iterators_tIbNS6_6detail15normal_iteratorINS6_10device_ptrIKbEEEESL_NS6_8equal_toIbEEEENSG_9not_fun_tINSD_8identityEEEEENSD_19counting_iterator_tIlEES8_S8_S8_S8_S8_S8_S8_S8_EEEEPS9_S9_NSD_9__find_if7functorIS9_EEEE10hipError_tPvRmT1_T2_T3_mT4_P12ihipStream_tbEUlT_E0_NS1_11comp_targetILNS1_3genE3ELNS1_11target_archE908ELNS1_3gpuE7ELNS1_3repE0EEENS1_30default_config_static_selectorELNS0_4arch9wavefront6targetE1EEEvS14_ ; -- Begin function _ZN7rocprim17ROCPRIM_400000_NS6detail17trampoline_kernelINS0_14default_configENS1_22reduce_config_selectorIN6thrust23THRUST_200600_302600_NS5tupleIblNS6_9null_typeES8_S8_S8_S8_S8_S8_S8_EEEEZNS1_11reduce_implILb1ES3_NS6_12zip_iteratorINS7_INS6_11hip_rocprim26transform_input_iterator_tIbNSD_35transform_pair_of_input_iterators_tIbNS6_6detail15normal_iteratorINS6_10device_ptrIKbEEEESL_NS6_8equal_toIbEEEENSG_9not_fun_tINSD_8identityEEEEENSD_19counting_iterator_tIlEES8_S8_S8_S8_S8_S8_S8_S8_EEEEPS9_S9_NSD_9__find_if7functorIS9_EEEE10hipError_tPvRmT1_T2_T3_mT4_P12ihipStream_tbEUlT_E0_NS1_11comp_targetILNS1_3genE3ELNS1_11target_archE908ELNS1_3gpuE7ELNS1_3repE0EEENS1_30default_config_static_selectorELNS0_4arch9wavefront6targetE1EEEvS14_
	.globl	_ZN7rocprim17ROCPRIM_400000_NS6detail17trampoline_kernelINS0_14default_configENS1_22reduce_config_selectorIN6thrust23THRUST_200600_302600_NS5tupleIblNS6_9null_typeES8_S8_S8_S8_S8_S8_S8_EEEEZNS1_11reduce_implILb1ES3_NS6_12zip_iteratorINS7_INS6_11hip_rocprim26transform_input_iterator_tIbNSD_35transform_pair_of_input_iterators_tIbNS6_6detail15normal_iteratorINS6_10device_ptrIKbEEEESL_NS6_8equal_toIbEEEENSG_9not_fun_tINSD_8identityEEEEENSD_19counting_iterator_tIlEES8_S8_S8_S8_S8_S8_S8_S8_EEEEPS9_S9_NSD_9__find_if7functorIS9_EEEE10hipError_tPvRmT1_T2_T3_mT4_P12ihipStream_tbEUlT_E0_NS1_11comp_targetILNS1_3genE3ELNS1_11target_archE908ELNS1_3gpuE7ELNS1_3repE0EEENS1_30default_config_static_selectorELNS0_4arch9wavefront6targetE1EEEvS14_
	.p2align	8
	.type	_ZN7rocprim17ROCPRIM_400000_NS6detail17trampoline_kernelINS0_14default_configENS1_22reduce_config_selectorIN6thrust23THRUST_200600_302600_NS5tupleIblNS6_9null_typeES8_S8_S8_S8_S8_S8_S8_EEEEZNS1_11reduce_implILb1ES3_NS6_12zip_iteratorINS7_INS6_11hip_rocprim26transform_input_iterator_tIbNSD_35transform_pair_of_input_iterators_tIbNS6_6detail15normal_iteratorINS6_10device_ptrIKbEEEESL_NS6_8equal_toIbEEEENSG_9not_fun_tINSD_8identityEEEEENSD_19counting_iterator_tIlEES8_S8_S8_S8_S8_S8_S8_S8_EEEEPS9_S9_NSD_9__find_if7functorIS9_EEEE10hipError_tPvRmT1_T2_T3_mT4_P12ihipStream_tbEUlT_E0_NS1_11comp_targetILNS1_3genE3ELNS1_11target_archE908ELNS1_3gpuE7ELNS1_3repE0EEENS1_30default_config_static_selectorELNS0_4arch9wavefront6targetE1EEEvS14_,@function
_ZN7rocprim17ROCPRIM_400000_NS6detail17trampoline_kernelINS0_14default_configENS1_22reduce_config_selectorIN6thrust23THRUST_200600_302600_NS5tupleIblNS6_9null_typeES8_S8_S8_S8_S8_S8_S8_EEEEZNS1_11reduce_implILb1ES3_NS6_12zip_iteratorINS7_INS6_11hip_rocprim26transform_input_iterator_tIbNSD_35transform_pair_of_input_iterators_tIbNS6_6detail15normal_iteratorINS6_10device_ptrIKbEEEESL_NS6_8equal_toIbEEEENSG_9not_fun_tINSD_8identityEEEEENSD_19counting_iterator_tIlEES8_S8_S8_S8_S8_S8_S8_S8_EEEEPS9_S9_NSD_9__find_if7functorIS9_EEEE10hipError_tPvRmT1_T2_T3_mT4_P12ihipStream_tbEUlT_E0_NS1_11comp_targetILNS1_3genE3ELNS1_11target_archE908ELNS1_3gpuE7ELNS1_3repE0EEENS1_30default_config_static_selectorELNS0_4arch9wavefront6targetE1EEEvS14_: ; @_ZN7rocprim17ROCPRIM_400000_NS6detail17trampoline_kernelINS0_14default_configENS1_22reduce_config_selectorIN6thrust23THRUST_200600_302600_NS5tupleIblNS6_9null_typeES8_S8_S8_S8_S8_S8_S8_EEEEZNS1_11reduce_implILb1ES3_NS6_12zip_iteratorINS7_INS6_11hip_rocprim26transform_input_iterator_tIbNSD_35transform_pair_of_input_iterators_tIbNS6_6detail15normal_iteratorINS6_10device_ptrIKbEEEESL_NS6_8equal_toIbEEEENSG_9not_fun_tINSD_8identityEEEEENSD_19counting_iterator_tIlEES8_S8_S8_S8_S8_S8_S8_S8_EEEEPS9_S9_NSD_9__find_if7functorIS9_EEEE10hipError_tPvRmT1_T2_T3_mT4_P12ihipStream_tbEUlT_E0_NS1_11comp_targetILNS1_3genE3ELNS1_11target_archE908ELNS1_3gpuE7ELNS1_3repE0EEENS1_30default_config_static_selectorELNS0_4arch9wavefront6targetE1EEEvS14_
; %bb.0:
	.section	.rodata,"a",@progbits
	.p2align	6, 0x0
	.amdhsa_kernel _ZN7rocprim17ROCPRIM_400000_NS6detail17trampoline_kernelINS0_14default_configENS1_22reduce_config_selectorIN6thrust23THRUST_200600_302600_NS5tupleIblNS6_9null_typeES8_S8_S8_S8_S8_S8_S8_EEEEZNS1_11reduce_implILb1ES3_NS6_12zip_iteratorINS7_INS6_11hip_rocprim26transform_input_iterator_tIbNSD_35transform_pair_of_input_iterators_tIbNS6_6detail15normal_iteratorINS6_10device_ptrIKbEEEESL_NS6_8equal_toIbEEEENSG_9not_fun_tINSD_8identityEEEEENSD_19counting_iterator_tIlEES8_S8_S8_S8_S8_S8_S8_S8_EEEEPS9_S9_NSD_9__find_if7functorIS9_EEEE10hipError_tPvRmT1_T2_T3_mT4_P12ihipStream_tbEUlT_E0_NS1_11comp_targetILNS1_3genE3ELNS1_11target_archE908ELNS1_3gpuE7ELNS1_3repE0EEENS1_30default_config_static_selectorELNS0_4arch9wavefront6targetE1EEEvS14_
		.amdhsa_group_segment_fixed_size 0
		.amdhsa_private_segment_fixed_size 0
		.amdhsa_kernarg_size 104
		.amdhsa_user_sgpr_count 6
		.amdhsa_user_sgpr_private_segment_buffer 1
		.amdhsa_user_sgpr_dispatch_ptr 0
		.amdhsa_user_sgpr_queue_ptr 0
		.amdhsa_user_sgpr_kernarg_segment_ptr 1
		.amdhsa_user_sgpr_dispatch_id 0
		.amdhsa_user_sgpr_flat_scratch_init 0
		.amdhsa_user_sgpr_private_segment_size 0
		.amdhsa_uses_dynamic_stack 0
		.amdhsa_system_sgpr_private_segment_wavefront_offset 0
		.amdhsa_system_sgpr_workgroup_id_x 1
		.amdhsa_system_sgpr_workgroup_id_y 0
		.amdhsa_system_sgpr_workgroup_id_z 0
		.amdhsa_system_sgpr_workgroup_info 0
		.amdhsa_system_vgpr_workitem_id 0
		.amdhsa_next_free_vgpr 1
		.amdhsa_next_free_sgpr 0
		.amdhsa_reserve_vcc 0
		.amdhsa_reserve_flat_scratch 0
		.amdhsa_float_round_mode_32 0
		.amdhsa_float_round_mode_16_64 0
		.amdhsa_float_denorm_mode_32 3
		.amdhsa_float_denorm_mode_16_64 3
		.amdhsa_dx10_clamp 1
		.amdhsa_ieee_mode 1
		.amdhsa_fp16_overflow 0
		.amdhsa_exception_fp_ieee_invalid_op 0
		.amdhsa_exception_fp_denorm_src 0
		.amdhsa_exception_fp_ieee_div_zero 0
		.amdhsa_exception_fp_ieee_overflow 0
		.amdhsa_exception_fp_ieee_underflow 0
		.amdhsa_exception_fp_ieee_inexact 0
		.amdhsa_exception_int_div_zero 0
	.end_amdhsa_kernel
	.section	.text._ZN7rocprim17ROCPRIM_400000_NS6detail17trampoline_kernelINS0_14default_configENS1_22reduce_config_selectorIN6thrust23THRUST_200600_302600_NS5tupleIblNS6_9null_typeES8_S8_S8_S8_S8_S8_S8_EEEEZNS1_11reduce_implILb1ES3_NS6_12zip_iteratorINS7_INS6_11hip_rocprim26transform_input_iterator_tIbNSD_35transform_pair_of_input_iterators_tIbNS6_6detail15normal_iteratorINS6_10device_ptrIKbEEEESL_NS6_8equal_toIbEEEENSG_9not_fun_tINSD_8identityEEEEENSD_19counting_iterator_tIlEES8_S8_S8_S8_S8_S8_S8_S8_EEEEPS9_S9_NSD_9__find_if7functorIS9_EEEE10hipError_tPvRmT1_T2_T3_mT4_P12ihipStream_tbEUlT_E0_NS1_11comp_targetILNS1_3genE3ELNS1_11target_archE908ELNS1_3gpuE7ELNS1_3repE0EEENS1_30default_config_static_selectorELNS0_4arch9wavefront6targetE1EEEvS14_,"axG",@progbits,_ZN7rocprim17ROCPRIM_400000_NS6detail17trampoline_kernelINS0_14default_configENS1_22reduce_config_selectorIN6thrust23THRUST_200600_302600_NS5tupleIblNS6_9null_typeES8_S8_S8_S8_S8_S8_S8_EEEEZNS1_11reduce_implILb1ES3_NS6_12zip_iteratorINS7_INS6_11hip_rocprim26transform_input_iterator_tIbNSD_35transform_pair_of_input_iterators_tIbNS6_6detail15normal_iteratorINS6_10device_ptrIKbEEEESL_NS6_8equal_toIbEEEENSG_9not_fun_tINSD_8identityEEEEENSD_19counting_iterator_tIlEES8_S8_S8_S8_S8_S8_S8_S8_EEEEPS9_S9_NSD_9__find_if7functorIS9_EEEE10hipError_tPvRmT1_T2_T3_mT4_P12ihipStream_tbEUlT_E0_NS1_11comp_targetILNS1_3genE3ELNS1_11target_archE908ELNS1_3gpuE7ELNS1_3repE0EEENS1_30default_config_static_selectorELNS0_4arch9wavefront6targetE1EEEvS14_,comdat
.Lfunc_end746:
	.size	_ZN7rocprim17ROCPRIM_400000_NS6detail17trampoline_kernelINS0_14default_configENS1_22reduce_config_selectorIN6thrust23THRUST_200600_302600_NS5tupleIblNS6_9null_typeES8_S8_S8_S8_S8_S8_S8_EEEEZNS1_11reduce_implILb1ES3_NS6_12zip_iteratorINS7_INS6_11hip_rocprim26transform_input_iterator_tIbNSD_35transform_pair_of_input_iterators_tIbNS6_6detail15normal_iteratorINS6_10device_ptrIKbEEEESL_NS6_8equal_toIbEEEENSG_9not_fun_tINSD_8identityEEEEENSD_19counting_iterator_tIlEES8_S8_S8_S8_S8_S8_S8_S8_EEEEPS9_S9_NSD_9__find_if7functorIS9_EEEE10hipError_tPvRmT1_T2_T3_mT4_P12ihipStream_tbEUlT_E0_NS1_11comp_targetILNS1_3genE3ELNS1_11target_archE908ELNS1_3gpuE7ELNS1_3repE0EEENS1_30default_config_static_selectorELNS0_4arch9wavefront6targetE1EEEvS14_, .Lfunc_end746-_ZN7rocprim17ROCPRIM_400000_NS6detail17trampoline_kernelINS0_14default_configENS1_22reduce_config_selectorIN6thrust23THRUST_200600_302600_NS5tupleIblNS6_9null_typeES8_S8_S8_S8_S8_S8_S8_EEEEZNS1_11reduce_implILb1ES3_NS6_12zip_iteratorINS7_INS6_11hip_rocprim26transform_input_iterator_tIbNSD_35transform_pair_of_input_iterators_tIbNS6_6detail15normal_iteratorINS6_10device_ptrIKbEEEESL_NS6_8equal_toIbEEEENSG_9not_fun_tINSD_8identityEEEEENSD_19counting_iterator_tIlEES8_S8_S8_S8_S8_S8_S8_S8_EEEEPS9_S9_NSD_9__find_if7functorIS9_EEEE10hipError_tPvRmT1_T2_T3_mT4_P12ihipStream_tbEUlT_E0_NS1_11comp_targetILNS1_3genE3ELNS1_11target_archE908ELNS1_3gpuE7ELNS1_3repE0EEENS1_30default_config_static_selectorELNS0_4arch9wavefront6targetE1EEEvS14_
                                        ; -- End function
	.set _ZN7rocprim17ROCPRIM_400000_NS6detail17trampoline_kernelINS0_14default_configENS1_22reduce_config_selectorIN6thrust23THRUST_200600_302600_NS5tupleIblNS6_9null_typeES8_S8_S8_S8_S8_S8_S8_EEEEZNS1_11reduce_implILb1ES3_NS6_12zip_iteratorINS7_INS6_11hip_rocprim26transform_input_iterator_tIbNSD_35transform_pair_of_input_iterators_tIbNS6_6detail15normal_iteratorINS6_10device_ptrIKbEEEESL_NS6_8equal_toIbEEEENSG_9not_fun_tINSD_8identityEEEEENSD_19counting_iterator_tIlEES8_S8_S8_S8_S8_S8_S8_S8_EEEEPS9_S9_NSD_9__find_if7functorIS9_EEEE10hipError_tPvRmT1_T2_T3_mT4_P12ihipStream_tbEUlT_E0_NS1_11comp_targetILNS1_3genE3ELNS1_11target_archE908ELNS1_3gpuE7ELNS1_3repE0EEENS1_30default_config_static_selectorELNS0_4arch9wavefront6targetE1EEEvS14_.num_vgpr, 0
	.set _ZN7rocprim17ROCPRIM_400000_NS6detail17trampoline_kernelINS0_14default_configENS1_22reduce_config_selectorIN6thrust23THRUST_200600_302600_NS5tupleIblNS6_9null_typeES8_S8_S8_S8_S8_S8_S8_EEEEZNS1_11reduce_implILb1ES3_NS6_12zip_iteratorINS7_INS6_11hip_rocprim26transform_input_iterator_tIbNSD_35transform_pair_of_input_iterators_tIbNS6_6detail15normal_iteratorINS6_10device_ptrIKbEEEESL_NS6_8equal_toIbEEEENSG_9not_fun_tINSD_8identityEEEEENSD_19counting_iterator_tIlEES8_S8_S8_S8_S8_S8_S8_S8_EEEEPS9_S9_NSD_9__find_if7functorIS9_EEEE10hipError_tPvRmT1_T2_T3_mT4_P12ihipStream_tbEUlT_E0_NS1_11comp_targetILNS1_3genE3ELNS1_11target_archE908ELNS1_3gpuE7ELNS1_3repE0EEENS1_30default_config_static_selectorELNS0_4arch9wavefront6targetE1EEEvS14_.num_agpr, 0
	.set _ZN7rocprim17ROCPRIM_400000_NS6detail17trampoline_kernelINS0_14default_configENS1_22reduce_config_selectorIN6thrust23THRUST_200600_302600_NS5tupleIblNS6_9null_typeES8_S8_S8_S8_S8_S8_S8_EEEEZNS1_11reduce_implILb1ES3_NS6_12zip_iteratorINS7_INS6_11hip_rocprim26transform_input_iterator_tIbNSD_35transform_pair_of_input_iterators_tIbNS6_6detail15normal_iteratorINS6_10device_ptrIKbEEEESL_NS6_8equal_toIbEEEENSG_9not_fun_tINSD_8identityEEEEENSD_19counting_iterator_tIlEES8_S8_S8_S8_S8_S8_S8_S8_EEEEPS9_S9_NSD_9__find_if7functorIS9_EEEE10hipError_tPvRmT1_T2_T3_mT4_P12ihipStream_tbEUlT_E0_NS1_11comp_targetILNS1_3genE3ELNS1_11target_archE908ELNS1_3gpuE7ELNS1_3repE0EEENS1_30default_config_static_selectorELNS0_4arch9wavefront6targetE1EEEvS14_.numbered_sgpr, 0
	.set _ZN7rocprim17ROCPRIM_400000_NS6detail17trampoline_kernelINS0_14default_configENS1_22reduce_config_selectorIN6thrust23THRUST_200600_302600_NS5tupleIblNS6_9null_typeES8_S8_S8_S8_S8_S8_S8_EEEEZNS1_11reduce_implILb1ES3_NS6_12zip_iteratorINS7_INS6_11hip_rocprim26transform_input_iterator_tIbNSD_35transform_pair_of_input_iterators_tIbNS6_6detail15normal_iteratorINS6_10device_ptrIKbEEEESL_NS6_8equal_toIbEEEENSG_9not_fun_tINSD_8identityEEEEENSD_19counting_iterator_tIlEES8_S8_S8_S8_S8_S8_S8_S8_EEEEPS9_S9_NSD_9__find_if7functorIS9_EEEE10hipError_tPvRmT1_T2_T3_mT4_P12ihipStream_tbEUlT_E0_NS1_11comp_targetILNS1_3genE3ELNS1_11target_archE908ELNS1_3gpuE7ELNS1_3repE0EEENS1_30default_config_static_selectorELNS0_4arch9wavefront6targetE1EEEvS14_.num_named_barrier, 0
	.set _ZN7rocprim17ROCPRIM_400000_NS6detail17trampoline_kernelINS0_14default_configENS1_22reduce_config_selectorIN6thrust23THRUST_200600_302600_NS5tupleIblNS6_9null_typeES8_S8_S8_S8_S8_S8_S8_EEEEZNS1_11reduce_implILb1ES3_NS6_12zip_iteratorINS7_INS6_11hip_rocprim26transform_input_iterator_tIbNSD_35transform_pair_of_input_iterators_tIbNS6_6detail15normal_iteratorINS6_10device_ptrIKbEEEESL_NS6_8equal_toIbEEEENSG_9not_fun_tINSD_8identityEEEEENSD_19counting_iterator_tIlEES8_S8_S8_S8_S8_S8_S8_S8_EEEEPS9_S9_NSD_9__find_if7functorIS9_EEEE10hipError_tPvRmT1_T2_T3_mT4_P12ihipStream_tbEUlT_E0_NS1_11comp_targetILNS1_3genE3ELNS1_11target_archE908ELNS1_3gpuE7ELNS1_3repE0EEENS1_30default_config_static_selectorELNS0_4arch9wavefront6targetE1EEEvS14_.private_seg_size, 0
	.set _ZN7rocprim17ROCPRIM_400000_NS6detail17trampoline_kernelINS0_14default_configENS1_22reduce_config_selectorIN6thrust23THRUST_200600_302600_NS5tupleIblNS6_9null_typeES8_S8_S8_S8_S8_S8_S8_EEEEZNS1_11reduce_implILb1ES3_NS6_12zip_iteratorINS7_INS6_11hip_rocprim26transform_input_iterator_tIbNSD_35transform_pair_of_input_iterators_tIbNS6_6detail15normal_iteratorINS6_10device_ptrIKbEEEESL_NS6_8equal_toIbEEEENSG_9not_fun_tINSD_8identityEEEEENSD_19counting_iterator_tIlEES8_S8_S8_S8_S8_S8_S8_S8_EEEEPS9_S9_NSD_9__find_if7functorIS9_EEEE10hipError_tPvRmT1_T2_T3_mT4_P12ihipStream_tbEUlT_E0_NS1_11comp_targetILNS1_3genE3ELNS1_11target_archE908ELNS1_3gpuE7ELNS1_3repE0EEENS1_30default_config_static_selectorELNS0_4arch9wavefront6targetE1EEEvS14_.uses_vcc, 0
	.set _ZN7rocprim17ROCPRIM_400000_NS6detail17trampoline_kernelINS0_14default_configENS1_22reduce_config_selectorIN6thrust23THRUST_200600_302600_NS5tupleIblNS6_9null_typeES8_S8_S8_S8_S8_S8_S8_EEEEZNS1_11reduce_implILb1ES3_NS6_12zip_iteratorINS7_INS6_11hip_rocprim26transform_input_iterator_tIbNSD_35transform_pair_of_input_iterators_tIbNS6_6detail15normal_iteratorINS6_10device_ptrIKbEEEESL_NS6_8equal_toIbEEEENSG_9not_fun_tINSD_8identityEEEEENSD_19counting_iterator_tIlEES8_S8_S8_S8_S8_S8_S8_S8_EEEEPS9_S9_NSD_9__find_if7functorIS9_EEEE10hipError_tPvRmT1_T2_T3_mT4_P12ihipStream_tbEUlT_E0_NS1_11comp_targetILNS1_3genE3ELNS1_11target_archE908ELNS1_3gpuE7ELNS1_3repE0EEENS1_30default_config_static_selectorELNS0_4arch9wavefront6targetE1EEEvS14_.uses_flat_scratch, 0
	.set _ZN7rocprim17ROCPRIM_400000_NS6detail17trampoline_kernelINS0_14default_configENS1_22reduce_config_selectorIN6thrust23THRUST_200600_302600_NS5tupleIblNS6_9null_typeES8_S8_S8_S8_S8_S8_S8_EEEEZNS1_11reduce_implILb1ES3_NS6_12zip_iteratorINS7_INS6_11hip_rocprim26transform_input_iterator_tIbNSD_35transform_pair_of_input_iterators_tIbNS6_6detail15normal_iteratorINS6_10device_ptrIKbEEEESL_NS6_8equal_toIbEEEENSG_9not_fun_tINSD_8identityEEEEENSD_19counting_iterator_tIlEES8_S8_S8_S8_S8_S8_S8_S8_EEEEPS9_S9_NSD_9__find_if7functorIS9_EEEE10hipError_tPvRmT1_T2_T3_mT4_P12ihipStream_tbEUlT_E0_NS1_11comp_targetILNS1_3genE3ELNS1_11target_archE908ELNS1_3gpuE7ELNS1_3repE0EEENS1_30default_config_static_selectorELNS0_4arch9wavefront6targetE1EEEvS14_.has_dyn_sized_stack, 0
	.set _ZN7rocprim17ROCPRIM_400000_NS6detail17trampoline_kernelINS0_14default_configENS1_22reduce_config_selectorIN6thrust23THRUST_200600_302600_NS5tupleIblNS6_9null_typeES8_S8_S8_S8_S8_S8_S8_EEEEZNS1_11reduce_implILb1ES3_NS6_12zip_iteratorINS7_INS6_11hip_rocprim26transform_input_iterator_tIbNSD_35transform_pair_of_input_iterators_tIbNS6_6detail15normal_iteratorINS6_10device_ptrIKbEEEESL_NS6_8equal_toIbEEEENSG_9not_fun_tINSD_8identityEEEEENSD_19counting_iterator_tIlEES8_S8_S8_S8_S8_S8_S8_S8_EEEEPS9_S9_NSD_9__find_if7functorIS9_EEEE10hipError_tPvRmT1_T2_T3_mT4_P12ihipStream_tbEUlT_E0_NS1_11comp_targetILNS1_3genE3ELNS1_11target_archE908ELNS1_3gpuE7ELNS1_3repE0EEENS1_30default_config_static_selectorELNS0_4arch9wavefront6targetE1EEEvS14_.has_recursion, 0
	.set _ZN7rocprim17ROCPRIM_400000_NS6detail17trampoline_kernelINS0_14default_configENS1_22reduce_config_selectorIN6thrust23THRUST_200600_302600_NS5tupleIblNS6_9null_typeES8_S8_S8_S8_S8_S8_S8_EEEEZNS1_11reduce_implILb1ES3_NS6_12zip_iteratorINS7_INS6_11hip_rocprim26transform_input_iterator_tIbNSD_35transform_pair_of_input_iterators_tIbNS6_6detail15normal_iteratorINS6_10device_ptrIKbEEEESL_NS6_8equal_toIbEEEENSG_9not_fun_tINSD_8identityEEEEENSD_19counting_iterator_tIlEES8_S8_S8_S8_S8_S8_S8_S8_EEEEPS9_S9_NSD_9__find_if7functorIS9_EEEE10hipError_tPvRmT1_T2_T3_mT4_P12ihipStream_tbEUlT_E0_NS1_11comp_targetILNS1_3genE3ELNS1_11target_archE908ELNS1_3gpuE7ELNS1_3repE0EEENS1_30default_config_static_selectorELNS0_4arch9wavefront6targetE1EEEvS14_.has_indirect_call, 0
	.section	.AMDGPU.csdata,"",@progbits
; Kernel info:
; codeLenInByte = 0
; TotalNumSgprs: 4
; NumVgprs: 0
; ScratchSize: 0
; MemoryBound: 0
; FloatMode: 240
; IeeeMode: 1
; LDSByteSize: 0 bytes/workgroup (compile time only)
; SGPRBlocks: 0
; VGPRBlocks: 0
; NumSGPRsForWavesPerEU: 4
; NumVGPRsForWavesPerEU: 1
; Occupancy: 10
; WaveLimiterHint : 0
; COMPUTE_PGM_RSRC2:SCRATCH_EN: 0
; COMPUTE_PGM_RSRC2:USER_SGPR: 6
; COMPUTE_PGM_RSRC2:TRAP_HANDLER: 0
; COMPUTE_PGM_RSRC2:TGID_X_EN: 1
; COMPUTE_PGM_RSRC2:TGID_Y_EN: 0
; COMPUTE_PGM_RSRC2:TGID_Z_EN: 0
; COMPUTE_PGM_RSRC2:TIDIG_COMP_CNT: 0
	.section	.text._ZN7rocprim17ROCPRIM_400000_NS6detail17trampoline_kernelINS0_14default_configENS1_22reduce_config_selectorIN6thrust23THRUST_200600_302600_NS5tupleIblNS6_9null_typeES8_S8_S8_S8_S8_S8_S8_EEEEZNS1_11reduce_implILb1ES3_NS6_12zip_iteratorINS7_INS6_11hip_rocprim26transform_input_iterator_tIbNSD_35transform_pair_of_input_iterators_tIbNS6_6detail15normal_iteratorINS6_10device_ptrIKbEEEESL_NS6_8equal_toIbEEEENSG_9not_fun_tINSD_8identityEEEEENSD_19counting_iterator_tIlEES8_S8_S8_S8_S8_S8_S8_S8_EEEEPS9_S9_NSD_9__find_if7functorIS9_EEEE10hipError_tPvRmT1_T2_T3_mT4_P12ihipStream_tbEUlT_E0_NS1_11comp_targetILNS1_3genE2ELNS1_11target_archE906ELNS1_3gpuE6ELNS1_3repE0EEENS1_30default_config_static_selectorELNS0_4arch9wavefront6targetE1EEEvS14_,"axG",@progbits,_ZN7rocprim17ROCPRIM_400000_NS6detail17trampoline_kernelINS0_14default_configENS1_22reduce_config_selectorIN6thrust23THRUST_200600_302600_NS5tupleIblNS6_9null_typeES8_S8_S8_S8_S8_S8_S8_EEEEZNS1_11reduce_implILb1ES3_NS6_12zip_iteratorINS7_INS6_11hip_rocprim26transform_input_iterator_tIbNSD_35transform_pair_of_input_iterators_tIbNS6_6detail15normal_iteratorINS6_10device_ptrIKbEEEESL_NS6_8equal_toIbEEEENSG_9not_fun_tINSD_8identityEEEEENSD_19counting_iterator_tIlEES8_S8_S8_S8_S8_S8_S8_S8_EEEEPS9_S9_NSD_9__find_if7functorIS9_EEEE10hipError_tPvRmT1_T2_T3_mT4_P12ihipStream_tbEUlT_E0_NS1_11comp_targetILNS1_3genE2ELNS1_11target_archE906ELNS1_3gpuE6ELNS1_3repE0EEENS1_30default_config_static_selectorELNS0_4arch9wavefront6targetE1EEEvS14_,comdat
	.protected	_ZN7rocprim17ROCPRIM_400000_NS6detail17trampoline_kernelINS0_14default_configENS1_22reduce_config_selectorIN6thrust23THRUST_200600_302600_NS5tupleIblNS6_9null_typeES8_S8_S8_S8_S8_S8_S8_EEEEZNS1_11reduce_implILb1ES3_NS6_12zip_iteratorINS7_INS6_11hip_rocprim26transform_input_iterator_tIbNSD_35transform_pair_of_input_iterators_tIbNS6_6detail15normal_iteratorINS6_10device_ptrIKbEEEESL_NS6_8equal_toIbEEEENSG_9not_fun_tINSD_8identityEEEEENSD_19counting_iterator_tIlEES8_S8_S8_S8_S8_S8_S8_S8_EEEEPS9_S9_NSD_9__find_if7functorIS9_EEEE10hipError_tPvRmT1_T2_T3_mT4_P12ihipStream_tbEUlT_E0_NS1_11comp_targetILNS1_3genE2ELNS1_11target_archE906ELNS1_3gpuE6ELNS1_3repE0EEENS1_30default_config_static_selectorELNS0_4arch9wavefront6targetE1EEEvS14_ ; -- Begin function _ZN7rocprim17ROCPRIM_400000_NS6detail17trampoline_kernelINS0_14default_configENS1_22reduce_config_selectorIN6thrust23THRUST_200600_302600_NS5tupleIblNS6_9null_typeES8_S8_S8_S8_S8_S8_S8_EEEEZNS1_11reduce_implILb1ES3_NS6_12zip_iteratorINS7_INS6_11hip_rocprim26transform_input_iterator_tIbNSD_35transform_pair_of_input_iterators_tIbNS6_6detail15normal_iteratorINS6_10device_ptrIKbEEEESL_NS6_8equal_toIbEEEENSG_9not_fun_tINSD_8identityEEEEENSD_19counting_iterator_tIlEES8_S8_S8_S8_S8_S8_S8_S8_EEEEPS9_S9_NSD_9__find_if7functorIS9_EEEE10hipError_tPvRmT1_T2_T3_mT4_P12ihipStream_tbEUlT_E0_NS1_11comp_targetILNS1_3genE2ELNS1_11target_archE906ELNS1_3gpuE6ELNS1_3repE0EEENS1_30default_config_static_selectorELNS0_4arch9wavefront6targetE1EEEvS14_
	.globl	_ZN7rocprim17ROCPRIM_400000_NS6detail17trampoline_kernelINS0_14default_configENS1_22reduce_config_selectorIN6thrust23THRUST_200600_302600_NS5tupleIblNS6_9null_typeES8_S8_S8_S8_S8_S8_S8_EEEEZNS1_11reduce_implILb1ES3_NS6_12zip_iteratorINS7_INS6_11hip_rocprim26transform_input_iterator_tIbNSD_35transform_pair_of_input_iterators_tIbNS6_6detail15normal_iteratorINS6_10device_ptrIKbEEEESL_NS6_8equal_toIbEEEENSG_9not_fun_tINSD_8identityEEEEENSD_19counting_iterator_tIlEES8_S8_S8_S8_S8_S8_S8_S8_EEEEPS9_S9_NSD_9__find_if7functorIS9_EEEE10hipError_tPvRmT1_T2_T3_mT4_P12ihipStream_tbEUlT_E0_NS1_11comp_targetILNS1_3genE2ELNS1_11target_archE906ELNS1_3gpuE6ELNS1_3repE0EEENS1_30default_config_static_selectorELNS0_4arch9wavefront6targetE1EEEvS14_
	.p2align	8
	.type	_ZN7rocprim17ROCPRIM_400000_NS6detail17trampoline_kernelINS0_14default_configENS1_22reduce_config_selectorIN6thrust23THRUST_200600_302600_NS5tupleIblNS6_9null_typeES8_S8_S8_S8_S8_S8_S8_EEEEZNS1_11reduce_implILb1ES3_NS6_12zip_iteratorINS7_INS6_11hip_rocprim26transform_input_iterator_tIbNSD_35transform_pair_of_input_iterators_tIbNS6_6detail15normal_iteratorINS6_10device_ptrIKbEEEESL_NS6_8equal_toIbEEEENSG_9not_fun_tINSD_8identityEEEEENSD_19counting_iterator_tIlEES8_S8_S8_S8_S8_S8_S8_S8_EEEEPS9_S9_NSD_9__find_if7functorIS9_EEEE10hipError_tPvRmT1_T2_T3_mT4_P12ihipStream_tbEUlT_E0_NS1_11comp_targetILNS1_3genE2ELNS1_11target_archE906ELNS1_3gpuE6ELNS1_3repE0EEENS1_30default_config_static_selectorELNS0_4arch9wavefront6targetE1EEEvS14_,@function
_ZN7rocprim17ROCPRIM_400000_NS6detail17trampoline_kernelINS0_14default_configENS1_22reduce_config_selectorIN6thrust23THRUST_200600_302600_NS5tupleIblNS6_9null_typeES8_S8_S8_S8_S8_S8_S8_EEEEZNS1_11reduce_implILb1ES3_NS6_12zip_iteratorINS7_INS6_11hip_rocprim26transform_input_iterator_tIbNSD_35transform_pair_of_input_iterators_tIbNS6_6detail15normal_iteratorINS6_10device_ptrIKbEEEESL_NS6_8equal_toIbEEEENSG_9not_fun_tINSD_8identityEEEEENSD_19counting_iterator_tIlEES8_S8_S8_S8_S8_S8_S8_S8_EEEEPS9_S9_NSD_9__find_if7functorIS9_EEEE10hipError_tPvRmT1_T2_T3_mT4_P12ihipStream_tbEUlT_E0_NS1_11comp_targetILNS1_3genE2ELNS1_11target_archE906ELNS1_3gpuE6ELNS1_3repE0EEENS1_30default_config_static_selectorELNS0_4arch9wavefront6targetE1EEEvS14_: ; @_ZN7rocprim17ROCPRIM_400000_NS6detail17trampoline_kernelINS0_14default_configENS1_22reduce_config_selectorIN6thrust23THRUST_200600_302600_NS5tupleIblNS6_9null_typeES8_S8_S8_S8_S8_S8_S8_EEEEZNS1_11reduce_implILb1ES3_NS6_12zip_iteratorINS7_INS6_11hip_rocprim26transform_input_iterator_tIbNSD_35transform_pair_of_input_iterators_tIbNS6_6detail15normal_iteratorINS6_10device_ptrIKbEEEESL_NS6_8equal_toIbEEEENSG_9not_fun_tINSD_8identityEEEEENSD_19counting_iterator_tIlEES8_S8_S8_S8_S8_S8_S8_S8_EEEEPS9_S9_NSD_9__find_if7functorIS9_EEEE10hipError_tPvRmT1_T2_T3_mT4_P12ihipStream_tbEUlT_E0_NS1_11comp_targetILNS1_3genE2ELNS1_11target_archE906ELNS1_3gpuE6ELNS1_3repE0EEENS1_30default_config_static_selectorELNS0_4arch9wavefront6targetE1EEEvS14_
; %bb.0:
	s_load_dwordx4 s[0:3], s[4:5], 0x0
	s_load_dwordx8 s[8:15], s[4:5], 0x20
	s_load_dwordx4 s[16:19], s[4:5], 0x40
	s_mov_b32 s7, 0
	s_waitcnt lgkmcnt(0)
	s_add_u32 s20, s0, s10
	s_addc_u32 s21, s1, s11
	s_add_u32 s2, s2, s10
	s_addc_u32 s3, s3, s11
	s_lshl_b32 s25, s6, 8
	s_lshr_b64 s[0:1], s[12:13], 8
	s_add_u32 s20, s20, s25
	s_addc_u32 s21, s21, 0
	s_add_u32 s22, s2, s25
	s_addc_u32 s23, s3, 0
	;; [unrolled: 2-line block ×4, first 2 shown]
	s_cmp_lg_u64 s[0:1], s[6:7]
	s_cbranch_scc0 .LBB747_14
; %bb.1:
	global_load_ubyte v1, v0, s[22:23]
	global_load_ubyte v2, v0, s[22:23] offset:128
	global_load_ubyte v3, v0, s[20:21] offset:128
	global_load_ubyte v4, v0, s[20:21]
	v_mov_b32_e32 v5, s11
	v_add_co_u32_e32 v6, vcc, s24, v0
	v_addc_co_u32_e32 v5, vcc, 0, v5, vcc
	v_add_co_u32_e32 v7, vcc, 0x80, v6
	v_addc_co_u32_e32 v8, vcc, 0, v5, vcc
	s_waitcnt vmcnt(1)
	v_cmp_ne_u16_e32 vcc, v3, v2
	s_waitcnt vmcnt(0)
	v_cmp_ne_u16_e64 s[0:1], v4, v1
	v_cndmask_b32_e64 v2, v8, v5, s[0:1]
	v_cndmask_b32_e64 v1, v7, v6, s[0:1]
	s_or_b64 s[0:1], s[0:1], vcc
	v_mov_b32_dpp v4, v2 quad_perm:[1,0,3,2] row_mask:0xf bank_mask:0xf bound_ctrl:1
	v_mov_b32_dpp v3, v1 quad_perm:[1,0,3,2] row_mask:0xf bank_mask:0xf bound_ctrl:1
	v_cndmask_b32_e64 v5, 0, 1, s[0:1]
	v_cmp_lt_i64_e32 vcc, v[1:2], v[3:4]
	s_and_b64 vcc, s[0:1], vcc
	v_mov_b32_dpp v6, v5 quad_perm:[1,0,3,2] row_mask:0xf bank_mask:0xf bound_ctrl:1
	v_and_b32_e32 v6, 1, v6
	v_cndmask_b32_e32 v3, v3, v1, vcc
	v_cndmask_b32_e32 v4, v4, v2, vcc
	v_cmp_eq_u32_e32 vcc, 1, v6
	v_cndmask_b32_e32 v2, v2, v4, vcc
	v_cndmask_b32_e32 v1, v1, v3, vcc
	v_cndmask_b32_e64 v5, v5, 1, vcc
	v_mov_b32_dpp v4, v2 quad_perm:[2,3,0,1] row_mask:0xf bank_mask:0xf bound_ctrl:1
	v_mov_b32_dpp v3, v1 quad_perm:[2,3,0,1] row_mask:0xf bank_mask:0xf bound_ctrl:1
	;; [unrolled: 1-line block ×3, first 2 shown]
	v_and_b32_e32 v7, 1, v5
	v_and_b32_e32 v6, 1, v6
	v_cmp_lt_i64_e64 s[0:1], v[1:2], v[3:4]
	v_cmp_eq_u32_e32 vcc, 1, v7
	v_cmp_eq_u32_e64 s[2:3], 1, v6
	v_cndmask_b32_e64 v7, v5, 1, s[2:3]
	s_and_b64 vcc, vcc, s[0:1]
	v_cndmask_b32_e32 v3, v3, v1, vcc
	v_mov_b32_dpp v8, v7 row_ror:4 row_mask:0xf bank_mask:0xf bound_ctrl:1
	v_cndmask_b32_e32 v4, v4, v2, vcc
	v_cndmask_b32_e64 v3, v1, v3, s[2:3]
	v_and_b32_e32 v1, v8, v7
	v_cndmask_b32_e64 v4, v2, v4, s[2:3]
	v_and_b32_e32 v1, 1, v1
	v_mov_b32_dpp v5, v3 row_ror:4 row_mask:0xf bank_mask:0xf bound_ctrl:1
	v_mov_b32_dpp v6, v4 row_ror:4 row_mask:0xf bank_mask:0xf bound_ctrl:1
	v_cmp_eq_u32_e32 vcc, 1, v1
                                        ; implicit-def: $vgpr1_vgpr2
	s_and_saveexec_b64 s[0:1], vcc
	s_xor_b64 s[0:1], exec, s[0:1]
; %bb.2:
	v_cmp_lt_i64_e32 vcc, v[3:4], v[5:6]
                                        ; implicit-def: $vgpr8
                                        ; implicit-def: $vgpr7
	v_cndmask_b32_e32 v2, v6, v4, vcc
	v_cndmask_b32_e32 v1, v5, v3, vcc
                                        ; implicit-def: $vgpr3_vgpr4
                                        ; implicit-def: $vgpr5_vgpr6
; %bb.3:
	s_or_saveexec_b64 s[0:1], s[0:1]
	v_mov_b32_e32 v9, 1
	s_xor_b64 exec, exec, s[0:1]
; %bb.4:
	v_and_b32_e32 v1, 1, v8
	v_cmp_eq_u32_e32 vcc, 1, v1
	v_cndmask_b32_e32 v2, v4, v6, vcc
	v_cndmask_b32_e32 v1, v3, v5, vcc
	v_cndmask_b32_e64 v9, v7, 1, vcc
; %bb.5:
	s_or_b64 exec, exec, s[0:1]
	v_mov_b32_dpp v4, v1 row_ror:8 row_mask:0xf bank_mask:0xf bound_ctrl:1
	v_mov_b32_dpp v5, v2 row_ror:8 row_mask:0xf bank_mask:0xf bound_ctrl:1
	v_and_b32_e32 v7, 1, v9
	v_cmp_lt_i64_e64 s[0:1], v[1:2], v[4:5]
	v_mov_b32_dpp v6, v9 row_ror:8 row_mask:0xf bank_mask:0xf bound_ctrl:1
	v_cmp_eq_u32_e32 vcc, 1, v7
	v_and_b32_e32 v6, 1, v6
	s_and_b64 vcc, vcc, s[0:1]
	v_cmp_eq_u32_e64 s[2:3], 1, v6
	v_cndmask_b32_e32 v4, v4, v1, vcc
	v_cndmask_b32_e32 v5, v5, v2, vcc
	v_cndmask_b32_e64 v2, v2, v5, s[2:3]
	v_cndmask_b32_e64 v1, v1, v4, s[2:3]
	;; [unrolled: 1-line block ×3, first 2 shown]
	v_mov_b32_dpp v5, v2 row_bcast:15 row_mask:0xf bank_mask:0xf bound_ctrl:1
	v_mov_b32_dpp v4, v1 row_bcast:15 row_mask:0xf bank_mask:0xf bound_ctrl:1
	v_and_b32_e32 v8, 1, v6
	v_cmp_lt_i64_e64 s[0:1], v[1:2], v[4:5]
	v_mov_b32_dpp v7, v6 row_bcast:15 row_mask:0xf bank_mask:0xf bound_ctrl:1
	v_cmp_eq_u32_e32 vcc, 1, v8
	v_and_b32_e32 v7, 1, v7
	s_and_b64 vcc, vcc, s[0:1]
	v_cmp_eq_u32_e64 s[2:3], 1, v7
	v_cndmask_b32_e32 v4, v4, v1, vcc
	v_cndmask_b32_e32 v5, v5, v2, vcc
	v_cndmask_b32_e64 v2, v2, v5, s[2:3]
	v_cndmask_b32_e64 v1, v1, v4, s[2:3]
	;; [unrolled: 1-line block ×3, first 2 shown]
	v_mov_b32_dpp v5, v2 row_bcast:31 row_mask:0xf bank_mask:0xf bound_ctrl:1
	v_mov_b32_dpp v4, v1 row_bcast:31 row_mask:0xf bank_mask:0xf bound_ctrl:1
	v_and_b32_e32 v8, 1, v6
	v_cmp_lt_i64_e64 s[0:1], v[1:2], v[4:5]
	v_mov_b32_dpp v7, v6 row_bcast:31 row_mask:0xf bank_mask:0xf bound_ctrl:1
	v_cmp_eq_u32_e32 vcc, 1, v8
	v_mbcnt_lo_u32_b32 v3, -1, 0
	v_and_b32_e32 v7, 1, v7
	s_and_b64 vcc, vcc, s[0:1]
	v_mbcnt_hi_u32_b32 v3, -1, v3
	v_cmp_eq_u32_e64 s[2:3], 1, v7
	v_cndmask_b32_e32 v5, v5, v2, vcc
	v_cndmask_b32_e32 v4, v4, v1, vcc
	v_cndmask_b32_e64 v2, v2, v5, s[2:3]
	v_lshlrev_b32_e32 v5, 2, v3
	v_cndmask_b32_e64 v6, v6, 1, s[2:3]
	v_cndmask_b32_e64 v1, v1, v4, s[2:3]
	v_or_b32_e32 v4, 0xfc, v5
	ds_bpermute_b32 v7, v4, v6
	ds_bpermute_b32 v1, v4, v1
	;; [unrolled: 1-line block ×3, first 2 shown]
	v_cmp_eq_u32_e32 vcc, 0, v3
	s_and_saveexec_b64 s[0:1], vcc
	s_cbranch_execz .LBB747_7
; %bb.6:
	v_lshrrev_b32_e32 v4, 2, v0
	v_and_b32_e32 v4, 16, v4
	s_waitcnt lgkmcnt(2)
	ds_write_b8 v4, v7
	s_waitcnt lgkmcnt(1)
	ds_write_b64 v4, v[1:2] offset:8
.LBB747_7:
	s_or_b64 exec, exec, s[0:1]
	v_cmp_gt_u32_e32 vcc, 64, v0
	s_waitcnt lgkmcnt(0)
	s_barrier
	s_and_saveexec_b64 s[0:1], vcc
	s_cbranch_execz .LBB747_13
; %bb.8:
	v_and_b32_e32 v1, 1, v3
	v_lshlrev_b32_e32 v1, 4, v1
	ds_read_u8 v8, v1
	ds_read_b64 v[3:4], v1 offset:8
	v_or_b32_e32 v2, 4, v5
	s_waitcnt lgkmcnt(1)
	v_and_b32_e32 v1, 0xff, v8
	ds_bpermute_b32 v9, v2, v1
	s_waitcnt lgkmcnt(1)
	ds_bpermute_b32 v5, v2, v3
	ds_bpermute_b32 v6, v2, v4
	s_waitcnt lgkmcnt(2)
	v_and_b32_e32 v1, v8, v9
	v_and_b32_e32 v1, 1, v1
	v_cmp_eq_u32_e32 vcc, 1, v1
                                        ; implicit-def: $vgpr1_vgpr2
	s_and_saveexec_b64 s[2:3], vcc
	s_xor_b64 s[2:3], exec, s[2:3]
	s_cbranch_execz .LBB747_10
; %bb.9:
	s_waitcnt lgkmcnt(0)
	v_cmp_lt_i64_e32 vcc, v[5:6], v[3:4]
                                        ; implicit-def: $vgpr8
                                        ; implicit-def: $vgpr9
	v_cndmask_b32_e32 v2, v4, v6, vcc
	v_cndmask_b32_e32 v1, v3, v5, vcc
                                        ; implicit-def: $vgpr5_vgpr6
                                        ; implicit-def: $vgpr3_vgpr4
.LBB747_10:
	s_or_saveexec_b64 s[2:3], s[2:3]
	v_mov_b32_e32 v7, 1
	s_xor_b64 exec, exec, s[2:3]
	s_cbranch_execz .LBB747_12
; %bb.11:
	v_and_b32_e32 v1, 1, v8
	v_cmp_eq_u32_e32 vcc, 1, v1
	s_waitcnt lgkmcnt(0)
	v_cndmask_b32_e32 v2, v6, v4, vcc
	v_cndmask_b32_e32 v1, v5, v3, vcc
	v_cndmask_b32_e64 v7, v9, 1, vcc
.LBB747_12:
	s_or_b64 exec, exec, s[2:3]
.LBB747_13:
	s_or_b64 exec, exec, s[0:1]
	s_load_dword s10, s[4:5], 0x50
	s_load_dwordx2 s[8:9], s[4:5], 0x58
	s_branch .LBB747_66
.LBB747_14:
                                        ; implicit-def: $vgpr1_vgpr2
                                        ; implicit-def: $vgpr7
	s_load_dword s10, s[4:5], 0x50
	s_load_dwordx2 s[8:9], s[4:5], 0x58
	s_cbranch_execz .LBB747_66
; %bb.15:
	s_sub_i32 s25, s12, s25
	v_mov_b32_e32 v3, 0
	v_mov_b32_e32 v1, 0
	v_cmp_gt_u32_e32 vcc, s25, v0
	s_waitcnt lgkmcnt(0)
	v_mov_b32_e32 v6, 0
	v_mov_b32_e32 v4, 0
	;; [unrolled: 1-line block ×4, first 2 shown]
	s_and_saveexec_b64 s[0:1], vcc
	s_cbranch_execz .LBB747_17
; %bb.16:
	global_load_ubyte v5, v0, s[20:21]
	global_load_ubyte v7, v0, s[22:23]
	v_mov_b32_e32 v2, s11
	v_add_co_u32_e32 v1, vcc, s24, v0
	v_addc_co_u32_e32 v2, vcc, 0, v2, vcc
	s_waitcnt vmcnt(0)
	v_cmp_ne_u16_e32 vcc, v5, v7
	v_cndmask_b32_e64 v5, 0, 1, vcc
.LBB747_17:
	s_or_b64 exec, exec, s[0:1]
	v_or_b32_e32 v7, 0x80, v0
	v_cmp_gt_u32_e32 vcc, s25, v7
	s_and_saveexec_b64 s[2:3], vcc
	s_cbranch_execz .LBB747_19
; %bb.18:
	global_load_ubyte v6, v0, s[20:21] offset:128
	global_load_ubyte v8, v0, s[22:23] offset:128
	v_mov_b32_e32 v4, s11
	v_add_co_u32_e64 v3, s[0:1], s24, v7
	v_addc_co_u32_e64 v4, s[0:1], 0, v4, s[0:1]
	s_waitcnt vmcnt(0)
	v_cmp_ne_u16_e64 s[0:1], v6, v8
	v_cndmask_b32_e64 v6, 0, 1, s[0:1]
.LBB747_19:
	s_or_b64 exec, exec, s[2:3]
	v_and_b32_e32 v8, 0xffff, v6
	v_and_b32_e32 v6, 1, v6
	v_cmp_lt_i64_e64 s[2:3], v[3:4], v[1:2]
	v_and_b32_e32 v7, 0xffff, v5
	v_cmp_eq_u32_e64 s[0:1], 1, v6
	v_and_b32_e32 v5, 1, v5
	v_cmp_eq_u32_e64 s[4:5], 1, v5
	s_and_b64 s[0:1], s[0:1], s[2:3]
	v_cndmask_b32_e64 v5, v8, 1, s[4:5]
	v_cndmask_b32_e64 v8, v1, v3, s[0:1]
	;; [unrolled: 1-line block ×3, first 2 shown]
	v_cndmask_b32_e32 v1, v1, v3, vcc
	v_mbcnt_lo_u32_b32 v3, -1, 0
	v_cndmask_b32_e64 v6, v2, v4, s[0:1]
	v_cndmask_b32_e32 v7, v7, v5, vcc
	v_mbcnt_hi_u32_b32 v5, -1, v3
	v_cndmask_b32_e64 v4, v4, v6, s[4:5]
	v_and_b32_e32 v6, 63, v5
	v_cndmask_b32_e32 v2, v2, v4, vcc
	v_cmp_ne_u32_e32 vcc, 63, v6
	v_addc_co_u32_e32 v3, vcc, 0, v5, vcc
	v_lshlrev_b32_e32 v4, 2, v3
	ds_bpermute_b32 v9, v4, v7
	ds_bpermute_b32 v3, v4, v1
	;; [unrolled: 1-line block ×3, first 2 shown]
	s_min_u32 s4, s25, 0x80
	v_and_b32_e32 v8, 64, v0
	v_sub_u32_e64 v8, s4, v8 clamp
	v_add_u32_e32 v10, 1, v6
	v_cmp_lt_u32_e32 vcc, v10, v8
	s_and_saveexec_b64 s[0:1], vcc
	s_cbranch_execz .LBB747_25
; %bb.20:
	s_waitcnt lgkmcnt(2)
	v_and_b32_e32 v10, v9, v7
	v_cmp_ne_u32_e32 vcc, 0, v10
	s_and_saveexec_b64 s[2:3], vcc
	s_xor_b64 s[2:3], exec, s[2:3]
	s_cbranch_execz .LBB747_22
; %bb.21:
	s_waitcnt lgkmcnt(0)
	v_cmp_lt_i64_e32 vcc, v[3:4], v[1:2]
                                        ; implicit-def: $vgpr7
                                        ; implicit-def: $vgpr9
	v_cndmask_b32_e32 v2, v2, v4, vcc
	v_cndmask_b32_e32 v1, v1, v3, vcc
                                        ; implicit-def: $vgpr3_vgpr4
.LBB747_22:
	s_or_saveexec_b64 s[2:3], s[2:3]
	v_mov_b32_e32 v10, 1
	s_xor_b64 exec, exec, s[2:3]
	s_cbranch_execz .LBB747_24
; %bb.23:
	v_and_b32_e32 v7, 1, v7
	v_cmp_eq_u32_e32 vcc, 1, v7
	s_waitcnt lgkmcnt(1)
	v_cndmask_b32_e32 v1, v3, v1, vcc
	v_and_b32_e32 v3, 0xff, v9
	s_waitcnt lgkmcnt(0)
	v_cndmask_b32_e32 v2, v4, v2, vcc
	v_cndmask_b32_e64 v10, v3, 1, vcc
.LBB747_24:
	s_or_b64 exec, exec, s[2:3]
	v_mov_b32_e32 v7, v10
.LBB747_25:
	s_or_b64 exec, exec, s[0:1]
	v_cmp_gt_u32_e32 vcc, 62, v6
	s_waitcnt lgkmcnt(1)
	v_cndmask_b32_e64 v3, 0, 2, vcc
	s_waitcnt lgkmcnt(0)
	v_add_lshl_u32 v4, v3, v5, 2
	ds_bpermute_b32 v9, v4, v7
	ds_bpermute_b32 v3, v4, v1
	ds_bpermute_b32 v4, v4, v2
	v_add_u32_e32 v10, 2, v6
	v_cmp_lt_u32_e32 vcc, v10, v8
	s_and_saveexec_b64 s[0:1], vcc
	s_cbranch_execz .LBB747_31
; %bb.26:
	s_waitcnt lgkmcnt(2)
	v_and_b32_e32 v10, v7, v9
	v_and_b32_e32 v10, 1, v10
	v_cmp_eq_u32_e32 vcc, 1, v10
	s_and_saveexec_b64 s[2:3], vcc
	s_xor_b64 s[2:3], exec, s[2:3]
	s_cbranch_execz .LBB747_28
; %bb.27:
	s_waitcnt lgkmcnt(0)
	v_cmp_lt_i64_e32 vcc, v[3:4], v[1:2]
                                        ; implicit-def: $vgpr7
                                        ; implicit-def: $vgpr9
	v_cndmask_b32_e32 v2, v2, v4, vcc
	v_cndmask_b32_e32 v1, v1, v3, vcc
                                        ; implicit-def: $vgpr3_vgpr4
.LBB747_28:
	s_or_saveexec_b64 s[2:3], s[2:3]
	v_mov_b32_e32 v10, 1
	s_xor_b64 exec, exec, s[2:3]
	s_cbranch_execz .LBB747_30
; %bb.29:
	v_and_b32_e32 v7, 1, v7
	v_cmp_eq_u32_e32 vcc, 1, v7
	s_waitcnt lgkmcnt(1)
	v_cndmask_b32_e32 v1, v3, v1, vcc
	v_and_b32_e32 v3, 0xff, v9
	s_waitcnt lgkmcnt(0)
	v_cndmask_b32_e32 v2, v4, v2, vcc
	v_cndmask_b32_e64 v10, v3, 1, vcc
.LBB747_30:
	s_or_b64 exec, exec, s[2:3]
	v_mov_b32_e32 v7, v10
.LBB747_31:
	s_or_b64 exec, exec, s[0:1]
	v_cmp_gt_u32_e32 vcc, 60, v6
	s_waitcnt lgkmcnt(1)
	v_cndmask_b32_e64 v3, 0, 4, vcc
	s_waitcnt lgkmcnt(0)
	v_add_lshl_u32 v4, v3, v5, 2
	ds_bpermute_b32 v9, v4, v7
	ds_bpermute_b32 v3, v4, v1
	ds_bpermute_b32 v4, v4, v2
	v_add_u32_e32 v10, 4, v6
	v_cmp_lt_u32_e32 vcc, v10, v8
	s_and_saveexec_b64 s[0:1], vcc
	s_cbranch_execz .LBB747_37
; %bb.32:
	s_waitcnt lgkmcnt(2)
	v_and_b32_e32 v10, v7, v9
	v_and_b32_e32 v10, 1, v10
	v_cmp_eq_u32_e32 vcc, 1, v10
	s_and_saveexec_b64 s[2:3], vcc
	s_xor_b64 s[2:3], exec, s[2:3]
	s_cbranch_execz .LBB747_34
; %bb.33:
	s_waitcnt lgkmcnt(0)
	v_cmp_lt_i64_e32 vcc, v[3:4], v[1:2]
                                        ; implicit-def: $vgpr7
                                        ; implicit-def: $vgpr9
	v_cndmask_b32_e32 v2, v2, v4, vcc
	v_cndmask_b32_e32 v1, v1, v3, vcc
                                        ; implicit-def: $vgpr3_vgpr4
.LBB747_34:
	s_or_saveexec_b64 s[2:3], s[2:3]
	v_mov_b32_e32 v10, 1
	s_xor_b64 exec, exec, s[2:3]
	s_cbranch_execz .LBB747_36
; %bb.35:
	v_and_b32_e32 v7, 1, v7
	v_cmp_eq_u32_e32 vcc, 1, v7
	s_waitcnt lgkmcnt(1)
	v_cndmask_b32_e32 v1, v3, v1, vcc
	v_and_b32_e32 v3, 0xff, v9
	s_waitcnt lgkmcnt(0)
	v_cndmask_b32_e32 v2, v4, v2, vcc
	v_cndmask_b32_e64 v10, v3, 1, vcc
.LBB747_36:
	s_or_b64 exec, exec, s[2:3]
	v_mov_b32_e32 v7, v10
.LBB747_37:
	;; [unrolled: 47-line block ×4, first 2 shown]
	s_or_b64 exec, exec, s[0:1]
	s_waitcnt lgkmcnt(2)
	v_lshlrev_b32_e32 v9, 2, v5
	s_waitcnt lgkmcnt(0)
	v_or_b32_e32 v4, 0x80, v9
	ds_bpermute_b32 v10, v4, v7
	ds_bpermute_b32 v3, v4, v1
	ds_bpermute_b32 v4, v4, v2
	v_add_u32_e32 v6, 32, v6
	v_cmp_lt_u32_e32 vcc, v6, v8
	v_mov_b32_e32 v6, v7
	s_and_saveexec_b64 s[0:1], vcc
	s_cbranch_execz .LBB747_55
; %bb.50:
	s_waitcnt lgkmcnt(2)
	v_and_b32_e32 v6, v7, v10
	v_and_b32_e32 v6, 1, v6
	v_cmp_eq_u32_e32 vcc, 1, v6
	s_and_saveexec_b64 s[2:3], vcc
	s_xor_b64 s[2:3], exec, s[2:3]
	s_cbranch_execz .LBB747_52
; %bb.51:
	s_waitcnt lgkmcnt(0)
	v_cmp_lt_i64_e32 vcc, v[3:4], v[1:2]
                                        ; implicit-def: $vgpr7
                                        ; implicit-def: $vgpr10
	v_cndmask_b32_e32 v2, v2, v4, vcc
	v_cndmask_b32_e32 v1, v1, v3, vcc
                                        ; implicit-def: $vgpr3_vgpr4
.LBB747_52:
	s_or_saveexec_b64 s[2:3], s[2:3]
	v_mov_b32_e32 v6, 1
	s_xor_b64 exec, exec, s[2:3]
	s_cbranch_execz .LBB747_54
; %bb.53:
	v_and_b32_e32 v6, 1, v7
	v_cmp_eq_u32_e32 vcc, 1, v6
	v_cndmask_b32_e64 v6, v10, 1, vcc
	s_waitcnt lgkmcnt(0)
	v_cndmask_b32_e32 v2, v4, v2, vcc
	v_cndmask_b32_e32 v1, v3, v1, vcc
.LBB747_54:
	s_or_b64 exec, exec, s[2:3]
	v_and_b32_e32 v7, 0xff, v6
.LBB747_55:
	s_or_b64 exec, exec, s[0:1]
	v_cmp_eq_u32_e32 vcc, 0, v5
	s_and_saveexec_b64 s[0:1], vcc
	s_cbranch_execz .LBB747_57
; %bb.56:
	s_waitcnt lgkmcnt(1)
	v_lshrrev_b32_e32 v3, 2, v0
	v_and_b32_e32 v3, 16, v3
	ds_write_b8 v3, v6 offset:32
	ds_write_b64 v3, v[1:2] offset:40
.LBB747_57:
	s_or_b64 exec, exec, s[0:1]
	v_cmp_gt_u32_e32 vcc, 2, v0
	s_waitcnt lgkmcnt(0)
	s_barrier
	s_and_saveexec_b64 s[0:1], vcc
	s_cbranch_execz .LBB747_65
; %bb.58:
	v_lshlrev_b32_e32 v1, 4, v5
	ds_read_u8 v6, v1 offset:32
	ds_read_b64 v[1:2], v1 offset:40
	v_or_b32_e32 v4, 4, v9
	s_add_i32 s4, s4, 63
	v_and_b32_e32 v5, 1, v5
	s_waitcnt lgkmcnt(1)
	v_and_b32_e32 v7, 0xff, v6
	s_waitcnt lgkmcnt(0)
	ds_bpermute_b32 v3, v4, v1
	ds_bpermute_b32 v8, v4, v7
	;; [unrolled: 1-line block ×3, first 2 shown]
	s_lshr_b32 s2, s4, 6
	v_add_u32_e32 v5, 1, v5
	v_cmp_gt_u32_e32 vcc, s2, v5
	s_and_saveexec_b64 s[2:3], vcc
	s_cbranch_execz .LBB747_64
; %bb.59:
	s_waitcnt lgkmcnt(1)
	v_and_b32_e32 v5, v7, v8
	v_and_b32_e32 v5, 1, v5
	v_cmp_eq_u32_e32 vcc, 1, v5
	s_and_saveexec_b64 s[4:5], vcc
	s_xor_b64 s[4:5], exec, s[4:5]
	s_cbranch_execz .LBB747_61
; %bb.60:
	s_waitcnt lgkmcnt(0)
	v_cmp_lt_i64_e32 vcc, v[3:4], v[1:2]
                                        ; implicit-def: $vgpr6
                                        ; implicit-def: $vgpr8
	v_cndmask_b32_e32 v2, v2, v4, vcc
	v_cndmask_b32_e32 v1, v1, v3, vcc
                                        ; implicit-def: $vgpr3_vgpr4
.LBB747_61:
	s_or_saveexec_b64 s[4:5], s[4:5]
	v_mov_b32_e32 v7, 1
	s_xor_b64 exec, exec, s[4:5]
	s_cbranch_execz .LBB747_63
; %bb.62:
	v_and_b32_e32 v5, 1, v6
	v_cmp_eq_u32_e32 vcc, 1, v5
	s_waitcnt lgkmcnt(0)
	v_cndmask_b32_e32 v2, v4, v2, vcc
	v_cndmask_b32_e32 v1, v3, v1, vcc
	v_cndmask_b32_e64 v7, v8, 1, vcc
.LBB747_63:
	s_or_b64 exec, exec, s[4:5]
.LBB747_64:
	s_or_b64 exec, exec, s[2:3]
.LBB747_65:
	s_or_b64 exec, exec, s[0:1]
.LBB747_66:
	v_cmp_eq_u32_e32 vcc, 0, v0
	s_and_saveexec_b64 s[0:1], vcc
	s_cbranch_execnz .LBB747_68
; %bb.67:
	s_endpgm
.LBB747_68:
	s_mul_i32 s0, s18, s17
	s_mul_hi_u32 s1, s18, s16
	s_add_i32 s0, s1, s0
	s_mul_i32 s1, s19, s16
	s_add_i32 s1, s0, s1
	s_mul_i32 s0, s18, s16
	s_lshl_b64 s[0:1], s[0:1], 4
	s_add_u32 s2, s14, s0
	s_addc_u32 s3, s15, s1
	s_cmp_eq_u64 s[12:13], 0
	s_waitcnt lgkmcnt(0)
	v_mov_b32_e32 v0, s9
	s_cselect_b64 vcc, -1, 0
	v_cndmask_b32_e32 v2, v2, v0, vcc
	v_mov_b32_e32 v0, s8
	s_lshl_b64 s[0:1], s[6:7], 4
	v_cndmask_b32_e32 v1, v1, v0, vcc
	v_mov_b32_e32 v0, s10
	s_add_u32 s0, s2, s0
	v_cndmask_b32_e32 v0, v7, v0, vcc
	s_addc_u32 s1, s3, s1
	v_mov_b32_e32 v3, 0
	global_store_byte v3, v0, s[0:1]
	global_store_dwordx2 v3, v[1:2], s[0:1] offset:8
	s_endpgm
	.section	.rodata,"a",@progbits
	.p2align	6, 0x0
	.amdhsa_kernel _ZN7rocprim17ROCPRIM_400000_NS6detail17trampoline_kernelINS0_14default_configENS1_22reduce_config_selectorIN6thrust23THRUST_200600_302600_NS5tupleIblNS6_9null_typeES8_S8_S8_S8_S8_S8_S8_EEEEZNS1_11reduce_implILb1ES3_NS6_12zip_iteratorINS7_INS6_11hip_rocprim26transform_input_iterator_tIbNSD_35transform_pair_of_input_iterators_tIbNS6_6detail15normal_iteratorINS6_10device_ptrIKbEEEESL_NS6_8equal_toIbEEEENSG_9not_fun_tINSD_8identityEEEEENSD_19counting_iterator_tIlEES8_S8_S8_S8_S8_S8_S8_S8_EEEEPS9_S9_NSD_9__find_if7functorIS9_EEEE10hipError_tPvRmT1_T2_T3_mT4_P12ihipStream_tbEUlT_E0_NS1_11comp_targetILNS1_3genE2ELNS1_11target_archE906ELNS1_3gpuE6ELNS1_3repE0EEENS1_30default_config_static_selectorELNS0_4arch9wavefront6targetE1EEEvS14_
		.amdhsa_group_segment_fixed_size 64
		.amdhsa_private_segment_fixed_size 0
		.amdhsa_kernarg_size 104
		.amdhsa_user_sgpr_count 6
		.amdhsa_user_sgpr_private_segment_buffer 1
		.amdhsa_user_sgpr_dispatch_ptr 0
		.amdhsa_user_sgpr_queue_ptr 0
		.amdhsa_user_sgpr_kernarg_segment_ptr 1
		.amdhsa_user_sgpr_dispatch_id 0
		.amdhsa_user_sgpr_flat_scratch_init 0
		.amdhsa_user_sgpr_private_segment_size 0
		.amdhsa_uses_dynamic_stack 0
		.amdhsa_system_sgpr_private_segment_wavefront_offset 0
		.amdhsa_system_sgpr_workgroup_id_x 1
		.amdhsa_system_sgpr_workgroup_id_y 0
		.amdhsa_system_sgpr_workgroup_id_z 0
		.amdhsa_system_sgpr_workgroup_info 0
		.amdhsa_system_vgpr_workitem_id 0
		.amdhsa_next_free_vgpr 11
		.amdhsa_next_free_sgpr 26
		.amdhsa_reserve_vcc 1
		.amdhsa_reserve_flat_scratch 0
		.amdhsa_float_round_mode_32 0
		.amdhsa_float_round_mode_16_64 0
		.amdhsa_float_denorm_mode_32 3
		.amdhsa_float_denorm_mode_16_64 3
		.amdhsa_dx10_clamp 1
		.amdhsa_ieee_mode 1
		.amdhsa_fp16_overflow 0
		.amdhsa_exception_fp_ieee_invalid_op 0
		.amdhsa_exception_fp_denorm_src 0
		.amdhsa_exception_fp_ieee_div_zero 0
		.amdhsa_exception_fp_ieee_overflow 0
		.amdhsa_exception_fp_ieee_underflow 0
		.amdhsa_exception_fp_ieee_inexact 0
		.amdhsa_exception_int_div_zero 0
	.end_amdhsa_kernel
	.section	.text._ZN7rocprim17ROCPRIM_400000_NS6detail17trampoline_kernelINS0_14default_configENS1_22reduce_config_selectorIN6thrust23THRUST_200600_302600_NS5tupleIblNS6_9null_typeES8_S8_S8_S8_S8_S8_S8_EEEEZNS1_11reduce_implILb1ES3_NS6_12zip_iteratorINS7_INS6_11hip_rocprim26transform_input_iterator_tIbNSD_35transform_pair_of_input_iterators_tIbNS6_6detail15normal_iteratorINS6_10device_ptrIKbEEEESL_NS6_8equal_toIbEEEENSG_9not_fun_tINSD_8identityEEEEENSD_19counting_iterator_tIlEES8_S8_S8_S8_S8_S8_S8_S8_EEEEPS9_S9_NSD_9__find_if7functorIS9_EEEE10hipError_tPvRmT1_T2_T3_mT4_P12ihipStream_tbEUlT_E0_NS1_11comp_targetILNS1_3genE2ELNS1_11target_archE906ELNS1_3gpuE6ELNS1_3repE0EEENS1_30default_config_static_selectorELNS0_4arch9wavefront6targetE1EEEvS14_,"axG",@progbits,_ZN7rocprim17ROCPRIM_400000_NS6detail17trampoline_kernelINS0_14default_configENS1_22reduce_config_selectorIN6thrust23THRUST_200600_302600_NS5tupleIblNS6_9null_typeES8_S8_S8_S8_S8_S8_S8_EEEEZNS1_11reduce_implILb1ES3_NS6_12zip_iteratorINS7_INS6_11hip_rocprim26transform_input_iterator_tIbNSD_35transform_pair_of_input_iterators_tIbNS6_6detail15normal_iteratorINS6_10device_ptrIKbEEEESL_NS6_8equal_toIbEEEENSG_9not_fun_tINSD_8identityEEEEENSD_19counting_iterator_tIlEES8_S8_S8_S8_S8_S8_S8_S8_EEEEPS9_S9_NSD_9__find_if7functorIS9_EEEE10hipError_tPvRmT1_T2_T3_mT4_P12ihipStream_tbEUlT_E0_NS1_11comp_targetILNS1_3genE2ELNS1_11target_archE906ELNS1_3gpuE6ELNS1_3repE0EEENS1_30default_config_static_selectorELNS0_4arch9wavefront6targetE1EEEvS14_,comdat
.Lfunc_end747:
	.size	_ZN7rocprim17ROCPRIM_400000_NS6detail17trampoline_kernelINS0_14default_configENS1_22reduce_config_selectorIN6thrust23THRUST_200600_302600_NS5tupleIblNS6_9null_typeES8_S8_S8_S8_S8_S8_S8_EEEEZNS1_11reduce_implILb1ES3_NS6_12zip_iteratorINS7_INS6_11hip_rocprim26transform_input_iterator_tIbNSD_35transform_pair_of_input_iterators_tIbNS6_6detail15normal_iteratorINS6_10device_ptrIKbEEEESL_NS6_8equal_toIbEEEENSG_9not_fun_tINSD_8identityEEEEENSD_19counting_iterator_tIlEES8_S8_S8_S8_S8_S8_S8_S8_EEEEPS9_S9_NSD_9__find_if7functorIS9_EEEE10hipError_tPvRmT1_T2_T3_mT4_P12ihipStream_tbEUlT_E0_NS1_11comp_targetILNS1_3genE2ELNS1_11target_archE906ELNS1_3gpuE6ELNS1_3repE0EEENS1_30default_config_static_selectorELNS0_4arch9wavefront6targetE1EEEvS14_, .Lfunc_end747-_ZN7rocprim17ROCPRIM_400000_NS6detail17trampoline_kernelINS0_14default_configENS1_22reduce_config_selectorIN6thrust23THRUST_200600_302600_NS5tupleIblNS6_9null_typeES8_S8_S8_S8_S8_S8_S8_EEEEZNS1_11reduce_implILb1ES3_NS6_12zip_iteratorINS7_INS6_11hip_rocprim26transform_input_iterator_tIbNSD_35transform_pair_of_input_iterators_tIbNS6_6detail15normal_iteratorINS6_10device_ptrIKbEEEESL_NS6_8equal_toIbEEEENSG_9not_fun_tINSD_8identityEEEEENSD_19counting_iterator_tIlEES8_S8_S8_S8_S8_S8_S8_S8_EEEEPS9_S9_NSD_9__find_if7functorIS9_EEEE10hipError_tPvRmT1_T2_T3_mT4_P12ihipStream_tbEUlT_E0_NS1_11comp_targetILNS1_3genE2ELNS1_11target_archE906ELNS1_3gpuE6ELNS1_3repE0EEENS1_30default_config_static_selectorELNS0_4arch9wavefront6targetE1EEEvS14_
                                        ; -- End function
	.set _ZN7rocprim17ROCPRIM_400000_NS6detail17trampoline_kernelINS0_14default_configENS1_22reduce_config_selectorIN6thrust23THRUST_200600_302600_NS5tupleIblNS6_9null_typeES8_S8_S8_S8_S8_S8_S8_EEEEZNS1_11reduce_implILb1ES3_NS6_12zip_iteratorINS7_INS6_11hip_rocprim26transform_input_iterator_tIbNSD_35transform_pair_of_input_iterators_tIbNS6_6detail15normal_iteratorINS6_10device_ptrIKbEEEESL_NS6_8equal_toIbEEEENSG_9not_fun_tINSD_8identityEEEEENSD_19counting_iterator_tIlEES8_S8_S8_S8_S8_S8_S8_S8_EEEEPS9_S9_NSD_9__find_if7functorIS9_EEEE10hipError_tPvRmT1_T2_T3_mT4_P12ihipStream_tbEUlT_E0_NS1_11comp_targetILNS1_3genE2ELNS1_11target_archE906ELNS1_3gpuE6ELNS1_3repE0EEENS1_30default_config_static_selectorELNS0_4arch9wavefront6targetE1EEEvS14_.num_vgpr, 11
	.set _ZN7rocprim17ROCPRIM_400000_NS6detail17trampoline_kernelINS0_14default_configENS1_22reduce_config_selectorIN6thrust23THRUST_200600_302600_NS5tupleIblNS6_9null_typeES8_S8_S8_S8_S8_S8_S8_EEEEZNS1_11reduce_implILb1ES3_NS6_12zip_iteratorINS7_INS6_11hip_rocprim26transform_input_iterator_tIbNSD_35transform_pair_of_input_iterators_tIbNS6_6detail15normal_iteratorINS6_10device_ptrIKbEEEESL_NS6_8equal_toIbEEEENSG_9not_fun_tINSD_8identityEEEEENSD_19counting_iterator_tIlEES8_S8_S8_S8_S8_S8_S8_S8_EEEEPS9_S9_NSD_9__find_if7functorIS9_EEEE10hipError_tPvRmT1_T2_T3_mT4_P12ihipStream_tbEUlT_E0_NS1_11comp_targetILNS1_3genE2ELNS1_11target_archE906ELNS1_3gpuE6ELNS1_3repE0EEENS1_30default_config_static_selectorELNS0_4arch9wavefront6targetE1EEEvS14_.num_agpr, 0
	.set _ZN7rocprim17ROCPRIM_400000_NS6detail17trampoline_kernelINS0_14default_configENS1_22reduce_config_selectorIN6thrust23THRUST_200600_302600_NS5tupleIblNS6_9null_typeES8_S8_S8_S8_S8_S8_S8_EEEEZNS1_11reduce_implILb1ES3_NS6_12zip_iteratorINS7_INS6_11hip_rocprim26transform_input_iterator_tIbNSD_35transform_pair_of_input_iterators_tIbNS6_6detail15normal_iteratorINS6_10device_ptrIKbEEEESL_NS6_8equal_toIbEEEENSG_9not_fun_tINSD_8identityEEEEENSD_19counting_iterator_tIlEES8_S8_S8_S8_S8_S8_S8_S8_EEEEPS9_S9_NSD_9__find_if7functorIS9_EEEE10hipError_tPvRmT1_T2_T3_mT4_P12ihipStream_tbEUlT_E0_NS1_11comp_targetILNS1_3genE2ELNS1_11target_archE906ELNS1_3gpuE6ELNS1_3repE0EEENS1_30default_config_static_selectorELNS0_4arch9wavefront6targetE1EEEvS14_.numbered_sgpr, 26
	.set _ZN7rocprim17ROCPRIM_400000_NS6detail17trampoline_kernelINS0_14default_configENS1_22reduce_config_selectorIN6thrust23THRUST_200600_302600_NS5tupleIblNS6_9null_typeES8_S8_S8_S8_S8_S8_S8_EEEEZNS1_11reduce_implILb1ES3_NS6_12zip_iteratorINS7_INS6_11hip_rocprim26transform_input_iterator_tIbNSD_35transform_pair_of_input_iterators_tIbNS6_6detail15normal_iteratorINS6_10device_ptrIKbEEEESL_NS6_8equal_toIbEEEENSG_9not_fun_tINSD_8identityEEEEENSD_19counting_iterator_tIlEES8_S8_S8_S8_S8_S8_S8_S8_EEEEPS9_S9_NSD_9__find_if7functorIS9_EEEE10hipError_tPvRmT1_T2_T3_mT4_P12ihipStream_tbEUlT_E0_NS1_11comp_targetILNS1_3genE2ELNS1_11target_archE906ELNS1_3gpuE6ELNS1_3repE0EEENS1_30default_config_static_selectorELNS0_4arch9wavefront6targetE1EEEvS14_.num_named_barrier, 0
	.set _ZN7rocprim17ROCPRIM_400000_NS6detail17trampoline_kernelINS0_14default_configENS1_22reduce_config_selectorIN6thrust23THRUST_200600_302600_NS5tupleIblNS6_9null_typeES8_S8_S8_S8_S8_S8_S8_EEEEZNS1_11reduce_implILb1ES3_NS6_12zip_iteratorINS7_INS6_11hip_rocprim26transform_input_iterator_tIbNSD_35transform_pair_of_input_iterators_tIbNS6_6detail15normal_iteratorINS6_10device_ptrIKbEEEESL_NS6_8equal_toIbEEEENSG_9not_fun_tINSD_8identityEEEEENSD_19counting_iterator_tIlEES8_S8_S8_S8_S8_S8_S8_S8_EEEEPS9_S9_NSD_9__find_if7functorIS9_EEEE10hipError_tPvRmT1_T2_T3_mT4_P12ihipStream_tbEUlT_E0_NS1_11comp_targetILNS1_3genE2ELNS1_11target_archE906ELNS1_3gpuE6ELNS1_3repE0EEENS1_30default_config_static_selectorELNS0_4arch9wavefront6targetE1EEEvS14_.private_seg_size, 0
	.set _ZN7rocprim17ROCPRIM_400000_NS6detail17trampoline_kernelINS0_14default_configENS1_22reduce_config_selectorIN6thrust23THRUST_200600_302600_NS5tupleIblNS6_9null_typeES8_S8_S8_S8_S8_S8_S8_EEEEZNS1_11reduce_implILb1ES3_NS6_12zip_iteratorINS7_INS6_11hip_rocprim26transform_input_iterator_tIbNSD_35transform_pair_of_input_iterators_tIbNS6_6detail15normal_iteratorINS6_10device_ptrIKbEEEESL_NS6_8equal_toIbEEEENSG_9not_fun_tINSD_8identityEEEEENSD_19counting_iterator_tIlEES8_S8_S8_S8_S8_S8_S8_S8_EEEEPS9_S9_NSD_9__find_if7functorIS9_EEEE10hipError_tPvRmT1_T2_T3_mT4_P12ihipStream_tbEUlT_E0_NS1_11comp_targetILNS1_3genE2ELNS1_11target_archE906ELNS1_3gpuE6ELNS1_3repE0EEENS1_30default_config_static_selectorELNS0_4arch9wavefront6targetE1EEEvS14_.uses_vcc, 1
	.set _ZN7rocprim17ROCPRIM_400000_NS6detail17trampoline_kernelINS0_14default_configENS1_22reduce_config_selectorIN6thrust23THRUST_200600_302600_NS5tupleIblNS6_9null_typeES8_S8_S8_S8_S8_S8_S8_EEEEZNS1_11reduce_implILb1ES3_NS6_12zip_iteratorINS7_INS6_11hip_rocprim26transform_input_iterator_tIbNSD_35transform_pair_of_input_iterators_tIbNS6_6detail15normal_iteratorINS6_10device_ptrIKbEEEESL_NS6_8equal_toIbEEEENSG_9not_fun_tINSD_8identityEEEEENSD_19counting_iterator_tIlEES8_S8_S8_S8_S8_S8_S8_S8_EEEEPS9_S9_NSD_9__find_if7functorIS9_EEEE10hipError_tPvRmT1_T2_T3_mT4_P12ihipStream_tbEUlT_E0_NS1_11comp_targetILNS1_3genE2ELNS1_11target_archE906ELNS1_3gpuE6ELNS1_3repE0EEENS1_30default_config_static_selectorELNS0_4arch9wavefront6targetE1EEEvS14_.uses_flat_scratch, 0
	.set _ZN7rocprim17ROCPRIM_400000_NS6detail17trampoline_kernelINS0_14default_configENS1_22reduce_config_selectorIN6thrust23THRUST_200600_302600_NS5tupleIblNS6_9null_typeES8_S8_S8_S8_S8_S8_S8_EEEEZNS1_11reduce_implILb1ES3_NS6_12zip_iteratorINS7_INS6_11hip_rocprim26transform_input_iterator_tIbNSD_35transform_pair_of_input_iterators_tIbNS6_6detail15normal_iteratorINS6_10device_ptrIKbEEEESL_NS6_8equal_toIbEEEENSG_9not_fun_tINSD_8identityEEEEENSD_19counting_iterator_tIlEES8_S8_S8_S8_S8_S8_S8_S8_EEEEPS9_S9_NSD_9__find_if7functorIS9_EEEE10hipError_tPvRmT1_T2_T3_mT4_P12ihipStream_tbEUlT_E0_NS1_11comp_targetILNS1_3genE2ELNS1_11target_archE906ELNS1_3gpuE6ELNS1_3repE0EEENS1_30default_config_static_selectorELNS0_4arch9wavefront6targetE1EEEvS14_.has_dyn_sized_stack, 0
	.set _ZN7rocprim17ROCPRIM_400000_NS6detail17trampoline_kernelINS0_14default_configENS1_22reduce_config_selectorIN6thrust23THRUST_200600_302600_NS5tupleIblNS6_9null_typeES8_S8_S8_S8_S8_S8_S8_EEEEZNS1_11reduce_implILb1ES3_NS6_12zip_iteratorINS7_INS6_11hip_rocprim26transform_input_iterator_tIbNSD_35transform_pair_of_input_iterators_tIbNS6_6detail15normal_iteratorINS6_10device_ptrIKbEEEESL_NS6_8equal_toIbEEEENSG_9not_fun_tINSD_8identityEEEEENSD_19counting_iterator_tIlEES8_S8_S8_S8_S8_S8_S8_S8_EEEEPS9_S9_NSD_9__find_if7functorIS9_EEEE10hipError_tPvRmT1_T2_T3_mT4_P12ihipStream_tbEUlT_E0_NS1_11comp_targetILNS1_3genE2ELNS1_11target_archE906ELNS1_3gpuE6ELNS1_3repE0EEENS1_30default_config_static_selectorELNS0_4arch9wavefront6targetE1EEEvS14_.has_recursion, 0
	.set _ZN7rocprim17ROCPRIM_400000_NS6detail17trampoline_kernelINS0_14default_configENS1_22reduce_config_selectorIN6thrust23THRUST_200600_302600_NS5tupleIblNS6_9null_typeES8_S8_S8_S8_S8_S8_S8_EEEEZNS1_11reduce_implILb1ES3_NS6_12zip_iteratorINS7_INS6_11hip_rocprim26transform_input_iterator_tIbNSD_35transform_pair_of_input_iterators_tIbNS6_6detail15normal_iteratorINS6_10device_ptrIKbEEEESL_NS6_8equal_toIbEEEENSG_9not_fun_tINSD_8identityEEEEENSD_19counting_iterator_tIlEES8_S8_S8_S8_S8_S8_S8_S8_EEEEPS9_S9_NSD_9__find_if7functorIS9_EEEE10hipError_tPvRmT1_T2_T3_mT4_P12ihipStream_tbEUlT_E0_NS1_11comp_targetILNS1_3genE2ELNS1_11target_archE906ELNS1_3gpuE6ELNS1_3repE0EEENS1_30default_config_static_selectorELNS0_4arch9wavefront6targetE1EEEvS14_.has_indirect_call, 0
	.section	.AMDGPU.csdata,"",@progbits
; Kernel info:
; codeLenInByte = 2780
; TotalNumSgprs: 30
; NumVgprs: 11
; ScratchSize: 0
; MemoryBound: 0
; FloatMode: 240
; IeeeMode: 1
; LDSByteSize: 64 bytes/workgroup (compile time only)
; SGPRBlocks: 3
; VGPRBlocks: 2
; NumSGPRsForWavesPerEU: 30
; NumVGPRsForWavesPerEU: 11
; Occupancy: 10
; WaveLimiterHint : 0
; COMPUTE_PGM_RSRC2:SCRATCH_EN: 0
; COMPUTE_PGM_RSRC2:USER_SGPR: 6
; COMPUTE_PGM_RSRC2:TRAP_HANDLER: 0
; COMPUTE_PGM_RSRC2:TGID_X_EN: 1
; COMPUTE_PGM_RSRC2:TGID_Y_EN: 0
; COMPUTE_PGM_RSRC2:TGID_Z_EN: 0
; COMPUTE_PGM_RSRC2:TIDIG_COMP_CNT: 0
	.section	.text._ZN7rocprim17ROCPRIM_400000_NS6detail17trampoline_kernelINS0_14default_configENS1_22reduce_config_selectorIN6thrust23THRUST_200600_302600_NS5tupleIblNS6_9null_typeES8_S8_S8_S8_S8_S8_S8_EEEEZNS1_11reduce_implILb1ES3_NS6_12zip_iteratorINS7_INS6_11hip_rocprim26transform_input_iterator_tIbNSD_35transform_pair_of_input_iterators_tIbNS6_6detail15normal_iteratorINS6_10device_ptrIKbEEEESL_NS6_8equal_toIbEEEENSG_9not_fun_tINSD_8identityEEEEENSD_19counting_iterator_tIlEES8_S8_S8_S8_S8_S8_S8_S8_EEEEPS9_S9_NSD_9__find_if7functorIS9_EEEE10hipError_tPvRmT1_T2_T3_mT4_P12ihipStream_tbEUlT_E0_NS1_11comp_targetILNS1_3genE10ELNS1_11target_archE1201ELNS1_3gpuE5ELNS1_3repE0EEENS1_30default_config_static_selectorELNS0_4arch9wavefront6targetE1EEEvS14_,"axG",@progbits,_ZN7rocprim17ROCPRIM_400000_NS6detail17trampoline_kernelINS0_14default_configENS1_22reduce_config_selectorIN6thrust23THRUST_200600_302600_NS5tupleIblNS6_9null_typeES8_S8_S8_S8_S8_S8_S8_EEEEZNS1_11reduce_implILb1ES3_NS6_12zip_iteratorINS7_INS6_11hip_rocprim26transform_input_iterator_tIbNSD_35transform_pair_of_input_iterators_tIbNS6_6detail15normal_iteratorINS6_10device_ptrIKbEEEESL_NS6_8equal_toIbEEEENSG_9not_fun_tINSD_8identityEEEEENSD_19counting_iterator_tIlEES8_S8_S8_S8_S8_S8_S8_S8_EEEEPS9_S9_NSD_9__find_if7functorIS9_EEEE10hipError_tPvRmT1_T2_T3_mT4_P12ihipStream_tbEUlT_E0_NS1_11comp_targetILNS1_3genE10ELNS1_11target_archE1201ELNS1_3gpuE5ELNS1_3repE0EEENS1_30default_config_static_selectorELNS0_4arch9wavefront6targetE1EEEvS14_,comdat
	.protected	_ZN7rocprim17ROCPRIM_400000_NS6detail17trampoline_kernelINS0_14default_configENS1_22reduce_config_selectorIN6thrust23THRUST_200600_302600_NS5tupleIblNS6_9null_typeES8_S8_S8_S8_S8_S8_S8_EEEEZNS1_11reduce_implILb1ES3_NS6_12zip_iteratorINS7_INS6_11hip_rocprim26transform_input_iterator_tIbNSD_35transform_pair_of_input_iterators_tIbNS6_6detail15normal_iteratorINS6_10device_ptrIKbEEEESL_NS6_8equal_toIbEEEENSG_9not_fun_tINSD_8identityEEEEENSD_19counting_iterator_tIlEES8_S8_S8_S8_S8_S8_S8_S8_EEEEPS9_S9_NSD_9__find_if7functorIS9_EEEE10hipError_tPvRmT1_T2_T3_mT4_P12ihipStream_tbEUlT_E0_NS1_11comp_targetILNS1_3genE10ELNS1_11target_archE1201ELNS1_3gpuE5ELNS1_3repE0EEENS1_30default_config_static_selectorELNS0_4arch9wavefront6targetE1EEEvS14_ ; -- Begin function _ZN7rocprim17ROCPRIM_400000_NS6detail17trampoline_kernelINS0_14default_configENS1_22reduce_config_selectorIN6thrust23THRUST_200600_302600_NS5tupleIblNS6_9null_typeES8_S8_S8_S8_S8_S8_S8_EEEEZNS1_11reduce_implILb1ES3_NS6_12zip_iteratorINS7_INS6_11hip_rocprim26transform_input_iterator_tIbNSD_35transform_pair_of_input_iterators_tIbNS6_6detail15normal_iteratorINS6_10device_ptrIKbEEEESL_NS6_8equal_toIbEEEENSG_9not_fun_tINSD_8identityEEEEENSD_19counting_iterator_tIlEES8_S8_S8_S8_S8_S8_S8_S8_EEEEPS9_S9_NSD_9__find_if7functorIS9_EEEE10hipError_tPvRmT1_T2_T3_mT4_P12ihipStream_tbEUlT_E0_NS1_11comp_targetILNS1_3genE10ELNS1_11target_archE1201ELNS1_3gpuE5ELNS1_3repE0EEENS1_30default_config_static_selectorELNS0_4arch9wavefront6targetE1EEEvS14_
	.globl	_ZN7rocprim17ROCPRIM_400000_NS6detail17trampoline_kernelINS0_14default_configENS1_22reduce_config_selectorIN6thrust23THRUST_200600_302600_NS5tupleIblNS6_9null_typeES8_S8_S8_S8_S8_S8_S8_EEEEZNS1_11reduce_implILb1ES3_NS6_12zip_iteratorINS7_INS6_11hip_rocprim26transform_input_iterator_tIbNSD_35transform_pair_of_input_iterators_tIbNS6_6detail15normal_iteratorINS6_10device_ptrIKbEEEESL_NS6_8equal_toIbEEEENSG_9not_fun_tINSD_8identityEEEEENSD_19counting_iterator_tIlEES8_S8_S8_S8_S8_S8_S8_S8_EEEEPS9_S9_NSD_9__find_if7functorIS9_EEEE10hipError_tPvRmT1_T2_T3_mT4_P12ihipStream_tbEUlT_E0_NS1_11comp_targetILNS1_3genE10ELNS1_11target_archE1201ELNS1_3gpuE5ELNS1_3repE0EEENS1_30default_config_static_selectorELNS0_4arch9wavefront6targetE1EEEvS14_
	.p2align	8
	.type	_ZN7rocprim17ROCPRIM_400000_NS6detail17trampoline_kernelINS0_14default_configENS1_22reduce_config_selectorIN6thrust23THRUST_200600_302600_NS5tupleIblNS6_9null_typeES8_S8_S8_S8_S8_S8_S8_EEEEZNS1_11reduce_implILb1ES3_NS6_12zip_iteratorINS7_INS6_11hip_rocprim26transform_input_iterator_tIbNSD_35transform_pair_of_input_iterators_tIbNS6_6detail15normal_iteratorINS6_10device_ptrIKbEEEESL_NS6_8equal_toIbEEEENSG_9not_fun_tINSD_8identityEEEEENSD_19counting_iterator_tIlEES8_S8_S8_S8_S8_S8_S8_S8_EEEEPS9_S9_NSD_9__find_if7functorIS9_EEEE10hipError_tPvRmT1_T2_T3_mT4_P12ihipStream_tbEUlT_E0_NS1_11comp_targetILNS1_3genE10ELNS1_11target_archE1201ELNS1_3gpuE5ELNS1_3repE0EEENS1_30default_config_static_selectorELNS0_4arch9wavefront6targetE1EEEvS14_,@function
_ZN7rocprim17ROCPRIM_400000_NS6detail17trampoline_kernelINS0_14default_configENS1_22reduce_config_selectorIN6thrust23THRUST_200600_302600_NS5tupleIblNS6_9null_typeES8_S8_S8_S8_S8_S8_S8_EEEEZNS1_11reduce_implILb1ES3_NS6_12zip_iteratorINS7_INS6_11hip_rocprim26transform_input_iterator_tIbNSD_35transform_pair_of_input_iterators_tIbNS6_6detail15normal_iteratorINS6_10device_ptrIKbEEEESL_NS6_8equal_toIbEEEENSG_9not_fun_tINSD_8identityEEEEENSD_19counting_iterator_tIlEES8_S8_S8_S8_S8_S8_S8_S8_EEEEPS9_S9_NSD_9__find_if7functorIS9_EEEE10hipError_tPvRmT1_T2_T3_mT4_P12ihipStream_tbEUlT_E0_NS1_11comp_targetILNS1_3genE10ELNS1_11target_archE1201ELNS1_3gpuE5ELNS1_3repE0EEENS1_30default_config_static_selectorELNS0_4arch9wavefront6targetE1EEEvS14_: ; @_ZN7rocprim17ROCPRIM_400000_NS6detail17trampoline_kernelINS0_14default_configENS1_22reduce_config_selectorIN6thrust23THRUST_200600_302600_NS5tupleIblNS6_9null_typeES8_S8_S8_S8_S8_S8_S8_EEEEZNS1_11reduce_implILb1ES3_NS6_12zip_iteratorINS7_INS6_11hip_rocprim26transform_input_iterator_tIbNSD_35transform_pair_of_input_iterators_tIbNS6_6detail15normal_iteratorINS6_10device_ptrIKbEEEESL_NS6_8equal_toIbEEEENSG_9not_fun_tINSD_8identityEEEEENSD_19counting_iterator_tIlEES8_S8_S8_S8_S8_S8_S8_S8_EEEEPS9_S9_NSD_9__find_if7functorIS9_EEEE10hipError_tPvRmT1_T2_T3_mT4_P12ihipStream_tbEUlT_E0_NS1_11comp_targetILNS1_3genE10ELNS1_11target_archE1201ELNS1_3gpuE5ELNS1_3repE0EEENS1_30default_config_static_selectorELNS0_4arch9wavefront6targetE1EEEvS14_
; %bb.0:
	.section	.rodata,"a",@progbits
	.p2align	6, 0x0
	.amdhsa_kernel _ZN7rocprim17ROCPRIM_400000_NS6detail17trampoline_kernelINS0_14default_configENS1_22reduce_config_selectorIN6thrust23THRUST_200600_302600_NS5tupleIblNS6_9null_typeES8_S8_S8_S8_S8_S8_S8_EEEEZNS1_11reduce_implILb1ES3_NS6_12zip_iteratorINS7_INS6_11hip_rocprim26transform_input_iterator_tIbNSD_35transform_pair_of_input_iterators_tIbNS6_6detail15normal_iteratorINS6_10device_ptrIKbEEEESL_NS6_8equal_toIbEEEENSG_9not_fun_tINSD_8identityEEEEENSD_19counting_iterator_tIlEES8_S8_S8_S8_S8_S8_S8_S8_EEEEPS9_S9_NSD_9__find_if7functorIS9_EEEE10hipError_tPvRmT1_T2_T3_mT4_P12ihipStream_tbEUlT_E0_NS1_11comp_targetILNS1_3genE10ELNS1_11target_archE1201ELNS1_3gpuE5ELNS1_3repE0EEENS1_30default_config_static_selectorELNS0_4arch9wavefront6targetE1EEEvS14_
		.amdhsa_group_segment_fixed_size 0
		.amdhsa_private_segment_fixed_size 0
		.amdhsa_kernarg_size 104
		.amdhsa_user_sgpr_count 6
		.amdhsa_user_sgpr_private_segment_buffer 1
		.amdhsa_user_sgpr_dispatch_ptr 0
		.amdhsa_user_sgpr_queue_ptr 0
		.amdhsa_user_sgpr_kernarg_segment_ptr 1
		.amdhsa_user_sgpr_dispatch_id 0
		.amdhsa_user_sgpr_flat_scratch_init 0
		.amdhsa_user_sgpr_private_segment_size 0
		.amdhsa_uses_dynamic_stack 0
		.amdhsa_system_sgpr_private_segment_wavefront_offset 0
		.amdhsa_system_sgpr_workgroup_id_x 1
		.amdhsa_system_sgpr_workgroup_id_y 0
		.amdhsa_system_sgpr_workgroup_id_z 0
		.amdhsa_system_sgpr_workgroup_info 0
		.amdhsa_system_vgpr_workitem_id 0
		.amdhsa_next_free_vgpr 1
		.amdhsa_next_free_sgpr 0
		.amdhsa_reserve_vcc 0
		.amdhsa_reserve_flat_scratch 0
		.amdhsa_float_round_mode_32 0
		.amdhsa_float_round_mode_16_64 0
		.amdhsa_float_denorm_mode_32 3
		.amdhsa_float_denorm_mode_16_64 3
		.amdhsa_dx10_clamp 1
		.amdhsa_ieee_mode 1
		.amdhsa_fp16_overflow 0
		.amdhsa_exception_fp_ieee_invalid_op 0
		.amdhsa_exception_fp_denorm_src 0
		.amdhsa_exception_fp_ieee_div_zero 0
		.amdhsa_exception_fp_ieee_overflow 0
		.amdhsa_exception_fp_ieee_underflow 0
		.amdhsa_exception_fp_ieee_inexact 0
		.amdhsa_exception_int_div_zero 0
	.end_amdhsa_kernel
	.section	.text._ZN7rocprim17ROCPRIM_400000_NS6detail17trampoline_kernelINS0_14default_configENS1_22reduce_config_selectorIN6thrust23THRUST_200600_302600_NS5tupleIblNS6_9null_typeES8_S8_S8_S8_S8_S8_S8_EEEEZNS1_11reduce_implILb1ES3_NS6_12zip_iteratorINS7_INS6_11hip_rocprim26transform_input_iterator_tIbNSD_35transform_pair_of_input_iterators_tIbNS6_6detail15normal_iteratorINS6_10device_ptrIKbEEEESL_NS6_8equal_toIbEEEENSG_9not_fun_tINSD_8identityEEEEENSD_19counting_iterator_tIlEES8_S8_S8_S8_S8_S8_S8_S8_EEEEPS9_S9_NSD_9__find_if7functorIS9_EEEE10hipError_tPvRmT1_T2_T3_mT4_P12ihipStream_tbEUlT_E0_NS1_11comp_targetILNS1_3genE10ELNS1_11target_archE1201ELNS1_3gpuE5ELNS1_3repE0EEENS1_30default_config_static_selectorELNS0_4arch9wavefront6targetE1EEEvS14_,"axG",@progbits,_ZN7rocprim17ROCPRIM_400000_NS6detail17trampoline_kernelINS0_14default_configENS1_22reduce_config_selectorIN6thrust23THRUST_200600_302600_NS5tupleIblNS6_9null_typeES8_S8_S8_S8_S8_S8_S8_EEEEZNS1_11reduce_implILb1ES3_NS6_12zip_iteratorINS7_INS6_11hip_rocprim26transform_input_iterator_tIbNSD_35transform_pair_of_input_iterators_tIbNS6_6detail15normal_iteratorINS6_10device_ptrIKbEEEESL_NS6_8equal_toIbEEEENSG_9not_fun_tINSD_8identityEEEEENSD_19counting_iterator_tIlEES8_S8_S8_S8_S8_S8_S8_S8_EEEEPS9_S9_NSD_9__find_if7functorIS9_EEEE10hipError_tPvRmT1_T2_T3_mT4_P12ihipStream_tbEUlT_E0_NS1_11comp_targetILNS1_3genE10ELNS1_11target_archE1201ELNS1_3gpuE5ELNS1_3repE0EEENS1_30default_config_static_selectorELNS0_4arch9wavefront6targetE1EEEvS14_,comdat
.Lfunc_end748:
	.size	_ZN7rocprim17ROCPRIM_400000_NS6detail17trampoline_kernelINS0_14default_configENS1_22reduce_config_selectorIN6thrust23THRUST_200600_302600_NS5tupleIblNS6_9null_typeES8_S8_S8_S8_S8_S8_S8_EEEEZNS1_11reduce_implILb1ES3_NS6_12zip_iteratorINS7_INS6_11hip_rocprim26transform_input_iterator_tIbNSD_35transform_pair_of_input_iterators_tIbNS6_6detail15normal_iteratorINS6_10device_ptrIKbEEEESL_NS6_8equal_toIbEEEENSG_9not_fun_tINSD_8identityEEEEENSD_19counting_iterator_tIlEES8_S8_S8_S8_S8_S8_S8_S8_EEEEPS9_S9_NSD_9__find_if7functorIS9_EEEE10hipError_tPvRmT1_T2_T3_mT4_P12ihipStream_tbEUlT_E0_NS1_11comp_targetILNS1_3genE10ELNS1_11target_archE1201ELNS1_3gpuE5ELNS1_3repE0EEENS1_30default_config_static_selectorELNS0_4arch9wavefront6targetE1EEEvS14_, .Lfunc_end748-_ZN7rocprim17ROCPRIM_400000_NS6detail17trampoline_kernelINS0_14default_configENS1_22reduce_config_selectorIN6thrust23THRUST_200600_302600_NS5tupleIblNS6_9null_typeES8_S8_S8_S8_S8_S8_S8_EEEEZNS1_11reduce_implILb1ES3_NS6_12zip_iteratorINS7_INS6_11hip_rocprim26transform_input_iterator_tIbNSD_35transform_pair_of_input_iterators_tIbNS6_6detail15normal_iteratorINS6_10device_ptrIKbEEEESL_NS6_8equal_toIbEEEENSG_9not_fun_tINSD_8identityEEEEENSD_19counting_iterator_tIlEES8_S8_S8_S8_S8_S8_S8_S8_EEEEPS9_S9_NSD_9__find_if7functorIS9_EEEE10hipError_tPvRmT1_T2_T3_mT4_P12ihipStream_tbEUlT_E0_NS1_11comp_targetILNS1_3genE10ELNS1_11target_archE1201ELNS1_3gpuE5ELNS1_3repE0EEENS1_30default_config_static_selectorELNS0_4arch9wavefront6targetE1EEEvS14_
                                        ; -- End function
	.set _ZN7rocprim17ROCPRIM_400000_NS6detail17trampoline_kernelINS0_14default_configENS1_22reduce_config_selectorIN6thrust23THRUST_200600_302600_NS5tupleIblNS6_9null_typeES8_S8_S8_S8_S8_S8_S8_EEEEZNS1_11reduce_implILb1ES3_NS6_12zip_iteratorINS7_INS6_11hip_rocprim26transform_input_iterator_tIbNSD_35transform_pair_of_input_iterators_tIbNS6_6detail15normal_iteratorINS6_10device_ptrIKbEEEESL_NS6_8equal_toIbEEEENSG_9not_fun_tINSD_8identityEEEEENSD_19counting_iterator_tIlEES8_S8_S8_S8_S8_S8_S8_S8_EEEEPS9_S9_NSD_9__find_if7functorIS9_EEEE10hipError_tPvRmT1_T2_T3_mT4_P12ihipStream_tbEUlT_E0_NS1_11comp_targetILNS1_3genE10ELNS1_11target_archE1201ELNS1_3gpuE5ELNS1_3repE0EEENS1_30default_config_static_selectorELNS0_4arch9wavefront6targetE1EEEvS14_.num_vgpr, 0
	.set _ZN7rocprim17ROCPRIM_400000_NS6detail17trampoline_kernelINS0_14default_configENS1_22reduce_config_selectorIN6thrust23THRUST_200600_302600_NS5tupleIblNS6_9null_typeES8_S8_S8_S8_S8_S8_S8_EEEEZNS1_11reduce_implILb1ES3_NS6_12zip_iteratorINS7_INS6_11hip_rocprim26transform_input_iterator_tIbNSD_35transform_pair_of_input_iterators_tIbNS6_6detail15normal_iteratorINS6_10device_ptrIKbEEEESL_NS6_8equal_toIbEEEENSG_9not_fun_tINSD_8identityEEEEENSD_19counting_iterator_tIlEES8_S8_S8_S8_S8_S8_S8_S8_EEEEPS9_S9_NSD_9__find_if7functorIS9_EEEE10hipError_tPvRmT1_T2_T3_mT4_P12ihipStream_tbEUlT_E0_NS1_11comp_targetILNS1_3genE10ELNS1_11target_archE1201ELNS1_3gpuE5ELNS1_3repE0EEENS1_30default_config_static_selectorELNS0_4arch9wavefront6targetE1EEEvS14_.num_agpr, 0
	.set _ZN7rocprim17ROCPRIM_400000_NS6detail17trampoline_kernelINS0_14default_configENS1_22reduce_config_selectorIN6thrust23THRUST_200600_302600_NS5tupleIblNS6_9null_typeES8_S8_S8_S8_S8_S8_S8_EEEEZNS1_11reduce_implILb1ES3_NS6_12zip_iteratorINS7_INS6_11hip_rocprim26transform_input_iterator_tIbNSD_35transform_pair_of_input_iterators_tIbNS6_6detail15normal_iteratorINS6_10device_ptrIKbEEEESL_NS6_8equal_toIbEEEENSG_9not_fun_tINSD_8identityEEEEENSD_19counting_iterator_tIlEES8_S8_S8_S8_S8_S8_S8_S8_EEEEPS9_S9_NSD_9__find_if7functorIS9_EEEE10hipError_tPvRmT1_T2_T3_mT4_P12ihipStream_tbEUlT_E0_NS1_11comp_targetILNS1_3genE10ELNS1_11target_archE1201ELNS1_3gpuE5ELNS1_3repE0EEENS1_30default_config_static_selectorELNS0_4arch9wavefront6targetE1EEEvS14_.numbered_sgpr, 0
	.set _ZN7rocprim17ROCPRIM_400000_NS6detail17trampoline_kernelINS0_14default_configENS1_22reduce_config_selectorIN6thrust23THRUST_200600_302600_NS5tupleIblNS6_9null_typeES8_S8_S8_S8_S8_S8_S8_EEEEZNS1_11reduce_implILb1ES3_NS6_12zip_iteratorINS7_INS6_11hip_rocprim26transform_input_iterator_tIbNSD_35transform_pair_of_input_iterators_tIbNS6_6detail15normal_iteratorINS6_10device_ptrIKbEEEESL_NS6_8equal_toIbEEEENSG_9not_fun_tINSD_8identityEEEEENSD_19counting_iterator_tIlEES8_S8_S8_S8_S8_S8_S8_S8_EEEEPS9_S9_NSD_9__find_if7functorIS9_EEEE10hipError_tPvRmT1_T2_T3_mT4_P12ihipStream_tbEUlT_E0_NS1_11comp_targetILNS1_3genE10ELNS1_11target_archE1201ELNS1_3gpuE5ELNS1_3repE0EEENS1_30default_config_static_selectorELNS0_4arch9wavefront6targetE1EEEvS14_.num_named_barrier, 0
	.set _ZN7rocprim17ROCPRIM_400000_NS6detail17trampoline_kernelINS0_14default_configENS1_22reduce_config_selectorIN6thrust23THRUST_200600_302600_NS5tupleIblNS6_9null_typeES8_S8_S8_S8_S8_S8_S8_EEEEZNS1_11reduce_implILb1ES3_NS6_12zip_iteratorINS7_INS6_11hip_rocprim26transform_input_iterator_tIbNSD_35transform_pair_of_input_iterators_tIbNS6_6detail15normal_iteratorINS6_10device_ptrIKbEEEESL_NS6_8equal_toIbEEEENSG_9not_fun_tINSD_8identityEEEEENSD_19counting_iterator_tIlEES8_S8_S8_S8_S8_S8_S8_S8_EEEEPS9_S9_NSD_9__find_if7functorIS9_EEEE10hipError_tPvRmT1_T2_T3_mT4_P12ihipStream_tbEUlT_E0_NS1_11comp_targetILNS1_3genE10ELNS1_11target_archE1201ELNS1_3gpuE5ELNS1_3repE0EEENS1_30default_config_static_selectorELNS0_4arch9wavefront6targetE1EEEvS14_.private_seg_size, 0
	.set _ZN7rocprim17ROCPRIM_400000_NS6detail17trampoline_kernelINS0_14default_configENS1_22reduce_config_selectorIN6thrust23THRUST_200600_302600_NS5tupleIblNS6_9null_typeES8_S8_S8_S8_S8_S8_S8_EEEEZNS1_11reduce_implILb1ES3_NS6_12zip_iteratorINS7_INS6_11hip_rocprim26transform_input_iterator_tIbNSD_35transform_pair_of_input_iterators_tIbNS6_6detail15normal_iteratorINS6_10device_ptrIKbEEEESL_NS6_8equal_toIbEEEENSG_9not_fun_tINSD_8identityEEEEENSD_19counting_iterator_tIlEES8_S8_S8_S8_S8_S8_S8_S8_EEEEPS9_S9_NSD_9__find_if7functorIS9_EEEE10hipError_tPvRmT1_T2_T3_mT4_P12ihipStream_tbEUlT_E0_NS1_11comp_targetILNS1_3genE10ELNS1_11target_archE1201ELNS1_3gpuE5ELNS1_3repE0EEENS1_30default_config_static_selectorELNS0_4arch9wavefront6targetE1EEEvS14_.uses_vcc, 0
	.set _ZN7rocprim17ROCPRIM_400000_NS6detail17trampoline_kernelINS0_14default_configENS1_22reduce_config_selectorIN6thrust23THRUST_200600_302600_NS5tupleIblNS6_9null_typeES8_S8_S8_S8_S8_S8_S8_EEEEZNS1_11reduce_implILb1ES3_NS6_12zip_iteratorINS7_INS6_11hip_rocprim26transform_input_iterator_tIbNSD_35transform_pair_of_input_iterators_tIbNS6_6detail15normal_iteratorINS6_10device_ptrIKbEEEESL_NS6_8equal_toIbEEEENSG_9not_fun_tINSD_8identityEEEEENSD_19counting_iterator_tIlEES8_S8_S8_S8_S8_S8_S8_S8_EEEEPS9_S9_NSD_9__find_if7functorIS9_EEEE10hipError_tPvRmT1_T2_T3_mT4_P12ihipStream_tbEUlT_E0_NS1_11comp_targetILNS1_3genE10ELNS1_11target_archE1201ELNS1_3gpuE5ELNS1_3repE0EEENS1_30default_config_static_selectorELNS0_4arch9wavefront6targetE1EEEvS14_.uses_flat_scratch, 0
	.set _ZN7rocprim17ROCPRIM_400000_NS6detail17trampoline_kernelINS0_14default_configENS1_22reduce_config_selectorIN6thrust23THRUST_200600_302600_NS5tupleIblNS6_9null_typeES8_S8_S8_S8_S8_S8_S8_EEEEZNS1_11reduce_implILb1ES3_NS6_12zip_iteratorINS7_INS6_11hip_rocprim26transform_input_iterator_tIbNSD_35transform_pair_of_input_iterators_tIbNS6_6detail15normal_iteratorINS6_10device_ptrIKbEEEESL_NS6_8equal_toIbEEEENSG_9not_fun_tINSD_8identityEEEEENSD_19counting_iterator_tIlEES8_S8_S8_S8_S8_S8_S8_S8_EEEEPS9_S9_NSD_9__find_if7functorIS9_EEEE10hipError_tPvRmT1_T2_T3_mT4_P12ihipStream_tbEUlT_E0_NS1_11comp_targetILNS1_3genE10ELNS1_11target_archE1201ELNS1_3gpuE5ELNS1_3repE0EEENS1_30default_config_static_selectorELNS0_4arch9wavefront6targetE1EEEvS14_.has_dyn_sized_stack, 0
	.set _ZN7rocprim17ROCPRIM_400000_NS6detail17trampoline_kernelINS0_14default_configENS1_22reduce_config_selectorIN6thrust23THRUST_200600_302600_NS5tupleIblNS6_9null_typeES8_S8_S8_S8_S8_S8_S8_EEEEZNS1_11reduce_implILb1ES3_NS6_12zip_iteratorINS7_INS6_11hip_rocprim26transform_input_iterator_tIbNSD_35transform_pair_of_input_iterators_tIbNS6_6detail15normal_iteratorINS6_10device_ptrIKbEEEESL_NS6_8equal_toIbEEEENSG_9not_fun_tINSD_8identityEEEEENSD_19counting_iterator_tIlEES8_S8_S8_S8_S8_S8_S8_S8_EEEEPS9_S9_NSD_9__find_if7functorIS9_EEEE10hipError_tPvRmT1_T2_T3_mT4_P12ihipStream_tbEUlT_E0_NS1_11comp_targetILNS1_3genE10ELNS1_11target_archE1201ELNS1_3gpuE5ELNS1_3repE0EEENS1_30default_config_static_selectorELNS0_4arch9wavefront6targetE1EEEvS14_.has_recursion, 0
	.set _ZN7rocprim17ROCPRIM_400000_NS6detail17trampoline_kernelINS0_14default_configENS1_22reduce_config_selectorIN6thrust23THRUST_200600_302600_NS5tupleIblNS6_9null_typeES8_S8_S8_S8_S8_S8_S8_EEEEZNS1_11reduce_implILb1ES3_NS6_12zip_iteratorINS7_INS6_11hip_rocprim26transform_input_iterator_tIbNSD_35transform_pair_of_input_iterators_tIbNS6_6detail15normal_iteratorINS6_10device_ptrIKbEEEESL_NS6_8equal_toIbEEEENSG_9not_fun_tINSD_8identityEEEEENSD_19counting_iterator_tIlEES8_S8_S8_S8_S8_S8_S8_S8_EEEEPS9_S9_NSD_9__find_if7functorIS9_EEEE10hipError_tPvRmT1_T2_T3_mT4_P12ihipStream_tbEUlT_E0_NS1_11comp_targetILNS1_3genE10ELNS1_11target_archE1201ELNS1_3gpuE5ELNS1_3repE0EEENS1_30default_config_static_selectorELNS0_4arch9wavefront6targetE1EEEvS14_.has_indirect_call, 0
	.section	.AMDGPU.csdata,"",@progbits
; Kernel info:
; codeLenInByte = 0
; TotalNumSgprs: 4
; NumVgprs: 0
; ScratchSize: 0
; MemoryBound: 0
; FloatMode: 240
; IeeeMode: 1
; LDSByteSize: 0 bytes/workgroup (compile time only)
; SGPRBlocks: 0
; VGPRBlocks: 0
; NumSGPRsForWavesPerEU: 4
; NumVGPRsForWavesPerEU: 1
; Occupancy: 10
; WaveLimiterHint : 0
; COMPUTE_PGM_RSRC2:SCRATCH_EN: 0
; COMPUTE_PGM_RSRC2:USER_SGPR: 6
; COMPUTE_PGM_RSRC2:TRAP_HANDLER: 0
; COMPUTE_PGM_RSRC2:TGID_X_EN: 1
; COMPUTE_PGM_RSRC2:TGID_Y_EN: 0
; COMPUTE_PGM_RSRC2:TGID_Z_EN: 0
; COMPUTE_PGM_RSRC2:TIDIG_COMP_CNT: 0
	.section	.text._ZN7rocprim17ROCPRIM_400000_NS6detail17trampoline_kernelINS0_14default_configENS1_22reduce_config_selectorIN6thrust23THRUST_200600_302600_NS5tupleIblNS6_9null_typeES8_S8_S8_S8_S8_S8_S8_EEEEZNS1_11reduce_implILb1ES3_NS6_12zip_iteratorINS7_INS6_11hip_rocprim26transform_input_iterator_tIbNSD_35transform_pair_of_input_iterators_tIbNS6_6detail15normal_iteratorINS6_10device_ptrIKbEEEESL_NS6_8equal_toIbEEEENSG_9not_fun_tINSD_8identityEEEEENSD_19counting_iterator_tIlEES8_S8_S8_S8_S8_S8_S8_S8_EEEEPS9_S9_NSD_9__find_if7functorIS9_EEEE10hipError_tPvRmT1_T2_T3_mT4_P12ihipStream_tbEUlT_E0_NS1_11comp_targetILNS1_3genE10ELNS1_11target_archE1200ELNS1_3gpuE4ELNS1_3repE0EEENS1_30default_config_static_selectorELNS0_4arch9wavefront6targetE1EEEvS14_,"axG",@progbits,_ZN7rocprim17ROCPRIM_400000_NS6detail17trampoline_kernelINS0_14default_configENS1_22reduce_config_selectorIN6thrust23THRUST_200600_302600_NS5tupleIblNS6_9null_typeES8_S8_S8_S8_S8_S8_S8_EEEEZNS1_11reduce_implILb1ES3_NS6_12zip_iteratorINS7_INS6_11hip_rocprim26transform_input_iterator_tIbNSD_35transform_pair_of_input_iterators_tIbNS6_6detail15normal_iteratorINS6_10device_ptrIKbEEEESL_NS6_8equal_toIbEEEENSG_9not_fun_tINSD_8identityEEEEENSD_19counting_iterator_tIlEES8_S8_S8_S8_S8_S8_S8_S8_EEEEPS9_S9_NSD_9__find_if7functorIS9_EEEE10hipError_tPvRmT1_T2_T3_mT4_P12ihipStream_tbEUlT_E0_NS1_11comp_targetILNS1_3genE10ELNS1_11target_archE1200ELNS1_3gpuE4ELNS1_3repE0EEENS1_30default_config_static_selectorELNS0_4arch9wavefront6targetE1EEEvS14_,comdat
	.protected	_ZN7rocprim17ROCPRIM_400000_NS6detail17trampoline_kernelINS0_14default_configENS1_22reduce_config_selectorIN6thrust23THRUST_200600_302600_NS5tupleIblNS6_9null_typeES8_S8_S8_S8_S8_S8_S8_EEEEZNS1_11reduce_implILb1ES3_NS6_12zip_iteratorINS7_INS6_11hip_rocprim26transform_input_iterator_tIbNSD_35transform_pair_of_input_iterators_tIbNS6_6detail15normal_iteratorINS6_10device_ptrIKbEEEESL_NS6_8equal_toIbEEEENSG_9not_fun_tINSD_8identityEEEEENSD_19counting_iterator_tIlEES8_S8_S8_S8_S8_S8_S8_S8_EEEEPS9_S9_NSD_9__find_if7functorIS9_EEEE10hipError_tPvRmT1_T2_T3_mT4_P12ihipStream_tbEUlT_E0_NS1_11comp_targetILNS1_3genE10ELNS1_11target_archE1200ELNS1_3gpuE4ELNS1_3repE0EEENS1_30default_config_static_selectorELNS0_4arch9wavefront6targetE1EEEvS14_ ; -- Begin function _ZN7rocprim17ROCPRIM_400000_NS6detail17trampoline_kernelINS0_14default_configENS1_22reduce_config_selectorIN6thrust23THRUST_200600_302600_NS5tupleIblNS6_9null_typeES8_S8_S8_S8_S8_S8_S8_EEEEZNS1_11reduce_implILb1ES3_NS6_12zip_iteratorINS7_INS6_11hip_rocprim26transform_input_iterator_tIbNSD_35transform_pair_of_input_iterators_tIbNS6_6detail15normal_iteratorINS6_10device_ptrIKbEEEESL_NS6_8equal_toIbEEEENSG_9not_fun_tINSD_8identityEEEEENSD_19counting_iterator_tIlEES8_S8_S8_S8_S8_S8_S8_S8_EEEEPS9_S9_NSD_9__find_if7functorIS9_EEEE10hipError_tPvRmT1_T2_T3_mT4_P12ihipStream_tbEUlT_E0_NS1_11comp_targetILNS1_3genE10ELNS1_11target_archE1200ELNS1_3gpuE4ELNS1_3repE0EEENS1_30default_config_static_selectorELNS0_4arch9wavefront6targetE1EEEvS14_
	.globl	_ZN7rocprim17ROCPRIM_400000_NS6detail17trampoline_kernelINS0_14default_configENS1_22reduce_config_selectorIN6thrust23THRUST_200600_302600_NS5tupleIblNS6_9null_typeES8_S8_S8_S8_S8_S8_S8_EEEEZNS1_11reduce_implILb1ES3_NS6_12zip_iteratorINS7_INS6_11hip_rocprim26transform_input_iterator_tIbNSD_35transform_pair_of_input_iterators_tIbNS6_6detail15normal_iteratorINS6_10device_ptrIKbEEEESL_NS6_8equal_toIbEEEENSG_9not_fun_tINSD_8identityEEEEENSD_19counting_iterator_tIlEES8_S8_S8_S8_S8_S8_S8_S8_EEEEPS9_S9_NSD_9__find_if7functorIS9_EEEE10hipError_tPvRmT1_T2_T3_mT4_P12ihipStream_tbEUlT_E0_NS1_11comp_targetILNS1_3genE10ELNS1_11target_archE1200ELNS1_3gpuE4ELNS1_3repE0EEENS1_30default_config_static_selectorELNS0_4arch9wavefront6targetE1EEEvS14_
	.p2align	8
	.type	_ZN7rocprim17ROCPRIM_400000_NS6detail17trampoline_kernelINS0_14default_configENS1_22reduce_config_selectorIN6thrust23THRUST_200600_302600_NS5tupleIblNS6_9null_typeES8_S8_S8_S8_S8_S8_S8_EEEEZNS1_11reduce_implILb1ES3_NS6_12zip_iteratorINS7_INS6_11hip_rocprim26transform_input_iterator_tIbNSD_35transform_pair_of_input_iterators_tIbNS6_6detail15normal_iteratorINS6_10device_ptrIKbEEEESL_NS6_8equal_toIbEEEENSG_9not_fun_tINSD_8identityEEEEENSD_19counting_iterator_tIlEES8_S8_S8_S8_S8_S8_S8_S8_EEEEPS9_S9_NSD_9__find_if7functorIS9_EEEE10hipError_tPvRmT1_T2_T3_mT4_P12ihipStream_tbEUlT_E0_NS1_11comp_targetILNS1_3genE10ELNS1_11target_archE1200ELNS1_3gpuE4ELNS1_3repE0EEENS1_30default_config_static_selectorELNS0_4arch9wavefront6targetE1EEEvS14_,@function
_ZN7rocprim17ROCPRIM_400000_NS6detail17trampoline_kernelINS0_14default_configENS1_22reduce_config_selectorIN6thrust23THRUST_200600_302600_NS5tupleIblNS6_9null_typeES8_S8_S8_S8_S8_S8_S8_EEEEZNS1_11reduce_implILb1ES3_NS6_12zip_iteratorINS7_INS6_11hip_rocprim26transform_input_iterator_tIbNSD_35transform_pair_of_input_iterators_tIbNS6_6detail15normal_iteratorINS6_10device_ptrIKbEEEESL_NS6_8equal_toIbEEEENSG_9not_fun_tINSD_8identityEEEEENSD_19counting_iterator_tIlEES8_S8_S8_S8_S8_S8_S8_S8_EEEEPS9_S9_NSD_9__find_if7functorIS9_EEEE10hipError_tPvRmT1_T2_T3_mT4_P12ihipStream_tbEUlT_E0_NS1_11comp_targetILNS1_3genE10ELNS1_11target_archE1200ELNS1_3gpuE4ELNS1_3repE0EEENS1_30default_config_static_selectorELNS0_4arch9wavefront6targetE1EEEvS14_: ; @_ZN7rocprim17ROCPRIM_400000_NS6detail17trampoline_kernelINS0_14default_configENS1_22reduce_config_selectorIN6thrust23THRUST_200600_302600_NS5tupleIblNS6_9null_typeES8_S8_S8_S8_S8_S8_S8_EEEEZNS1_11reduce_implILb1ES3_NS6_12zip_iteratorINS7_INS6_11hip_rocprim26transform_input_iterator_tIbNSD_35transform_pair_of_input_iterators_tIbNS6_6detail15normal_iteratorINS6_10device_ptrIKbEEEESL_NS6_8equal_toIbEEEENSG_9not_fun_tINSD_8identityEEEEENSD_19counting_iterator_tIlEES8_S8_S8_S8_S8_S8_S8_S8_EEEEPS9_S9_NSD_9__find_if7functorIS9_EEEE10hipError_tPvRmT1_T2_T3_mT4_P12ihipStream_tbEUlT_E0_NS1_11comp_targetILNS1_3genE10ELNS1_11target_archE1200ELNS1_3gpuE4ELNS1_3repE0EEENS1_30default_config_static_selectorELNS0_4arch9wavefront6targetE1EEEvS14_
; %bb.0:
	.section	.rodata,"a",@progbits
	.p2align	6, 0x0
	.amdhsa_kernel _ZN7rocprim17ROCPRIM_400000_NS6detail17trampoline_kernelINS0_14default_configENS1_22reduce_config_selectorIN6thrust23THRUST_200600_302600_NS5tupleIblNS6_9null_typeES8_S8_S8_S8_S8_S8_S8_EEEEZNS1_11reduce_implILb1ES3_NS6_12zip_iteratorINS7_INS6_11hip_rocprim26transform_input_iterator_tIbNSD_35transform_pair_of_input_iterators_tIbNS6_6detail15normal_iteratorINS6_10device_ptrIKbEEEESL_NS6_8equal_toIbEEEENSG_9not_fun_tINSD_8identityEEEEENSD_19counting_iterator_tIlEES8_S8_S8_S8_S8_S8_S8_S8_EEEEPS9_S9_NSD_9__find_if7functorIS9_EEEE10hipError_tPvRmT1_T2_T3_mT4_P12ihipStream_tbEUlT_E0_NS1_11comp_targetILNS1_3genE10ELNS1_11target_archE1200ELNS1_3gpuE4ELNS1_3repE0EEENS1_30default_config_static_selectorELNS0_4arch9wavefront6targetE1EEEvS14_
		.amdhsa_group_segment_fixed_size 0
		.amdhsa_private_segment_fixed_size 0
		.amdhsa_kernarg_size 104
		.amdhsa_user_sgpr_count 6
		.amdhsa_user_sgpr_private_segment_buffer 1
		.amdhsa_user_sgpr_dispatch_ptr 0
		.amdhsa_user_sgpr_queue_ptr 0
		.amdhsa_user_sgpr_kernarg_segment_ptr 1
		.amdhsa_user_sgpr_dispatch_id 0
		.amdhsa_user_sgpr_flat_scratch_init 0
		.amdhsa_user_sgpr_private_segment_size 0
		.amdhsa_uses_dynamic_stack 0
		.amdhsa_system_sgpr_private_segment_wavefront_offset 0
		.amdhsa_system_sgpr_workgroup_id_x 1
		.amdhsa_system_sgpr_workgroup_id_y 0
		.amdhsa_system_sgpr_workgroup_id_z 0
		.amdhsa_system_sgpr_workgroup_info 0
		.amdhsa_system_vgpr_workitem_id 0
		.amdhsa_next_free_vgpr 1
		.amdhsa_next_free_sgpr 0
		.amdhsa_reserve_vcc 0
		.amdhsa_reserve_flat_scratch 0
		.amdhsa_float_round_mode_32 0
		.amdhsa_float_round_mode_16_64 0
		.amdhsa_float_denorm_mode_32 3
		.amdhsa_float_denorm_mode_16_64 3
		.amdhsa_dx10_clamp 1
		.amdhsa_ieee_mode 1
		.amdhsa_fp16_overflow 0
		.amdhsa_exception_fp_ieee_invalid_op 0
		.amdhsa_exception_fp_denorm_src 0
		.amdhsa_exception_fp_ieee_div_zero 0
		.amdhsa_exception_fp_ieee_overflow 0
		.amdhsa_exception_fp_ieee_underflow 0
		.amdhsa_exception_fp_ieee_inexact 0
		.amdhsa_exception_int_div_zero 0
	.end_amdhsa_kernel
	.section	.text._ZN7rocprim17ROCPRIM_400000_NS6detail17trampoline_kernelINS0_14default_configENS1_22reduce_config_selectorIN6thrust23THRUST_200600_302600_NS5tupleIblNS6_9null_typeES8_S8_S8_S8_S8_S8_S8_EEEEZNS1_11reduce_implILb1ES3_NS6_12zip_iteratorINS7_INS6_11hip_rocprim26transform_input_iterator_tIbNSD_35transform_pair_of_input_iterators_tIbNS6_6detail15normal_iteratorINS6_10device_ptrIKbEEEESL_NS6_8equal_toIbEEEENSG_9not_fun_tINSD_8identityEEEEENSD_19counting_iterator_tIlEES8_S8_S8_S8_S8_S8_S8_S8_EEEEPS9_S9_NSD_9__find_if7functorIS9_EEEE10hipError_tPvRmT1_T2_T3_mT4_P12ihipStream_tbEUlT_E0_NS1_11comp_targetILNS1_3genE10ELNS1_11target_archE1200ELNS1_3gpuE4ELNS1_3repE0EEENS1_30default_config_static_selectorELNS0_4arch9wavefront6targetE1EEEvS14_,"axG",@progbits,_ZN7rocprim17ROCPRIM_400000_NS6detail17trampoline_kernelINS0_14default_configENS1_22reduce_config_selectorIN6thrust23THRUST_200600_302600_NS5tupleIblNS6_9null_typeES8_S8_S8_S8_S8_S8_S8_EEEEZNS1_11reduce_implILb1ES3_NS6_12zip_iteratorINS7_INS6_11hip_rocprim26transform_input_iterator_tIbNSD_35transform_pair_of_input_iterators_tIbNS6_6detail15normal_iteratorINS6_10device_ptrIKbEEEESL_NS6_8equal_toIbEEEENSG_9not_fun_tINSD_8identityEEEEENSD_19counting_iterator_tIlEES8_S8_S8_S8_S8_S8_S8_S8_EEEEPS9_S9_NSD_9__find_if7functorIS9_EEEE10hipError_tPvRmT1_T2_T3_mT4_P12ihipStream_tbEUlT_E0_NS1_11comp_targetILNS1_3genE10ELNS1_11target_archE1200ELNS1_3gpuE4ELNS1_3repE0EEENS1_30default_config_static_selectorELNS0_4arch9wavefront6targetE1EEEvS14_,comdat
.Lfunc_end749:
	.size	_ZN7rocprim17ROCPRIM_400000_NS6detail17trampoline_kernelINS0_14default_configENS1_22reduce_config_selectorIN6thrust23THRUST_200600_302600_NS5tupleIblNS6_9null_typeES8_S8_S8_S8_S8_S8_S8_EEEEZNS1_11reduce_implILb1ES3_NS6_12zip_iteratorINS7_INS6_11hip_rocprim26transform_input_iterator_tIbNSD_35transform_pair_of_input_iterators_tIbNS6_6detail15normal_iteratorINS6_10device_ptrIKbEEEESL_NS6_8equal_toIbEEEENSG_9not_fun_tINSD_8identityEEEEENSD_19counting_iterator_tIlEES8_S8_S8_S8_S8_S8_S8_S8_EEEEPS9_S9_NSD_9__find_if7functorIS9_EEEE10hipError_tPvRmT1_T2_T3_mT4_P12ihipStream_tbEUlT_E0_NS1_11comp_targetILNS1_3genE10ELNS1_11target_archE1200ELNS1_3gpuE4ELNS1_3repE0EEENS1_30default_config_static_selectorELNS0_4arch9wavefront6targetE1EEEvS14_, .Lfunc_end749-_ZN7rocprim17ROCPRIM_400000_NS6detail17trampoline_kernelINS0_14default_configENS1_22reduce_config_selectorIN6thrust23THRUST_200600_302600_NS5tupleIblNS6_9null_typeES8_S8_S8_S8_S8_S8_S8_EEEEZNS1_11reduce_implILb1ES3_NS6_12zip_iteratorINS7_INS6_11hip_rocprim26transform_input_iterator_tIbNSD_35transform_pair_of_input_iterators_tIbNS6_6detail15normal_iteratorINS6_10device_ptrIKbEEEESL_NS6_8equal_toIbEEEENSG_9not_fun_tINSD_8identityEEEEENSD_19counting_iterator_tIlEES8_S8_S8_S8_S8_S8_S8_S8_EEEEPS9_S9_NSD_9__find_if7functorIS9_EEEE10hipError_tPvRmT1_T2_T3_mT4_P12ihipStream_tbEUlT_E0_NS1_11comp_targetILNS1_3genE10ELNS1_11target_archE1200ELNS1_3gpuE4ELNS1_3repE0EEENS1_30default_config_static_selectorELNS0_4arch9wavefront6targetE1EEEvS14_
                                        ; -- End function
	.set _ZN7rocprim17ROCPRIM_400000_NS6detail17trampoline_kernelINS0_14default_configENS1_22reduce_config_selectorIN6thrust23THRUST_200600_302600_NS5tupleIblNS6_9null_typeES8_S8_S8_S8_S8_S8_S8_EEEEZNS1_11reduce_implILb1ES3_NS6_12zip_iteratorINS7_INS6_11hip_rocprim26transform_input_iterator_tIbNSD_35transform_pair_of_input_iterators_tIbNS6_6detail15normal_iteratorINS6_10device_ptrIKbEEEESL_NS6_8equal_toIbEEEENSG_9not_fun_tINSD_8identityEEEEENSD_19counting_iterator_tIlEES8_S8_S8_S8_S8_S8_S8_S8_EEEEPS9_S9_NSD_9__find_if7functorIS9_EEEE10hipError_tPvRmT1_T2_T3_mT4_P12ihipStream_tbEUlT_E0_NS1_11comp_targetILNS1_3genE10ELNS1_11target_archE1200ELNS1_3gpuE4ELNS1_3repE0EEENS1_30default_config_static_selectorELNS0_4arch9wavefront6targetE1EEEvS14_.num_vgpr, 0
	.set _ZN7rocprim17ROCPRIM_400000_NS6detail17trampoline_kernelINS0_14default_configENS1_22reduce_config_selectorIN6thrust23THRUST_200600_302600_NS5tupleIblNS6_9null_typeES8_S8_S8_S8_S8_S8_S8_EEEEZNS1_11reduce_implILb1ES3_NS6_12zip_iteratorINS7_INS6_11hip_rocprim26transform_input_iterator_tIbNSD_35transform_pair_of_input_iterators_tIbNS6_6detail15normal_iteratorINS6_10device_ptrIKbEEEESL_NS6_8equal_toIbEEEENSG_9not_fun_tINSD_8identityEEEEENSD_19counting_iterator_tIlEES8_S8_S8_S8_S8_S8_S8_S8_EEEEPS9_S9_NSD_9__find_if7functorIS9_EEEE10hipError_tPvRmT1_T2_T3_mT4_P12ihipStream_tbEUlT_E0_NS1_11comp_targetILNS1_3genE10ELNS1_11target_archE1200ELNS1_3gpuE4ELNS1_3repE0EEENS1_30default_config_static_selectorELNS0_4arch9wavefront6targetE1EEEvS14_.num_agpr, 0
	.set _ZN7rocprim17ROCPRIM_400000_NS6detail17trampoline_kernelINS0_14default_configENS1_22reduce_config_selectorIN6thrust23THRUST_200600_302600_NS5tupleIblNS6_9null_typeES8_S8_S8_S8_S8_S8_S8_EEEEZNS1_11reduce_implILb1ES3_NS6_12zip_iteratorINS7_INS6_11hip_rocprim26transform_input_iterator_tIbNSD_35transform_pair_of_input_iterators_tIbNS6_6detail15normal_iteratorINS6_10device_ptrIKbEEEESL_NS6_8equal_toIbEEEENSG_9not_fun_tINSD_8identityEEEEENSD_19counting_iterator_tIlEES8_S8_S8_S8_S8_S8_S8_S8_EEEEPS9_S9_NSD_9__find_if7functorIS9_EEEE10hipError_tPvRmT1_T2_T3_mT4_P12ihipStream_tbEUlT_E0_NS1_11comp_targetILNS1_3genE10ELNS1_11target_archE1200ELNS1_3gpuE4ELNS1_3repE0EEENS1_30default_config_static_selectorELNS0_4arch9wavefront6targetE1EEEvS14_.numbered_sgpr, 0
	.set _ZN7rocprim17ROCPRIM_400000_NS6detail17trampoline_kernelINS0_14default_configENS1_22reduce_config_selectorIN6thrust23THRUST_200600_302600_NS5tupleIblNS6_9null_typeES8_S8_S8_S8_S8_S8_S8_EEEEZNS1_11reduce_implILb1ES3_NS6_12zip_iteratorINS7_INS6_11hip_rocprim26transform_input_iterator_tIbNSD_35transform_pair_of_input_iterators_tIbNS6_6detail15normal_iteratorINS6_10device_ptrIKbEEEESL_NS6_8equal_toIbEEEENSG_9not_fun_tINSD_8identityEEEEENSD_19counting_iterator_tIlEES8_S8_S8_S8_S8_S8_S8_S8_EEEEPS9_S9_NSD_9__find_if7functorIS9_EEEE10hipError_tPvRmT1_T2_T3_mT4_P12ihipStream_tbEUlT_E0_NS1_11comp_targetILNS1_3genE10ELNS1_11target_archE1200ELNS1_3gpuE4ELNS1_3repE0EEENS1_30default_config_static_selectorELNS0_4arch9wavefront6targetE1EEEvS14_.num_named_barrier, 0
	.set _ZN7rocprim17ROCPRIM_400000_NS6detail17trampoline_kernelINS0_14default_configENS1_22reduce_config_selectorIN6thrust23THRUST_200600_302600_NS5tupleIblNS6_9null_typeES8_S8_S8_S8_S8_S8_S8_EEEEZNS1_11reduce_implILb1ES3_NS6_12zip_iteratorINS7_INS6_11hip_rocprim26transform_input_iterator_tIbNSD_35transform_pair_of_input_iterators_tIbNS6_6detail15normal_iteratorINS6_10device_ptrIKbEEEESL_NS6_8equal_toIbEEEENSG_9not_fun_tINSD_8identityEEEEENSD_19counting_iterator_tIlEES8_S8_S8_S8_S8_S8_S8_S8_EEEEPS9_S9_NSD_9__find_if7functorIS9_EEEE10hipError_tPvRmT1_T2_T3_mT4_P12ihipStream_tbEUlT_E0_NS1_11comp_targetILNS1_3genE10ELNS1_11target_archE1200ELNS1_3gpuE4ELNS1_3repE0EEENS1_30default_config_static_selectorELNS0_4arch9wavefront6targetE1EEEvS14_.private_seg_size, 0
	.set _ZN7rocprim17ROCPRIM_400000_NS6detail17trampoline_kernelINS0_14default_configENS1_22reduce_config_selectorIN6thrust23THRUST_200600_302600_NS5tupleIblNS6_9null_typeES8_S8_S8_S8_S8_S8_S8_EEEEZNS1_11reduce_implILb1ES3_NS6_12zip_iteratorINS7_INS6_11hip_rocprim26transform_input_iterator_tIbNSD_35transform_pair_of_input_iterators_tIbNS6_6detail15normal_iteratorINS6_10device_ptrIKbEEEESL_NS6_8equal_toIbEEEENSG_9not_fun_tINSD_8identityEEEEENSD_19counting_iterator_tIlEES8_S8_S8_S8_S8_S8_S8_S8_EEEEPS9_S9_NSD_9__find_if7functorIS9_EEEE10hipError_tPvRmT1_T2_T3_mT4_P12ihipStream_tbEUlT_E0_NS1_11comp_targetILNS1_3genE10ELNS1_11target_archE1200ELNS1_3gpuE4ELNS1_3repE0EEENS1_30default_config_static_selectorELNS0_4arch9wavefront6targetE1EEEvS14_.uses_vcc, 0
	.set _ZN7rocprim17ROCPRIM_400000_NS6detail17trampoline_kernelINS0_14default_configENS1_22reduce_config_selectorIN6thrust23THRUST_200600_302600_NS5tupleIblNS6_9null_typeES8_S8_S8_S8_S8_S8_S8_EEEEZNS1_11reduce_implILb1ES3_NS6_12zip_iteratorINS7_INS6_11hip_rocprim26transform_input_iterator_tIbNSD_35transform_pair_of_input_iterators_tIbNS6_6detail15normal_iteratorINS6_10device_ptrIKbEEEESL_NS6_8equal_toIbEEEENSG_9not_fun_tINSD_8identityEEEEENSD_19counting_iterator_tIlEES8_S8_S8_S8_S8_S8_S8_S8_EEEEPS9_S9_NSD_9__find_if7functorIS9_EEEE10hipError_tPvRmT1_T2_T3_mT4_P12ihipStream_tbEUlT_E0_NS1_11comp_targetILNS1_3genE10ELNS1_11target_archE1200ELNS1_3gpuE4ELNS1_3repE0EEENS1_30default_config_static_selectorELNS0_4arch9wavefront6targetE1EEEvS14_.uses_flat_scratch, 0
	.set _ZN7rocprim17ROCPRIM_400000_NS6detail17trampoline_kernelINS0_14default_configENS1_22reduce_config_selectorIN6thrust23THRUST_200600_302600_NS5tupleIblNS6_9null_typeES8_S8_S8_S8_S8_S8_S8_EEEEZNS1_11reduce_implILb1ES3_NS6_12zip_iteratorINS7_INS6_11hip_rocprim26transform_input_iterator_tIbNSD_35transform_pair_of_input_iterators_tIbNS6_6detail15normal_iteratorINS6_10device_ptrIKbEEEESL_NS6_8equal_toIbEEEENSG_9not_fun_tINSD_8identityEEEEENSD_19counting_iterator_tIlEES8_S8_S8_S8_S8_S8_S8_S8_EEEEPS9_S9_NSD_9__find_if7functorIS9_EEEE10hipError_tPvRmT1_T2_T3_mT4_P12ihipStream_tbEUlT_E0_NS1_11comp_targetILNS1_3genE10ELNS1_11target_archE1200ELNS1_3gpuE4ELNS1_3repE0EEENS1_30default_config_static_selectorELNS0_4arch9wavefront6targetE1EEEvS14_.has_dyn_sized_stack, 0
	.set _ZN7rocprim17ROCPRIM_400000_NS6detail17trampoline_kernelINS0_14default_configENS1_22reduce_config_selectorIN6thrust23THRUST_200600_302600_NS5tupleIblNS6_9null_typeES8_S8_S8_S8_S8_S8_S8_EEEEZNS1_11reduce_implILb1ES3_NS6_12zip_iteratorINS7_INS6_11hip_rocprim26transform_input_iterator_tIbNSD_35transform_pair_of_input_iterators_tIbNS6_6detail15normal_iteratorINS6_10device_ptrIKbEEEESL_NS6_8equal_toIbEEEENSG_9not_fun_tINSD_8identityEEEEENSD_19counting_iterator_tIlEES8_S8_S8_S8_S8_S8_S8_S8_EEEEPS9_S9_NSD_9__find_if7functorIS9_EEEE10hipError_tPvRmT1_T2_T3_mT4_P12ihipStream_tbEUlT_E0_NS1_11comp_targetILNS1_3genE10ELNS1_11target_archE1200ELNS1_3gpuE4ELNS1_3repE0EEENS1_30default_config_static_selectorELNS0_4arch9wavefront6targetE1EEEvS14_.has_recursion, 0
	.set _ZN7rocprim17ROCPRIM_400000_NS6detail17trampoline_kernelINS0_14default_configENS1_22reduce_config_selectorIN6thrust23THRUST_200600_302600_NS5tupleIblNS6_9null_typeES8_S8_S8_S8_S8_S8_S8_EEEEZNS1_11reduce_implILb1ES3_NS6_12zip_iteratorINS7_INS6_11hip_rocprim26transform_input_iterator_tIbNSD_35transform_pair_of_input_iterators_tIbNS6_6detail15normal_iteratorINS6_10device_ptrIKbEEEESL_NS6_8equal_toIbEEEENSG_9not_fun_tINSD_8identityEEEEENSD_19counting_iterator_tIlEES8_S8_S8_S8_S8_S8_S8_S8_EEEEPS9_S9_NSD_9__find_if7functorIS9_EEEE10hipError_tPvRmT1_T2_T3_mT4_P12ihipStream_tbEUlT_E0_NS1_11comp_targetILNS1_3genE10ELNS1_11target_archE1200ELNS1_3gpuE4ELNS1_3repE0EEENS1_30default_config_static_selectorELNS0_4arch9wavefront6targetE1EEEvS14_.has_indirect_call, 0
	.section	.AMDGPU.csdata,"",@progbits
; Kernel info:
; codeLenInByte = 0
; TotalNumSgprs: 4
; NumVgprs: 0
; ScratchSize: 0
; MemoryBound: 0
; FloatMode: 240
; IeeeMode: 1
; LDSByteSize: 0 bytes/workgroup (compile time only)
; SGPRBlocks: 0
; VGPRBlocks: 0
; NumSGPRsForWavesPerEU: 4
; NumVGPRsForWavesPerEU: 1
; Occupancy: 10
; WaveLimiterHint : 0
; COMPUTE_PGM_RSRC2:SCRATCH_EN: 0
; COMPUTE_PGM_RSRC2:USER_SGPR: 6
; COMPUTE_PGM_RSRC2:TRAP_HANDLER: 0
; COMPUTE_PGM_RSRC2:TGID_X_EN: 1
; COMPUTE_PGM_RSRC2:TGID_Y_EN: 0
; COMPUTE_PGM_RSRC2:TGID_Z_EN: 0
; COMPUTE_PGM_RSRC2:TIDIG_COMP_CNT: 0
	.section	.text._ZN7rocprim17ROCPRIM_400000_NS6detail17trampoline_kernelINS0_14default_configENS1_22reduce_config_selectorIN6thrust23THRUST_200600_302600_NS5tupleIblNS6_9null_typeES8_S8_S8_S8_S8_S8_S8_EEEEZNS1_11reduce_implILb1ES3_NS6_12zip_iteratorINS7_INS6_11hip_rocprim26transform_input_iterator_tIbNSD_35transform_pair_of_input_iterators_tIbNS6_6detail15normal_iteratorINS6_10device_ptrIKbEEEESL_NS6_8equal_toIbEEEENSG_9not_fun_tINSD_8identityEEEEENSD_19counting_iterator_tIlEES8_S8_S8_S8_S8_S8_S8_S8_EEEEPS9_S9_NSD_9__find_if7functorIS9_EEEE10hipError_tPvRmT1_T2_T3_mT4_P12ihipStream_tbEUlT_E0_NS1_11comp_targetILNS1_3genE9ELNS1_11target_archE1100ELNS1_3gpuE3ELNS1_3repE0EEENS1_30default_config_static_selectorELNS0_4arch9wavefront6targetE1EEEvS14_,"axG",@progbits,_ZN7rocprim17ROCPRIM_400000_NS6detail17trampoline_kernelINS0_14default_configENS1_22reduce_config_selectorIN6thrust23THRUST_200600_302600_NS5tupleIblNS6_9null_typeES8_S8_S8_S8_S8_S8_S8_EEEEZNS1_11reduce_implILb1ES3_NS6_12zip_iteratorINS7_INS6_11hip_rocprim26transform_input_iterator_tIbNSD_35transform_pair_of_input_iterators_tIbNS6_6detail15normal_iteratorINS6_10device_ptrIKbEEEESL_NS6_8equal_toIbEEEENSG_9not_fun_tINSD_8identityEEEEENSD_19counting_iterator_tIlEES8_S8_S8_S8_S8_S8_S8_S8_EEEEPS9_S9_NSD_9__find_if7functorIS9_EEEE10hipError_tPvRmT1_T2_T3_mT4_P12ihipStream_tbEUlT_E0_NS1_11comp_targetILNS1_3genE9ELNS1_11target_archE1100ELNS1_3gpuE3ELNS1_3repE0EEENS1_30default_config_static_selectorELNS0_4arch9wavefront6targetE1EEEvS14_,comdat
	.protected	_ZN7rocprim17ROCPRIM_400000_NS6detail17trampoline_kernelINS0_14default_configENS1_22reduce_config_selectorIN6thrust23THRUST_200600_302600_NS5tupleIblNS6_9null_typeES8_S8_S8_S8_S8_S8_S8_EEEEZNS1_11reduce_implILb1ES3_NS6_12zip_iteratorINS7_INS6_11hip_rocprim26transform_input_iterator_tIbNSD_35transform_pair_of_input_iterators_tIbNS6_6detail15normal_iteratorINS6_10device_ptrIKbEEEESL_NS6_8equal_toIbEEEENSG_9not_fun_tINSD_8identityEEEEENSD_19counting_iterator_tIlEES8_S8_S8_S8_S8_S8_S8_S8_EEEEPS9_S9_NSD_9__find_if7functorIS9_EEEE10hipError_tPvRmT1_T2_T3_mT4_P12ihipStream_tbEUlT_E0_NS1_11comp_targetILNS1_3genE9ELNS1_11target_archE1100ELNS1_3gpuE3ELNS1_3repE0EEENS1_30default_config_static_selectorELNS0_4arch9wavefront6targetE1EEEvS14_ ; -- Begin function _ZN7rocprim17ROCPRIM_400000_NS6detail17trampoline_kernelINS0_14default_configENS1_22reduce_config_selectorIN6thrust23THRUST_200600_302600_NS5tupleIblNS6_9null_typeES8_S8_S8_S8_S8_S8_S8_EEEEZNS1_11reduce_implILb1ES3_NS6_12zip_iteratorINS7_INS6_11hip_rocprim26transform_input_iterator_tIbNSD_35transform_pair_of_input_iterators_tIbNS6_6detail15normal_iteratorINS6_10device_ptrIKbEEEESL_NS6_8equal_toIbEEEENSG_9not_fun_tINSD_8identityEEEEENSD_19counting_iterator_tIlEES8_S8_S8_S8_S8_S8_S8_S8_EEEEPS9_S9_NSD_9__find_if7functorIS9_EEEE10hipError_tPvRmT1_T2_T3_mT4_P12ihipStream_tbEUlT_E0_NS1_11comp_targetILNS1_3genE9ELNS1_11target_archE1100ELNS1_3gpuE3ELNS1_3repE0EEENS1_30default_config_static_selectorELNS0_4arch9wavefront6targetE1EEEvS14_
	.globl	_ZN7rocprim17ROCPRIM_400000_NS6detail17trampoline_kernelINS0_14default_configENS1_22reduce_config_selectorIN6thrust23THRUST_200600_302600_NS5tupleIblNS6_9null_typeES8_S8_S8_S8_S8_S8_S8_EEEEZNS1_11reduce_implILb1ES3_NS6_12zip_iteratorINS7_INS6_11hip_rocprim26transform_input_iterator_tIbNSD_35transform_pair_of_input_iterators_tIbNS6_6detail15normal_iteratorINS6_10device_ptrIKbEEEESL_NS6_8equal_toIbEEEENSG_9not_fun_tINSD_8identityEEEEENSD_19counting_iterator_tIlEES8_S8_S8_S8_S8_S8_S8_S8_EEEEPS9_S9_NSD_9__find_if7functorIS9_EEEE10hipError_tPvRmT1_T2_T3_mT4_P12ihipStream_tbEUlT_E0_NS1_11comp_targetILNS1_3genE9ELNS1_11target_archE1100ELNS1_3gpuE3ELNS1_3repE0EEENS1_30default_config_static_selectorELNS0_4arch9wavefront6targetE1EEEvS14_
	.p2align	8
	.type	_ZN7rocprim17ROCPRIM_400000_NS6detail17trampoline_kernelINS0_14default_configENS1_22reduce_config_selectorIN6thrust23THRUST_200600_302600_NS5tupleIblNS6_9null_typeES8_S8_S8_S8_S8_S8_S8_EEEEZNS1_11reduce_implILb1ES3_NS6_12zip_iteratorINS7_INS6_11hip_rocprim26transform_input_iterator_tIbNSD_35transform_pair_of_input_iterators_tIbNS6_6detail15normal_iteratorINS6_10device_ptrIKbEEEESL_NS6_8equal_toIbEEEENSG_9not_fun_tINSD_8identityEEEEENSD_19counting_iterator_tIlEES8_S8_S8_S8_S8_S8_S8_S8_EEEEPS9_S9_NSD_9__find_if7functorIS9_EEEE10hipError_tPvRmT1_T2_T3_mT4_P12ihipStream_tbEUlT_E0_NS1_11comp_targetILNS1_3genE9ELNS1_11target_archE1100ELNS1_3gpuE3ELNS1_3repE0EEENS1_30default_config_static_selectorELNS0_4arch9wavefront6targetE1EEEvS14_,@function
_ZN7rocprim17ROCPRIM_400000_NS6detail17trampoline_kernelINS0_14default_configENS1_22reduce_config_selectorIN6thrust23THRUST_200600_302600_NS5tupleIblNS6_9null_typeES8_S8_S8_S8_S8_S8_S8_EEEEZNS1_11reduce_implILb1ES3_NS6_12zip_iteratorINS7_INS6_11hip_rocprim26transform_input_iterator_tIbNSD_35transform_pair_of_input_iterators_tIbNS6_6detail15normal_iteratorINS6_10device_ptrIKbEEEESL_NS6_8equal_toIbEEEENSG_9not_fun_tINSD_8identityEEEEENSD_19counting_iterator_tIlEES8_S8_S8_S8_S8_S8_S8_S8_EEEEPS9_S9_NSD_9__find_if7functorIS9_EEEE10hipError_tPvRmT1_T2_T3_mT4_P12ihipStream_tbEUlT_E0_NS1_11comp_targetILNS1_3genE9ELNS1_11target_archE1100ELNS1_3gpuE3ELNS1_3repE0EEENS1_30default_config_static_selectorELNS0_4arch9wavefront6targetE1EEEvS14_: ; @_ZN7rocprim17ROCPRIM_400000_NS6detail17trampoline_kernelINS0_14default_configENS1_22reduce_config_selectorIN6thrust23THRUST_200600_302600_NS5tupleIblNS6_9null_typeES8_S8_S8_S8_S8_S8_S8_EEEEZNS1_11reduce_implILb1ES3_NS6_12zip_iteratorINS7_INS6_11hip_rocprim26transform_input_iterator_tIbNSD_35transform_pair_of_input_iterators_tIbNS6_6detail15normal_iteratorINS6_10device_ptrIKbEEEESL_NS6_8equal_toIbEEEENSG_9not_fun_tINSD_8identityEEEEENSD_19counting_iterator_tIlEES8_S8_S8_S8_S8_S8_S8_S8_EEEEPS9_S9_NSD_9__find_if7functorIS9_EEEE10hipError_tPvRmT1_T2_T3_mT4_P12ihipStream_tbEUlT_E0_NS1_11comp_targetILNS1_3genE9ELNS1_11target_archE1100ELNS1_3gpuE3ELNS1_3repE0EEENS1_30default_config_static_selectorELNS0_4arch9wavefront6targetE1EEEvS14_
; %bb.0:
	.section	.rodata,"a",@progbits
	.p2align	6, 0x0
	.amdhsa_kernel _ZN7rocprim17ROCPRIM_400000_NS6detail17trampoline_kernelINS0_14default_configENS1_22reduce_config_selectorIN6thrust23THRUST_200600_302600_NS5tupleIblNS6_9null_typeES8_S8_S8_S8_S8_S8_S8_EEEEZNS1_11reduce_implILb1ES3_NS6_12zip_iteratorINS7_INS6_11hip_rocprim26transform_input_iterator_tIbNSD_35transform_pair_of_input_iterators_tIbNS6_6detail15normal_iteratorINS6_10device_ptrIKbEEEESL_NS6_8equal_toIbEEEENSG_9not_fun_tINSD_8identityEEEEENSD_19counting_iterator_tIlEES8_S8_S8_S8_S8_S8_S8_S8_EEEEPS9_S9_NSD_9__find_if7functorIS9_EEEE10hipError_tPvRmT1_T2_T3_mT4_P12ihipStream_tbEUlT_E0_NS1_11comp_targetILNS1_3genE9ELNS1_11target_archE1100ELNS1_3gpuE3ELNS1_3repE0EEENS1_30default_config_static_selectorELNS0_4arch9wavefront6targetE1EEEvS14_
		.amdhsa_group_segment_fixed_size 0
		.amdhsa_private_segment_fixed_size 0
		.amdhsa_kernarg_size 104
		.amdhsa_user_sgpr_count 6
		.amdhsa_user_sgpr_private_segment_buffer 1
		.amdhsa_user_sgpr_dispatch_ptr 0
		.amdhsa_user_sgpr_queue_ptr 0
		.amdhsa_user_sgpr_kernarg_segment_ptr 1
		.amdhsa_user_sgpr_dispatch_id 0
		.amdhsa_user_sgpr_flat_scratch_init 0
		.amdhsa_user_sgpr_private_segment_size 0
		.amdhsa_uses_dynamic_stack 0
		.amdhsa_system_sgpr_private_segment_wavefront_offset 0
		.amdhsa_system_sgpr_workgroup_id_x 1
		.amdhsa_system_sgpr_workgroup_id_y 0
		.amdhsa_system_sgpr_workgroup_id_z 0
		.amdhsa_system_sgpr_workgroup_info 0
		.amdhsa_system_vgpr_workitem_id 0
		.amdhsa_next_free_vgpr 1
		.amdhsa_next_free_sgpr 0
		.amdhsa_reserve_vcc 0
		.amdhsa_reserve_flat_scratch 0
		.amdhsa_float_round_mode_32 0
		.amdhsa_float_round_mode_16_64 0
		.amdhsa_float_denorm_mode_32 3
		.amdhsa_float_denorm_mode_16_64 3
		.amdhsa_dx10_clamp 1
		.amdhsa_ieee_mode 1
		.amdhsa_fp16_overflow 0
		.amdhsa_exception_fp_ieee_invalid_op 0
		.amdhsa_exception_fp_denorm_src 0
		.amdhsa_exception_fp_ieee_div_zero 0
		.amdhsa_exception_fp_ieee_overflow 0
		.amdhsa_exception_fp_ieee_underflow 0
		.amdhsa_exception_fp_ieee_inexact 0
		.amdhsa_exception_int_div_zero 0
	.end_amdhsa_kernel
	.section	.text._ZN7rocprim17ROCPRIM_400000_NS6detail17trampoline_kernelINS0_14default_configENS1_22reduce_config_selectorIN6thrust23THRUST_200600_302600_NS5tupleIblNS6_9null_typeES8_S8_S8_S8_S8_S8_S8_EEEEZNS1_11reduce_implILb1ES3_NS6_12zip_iteratorINS7_INS6_11hip_rocprim26transform_input_iterator_tIbNSD_35transform_pair_of_input_iterators_tIbNS6_6detail15normal_iteratorINS6_10device_ptrIKbEEEESL_NS6_8equal_toIbEEEENSG_9not_fun_tINSD_8identityEEEEENSD_19counting_iterator_tIlEES8_S8_S8_S8_S8_S8_S8_S8_EEEEPS9_S9_NSD_9__find_if7functorIS9_EEEE10hipError_tPvRmT1_T2_T3_mT4_P12ihipStream_tbEUlT_E0_NS1_11comp_targetILNS1_3genE9ELNS1_11target_archE1100ELNS1_3gpuE3ELNS1_3repE0EEENS1_30default_config_static_selectorELNS0_4arch9wavefront6targetE1EEEvS14_,"axG",@progbits,_ZN7rocprim17ROCPRIM_400000_NS6detail17trampoline_kernelINS0_14default_configENS1_22reduce_config_selectorIN6thrust23THRUST_200600_302600_NS5tupleIblNS6_9null_typeES8_S8_S8_S8_S8_S8_S8_EEEEZNS1_11reduce_implILb1ES3_NS6_12zip_iteratorINS7_INS6_11hip_rocprim26transform_input_iterator_tIbNSD_35transform_pair_of_input_iterators_tIbNS6_6detail15normal_iteratorINS6_10device_ptrIKbEEEESL_NS6_8equal_toIbEEEENSG_9not_fun_tINSD_8identityEEEEENSD_19counting_iterator_tIlEES8_S8_S8_S8_S8_S8_S8_S8_EEEEPS9_S9_NSD_9__find_if7functorIS9_EEEE10hipError_tPvRmT1_T2_T3_mT4_P12ihipStream_tbEUlT_E0_NS1_11comp_targetILNS1_3genE9ELNS1_11target_archE1100ELNS1_3gpuE3ELNS1_3repE0EEENS1_30default_config_static_selectorELNS0_4arch9wavefront6targetE1EEEvS14_,comdat
.Lfunc_end750:
	.size	_ZN7rocprim17ROCPRIM_400000_NS6detail17trampoline_kernelINS0_14default_configENS1_22reduce_config_selectorIN6thrust23THRUST_200600_302600_NS5tupleIblNS6_9null_typeES8_S8_S8_S8_S8_S8_S8_EEEEZNS1_11reduce_implILb1ES3_NS6_12zip_iteratorINS7_INS6_11hip_rocprim26transform_input_iterator_tIbNSD_35transform_pair_of_input_iterators_tIbNS6_6detail15normal_iteratorINS6_10device_ptrIKbEEEESL_NS6_8equal_toIbEEEENSG_9not_fun_tINSD_8identityEEEEENSD_19counting_iterator_tIlEES8_S8_S8_S8_S8_S8_S8_S8_EEEEPS9_S9_NSD_9__find_if7functorIS9_EEEE10hipError_tPvRmT1_T2_T3_mT4_P12ihipStream_tbEUlT_E0_NS1_11comp_targetILNS1_3genE9ELNS1_11target_archE1100ELNS1_3gpuE3ELNS1_3repE0EEENS1_30default_config_static_selectorELNS0_4arch9wavefront6targetE1EEEvS14_, .Lfunc_end750-_ZN7rocprim17ROCPRIM_400000_NS6detail17trampoline_kernelINS0_14default_configENS1_22reduce_config_selectorIN6thrust23THRUST_200600_302600_NS5tupleIblNS6_9null_typeES8_S8_S8_S8_S8_S8_S8_EEEEZNS1_11reduce_implILb1ES3_NS6_12zip_iteratorINS7_INS6_11hip_rocprim26transform_input_iterator_tIbNSD_35transform_pair_of_input_iterators_tIbNS6_6detail15normal_iteratorINS6_10device_ptrIKbEEEESL_NS6_8equal_toIbEEEENSG_9not_fun_tINSD_8identityEEEEENSD_19counting_iterator_tIlEES8_S8_S8_S8_S8_S8_S8_S8_EEEEPS9_S9_NSD_9__find_if7functorIS9_EEEE10hipError_tPvRmT1_T2_T3_mT4_P12ihipStream_tbEUlT_E0_NS1_11comp_targetILNS1_3genE9ELNS1_11target_archE1100ELNS1_3gpuE3ELNS1_3repE0EEENS1_30default_config_static_selectorELNS0_4arch9wavefront6targetE1EEEvS14_
                                        ; -- End function
	.set _ZN7rocprim17ROCPRIM_400000_NS6detail17trampoline_kernelINS0_14default_configENS1_22reduce_config_selectorIN6thrust23THRUST_200600_302600_NS5tupleIblNS6_9null_typeES8_S8_S8_S8_S8_S8_S8_EEEEZNS1_11reduce_implILb1ES3_NS6_12zip_iteratorINS7_INS6_11hip_rocprim26transform_input_iterator_tIbNSD_35transform_pair_of_input_iterators_tIbNS6_6detail15normal_iteratorINS6_10device_ptrIKbEEEESL_NS6_8equal_toIbEEEENSG_9not_fun_tINSD_8identityEEEEENSD_19counting_iterator_tIlEES8_S8_S8_S8_S8_S8_S8_S8_EEEEPS9_S9_NSD_9__find_if7functorIS9_EEEE10hipError_tPvRmT1_T2_T3_mT4_P12ihipStream_tbEUlT_E0_NS1_11comp_targetILNS1_3genE9ELNS1_11target_archE1100ELNS1_3gpuE3ELNS1_3repE0EEENS1_30default_config_static_selectorELNS0_4arch9wavefront6targetE1EEEvS14_.num_vgpr, 0
	.set _ZN7rocprim17ROCPRIM_400000_NS6detail17trampoline_kernelINS0_14default_configENS1_22reduce_config_selectorIN6thrust23THRUST_200600_302600_NS5tupleIblNS6_9null_typeES8_S8_S8_S8_S8_S8_S8_EEEEZNS1_11reduce_implILb1ES3_NS6_12zip_iteratorINS7_INS6_11hip_rocprim26transform_input_iterator_tIbNSD_35transform_pair_of_input_iterators_tIbNS6_6detail15normal_iteratorINS6_10device_ptrIKbEEEESL_NS6_8equal_toIbEEEENSG_9not_fun_tINSD_8identityEEEEENSD_19counting_iterator_tIlEES8_S8_S8_S8_S8_S8_S8_S8_EEEEPS9_S9_NSD_9__find_if7functorIS9_EEEE10hipError_tPvRmT1_T2_T3_mT4_P12ihipStream_tbEUlT_E0_NS1_11comp_targetILNS1_3genE9ELNS1_11target_archE1100ELNS1_3gpuE3ELNS1_3repE0EEENS1_30default_config_static_selectorELNS0_4arch9wavefront6targetE1EEEvS14_.num_agpr, 0
	.set _ZN7rocprim17ROCPRIM_400000_NS6detail17trampoline_kernelINS0_14default_configENS1_22reduce_config_selectorIN6thrust23THRUST_200600_302600_NS5tupleIblNS6_9null_typeES8_S8_S8_S8_S8_S8_S8_EEEEZNS1_11reduce_implILb1ES3_NS6_12zip_iteratorINS7_INS6_11hip_rocprim26transform_input_iterator_tIbNSD_35transform_pair_of_input_iterators_tIbNS6_6detail15normal_iteratorINS6_10device_ptrIKbEEEESL_NS6_8equal_toIbEEEENSG_9not_fun_tINSD_8identityEEEEENSD_19counting_iterator_tIlEES8_S8_S8_S8_S8_S8_S8_S8_EEEEPS9_S9_NSD_9__find_if7functorIS9_EEEE10hipError_tPvRmT1_T2_T3_mT4_P12ihipStream_tbEUlT_E0_NS1_11comp_targetILNS1_3genE9ELNS1_11target_archE1100ELNS1_3gpuE3ELNS1_3repE0EEENS1_30default_config_static_selectorELNS0_4arch9wavefront6targetE1EEEvS14_.numbered_sgpr, 0
	.set _ZN7rocprim17ROCPRIM_400000_NS6detail17trampoline_kernelINS0_14default_configENS1_22reduce_config_selectorIN6thrust23THRUST_200600_302600_NS5tupleIblNS6_9null_typeES8_S8_S8_S8_S8_S8_S8_EEEEZNS1_11reduce_implILb1ES3_NS6_12zip_iteratorINS7_INS6_11hip_rocprim26transform_input_iterator_tIbNSD_35transform_pair_of_input_iterators_tIbNS6_6detail15normal_iteratorINS6_10device_ptrIKbEEEESL_NS6_8equal_toIbEEEENSG_9not_fun_tINSD_8identityEEEEENSD_19counting_iterator_tIlEES8_S8_S8_S8_S8_S8_S8_S8_EEEEPS9_S9_NSD_9__find_if7functorIS9_EEEE10hipError_tPvRmT1_T2_T3_mT4_P12ihipStream_tbEUlT_E0_NS1_11comp_targetILNS1_3genE9ELNS1_11target_archE1100ELNS1_3gpuE3ELNS1_3repE0EEENS1_30default_config_static_selectorELNS0_4arch9wavefront6targetE1EEEvS14_.num_named_barrier, 0
	.set _ZN7rocprim17ROCPRIM_400000_NS6detail17trampoline_kernelINS0_14default_configENS1_22reduce_config_selectorIN6thrust23THRUST_200600_302600_NS5tupleIblNS6_9null_typeES8_S8_S8_S8_S8_S8_S8_EEEEZNS1_11reduce_implILb1ES3_NS6_12zip_iteratorINS7_INS6_11hip_rocprim26transform_input_iterator_tIbNSD_35transform_pair_of_input_iterators_tIbNS6_6detail15normal_iteratorINS6_10device_ptrIKbEEEESL_NS6_8equal_toIbEEEENSG_9not_fun_tINSD_8identityEEEEENSD_19counting_iterator_tIlEES8_S8_S8_S8_S8_S8_S8_S8_EEEEPS9_S9_NSD_9__find_if7functorIS9_EEEE10hipError_tPvRmT1_T2_T3_mT4_P12ihipStream_tbEUlT_E0_NS1_11comp_targetILNS1_3genE9ELNS1_11target_archE1100ELNS1_3gpuE3ELNS1_3repE0EEENS1_30default_config_static_selectorELNS0_4arch9wavefront6targetE1EEEvS14_.private_seg_size, 0
	.set _ZN7rocprim17ROCPRIM_400000_NS6detail17trampoline_kernelINS0_14default_configENS1_22reduce_config_selectorIN6thrust23THRUST_200600_302600_NS5tupleIblNS6_9null_typeES8_S8_S8_S8_S8_S8_S8_EEEEZNS1_11reduce_implILb1ES3_NS6_12zip_iteratorINS7_INS6_11hip_rocprim26transform_input_iterator_tIbNSD_35transform_pair_of_input_iterators_tIbNS6_6detail15normal_iteratorINS6_10device_ptrIKbEEEESL_NS6_8equal_toIbEEEENSG_9not_fun_tINSD_8identityEEEEENSD_19counting_iterator_tIlEES8_S8_S8_S8_S8_S8_S8_S8_EEEEPS9_S9_NSD_9__find_if7functorIS9_EEEE10hipError_tPvRmT1_T2_T3_mT4_P12ihipStream_tbEUlT_E0_NS1_11comp_targetILNS1_3genE9ELNS1_11target_archE1100ELNS1_3gpuE3ELNS1_3repE0EEENS1_30default_config_static_selectorELNS0_4arch9wavefront6targetE1EEEvS14_.uses_vcc, 0
	.set _ZN7rocprim17ROCPRIM_400000_NS6detail17trampoline_kernelINS0_14default_configENS1_22reduce_config_selectorIN6thrust23THRUST_200600_302600_NS5tupleIblNS6_9null_typeES8_S8_S8_S8_S8_S8_S8_EEEEZNS1_11reduce_implILb1ES3_NS6_12zip_iteratorINS7_INS6_11hip_rocprim26transform_input_iterator_tIbNSD_35transform_pair_of_input_iterators_tIbNS6_6detail15normal_iteratorINS6_10device_ptrIKbEEEESL_NS6_8equal_toIbEEEENSG_9not_fun_tINSD_8identityEEEEENSD_19counting_iterator_tIlEES8_S8_S8_S8_S8_S8_S8_S8_EEEEPS9_S9_NSD_9__find_if7functorIS9_EEEE10hipError_tPvRmT1_T2_T3_mT4_P12ihipStream_tbEUlT_E0_NS1_11comp_targetILNS1_3genE9ELNS1_11target_archE1100ELNS1_3gpuE3ELNS1_3repE0EEENS1_30default_config_static_selectorELNS0_4arch9wavefront6targetE1EEEvS14_.uses_flat_scratch, 0
	.set _ZN7rocprim17ROCPRIM_400000_NS6detail17trampoline_kernelINS0_14default_configENS1_22reduce_config_selectorIN6thrust23THRUST_200600_302600_NS5tupleIblNS6_9null_typeES8_S8_S8_S8_S8_S8_S8_EEEEZNS1_11reduce_implILb1ES3_NS6_12zip_iteratorINS7_INS6_11hip_rocprim26transform_input_iterator_tIbNSD_35transform_pair_of_input_iterators_tIbNS6_6detail15normal_iteratorINS6_10device_ptrIKbEEEESL_NS6_8equal_toIbEEEENSG_9not_fun_tINSD_8identityEEEEENSD_19counting_iterator_tIlEES8_S8_S8_S8_S8_S8_S8_S8_EEEEPS9_S9_NSD_9__find_if7functorIS9_EEEE10hipError_tPvRmT1_T2_T3_mT4_P12ihipStream_tbEUlT_E0_NS1_11comp_targetILNS1_3genE9ELNS1_11target_archE1100ELNS1_3gpuE3ELNS1_3repE0EEENS1_30default_config_static_selectorELNS0_4arch9wavefront6targetE1EEEvS14_.has_dyn_sized_stack, 0
	.set _ZN7rocprim17ROCPRIM_400000_NS6detail17trampoline_kernelINS0_14default_configENS1_22reduce_config_selectorIN6thrust23THRUST_200600_302600_NS5tupleIblNS6_9null_typeES8_S8_S8_S8_S8_S8_S8_EEEEZNS1_11reduce_implILb1ES3_NS6_12zip_iteratorINS7_INS6_11hip_rocprim26transform_input_iterator_tIbNSD_35transform_pair_of_input_iterators_tIbNS6_6detail15normal_iteratorINS6_10device_ptrIKbEEEESL_NS6_8equal_toIbEEEENSG_9not_fun_tINSD_8identityEEEEENSD_19counting_iterator_tIlEES8_S8_S8_S8_S8_S8_S8_S8_EEEEPS9_S9_NSD_9__find_if7functorIS9_EEEE10hipError_tPvRmT1_T2_T3_mT4_P12ihipStream_tbEUlT_E0_NS1_11comp_targetILNS1_3genE9ELNS1_11target_archE1100ELNS1_3gpuE3ELNS1_3repE0EEENS1_30default_config_static_selectorELNS0_4arch9wavefront6targetE1EEEvS14_.has_recursion, 0
	.set _ZN7rocprim17ROCPRIM_400000_NS6detail17trampoline_kernelINS0_14default_configENS1_22reduce_config_selectorIN6thrust23THRUST_200600_302600_NS5tupleIblNS6_9null_typeES8_S8_S8_S8_S8_S8_S8_EEEEZNS1_11reduce_implILb1ES3_NS6_12zip_iteratorINS7_INS6_11hip_rocprim26transform_input_iterator_tIbNSD_35transform_pair_of_input_iterators_tIbNS6_6detail15normal_iteratorINS6_10device_ptrIKbEEEESL_NS6_8equal_toIbEEEENSG_9not_fun_tINSD_8identityEEEEENSD_19counting_iterator_tIlEES8_S8_S8_S8_S8_S8_S8_S8_EEEEPS9_S9_NSD_9__find_if7functorIS9_EEEE10hipError_tPvRmT1_T2_T3_mT4_P12ihipStream_tbEUlT_E0_NS1_11comp_targetILNS1_3genE9ELNS1_11target_archE1100ELNS1_3gpuE3ELNS1_3repE0EEENS1_30default_config_static_selectorELNS0_4arch9wavefront6targetE1EEEvS14_.has_indirect_call, 0
	.section	.AMDGPU.csdata,"",@progbits
; Kernel info:
; codeLenInByte = 0
; TotalNumSgprs: 4
; NumVgprs: 0
; ScratchSize: 0
; MemoryBound: 0
; FloatMode: 240
; IeeeMode: 1
; LDSByteSize: 0 bytes/workgroup (compile time only)
; SGPRBlocks: 0
; VGPRBlocks: 0
; NumSGPRsForWavesPerEU: 4
; NumVGPRsForWavesPerEU: 1
; Occupancy: 10
; WaveLimiterHint : 0
; COMPUTE_PGM_RSRC2:SCRATCH_EN: 0
; COMPUTE_PGM_RSRC2:USER_SGPR: 6
; COMPUTE_PGM_RSRC2:TRAP_HANDLER: 0
; COMPUTE_PGM_RSRC2:TGID_X_EN: 1
; COMPUTE_PGM_RSRC2:TGID_Y_EN: 0
; COMPUTE_PGM_RSRC2:TGID_Z_EN: 0
; COMPUTE_PGM_RSRC2:TIDIG_COMP_CNT: 0
	.section	.text._ZN7rocprim17ROCPRIM_400000_NS6detail17trampoline_kernelINS0_14default_configENS1_22reduce_config_selectorIN6thrust23THRUST_200600_302600_NS5tupleIblNS6_9null_typeES8_S8_S8_S8_S8_S8_S8_EEEEZNS1_11reduce_implILb1ES3_NS6_12zip_iteratorINS7_INS6_11hip_rocprim26transform_input_iterator_tIbNSD_35transform_pair_of_input_iterators_tIbNS6_6detail15normal_iteratorINS6_10device_ptrIKbEEEESL_NS6_8equal_toIbEEEENSG_9not_fun_tINSD_8identityEEEEENSD_19counting_iterator_tIlEES8_S8_S8_S8_S8_S8_S8_S8_EEEEPS9_S9_NSD_9__find_if7functorIS9_EEEE10hipError_tPvRmT1_T2_T3_mT4_P12ihipStream_tbEUlT_E0_NS1_11comp_targetILNS1_3genE8ELNS1_11target_archE1030ELNS1_3gpuE2ELNS1_3repE0EEENS1_30default_config_static_selectorELNS0_4arch9wavefront6targetE1EEEvS14_,"axG",@progbits,_ZN7rocprim17ROCPRIM_400000_NS6detail17trampoline_kernelINS0_14default_configENS1_22reduce_config_selectorIN6thrust23THRUST_200600_302600_NS5tupleIblNS6_9null_typeES8_S8_S8_S8_S8_S8_S8_EEEEZNS1_11reduce_implILb1ES3_NS6_12zip_iteratorINS7_INS6_11hip_rocprim26transform_input_iterator_tIbNSD_35transform_pair_of_input_iterators_tIbNS6_6detail15normal_iteratorINS6_10device_ptrIKbEEEESL_NS6_8equal_toIbEEEENSG_9not_fun_tINSD_8identityEEEEENSD_19counting_iterator_tIlEES8_S8_S8_S8_S8_S8_S8_S8_EEEEPS9_S9_NSD_9__find_if7functorIS9_EEEE10hipError_tPvRmT1_T2_T3_mT4_P12ihipStream_tbEUlT_E0_NS1_11comp_targetILNS1_3genE8ELNS1_11target_archE1030ELNS1_3gpuE2ELNS1_3repE0EEENS1_30default_config_static_selectorELNS0_4arch9wavefront6targetE1EEEvS14_,comdat
	.protected	_ZN7rocprim17ROCPRIM_400000_NS6detail17trampoline_kernelINS0_14default_configENS1_22reduce_config_selectorIN6thrust23THRUST_200600_302600_NS5tupleIblNS6_9null_typeES8_S8_S8_S8_S8_S8_S8_EEEEZNS1_11reduce_implILb1ES3_NS6_12zip_iteratorINS7_INS6_11hip_rocprim26transform_input_iterator_tIbNSD_35transform_pair_of_input_iterators_tIbNS6_6detail15normal_iteratorINS6_10device_ptrIKbEEEESL_NS6_8equal_toIbEEEENSG_9not_fun_tINSD_8identityEEEEENSD_19counting_iterator_tIlEES8_S8_S8_S8_S8_S8_S8_S8_EEEEPS9_S9_NSD_9__find_if7functorIS9_EEEE10hipError_tPvRmT1_T2_T3_mT4_P12ihipStream_tbEUlT_E0_NS1_11comp_targetILNS1_3genE8ELNS1_11target_archE1030ELNS1_3gpuE2ELNS1_3repE0EEENS1_30default_config_static_selectorELNS0_4arch9wavefront6targetE1EEEvS14_ ; -- Begin function _ZN7rocprim17ROCPRIM_400000_NS6detail17trampoline_kernelINS0_14default_configENS1_22reduce_config_selectorIN6thrust23THRUST_200600_302600_NS5tupleIblNS6_9null_typeES8_S8_S8_S8_S8_S8_S8_EEEEZNS1_11reduce_implILb1ES3_NS6_12zip_iteratorINS7_INS6_11hip_rocprim26transform_input_iterator_tIbNSD_35transform_pair_of_input_iterators_tIbNS6_6detail15normal_iteratorINS6_10device_ptrIKbEEEESL_NS6_8equal_toIbEEEENSG_9not_fun_tINSD_8identityEEEEENSD_19counting_iterator_tIlEES8_S8_S8_S8_S8_S8_S8_S8_EEEEPS9_S9_NSD_9__find_if7functorIS9_EEEE10hipError_tPvRmT1_T2_T3_mT4_P12ihipStream_tbEUlT_E0_NS1_11comp_targetILNS1_3genE8ELNS1_11target_archE1030ELNS1_3gpuE2ELNS1_3repE0EEENS1_30default_config_static_selectorELNS0_4arch9wavefront6targetE1EEEvS14_
	.globl	_ZN7rocprim17ROCPRIM_400000_NS6detail17trampoline_kernelINS0_14default_configENS1_22reduce_config_selectorIN6thrust23THRUST_200600_302600_NS5tupleIblNS6_9null_typeES8_S8_S8_S8_S8_S8_S8_EEEEZNS1_11reduce_implILb1ES3_NS6_12zip_iteratorINS7_INS6_11hip_rocprim26transform_input_iterator_tIbNSD_35transform_pair_of_input_iterators_tIbNS6_6detail15normal_iteratorINS6_10device_ptrIKbEEEESL_NS6_8equal_toIbEEEENSG_9not_fun_tINSD_8identityEEEEENSD_19counting_iterator_tIlEES8_S8_S8_S8_S8_S8_S8_S8_EEEEPS9_S9_NSD_9__find_if7functorIS9_EEEE10hipError_tPvRmT1_T2_T3_mT4_P12ihipStream_tbEUlT_E0_NS1_11comp_targetILNS1_3genE8ELNS1_11target_archE1030ELNS1_3gpuE2ELNS1_3repE0EEENS1_30default_config_static_selectorELNS0_4arch9wavefront6targetE1EEEvS14_
	.p2align	8
	.type	_ZN7rocprim17ROCPRIM_400000_NS6detail17trampoline_kernelINS0_14default_configENS1_22reduce_config_selectorIN6thrust23THRUST_200600_302600_NS5tupleIblNS6_9null_typeES8_S8_S8_S8_S8_S8_S8_EEEEZNS1_11reduce_implILb1ES3_NS6_12zip_iteratorINS7_INS6_11hip_rocprim26transform_input_iterator_tIbNSD_35transform_pair_of_input_iterators_tIbNS6_6detail15normal_iteratorINS6_10device_ptrIKbEEEESL_NS6_8equal_toIbEEEENSG_9not_fun_tINSD_8identityEEEEENSD_19counting_iterator_tIlEES8_S8_S8_S8_S8_S8_S8_S8_EEEEPS9_S9_NSD_9__find_if7functorIS9_EEEE10hipError_tPvRmT1_T2_T3_mT4_P12ihipStream_tbEUlT_E0_NS1_11comp_targetILNS1_3genE8ELNS1_11target_archE1030ELNS1_3gpuE2ELNS1_3repE0EEENS1_30default_config_static_selectorELNS0_4arch9wavefront6targetE1EEEvS14_,@function
_ZN7rocprim17ROCPRIM_400000_NS6detail17trampoline_kernelINS0_14default_configENS1_22reduce_config_selectorIN6thrust23THRUST_200600_302600_NS5tupleIblNS6_9null_typeES8_S8_S8_S8_S8_S8_S8_EEEEZNS1_11reduce_implILb1ES3_NS6_12zip_iteratorINS7_INS6_11hip_rocprim26transform_input_iterator_tIbNSD_35transform_pair_of_input_iterators_tIbNS6_6detail15normal_iteratorINS6_10device_ptrIKbEEEESL_NS6_8equal_toIbEEEENSG_9not_fun_tINSD_8identityEEEEENSD_19counting_iterator_tIlEES8_S8_S8_S8_S8_S8_S8_S8_EEEEPS9_S9_NSD_9__find_if7functorIS9_EEEE10hipError_tPvRmT1_T2_T3_mT4_P12ihipStream_tbEUlT_E0_NS1_11comp_targetILNS1_3genE8ELNS1_11target_archE1030ELNS1_3gpuE2ELNS1_3repE0EEENS1_30default_config_static_selectorELNS0_4arch9wavefront6targetE1EEEvS14_: ; @_ZN7rocprim17ROCPRIM_400000_NS6detail17trampoline_kernelINS0_14default_configENS1_22reduce_config_selectorIN6thrust23THRUST_200600_302600_NS5tupleIblNS6_9null_typeES8_S8_S8_S8_S8_S8_S8_EEEEZNS1_11reduce_implILb1ES3_NS6_12zip_iteratorINS7_INS6_11hip_rocprim26transform_input_iterator_tIbNSD_35transform_pair_of_input_iterators_tIbNS6_6detail15normal_iteratorINS6_10device_ptrIKbEEEESL_NS6_8equal_toIbEEEENSG_9not_fun_tINSD_8identityEEEEENSD_19counting_iterator_tIlEES8_S8_S8_S8_S8_S8_S8_S8_EEEEPS9_S9_NSD_9__find_if7functorIS9_EEEE10hipError_tPvRmT1_T2_T3_mT4_P12ihipStream_tbEUlT_E0_NS1_11comp_targetILNS1_3genE8ELNS1_11target_archE1030ELNS1_3gpuE2ELNS1_3repE0EEENS1_30default_config_static_selectorELNS0_4arch9wavefront6targetE1EEEvS14_
; %bb.0:
	.section	.rodata,"a",@progbits
	.p2align	6, 0x0
	.amdhsa_kernel _ZN7rocprim17ROCPRIM_400000_NS6detail17trampoline_kernelINS0_14default_configENS1_22reduce_config_selectorIN6thrust23THRUST_200600_302600_NS5tupleIblNS6_9null_typeES8_S8_S8_S8_S8_S8_S8_EEEEZNS1_11reduce_implILb1ES3_NS6_12zip_iteratorINS7_INS6_11hip_rocprim26transform_input_iterator_tIbNSD_35transform_pair_of_input_iterators_tIbNS6_6detail15normal_iteratorINS6_10device_ptrIKbEEEESL_NS6_8equal_toIbEEEENSG_9not_fun_tINSD_8identityEEEEENSD_19counting_iterator_tIlEES8_S8_S8_S8_S8_S8_S8_S8_EEEEPS9_S9_NSD_9__find_if7functorIS9_EEEE10hipError_tPvRmT1_T2_T3_mT4_P12ihipStream_tbEUlT_E0_NS1_11comp_targetILNS1_3genE8ELNS1_11target_archE1030ELNS1_3gpuE2ELNS1_3repE0EEENS1_30default_config_static_selectorELNS0_4arch9wavefront6targetE1EEEvS14_
		.amdhsa_group_segment_fixed_size 0
		.amdhsa_private_segment_fixed_size 0
		.amdhsa_kernarg_size 104
		.amdhsa_user_sgpr_count 6
		.amdhsa_user_sgpr_private_segment_buffer 1
		.amdhsa_user_sgpr_dispatch_ptr 0
		.amdhsa_user_sgpr_queue_ptr 0
		.amdhsa_user_sgpr_kernarg_segment_ptr 1
		.amdhsa_user_sgpr_dispatch_id 0
		.amdhsa_user_sgpr_flat_scratch_init 0
		.amdhsa_user_sgpr_private_segment_size 0
		.amdhsa_uses_dynamic_stack 0
		.amdhsa_system_sgpr_private_segment_wavefront_offset 0
		.amdhsa_system_sgpr_workgroup_id_x 1
		.amdhsa_system_sgpr_workgroup_id_y 0
		.amdhsa_system_sgpr_workgroup_id_z 0
		.amdhsa_system_sgpr_workgroup_info 0
		.amdhsa_system_vgpr_workitem_id 0
		.amdhsa_next_free_vgpr 1
		.amdhsa_next_free_sgpr 0
		.amdhsa_reserve_vcc 0
		.amdhsa_reserve_flat_scratch 0
		.amdhsa_float_round_mode_32 0
		.amdhsa_float_round_mode_16_64 0
		.amdhsa_float_denorm_mode_32 3
		.amdhsa_float_denorm_mode_16_64 3
		.amdhsa_dx10_clamp 1
		.amdhsa_ieee_mode 1
		.amdhsa_fp16_overflow 0
		.amdhsa_exception_fp_ieee_invalid_op 0
		.amdhsa_exception_fp_denorm_src 0
		.amdhsa_exception_fp_ieee_div_zero 0
		.amdhsa_exception_fp_ieee_overflow 0
		.amdhsa_exception_fp_ieee_underflow 0
		.amdhsa_exception_fp_ieee_inexact 0
		.amdhsa_exception_int_div_zero 0
	.end_amdhsa_kernel
	.section	.text._ZN7rocprim17ROCPRIM_400000_NS6detail17trampoline_kernelINS0_14default_configENS1_22reduce_config_selectorIN6thrust23THRUST_200600_302600_NS5tupleIblNS6_9null_typeES8_S8_S8_S8_S8_S8_S8_EEEEZNS1_11reduce_implILb1ES3_NS6_12zip_iteratorINS7_INS6_11hip_rocprim26transform_input_iterator_tIbNSD_35transform_pair_of_input_iterators_tIbNS6_6detail15normal_iteratorINS6_10device_ptrIKbEEEESL_NS6_8equal_toIbEEEENSG_9not_fun_tINSD_8identityEEEEENSD_19counting_iterator_tIlEES8_S8_S8_S8_S8_S8_S8_S8_EEEEPS9_S9_NSD_9__find_if7functorIS9_EEEE10hipError_tPvRmT1_T2_T3_mT4_P12ihipStream_tbEUlT_E0_NS1_11comp_targetILNS1_3genE8ELNS1_11target_archE1030ELNS1_3gpuE2ELNS1_3repE0EEENS1_30default_config_static_selectorELNS0_4arch9wavefront6targetE1EEEvS14_,"axG",@progbits,_ZN7rocprim17ROCPRIM_400000_NS6detail17trampoline_kernelINS0_14default_configENS1_22reduce_config_selectorIN6thrust23THRUST_200600_302600_NS5tupleIblNS6_9null_typeES8_S8_S8_S8_S8_S8_S8_EEEEZNS1_11reduce_implILb1ES3_NS6_12zip_iteratorINS7_INS6_11hip_rocprim26transform_input_iterator_tIbNSD_35transform_pair_of_input_iterators_tIbNS6_6detail15normal_iteratorINS6_10device_ptrIKbEEEESL_NS6_8equal_toIbEEEENSG_9not_fun_tINSD_8identityEEEEENSD_19counting_iterator_tIlEES8_S8_S8_S8_S8_S8_S8_S8_EEEEPS9_S9_NSD_9__find_if7functorIS9_EEEE10hipError_tPvRmT1_T2_T3_mT4_P12ihipStream_tbEUlT_E0_NS1_11comp_targetILNS1_3genE8ELNS1_11target_archE1030ELNS1_3gpuE2ELNS1_3repE0EEENS1_30default_config_static_selectorELNS0_4arch9wavefront6targetE1EEEvS14_,comdat
.Lfunc_end751:
	.size	_ZN7rocprim17ROCPRIM_400000_NS6detail17trampoline_kernelINS0_14default_configENS1_22reduce_config_selectorIN6thrust23THRUST_200600_302600_NS5tupleIblNS6_9null_typeES8_S8_S8_S8_S8_S8_S8_EEEEZNS1_11reduce_implILb1ES3_NS6_12zip_iteratorINS7_INS6_11hip_rocprim26transform_input_iterator_tIbNSD_35transform_pair_of_input_iterators_tIbNS6_6detail15normal_iteratorINS6_10device_ptrIKbEEEESL_NS6_8equal_toIbEEEENSG_9not_fun_tINSD_8identityEEEEENSD_19counting_iterator_tIlEES8_S8_S8_S8_S8_S8_S8_S8_EEEEPS9_S9_NSD_9__find_if7functorIS9_EEEE10hipError_tPvRmT1_T2_T3_mT4_P12ihipStream_tbEUlT_E0_NS1_11comp_targetILNS1_3genE8ELNS1_11target_archE1030ELNS1_3gpuE2ELNS1_3repE0EEENS1_30default_config_static_selectorELNS0_4arch9wavefront6targetE1EEEvS14_, .Lfunc_end751-_ZN7rocprim17ROCPRIM_400000_NS6detail17trampoline_kernelINS0_14default_configENS1_22reduce_config_selectorIN6thrust23THRUST_200600_302600_NS5tupleIblNS6_9null_typeES8_S8_S8_S8_S8_S8_S8_EEEEZNS1_11reduce_implILb1ES3_NS6_12zip_iteratorINS7_INS6_11hip_rocprim26transform_input_iterator_tIbNSD_35transform_pair_of_input_iterators_tIbNS6_6detail15normal_iteratorINS6_10device_ptrIKbEEEESL_NS6_8equal_toIbEEEENSG_9not_fun_tINSD_8identityEEEEENSD_19counting_iterator_tIlEES8_S8_S8_S8_S8_S8_S8_S8_EEEEPS9_S9_NSD_9__find_if7functorIS9_EEEE10hipError_tPvRmT1_T2_T3_mT4_P12ihipStream_tbEUlT_E0_NS1_11comp_targetILNS1_3genE8ELNS1_11target_archE1030ELNS1_3gpuE2ELNS1_3repE0EEENS1_30default_config_static_selectorELNS0_4arch9wavefront6targetE1EEEvS14_
                                        ; -- End function
	.set _ZN7rocprim17ROCPRIM_400000_NS6detail17trampoline_kernelINS0_14default_configENS1_22reduce_config_selectorIN6thrust23THRUST_200600_302600_NS5tupleIblNS6_9null_typeES8_S8_S8_S8_S8_S8_S8_EEEEZNS1_11reduce_implILb1ES3_NS6_12zip_iteratorINS7_INS6_11hip_rocprim26transform_input_iterator_tIbNSD_35transform_pair_of_input_iterators_tIbNS6_6detail15normal_iteratorINS6_10device_ptrIKbEEEESL_NS6_8equal_toIbEEEENSG_9not_fun_tINSD_8identityEEEEENSD_19counting_iterator_tIlEES8_S8_S8_S8_S8_S8_S8_S8_EEEEPS9_S9_NSD_9__find_if7functorIS9_EEEE10hipError_tPvRmT1_T2_T3_mT4_P12ihipStream_tbEUlT_E0_NS1_11comp_targetILNS1_3genE8ELNS1_11target_archE1030ELNS1_3gpuE2ELNS1_3repE0EEENS1_30default_config_static_selectorELNS0_4arch9wavefront6targetE1EEEvS14_.num_vgpr, 0
	.set _ZN7rocprim17ROCPRIM_400000_NS6detail17trampoline_kernelINS0_14default_configENS1_22reduce_config_selectorIN6thrust23THRUST_200600_302600_NS5tupleIblNS6_9null_typeES8_S8_S8_S8_S8_S8_S8_EEEEZNS1_11reduce_implILb1ES3_NS6_12zip_iteratorINS7_INS6_11hip_rocprim26transform_input_iterator_tIbNSD_35transform_pair_of_input_iterators_tIbNS6_6detail15normal_iteratorINS6_10device_ptrIKbEEEESL_NS6_8equal_toIbEEEENSG_9not_fun_tINSD_8identityEEEEENSD_19counting_iterator_tIlEES8_S8_S8_S8_S8_S8_S8_S8_EEEEPS9_S9_NSD_9__find_if7functorIS9_EEEE10hipError_tPvRmT1_T2_T3_mT4_P12ihipStream_tbEUlT_E0_NS1_11comp_targetILNS1_3genE8ELNS1_11target_archE1030ELNS1_3gpuE2ELNS1_3repE0EEENS1_30default_config_static_selectorELNS0_4arch9wavefront6targetE1EEEvS14_.num_agpr, 0
	.set _ZN7rocprim17ROCPRIM_400000_NS6detail17trampoline_kernelINS0_14default_configENS1_22reduce_config_selectorIN6thrust23THRUST_200600_302600_NS5tupleIblNS6_9null_typeES8_S8_S8_S8_S8_S8_S8_EEEEZNS1_11reduce_implILb1ES3_NS6_12zip_iteratorINS7_INS6_11hip_rocprim26transform_input_iterator_tIbNSD_35transform_pair_of_input_iterators_tIbNS6_6detail15normal_iteratorINS6_10device_ptrIKbEEEESL_NS6_8equal_toIbEEEENSG_9not_fun_tINSD_8identityEEEEENSD_19counting_iterator_tIlEES8_S8_S8_S8_S8_S8_S8_S8_EEEEPS9_S9_NSD_9__find_if7functorIS9_EEEE10hipError_tPvRmT1_T2_T3_mT4_P12ihipStream_tbEUlT_E0_NS1_11comp_targetILNS1_3genE8ELNS1_11target_archE1030ELNS1_3gpuE2ELNS1_3repE0EEENS1_30default_config_static_selectorELNS0_4arch9wavefront6targetE1EEEvS14_.numbered_sgpr, 0
	.set _ZN7rocprim17ROCPRIM_400000_NS6detail17trampoline_kernelINS0_14default_configENS1_22reduce_config_selectorIN6thrust23THRUST_200600_302600_NS5tupleIblNS6_9null_typeES8_S8_S8_S8_S8_S8_S8_EEEEZNS1_11reduce_implILb1ES3_NS6_12zip_iteratorINS7_INS6_11hip_rocprim26transform_input_iterator_tIbNSD_35transform_pair_of_input_iterators_tIbNS6_6detail15normal_iteratorINS6_10device_ptrIKbEEEESL_NS6_8equal_toIbEEEENSG_9not_fun_tINSD_8identityEEEEENSD_19counting_iterator_tIlEES8_S8_S8_S8_S8_S8_S8_S8_EEEEPS9_S9_NSD_9__find_if7functorIS9_EEEE10hipError_tPvRmT1_T2_T3_mT4_P12ihipStream_tbEUlT_E0_NS1_11comp_targetILNS1_3genE8ELNS1_11target_archE1030ELNS1_3gpuE2ELNS1_3repE0EEENS1_30default_config_static_selectorELNS0_4arch9wavefront6targetE1EEEvS14_.num_named_barrier, 0
	.set _ZN7rocprim17ROCPRIM_400000_NS6detail17trampoline_kernelINS0_14default_configENS1_22reduce_config_selectorIN6thrust23THRUST_200600_302600_NS5tupleIblNS6_9null_typeES8_S8_S8_S8_S8_S8_S8_EEEEZNS1_11reduce_implILb1ES3_NS6_12zip_iteratorINS7_INS6_11hip_rocprim26transform_input_iterator_tIbNSD_35transform_pair_of_input_iterators_tIbNS6_6detail15normal_iteratorINS6_10device_ptrIKbEEEESL_NS6_8equal_toIbEEEENSG_9not_fun_tINSD_8identityEEEEENSD_19counting_iterator_tIlEES8_S8_S8_S8_S8_S8_S8_S8_EEEEPS9_S9_NSD_9__find_if7functorIS9_EEEE10hipError_tPvRmT1_T2_T3_mT4_P12ihipStream_tbEUlT_E0_NS1_11comp_targetILNS1_3genE8ELNS1_11target_archE1030ELNS1_3gpuE2ELNS1_3repE0EEENS1_30default_config_static_selectorELNS0_4arch9wavefront6targetE1EEEvS14_.private_seg_size, 0
	.set _ZN7rocprim17ROCPRIM_400000_NS6detail17trampoline_kernelINS0_14default_configENS1_22reduce_config_selectorIN6thrust23THRUST_200600_302600_NS5tupleIblNS6_9null_typeES8_S8_S8_S8_S8_S8_S8_EEEEZNS1_11reduce_implILb1ES3_NS6_12zip_iteratorINS7_INS6_11hip_rocprim26transform_input_iterator_tIbNSD_35transform_pair_of_input_iterators_tIbNS6_6detail15normal_iteratorINS6_10device_ptrIKbEEEESL_NS6_8equal_toIbEEEENSG_9not_fun_tINSD_8identityEEEEENSD_19counting_iterator_tIlEES8_S8_S8_S8_S8_S8_S8_S8_EEEEPS9_S9_NSD_9__find_if7functorIS9_EEEE10hipError_tPvRmT1_T2_T3_mT4_P12ihipStream_tbEUlT_E0_NS1_11comp_targetILNS1_3genE8ELNS1_11target_archE1030ELNS1_3gpuE2ELNS1_3repE0EEENS1_30default_config_static_selectorELNS0_4arch9wavefront6targetE1EEEvS14_.uses_vcc, 0
	.set _ZN7rocprim17ROCPRIM_400000_NS6detail17trampoline_kernelINS0_14default_configENS1_22reduce_config_selectorIN6thrust23THRUST_200600_302600_NS5tupleIblNS6_9null_typeES8_S8_S8_S8_S8_S8_S8_EEEEZNS1_11reduce_implILb1ES3_NS6_12zip_iteratorINS7_INS6_11hip_rocprim26transform_input_iterator_tIbNSD_35transform_pair_of_input_iterators_tIbNS6_6detail15normal_iteratorINS6_10device_ptrIKbEEEESL_NS6_8equal_toIbEEEENSG_9not_fun_tINSD_8identityEEEEENSD_19counting_iterator_tIlEES8_S8_S8_S8_S8_S8_S8_S8_EEEEPS9_S9_NSD_9__find_if7functorIS9_EEEE10hipError_tPvRmT1_T2_T3_mT4_P12ihipStream_tbEUlT_E0_NS1_11comp_targetILNS1_3genE8ELNS1_11target_archE1030ELNS1_3gpuE2ELNS1_3repE0EEENS1_30default_config_static_selectorELNS0_4arch9wavefront6targetE1EEEvS14_.uses_flat_scratch, 0
	.set _ZN7rocprim17ROCPRIM_400000_NS6detail17trampoline_kernelINS0_14default_configENS1_22reduce_config_selectorIN6thrust23THRUST_200600_302600_NS5tupleIblNS6_9null_typeES8_S8_S8_S8_S8_S8_S8_EEEEZNS1_11reduce_implILb1ES3_NS6_12zip_iteratorINS7_INS6_11hip_rocprim26transform_input_iterator_tIbNSD_35transform_pair_of_input_iterators_tIbNS6_6detail15normal_iteratorINS6_10device_ptrIKbEEEESL_NS6_8equal_toIbEEEENSG_9not_fun_tINSD_8identityEEEEENSD_19counting_iterator_tIlEES8_S8_S8_S8_S8_S8_S8_S8_EEEEPS9_S9_NSD_9__find_if7functorIS9_EEEE10hipError_tPvRmT1_T2_T3_mT4_P12ihipStream_tbEUlT_E0_NS1_11comp_targetILNS1_3genE8ELNS1_11target_archE1030ELNS1_3gpuE2ELNS1_3repE0EEENS1_30default_config_static_selectorELNS0_4arch9wavefront6targetE1EEEvS14_.has_dyn_sized_stack, 0
	.set _ZN7rocprim17ROCPRIM_400000_NS6detail17trampoline_kernelINS0_14default_configENS1_22reduce_config_selectorIN6thrust23THRUST_200600_302600_NS5tupleIblNS6_9null_typeES8_S8_S8_S8_S8_S8_S8_EEEEZNS1_11reduce_implILb1ES3_NS6_12zip_iteratorINS7_INS6_11hip_rocprim26transform_input_iterator_tIbNSD_35transform_pair_of_input_iterators_tIbNS6_6detail15normal_iteratorINS6_10device_ptrIKbEEEESL_NS6_8equal_toIbEEEENSG_9not_fun_tINSD_8identityEEEEENSD_19counting_iterator_tIlEES8_S8_S8_S8_S8_S8_S8_S8_EEEEPS9_S9_NSD_9__find_if7functorIS9_EEEE10hipError_tPvRmT1_T2_T3_mT4_P12ihipStream_tbEUlT_E0_NS1_11comp_targetILNS1_3genE8ELNS1_11target_archE1030ELNS1_3gpuE2ELNS1_3repE0EEENS1_30default_config_static_selectorELNS0_4arch9wavefront6targetE1EEEvS14_.has_recursion, 0
	.set _ZN7rocprim17ROCPRIM_400000_NS6detail17trampoline_kernelINS0_14default_configENS1_22reduce_config_selectorIN6thrust23THRUST_200600_302600_NS5tupleIblNS6_9null_typeES8_S8_S8_S8_S8_S8_S8_EEEEZNS1_11reduce_implILb1ES3_NS6_12zip_iteratorINS7_INS6_11hip_rocprim26transform_input_iterator_tIbNSD_35transform_pair_of_input_iterators_tIbNS6_6detail15normal_iteratorINS6_10device_ptrIKbEEEESL_NS6_8equal_toIbEEEENSG_9not_fun_tINSD_8identityEEEEENSD_19counting_iterator_tIlEES8_S8_S8_S8_S8_S8_S8_S8_EEEEPS9_S9_NSD_9__find_if7functorIS9_EEEE10hipError_tPvRmT1_T2_T3_mT4_P12ihipStream_tbEUlT_E0_NS1_11comp_targetILNS1_3genE8ELNS1_11target_archE1030ELNS1_3gpuE2ELNS1_3repE0EEENS1_30default_config_static_selectorELNS0_4arch9wavefront6targetE1EEEvS14_.has_indirect_call, 0
	.section	.AMDGPU.csdata,"",@progbits
; Kernel info:
; codeLenInByte = 0
; TotalNumSgprs: 4
; NumVgprs: 0
; ScratchSize: 0
; MemoryBound: 0
; FloatMode: 240
; IeeeMode: 1
; LDSByteSize: 0 bytes/workgroup (compile time only)
; SGPRBlocks: 0
; VGPRBlocks: 0
; NumSGPRsForWavesPerEU: 4
; NumVGPRsForWavesPerEU: 1
; Occupancy: 10
; WaveLimiterHint : 0
; COMPUTE_PGM_RSRC2:SCRATCH_EN: 0
; COMPUTE_PGM_RSRC2:USER_SGPR: 6
; COMPUTE_PGM_RSRC2:TRAP_HANDLER: 0
; COMPUTE_PGM_RSRC2:TGID_X_EN: 1
; COMPUTE_PGM_RSRC2:TGID_Y_EN: 0
; COMPUTE_PGM_RSRC2:TGID_Z_EN: 0
; COMPUTE_PGM_RSRC2:TIDIG_COMP_CNT: 0
	.section	.text._ZN7rocprim17ROCPRIM_400000_NS6detail17trampoline_kernelINS0_14default_configENS1_22reduce_config_selectorIN6thrust23THRUST_200600_302600_NS5tupleIblNS6_9null_typeES8_S8_S8_S8_S8_S8_S8_EEEEZNS1_11reduce_implILb1ES3_NS6_12zip_iteratorINS7_INS6_11hip_rocprim26transform_input_iterator_tIbNSD_35transform_pair_of_input_iterators_tIbNS6_6detail15normal_iteratorINS6_10device_ptrIKbEEEESL_NS6_8equal_toIbEEEENSG_9not_fun_tINSD_8identityEEEEENSD_19counting_iterator_tIlEES8_S8_S8_S8_S8_S8_S8_S8_EEEEPS9_S9_NSD_9__find_if7functorIS9_EEEE10hipError_tPvRmT1_T2_T3_mT4_P12ihipStream_tbEUlT_E1_NS1_11comp_targetILNS1_3genE0ELNS1_11target_archE4294967295ELNS1_3gpuE0ELNS1_3repE0EEENS1_30default_config_static_selectorELNS0_4arch9wavefront6targetE1EEEvS14_,"axG",@progbits,_ZN7rocprim17ROCPRIM_400000_NS6detail17trampoline_kernelINS0_14default_configENS1_22reduce_config_selectorIN6thrust23THRUST_200600_302600_NS5tupleIblNS6_9null_typeES8_S8_S8_S8_S8_S8_S8_EEEEZNS1_11reduce_implILb1ES3_NS6_12zip_iteratorINS7_INS6_11hip_rocprim26transform_input_iterator_tIbNSD_35transform_pair_of_input_iterators_tIbNS6_6detail15normal_iteratorINS6_10device_ptrIKbEEEESL_NS6_8equal_toIbEEEENSG_9not_fun_tINSD_8identityEEEEENSD_19counting_iterator_tIlEES8_S8_S8_S8_S8_S8_S8_S8_EEEEPS9_S9_NSD_9__find_if7functorIS9_EEEE10hipError_tPvRmT1_T2_T3_mT4_P12ihipStream_tbEUlT_E1_NS1_11comp_targetILNS1_3genE0ELNS1_11target_archE4294967295ELNS1_3gpuE0ELNS1_3repE0EEENS1_30default_config_static_selectorELNS0_4arch9wavefront6targetE1EEEvS14_,comdat
	.protected	_ZN7rocprim17ROCPRIM_400000_NS6detail17trampoline_kernelINS0_14default_configENS1_22reduce_config_selectorIN6thrust23THRUST_200600_302600_NS5tupleIblNS6_9null_typeES8_S8_S8_S8_S8_S8_S8_EEEEZNS1_11reduce_implILb1ES3_NS6_12zip_iteratorINS7_INS6_11hip_rocprim26transform_input_iterator_tIbNSD_35transform_pair_of_input_iterators_tIbNS6_6detail15normal_iteratorINS6_10device_ptrIKbEEEESL_NS6_8equal_toIbEEEENSG_9not_fun_tINSD_8identityEEEEENSD_19counting_iterator_tIlEES8_S8_S8_S8_S8_S8_S8_S8_EEEEPS9_S9_NSD_9__find_if7functorIS9_EEEE10hipError_tPvRmT1_T2_T3_mT4_P12ihipStream_tbEUlT_E1_NS1_11comp_targetILNS1_3genE0ELNS1_11target_archE4294967295ELNS1_3gpuE0ELNS1_3repE0EEENS1_30default_config_static_selectorELNS0_4arch9wavefront6targetE1EEEvS14_ ; -- Begin function _ZN7rocprim17ROCPRIM_400000_NS6detail17trampoline_kernelINS0_14default_configENS1_22reduce_config_selectorIN6thrust23THRUST_200600_302600_NS5tupleIblNS6_9null_typeES8_S8_S8_S8_S8_S8_S8_EEEEZNS1_11reduce_implILb1ES3_NS6_12zip_iteratorINS7_INS6_11hip_rocprim26transform_input_iterator_tIbNSD_35transform_pair_of_input_iterators_tIbNS6_6detail15normal_iteratorINS6_10device_ptrIKbEEEESL_NS6_8equal_toIbEEEENSG_9not_fun_tINSD_8identityEEEEENSD_19counting_iterator_tIlEES8_S8_S8_S8_S8_S8_S8_S8_EEEEPS9_S9_NSD_9__find_if7functorIS9_EEEE10hipError_tPvRmT1_T2_T3_mT4_P12ihipStream_tbEUlT_E1_NS1_11comp_targetILNS1_3genE0ELNS1_11target_archE4294967295ELNS1_3gpuE0ELNS1_3repE0EEENS1_30default_config_static_selectorELNS0_4arch9wavefront6targetE1EEEvS14_
	.globl	_ZN7rocprim17ROCPRIM_400000_NS6detail17trampoline_kernelINS0_14default_configENS1_22reduce_config_selectorIN6thrust23THRUST_200600_302600_NS5tupleIblNS6_9null_typeES8_S8_S8_S8_S8_S8_S8_EEEEZNS1_11reduce_implILb1ES3_NS6_12zip_iteratorINS7_INS6_11hip_rocprim26transform_input_iterator_tIbNSD_35transform_pair_of_input_iterators_tIbNS6_6detail15normal_iteratorINS6_10device_ptrIKbEEEESL_NS6_8equal_toIbEEEENSG_9not_fun_tINSD_8identityEEEEENSD_19counting_iterator_tIlEES8_S8_S8_S8_S8_S8_S8_S8_EEEEPS9_S9_NSD_9__find_if7functorIS9_EEEE10hipError_tPvRmT1_T2_T3_mT4_P12ihipStream_tbEUlT_E1_NS1_11comp_targetILNS1_3genE0ELNS1_11target_archE4294967295ELNS1_3gpuE0ELNS1_3repE0EEENS1_30default_config_static_selectorELNS0_4arch9wavefront6targetE1EEEvS14_
	.p2align	8
	.type	_ZN7rocprim17ROCPRIM_400000_NS6detail17trampoline_kernelINS0_14default_configENS1_22reduce_config_selectorIN6thrust23THRUST_200600_302600_NS5tupleIblNS6_9null_typeES8_S8_S8_S8_S8_S8_S8_EEEEZNS1_11reduce_implILb1ES3_NS6_12zip_iteratorINS7_INS6_11hip_rocprim26transform_input_iterator_tIbNSD_35transform_pair_of_input_iterators_tIbNS6_6detail15normal_iteratorINS6_10device_ptrIKbEEEESL_NS6_8equal_toIbEEEENSG_9not_fun_tINSD_8identityEEEEENSD_19counting_iterator_tIlEES8_S8_S8_S8_S8_S8_S8_S8_EEEEPS9_S9_NSD_9__find_if7functorIS9_EEEE10hipError_tPvRmT1_T2_T3_mT4_P12ihipStream_tbEUlT_E1_NS1_11comp_targetILNS1_3genE0ELNS1_11target_archE4294967295ELNS1_3gpuE0ELNS1_3repE0EEENS1_30default_config_static_selectorELNS0_4arch9wavefront6targetE1EEEvS14_,@function
_ZN7rocprim17ROCPRIM_400000_NS6detail17trampoline_kernelINS0_14default_configENS1_22reduce_config_selectorIN6thrust23THRUST_200600_302600_NS5tupleIblNS6_9null_typeES8_S8_S8_S8_S8_S8_S8_EEEEZNS1_11reduce_implILb1ES3_NS6_12zip_iteratorINS7_INS6_11hip_rocprim26transform_input_iterator_tIbNSD_35transform_pair_of_input_iterators_tIbNS6_6detail15normal_iteratorINS6_10device_ptrIKbEEEESL_NS6_8equal_toIbEEEENSG_9not_fun_tINSD_8identityEEEEENSD_19counting_iterator_tIlEES8_S8_S8_S8_S8_S8_S8_S8_EEEEPS9_S9_NSD_9__find_if7functorIS9_EEEE10hipError_tPvRmT1_T2_T3_mT4_P12ihipStream_tbEUlT_E1_NS1_11comp_targetILNS1_3genE0ELNS1_11target_archE4294967295ELNS1_3gpuE0ELNS1_3repE0EEENS1_30default_config_static_selectorELNS0_4arch9wavefront6targetE1EEEvS14_: ; @_ZN7rocprim17ROCPRIM_400000_NS6detail17trampoline_kernelINS0_14default_configENS1_22reduce_config_selectorIN6thrust23THRUST_200600_302600_NS5tupleIblNS6_9null_typeES8_S8_S8_S8_S8_S8_S8_EEEEZNS1_11reduce_implILb1ES3_NS6_12zip_iteratorINS7_INS6_11hip_rocprim26transform_input_iterator_tIbNSD_35transform_pair_of_input_iterators_tIbNS6_6detail15normal_iteratorINS6_10device_ptrIKbEEEESL_NS6_8equal_toIbEEEENSG_9not_fun_tINSD_8identityEEEEENSD_19counting_iterator_tIlEES8_S8_S8_S8_S8_S8_S8_S8_EEEEPS9_S9_NSD_9__find_if7functorIS9_EEEE10hipError_tPvRmT1_T2_T3_mT4_P12ihipStream_tbEUlT_E1_NS1_11comp_targetILNS1_3genE0ELNS1_11target_archE4294967295ELNS1_3gpuE0ELNS1_3repE0EEENS1_30default_config_static_selectorELNS0_4arch9wavefront6targetE1EEEvS14_
; %bb.0:
	.section	.rodata,"a",@progbits
	.p2align	6, 0x0
	.amdhsa_kernel _ZN7rocprim17ROCPRIM_400000_NS6detail17trampoline_kernelINS0_14default_configENS1_22reduce_config_selectorIN6thrust23THRUST_200600_302600_NS5tupleIblNS6_9null_typeES8_S8_S8_S8_S8_S8_S8_EEEEZNS1_11reduce_implILb1ES3_NS6_12zip_iteratorINS7_INS6_11hip_rocprim26transform_input_iterator_tIbNSD_35transform_pair_of_input_iterators_tIbNS6_6detail15normal_iteratorINS6_10device_ptrIKbEEEESL_NS6_8equal_toIbEEEENSG_9not_fun_tINSD_8identityEEEEENSD_19counting_iterator_tIlEES8_S8_S8_S8_S8_S8_S8_S8_EEEEPS9_S9_NSD_9__find_if7functorIS9_EEEE10hipError_tPvRmT1_T2_T3_mT4_P12ihipStream_tbEUlT_E1_NS1_11comp_targetILNS1_3genE0ELNS1_11target_archE4294967295ELNS1_3gpuE0ELNS1_3repE0EEENS1_30default_config_static_selectorELNS0_4arch9wavefront6targetE1EEEvS14_
		.amdhsa_group_segment_fixed_size 0
		.amdhsa_private_segment_fixed_size 0
		.amdhsa_kernarg_size 88
		.amdhsa_user_sgpr_count 6
		.amdhsa_user_sgpr_private_segment_buffer 1
		.amdhsa_user_sgpr_dispatch_ptr 0
		.amdhsa_user_sgpr_queue_ptr 0
		.amdhsa_user_sgpr_kernarg_segment_ptr 1
		.amdhsa_user_sgpr_dispatch_id 0
		.amdhsa_user_sgpr_flat_scratch_init 0
		.amdhsa_user_sgpr_private_segment_size 0
		.amdhsa_uses_dynamic_stack 0
		.amdhsa_system_sgpr_private_segment_wavefront_offset 0
		.amdhsa_system_sgpr_workgroup_id_x 1
		.amdhsa_system_sgpr_workgroup_id_y 0
		.amdhsa_system_sgpr_workgroup_id_z 0
		.amdhsa_system_sgpr_workgroup_info 0
		.amdhsa_system_vgpr_workitem_id 0
		.amdhsa_next_free_vgpr 1
		.amdhsa_next_free_sgpr 0
		.amdhsa_reserve_vcc 0
		.amdhsa_reserve_flat_scratch 0
		.amdhsa_float_round_mode_32 0
		.amdhsa_float_round_mode_16_64 0
		.amdhsa_float_denorm_mode_32 3
		.amdhsa_float_denorm_mode_16_64 3
		.amdhsa_dx10_clamp 1
		.amdhsa_ieee_mode 1
		.amdhsa_fp16_overflow 0
		.amdhsa_exception_fp_ieee_invalid_op 0
		.amdhsa_exception_fp_denorm_src 0
		.amdhsa_exception_fp_ieee_div_zero 0
		.amdhsa_exception_fp_ieee_overflow 0
		.amdhsa_exception_fp_ieee_underflow 0
		.amdhsa_exception_fp_ieee_inexact 0
		.amdhsa_exception_int_div_zero 0
	.end_amdhsa_kernel
	.section	.text._ZN7rocprim17ROCPRIM_400000_NS6detail17trampoline_kernelINS0_14default_configENS1_22reduce_config_selectorIN6thrust23THRUST_200600_302600_NS5tupleIblNS6_9null_typeES8_S8_S8_S8_S8_S8_S8_EEEEZNS1_11reduce_implILb1ES3_NS6_12zip_iteratorINS7_INS6_11hip_rocprim26transform_input_iterator_tIbNSD_35transform_pair_of_input_iterators_tIbNS6_6detail15normal_iteratorINS6_10device_ptrIKbEEEESL_NS6_8equal_toIbEEEENSG_9not_fun_tINSD_8identityEEEEENSD_19counting_iterator_tIlEES8_S8_S8_S8_S8_S8_S8_S8_EEEEPS9_S9_NSD_9__find_if7functorIS9_EEEE10hipError_tPvRmT1_T2_T3_mT4_P12ihipStream_tbEUlT_E1_NS1_11comp_targetILNS1_3genE0ELNS1_11target_archE4294967295ELNS1_3gpuE0ELNS1_3repE0EEENS1_30default_config_static_selectorELNS0_4arch9wavefront6targetE1EEEvS14_,"axG",@progbits,_ZN7rocprim17ROCPRIM_400000_NS6detail17trampoline_kernelINS0_14default_configENS1_22reduce_config_selectorIN6thrust23THRUST_200600_302600_NS5tupleIblNS6_9null_typeES8_S8_S8_S8_S8_S8_S8_EEEEZNS1_11reduce_implILb1ES3_NS6_12zip_iteratorINS7_INS6_11hip_rocprim26transform_input_iterator_tIbNSD_35transform_pair_of_input_iterators_tIbNS6_6detail15normal_iteratorINS6_10device_ptrIKbEEEESL_NS6_8equal_toIbEEEENSG_9not_fun_tINSD_8identityEEEEENSD_19counting_iterator_tIlEES8_S8_S8_S8_S8_S8_S8_S8_EEEEPS9_S9_NSD_9__find_if7functorIS9_EEEE10hipError_tPvRmT1_T2_T3_mT4_P12ihipStream_tbEUlT_E1_NS1_11comp_targetILNS1_3genE0ELNS1_11target_archE4294967295ELNS1_3gpuE0ELNS1_3repE0EEENS1_30default_config_static_selectorELNS0_4arch9wavefront6targetE1EEEvS14_,comdat
.Lfunc_end752:
	.size	_ZN7rocprim17ROCPRIM_400000_NS6detail17trampoline_kernelINS0_14default_configENS1_22reduce_config_selectorIN6thrust23THRUST_200600_302600_NS5tupleIblNS6_9null_typeES8_S8_S8_S8_S8_S8_S8_EEEEZNS1_11reduce_implILb1ES3_NS6_12zip_iteratorINS7_INS6_11hip_rocprim26transform_input_iterator_tIbNSD_35transform_pair_of_input_iterators_tIbNS6_6detail15normal_iteratorINS6_10device_ptrIKbEEEESL_NS6_8equal_toIbEEEENSG_9not_fun_tINSD_8identityEEEEENSD_19counting_iterator_tIlEES8_S8_S8_S8_S8_S8_S8_S8_EEEEPS9_S9_NSD_9__find_if7functorIS9_EEEE10hipError_tPvRmT1_T2_T3_mT4_P12ihipStream_tbEUlT_E1_NS1_11comp_targetILNS1_3genE0ELNS1_11target_archE4294967295ELNS1_3gpuE0ELNS1_3repE0EEENS1_30default_config_static_selectorELNS0_4arch9wavefront6targetE1EEEvS14_, .Lfunc_end752-_ZN7rocprim17ROCPRIM_400000_NS6detail17trampoline_kernelINS0_14default_configENS1_22reduce_config_selectorIN6thrust23THRUST_200600_302600_NS5tupleIblNS6_9null_typeES8_S8_S8_S8_S8_S8_S8_EEEEZNS1_11reduce_implILb1ES3_NS6_12zip_iteratorINS7_INS6_11hip_rocprim26transform_input_iterator_tIbNSD_35transform_pair_of_input_iterators_tIbNS6_6detail15normal_iteratorINS6_10device_ptrIKbEEEESL_NS6_8equal_toIbEEEENSG_9not_fun_tINSD_8identityEEEEENSD_19counting_iterator_tIlEES8_S8_S8_S8_S8_S8_S8_S8_EEEEPS9_S9_NSD_9__find_if7functorIS9_EEEE10hipError_tPvRmT1_T2_T3_mT4_P12ihipStream_tbEUlT_E1_NS1_11comp_targetILNS1_3genE0ELNS1_11target_archE4294967295ELNS1_3gpuE0ELNS1_3repE0EEENS1_30default_config_static_selectorELNS0_4arch9wavefront6targetE1EEEvS14_
                                        ; -- End function
	.set _ZN7rocprim17ROCPRIM_400000_NS6detail17trampoline_kernelINS0_14default_configENS1_22reduce_config_selectorIN6thrust23THRUST_200600_302600_NS5tupleIblNS6_9null_typeES8_S8_S8_S8_S8_S8_S8_EEEEZNS1_11reduce_implILb1ES3_NS6_12zip_iteratorINS7_INS6_11hip_rocprim26transform_input_iterator_tIbNSD_35transform_pair_of_input_iterators_tIbNS6_6detail15normal_iteratorINS6_10device_ptrIKbEEEESL_NS6_8equal_toIbEEEENSG_9not_fun_tINSD_8identityEEEEENSD_19counting_iterator_tIlEES8_S8_S8_S8_S8_S8_S8_S8_EEEEPS9_S9_NSD_9__find_if7functorIS9_EEEE10hipError_tPvRmT1_T2_T3_mT4_P12ihipStream_tbEUlT_E1_NS1_11comp_targetILNS1_3genE0ELNS1_11target_archE4294967295ELNS1_3gpuE0ELNS1_3repE0EEENS1_30default_config_static_selectorELNS0_4arch9wavefront6targetE1EEEvS14_.num_vgpr, 0
	.set _ZN7rocprim17ROCPRIM_400000_NS6detail17trampoline_kernelINS0_14default_configENS1_22reduce_config_selectorIN6thrust23THRUST_200600_302600_NS5tupleIblNS6_9null_typeES8_S8_S8_S8_S8_S8_S8_EEEEZNS1_11reduce_implILb1ES3_NS6_12zip_iteratorINS7_INS6_11hip_rocprim26transform_input_iterator_tIbNSD_35transform_pair_of_input_iterators_tIbNS6_6detail15normal_iteratorINS6_10device_ptrIKbEEEESL_NS6_8equal_toIbEEEENSG_9not_fun_tINSD_8identityEEEEENSD_19counting_iterator_tIlEES8_S8_S8_S8_S8_S8_S8_S8_EEEEPS9_S9_NSD_9__find_if7functorIS9_EEEE10hipError_tPvRmT1_T2_T3_mT4_P12ihipStream_tbEUlT_E1_NS1_11comp_targetILNS1_3genE0ELNS1_11target_archE4294967295ELNS1_3gpuE0ELNS1_3repE0EEENS1_30default_config_static_selectorELNS0_4arch9wavefront6targetE1EEEvS14_.num_agpr, 0
	.set _ZN7rocprim17ROCPRIM_400000_NS6detail17trampoline_kernelINS0_14default_configENS1_22reduce_config_selectorIN6thrust23THRUST_200600_302600_NS5tupleIblNS6_9null_typeES8_S8_S8_S8_S8_S8_S8_EEEEZNS1_11reduce_implILb1ES3_NS6_12zip_iteratorINS7_INS6_11hip_rocprim26transform_input_iterator_tIbNSD_35transform_pair_of_input_iterators_tIbNS6_6detail15normal_iteratorINS6_10device_ptrIKbEEEESL_NS6_8equal_toIbEEEENSG_9not_fun_tINSD_8identityEEEEENSD_19counting_iterator_tIlEES8_S8_S8_S8_S8_S8_S8_S8_EEEEPS9_S9_NSD_9__find_if7functorIS9_EEEE10hipError_tPvRmT1_T2_T3_mT4_P12ihipStream_tbEUlT_E1_NS1_11comp_targetILNS1_3genE0ELNS1_11target_archE4294967295ELNS1_3gpuE0ELNS1_3repE0EEENS1_30default_config_static_selectorELNS0_4arch9wavefront6targetE1EEEvS14_.numbered_sgpr, 0
	.set _ZN7rocprim17ROCPRIM_400000_NS6detail17trampoline_kernelINS0_14default_configENS1_22reduce_config_selectorIN6thrust23THRUST_200600_302600_NS5tupleIblNS6_9null_typeES8_S8_S8_S8_S8_S8_S8_EEEEZNS1_11reduce_implILb1ES3_NS6_12zip_iteratorINS7_INS6_11hip_rocprim26transform_input_iterator_tIbNSD_35transform_pair_of_input_iterators_tIbNS6_6detail15normal_iteratorINS6_10device_ptrIKbEEEESL_NS6_8equal_toIbEEEENSG_9not_fun_tINSD_8identityEEEEENSD_19counting_iterator_tIlEES8_S8_S8_S8_S8_S8_S8_S8_EEEEPS9_S9_NSD_9__find_if7functorIS9_EEEE10hipError_tPvRmT1_T2_T3_mT4_P12ihipStream_tbEUlT_E1_NS1_11comp_targetILNS1_3genE0ELNS1_11target_archE4294967295ELNS1_3gpuE0ELNS1_3repE0EEENS1_30default_config_static_selectorELNS0_4arch9wavefront6targetE1EEEvS14_.num_named_barrier, 0
	.set _ZN7rocprim17ROCPRIM_400000_NS6detail17trampoline_kernelINS0_14default_configENS1_22reduce_config_selectorIN6thrust23THRUST_200600_302600_NS5tupleIblNS6_9null_typeES8_S8_S8_S8_S8_S8_S8_EEEEZNS1_11reduce_implILb1ES3_NS6_12zip_iteratorINS7_INS6_11hip_rocprim26transform_input_iterator_tIbNSD_35transform_pair_of_input_iterators_tIbNS6_6detail15normal_iteratorINS6_10device_ptrIKbEEEESL_NS6_8equal_toIbEEEENSG_9not_fun_tINSD_8identityEEEEENSD_19counting_iterator_tIlEES8_S8_S8_S8_S8_S8_S8_S8_EEEEPS9_S9_NSD_9__find_if7functorIS9_EEEE10hipError_tPvRmT1_T2_T3_mT4_P12ihipStream_tbEUlT_E1_NS1_11comp_targetILNS1_3genE0ELNS1_11target_archE4294967295ELNS1_3gpuE0ELNS1_3repE0EEENS1_30default_config_static_selectorELNS0_4arch9wavefront6targetE1EEEvS14_.private_seg_size, 0
	.set _ZN7rocprim17ROCPRIM_400000_NS6detail17trampoline_kernelINS0_14default_configENS1_22reduce_config_selectorIN6thrust23THRUST_200600_302600_NS5tupleIblNS6_9null_typeES8_S8_S8_S8_S8_S8_S8_EEEEZNS1_11reduce_implILb1ES3_NS6_12zip_iteratorINS7_INS6_11hip_rocprim26transform_input_iterator_tIbNSD_35transform_pair_of_input_iterators_tIbNS6_6detail15normal_iteratorINS6_10device_ptrIKbEEEESL_NS6_8equal_toIbEEEENSG_9not_fun_tINSD_8identityEEEEENSD_19counting_iterator_tIlEES8_S8_S8_S8_S8_S8_S8_S8_EEEEPS9_S9_NSD_9__find_if7functorIS9_EEEE10hipError_tPvRmT1_T2_T3_mT4_P12ihipStream_tbEUlT_E1_NS1_11comp_targetILNS1_3genE0ELNS1_11target_archE4294967295ELNS1_3gpuE0ELNS1_3repE0EEENS1_30default_config_static_selectorELNS0_4arch9wavefront6targetE1EEEvS14_.uses_vcc, 0
	.set _ZN7rocprim17ROCPRIM_400000_NS6detail17trampoline_kernelINS0_14default_configENS1_22reduce_config_selectorIN6thrust23THRUST_200600_302600_NS5tupleIblNS6_9null_typeES8_S8_S8_S8_S8_S8_S8_EEEEZNS1_11reduce_implILb1ES3_NS6_12zip_iteratorINS7_INS6_11hip_rocprim26transform_input_iterator_tIbNSD_35transform_pair_of_input_iterators_tIbNS6_6detail15normal_iteratorINS6_10device_ptrIKbEEEESL_NS6_8equal_toIbEEEENSG_9not_fun_tINSD_8identityEEEEENSD_19counting_iterator_tIlEES8_S8_S8_S8_S8_S8_S8_S8_EEEEPS9_S9_NSD_9__find_if7functorIS9_EEEE10hipError_tPvRmT1_T2_T3_mT4_P12ihipStream_tbEUlT_E1_NS1_11comp_targetILNS1_3genE0ELNS1_11target_archE4294967295ELNS1_3gpuE0ELNS1_3repE0EEENS1_30default_config_static_selectorELNS0_4arch9wavefront6targetE1EEEvS14_.uses_flat_scratch, 0
	.set _ZN7rocprim17ROCPRIM_400000_NS6detail17trampoline_kernelINS0_14default_configENS1_22reduce_config_selectorIN6thrust23THRUST_200600_302600_NS5tupleIblNS6_9null_typeES8_S8_S8_S8_S8_S8_S8_EEEEZNS1_11reduce_implILb1ES3_NS6_12zip_iteratorINS7_INS6_11hip_rocprim26transform_input_iterator_tIbNSD_35transform_pair_of_input_iterators_tIbNS6_6detail15normal_iteratorINS6_10device_ptrIKbEEEESL_NS6_8equal_toIbEEEENSG_9not_fun_tINSD_8identityEEEEENSD_19counting_iterator_tIlEES8_S8_S8_S8_S8_S8_S8_S8_EEEEPS9_S9_NSD_9__find_if7functorIS9_EEEE10hipError_tPvRmT1_T2_T3_mT4_P12ihipStream_tbEUlT_E1_NS1_11comp_targetILNS1_3genE0ELNS1_11target_archE4294967295ELNS1_3gpuE0ELNS1_3repE0EEENS1_30default_config_static_selectorELNS0_4arch9wavefront6targetE1EEEvS14_.has_dyn_sized_stack, 0
	.set _ZN7rocprim17ROCPRIM_400000_NS6detail17trampoline_kernelINS0_14default_configENS1_22reduce_config_selectorIN6thrust23THRUST_200600_302600_NS5tupleIblNS6_9null_typeES8_S8_S8_S8_S8_S8_S8_EEEEZNS1_11reduce_implILb1ES3_NS6_12zip_iteratorINS7_INS6_11hip_rocprim26transform_input_iterator_tIbNSD_35transform_pair_of_input_iterators_tIbNS6_6detail15normal_iteratorINS6_10device_ptrIKbEEEESL_NS6_8equal_toIbEEEENSG_9not_fun_tINSD_8identityEEEEENSD_19counting_iterator_tIlEES8_S8_S8_S8_S8_S8_S8_S8_EEEEPS9_S9_NSD_9__find_if7functorIS9_EEEE10hipError_tPvRmT1_T2_T3_mT4_P12ihipStream_tbEUlT_E1_NS1_11comp_targetILNS1_3genE0ELNS1_11target_archE4294967295ELNS1_3gpuE0ELNS1_3repE0EEENS1_30default_config_static_selectorELNS0_4arch9wavefront6targetE1EEEvS14_.has_recursion, 0
	.set _ZN7rocprim17ROCPRIM_400000_NS6detail17trampoline_kernelINS0_14default_configENS1_22reduce_config_selectorIN6thrust23THRUST_200600_302600_NS5tupleIblNS6_9null_typeES8_S8_S8_S8_S8_S8_S8_EEEEZNS1_11reduce_implILb1ES3_NS6_12zip_iteratorINS7_INS6_11hip_rocprim26transform_input_iterator_tIbNSD_35transform_pair_of_input_iterators_tIbNS6_6detail15normal_iteratorINS6_10device_ptrIKbEEEESL_NS6_8equal_toIbEEEENSG_9not_fun_tINSD_8identityEEEEENSD_19counting_iterator_tIlEES8_S8_S8_S8_S8_S8_S8_S8_EEEEPS9_S9_NSD_9__find_if7functorIS9_EEEE10hipError_tPvRmT1_T2_T3_mT4_P12ihipStream_tbEUlT_E1_NS1_11comp_targetILNS1_3genE0ELNS1_11target_archE4294967295ELNS1_3gpuE0ELNS1_3repE0EEENS1_30default_config_static_selectorELNS0_4arch9wavefront6targetE1EEEvS14_.has_indirect_call, 0
	.section	.AMDGPU.csdata,"",@progbits
; Kernel info:
; codeLenInByte = 0
; TotalNumSgprs: 4
; NumVgprs: 0
; ScratchSize: 0
; MemoryBound: 0
; FloatMode: 240
; IeeeMode: 1
; LDSByteSize: 0 bytes/workgroup (compile time only)
; SGPRBlocks: 0
; VGPRBlocks: 0
; NumSGPRsForWavesPerEU: 4
; NumVGPRsForWavesPerEU: 1
; Occupancy: 10
; WaveLimiterHint : 0
; COMPUTE_PGM_RSRC2:SCRATCH_EN: 0
; COMPUTE_PGM_RSRC2:USER_SGPR: 6
; COMPUTE_PGM_RSRC2:TRAP_HANDLER: 0
; COMPUTE_PGM_RSRC2:TGID_X_EN: 1
; COMPUTE_PGM_RSRC2:TGID_Y_EN: 0
; COMPUTE_PGM_RSRC2:TGID_Z_EN: 0
; COMPUTE_PGM_RSRC2:TIDIG_COMP_CNT: 0
	.section	.text._ZN7rocprim17ROCPRIM_400000_NS6detail17trampoline_kernelINS0_14default_configENS1_22reduce_config_selectorIN6thrust23THRUST_200600_302600_NS5tupleIblNS6_9null_typeES8_S8_S8_S8_S8_S8_S8_EEEEZNS1_11reduce_implILb1ES3_NS6_12zip_iteratorINS7_INS6_11hip_rocprim26transform_input_iterator_tIbNSD_35transform_pair_of_input_iterators_tIbNS6_6detail15normal_iteratorINS6_10device_ptrIKbEEEESL_NS6_8equal_toIbEEEENSG_9not_fun_tINSD_8identityEEEEENSD_19counting_iterator_tIlEES8_S8_S8_S8_S8_S8_S8_S8_EEEEPS9_S9_NSD_9__find_if7functorIS9_EEEE10hipError_tPvRmT1_T2_T3_mT4_P12ihipStream_tbEUlT_E1_NS1_11comp_targetILNS1_3genE5ELNS1_11target_archE942ELNS1_3gpuE9ELNS1_3repE0EEENS1_30default_config_static_selectorELNS0_4arch9wavefront6targetE1EEEvS14_,"axG",@progbits,_ZN7rocprim17ROCPRIM_400000_NS6detail17trampoline_kernelINS0_14default_configENS1_22reduce_config_selectorIN6thrust23THRUST_200600_302600_NS5tupleIblNS6_9null_typeES8_S8_S8_S8_S8_S8_S8_EEEEZNS1_11reduce_implILb1ES3_NS6_12zip_iteratorINS7_INS6_11hip_rocprim26transform_input_iterator_tIbNSD_35transform_pair_of_input_iterators_tIbNS6_6detail15normal_iteratorINS6_10device_ptrIKbEEEESL_NS6_8equal_toIbEEEENSG_9not_fun_tINSD_8identityEEEEENSD_19counting_iterator_tIlEES8_S8_S8_S8_S8_S8_S8_S8_EEEEPS9_S9_NSD_9__find_if7functorIS9_EEEE10hipError_tPvRmT1_T2_T3_mT4_P12ihipStream_tbEUlT_E1_NS1_11comp_targetILNS1_3genE5ELNS1_11target_archE942ELNS1_3gpuE9ELNS1_3repE0EEENS1_30default_config_static_selectorELNS0_4arch9wavefront6targetE1EEEvS14_,comdat
	.protected	_ZN7rocprim17ROCPRIM_400000_NS6detail17trampoline_kernelINS0_14default_configENS1_22reduce_config_selectorIN6thrust23THRUST_200600_302600_NS5tupleIblNS6_9null_typeES8_S8_S8_S8_S8_S8_S8_EEEEZNS1_11reduce_implILb1ES3_NS6_12zip_iteratorINS7_INS6_11hip_rocprim26transform_input_iterator_tIbNSD_35transform_pair_of_input_iterators_tIbNS6_6detail15normal_iteratorINS6_10device_ptrIKbEEEESL_NS6_8equal_toIbEEEENSG_9not_fun_tINSD_8identityEEEEENSD_19counting_iterator_tIlEES8_S8_S8_S8_S8_S8_S8_S8_EEEEPS9_S9_NSD_9__find_if7functorIS9_EEEE10hipError_tPvRmT1_T2_T3_mT4_P12ihipStream_tbEUlT_E1_NS1_11comp_targetILNS1_3genE5ELNS1_11target_archE942ELNS1_3gpuE9ELNS1_3repE0EEENS1_30default_config_static_selectorELNS0_4arch9wavefront6targetE1EEEvS14_ ; -- Begin function _ZN7rocprim17ROCPRIM_400000_NS6detail17trampoline_kernelINS0_14default_configENS1_22reduce_config_selectorIN6thrust23THRUST_200600_302600_NS5tupleIblNS6_9null_typeES8_S8_S8_S8_S8_S8_S8_EEEEZNS1_11reduce_implILb1ES3_NS6_12zip_iteratorINS7_INS6_11hip_rocprim26transform_input_iterator_tIbNSD_35transform_pair_of_input_iterators_tIbNS6_6detail15normal_iteratorINS6_10device_ptrIKbEEEESL_NS6_8equal_toIbEEEENSG_9not_fun_tINSD_8identityEEEEENSD_19counting_iterator_tIlEES8_S8_S8_S8_S8_S8_S8_S8_EEEEPS9_S9_NSD_9__find_if7functorIS9_EEEE10hipError_tPvRmT1_T2_T3_mT4_P12ihipStream_tbEUlT_E1_NS1_11comp_targetILNS1_3genE5ELNS1_11target_archE942ELNS1_3gpuE9ELNS1_3repE0EEENS1_30default_config_static_selectorELNS0_4arch9wavefront6targetE1EEEvS14_
	.globl	_ZN7rocprim17ROCPRIM_400000_NS6detail17trampoline_kernelINS0_14default_configENS1_22reduce_config_selectorIN6thrust23THRUST_200600_302600_NS5tupleIblNS6_9null_typeES8_S8_S8_S8_S8_S8_S8_EEEEZNS1_11reduce_implILb1ES3_NS6_12zip_iteratorINS7_INS6_11hip_rocprim26transform_input_iterator_tIbNSD_35transform_pair_of_input_iterators_tIbNS6_6detail15normal_iteratorINS6_10device_ptrIKbEEEESL_NS6_8equal_toIbEEEENSG_9not_fun_tINSD_8identityEEEEENSD_19counting_iterator_tIlEES8_S8_S8_S8_S8_S8_S8_S8_EEEEPS9_S9_NSD_9__find_if7functorIS9_EEEE10hipError_tPvRmT1_T2_T3_mT4_P12ihipStream_tbEUlT_E1_NS1_11comp_targetILNS1_3genE5ELNS1_11target_archE942ELNS1_3gpuE9ELNS1_3repE0EEENS1_30default_config_static_selectorELNS0_4arch9wavefront6targetE1EEEvS14_
	.p2align	8
	.type	_ZN7rocprim17ROCPRIM_400000_NS6detail17trampoline_kernelINS0_14default_configENS1_22reduce_config_selectorIN6thrust23THRUST_200600_302600_NS5tupleIblNS6_9null_typeES8_S8_S8_S8_S8_S8_S8_EEEEZNS1_11reduce_implILb1ES3_NS6_12zip_iteratorINS7_INS6_11hip_rocprim26transform_input_iterator_tIbNSD_35transform_pair_of_input_iterators_tIbNS6_6detail15normal_iteratorINS6_10device_ptrIKbEEEESL_NS6_8equal_toIbEEEENSG_9not_fun_tINSD_8identityEEEEENSD_19counting_iterator_tIlEES8_S8_S8_S8_S8_S8_S8_S8_EEEEPS9_S9_NSD_9__find_if7functorIS9_EEEE10hipError_tPvRmT1_T2_T3_mT4_P12ihipStream_tbEUlT_E1_NS1_11comp_targetILNS1_3genE5ELNS1_11target_archE942ELNS1_3gpuE9ELNS1_3repE0EEENS1_30default_config_static_selectorELNS0_4arch9wavefront6targetE1EEEvS14_,@function
_ZN7rocprim17ROCPRIM_400000_NS6detail17trampoline_kernelINS0_14default_configENS1_22reduce_config_selectorIN6thrust23THRUST_200600_302600_NS5tupleIblNS6_9null_typeES8_S8_S8_S8_S8_S8_S8_EEEEZNS1_11reduce_implILb1ES3_NS6_12zip_iteratorINS7_INS6_11hip_rocprim26transform_input_iterator_tIbNSD_35transform_pair_of_input_iterators_tIbNS6_6detail15normal_iteratorINS6_10device_ptrIKbEEEESL_NS6_8equal_toIbEEEENSG_9not_fun_tINSD_8identityEEEEENSD_19counting_iterator_tIlEES8_S8_S8_S8_S8_S8_S8_S8_EEEEPS9_S9_NSD_9__find_if7functorIS9_EEEE10hipError_tPvRmT1_T2_T3_mT4_P12ihipStream_tbEUlT_E1_NS1_11comp_targetILNS1_3genE5ELNS1_11target_archE942ELNS1_3gpuE9ELNS1_3repE0EEENS1_30default_config_static_selectorELNS0_4arch9wavefront6targetE1EEEvS14_: ; @_ZN7rocprim17ROCPRIM_400000_NS6detail17trampoline_kernelINS0_14default_configENS1_22reduce_config_selectorIN6thrust23THRUST_200600_302600_NS5tupleIblNS6_9null_typeES8_S8_S8_S8_S8_S8_S8_EEEEZNS1_11reduce_implILb1ES3_NS6_12zip_iteratorINS7_INS6_11hip_rocprim26transform_input_iterator_tIbNSD_35transform_pair_of_input_iterators_tIbNS6_6detail15normal_iteratorINS6_10device_ptrIKbEEEESL_NS6_8equal_toIbEEEENSG_9not_fun_tINSD_8identityEEEEENSD_19counting_iterator_tIlEES8_S8_S8_S8_S8_S8_S8_S8_EEEEPS9_S9_NSD_9__find_if7functorIS9_EEEE10hipError_tPvRmT1_T2_T3_mT4_P12ihipStream_tbEUlT_E1_NS1_11comp_targetILNS1_3genE5ELNS1_11target_archE942ELNS1_3gpuE9ELNS1_3repE0EEENS1_30default_config_static_selectorELNS0_4arch9wavefront6targetE1EEEvS14_
; %bb.0:
	.section	.rodata,"a",@progbits
	.p2align	6, 0x0
	.amdhsa_kernel _ZN7rocprim17ROCPRIM_400000_NS6detail17trampoline_kernelINS0_14default_configENS1_22reduce_config_selectorIN6thrust23THRUST_200600_302600_NS5tupleIblNS6_9null_typeES8_S8_S8_S8_S8_S8_S8_EEEEZNS1_11reduce_implILb1ES3_NS6_12zip_iteratorINS7_INS6_11hip_rocprim26transform_input_iterator_tIbNSD_35transform_pair_of_input_iterators_tIbNS6_6detail15normal_iteratorINS6_10device_ptrIKbEEEESL_NS6_8equal_toIbEEEENSG_9not_fun_tINSD_8identityEEEEENSD_19counting_iterator_tIlEES8_S8_S8_S8_S8_S8_S8_S8_EEEEPS9_S9_NSD_9__find_if7functorIS9_EEEE10hipError_tPvRmT1_T2_T3_mT4_P12ihipStream_tbEUlT_E1_NS1_11comp_targetILNS1_3genE5ELNS1_11target_archE942ELNS1_3gpuE9ELNS1_3repE0EEENS1_30default_config_static_selectorELNS0_4arch9wavefront6targetE1EEEvS14_
		.amdhsa_group_segment_fixed_size 0
		.amdhsa_private_segment_fixed_size 0
		.amdhsa_kernarg_size 88
		.amdhsa_user_sgpr_count 6
		.amdhsa_user_sgpr_private_segment_buffer 1
		.amdhsa_user_sgpr_dispatch_ptr 0
		.amdhsa_user_sgpr_queue_ptr 0
		.amdhsa_user_sgpr_kernarg_segment_ptr 1
		.amdhsa_user_sgpr_dispatch_id 0
		.amdhsa_user_sgpr_flat_scratch_init 0
		.amdhsa_user_sgpr_private_segment_size 0
		.amdhsa_uses_dynamic_stack 0
		.amdhsa_system_sgpr_private_segment_wavefront_offset 0
		.amdhsa_system_sgpr_workgroup_id_x 1
		.amdhsa_system_sgpr_workgroup_id_y 0
		.amdhsa_system_sgpr_workgroup_id_z 0
		.amdhsa_system_sgpr_workgroup_info 0
		.amdhsa_system_vgpr_workitem_id 0
		.amdhsa_next_free_vgpr 1
		.amdhsa_next_free_sgpr 0
		.amdhsa_reserve_vcc 0
		.amdhsa_reserve_flat_scratch 0
		.amdhsa_float_round_mode_32 0
		.amdhsa_float_round_mode_16_64 0
		.amdhsa_float_denorm_mode_32 3
		.amdhsa_float_denorm_mode_16_64 3
		.amdhsa_dx10_clamp 1
		.amdhsa_ieee_mode 1
		.amdhsa_fp16_overflow 0
		.amdhsa_exception_fp_ieee_invalid_op 0
		.amdhsa_exception_fp_denorm_src 0
		.amdhsa_exception_fp_ieee_div_zero 0
		.amdhsa_exception_fp_ieee_overflow 0
		.amdhsa_exception_fp_ieee_underflow 0
		.amdhsa_exception_fp_ieee_inexact 0
		.amdhsa_exception_int_div_zero 0
	.end_amdhsa_kernel
	.section	.text._ZN7rocprim17ROCPRIM_400000_NS6detail17trampoline_kernelINS0_14default_configENS1_22reduce_config_selectorIN6thrust23THRUST_200600_302600_NS5tupleIblNS6_9null_typeES8_S8_S8_S8_S8_S8_S8_EEEEZNS1_11reduce_implILb1ES3_NS6_12zip_iteratorINS7_INS6_11hip_rocprim26transform_input_iterator_tIbNSD_35transform_pair_of_input_iterators_tIbNS6_6detail15normal_iteratorINS6_10device_ptrIKbEEEESL_NS6_8equal_toIbEEEENSG_9not_fun_tINSD_8identityEEEEENSD_19counting_iterator_tIlEES8_S8_S8_S8_S8_S8_S8_S8_EEEEPS9_S9_NSD_9__find_if7functorIS9_EEEE10hipError_tPvRmT1_T2_T3_mT4_P12ihipStream_tbEUlT_E1_NS1_11comp_targetILNS1_3genE5ELNS1_11target_archE942ELNS1_3gpuE9ELNS1_3repE0EEENS1_30default_config_static_selectorELNS0_4arch9wavefront6targetE1EEEvS14_,"axG",@progbits,_ZN7rocprim17ROCPRIM_400000_NS6detail17trampoline_kernelINS0_14default_configENS1_22reduce_config_selectorIN6thrust23THRUST_200600_302600_NS5tupleIblNS6_9null_typeES8_S8_S8_S8_S8_S8_S8_EEEEZNS1_11reduce_implILb1ES3_NS6_12zip_iteratorINS7_INS6_11hip_rocprim26transform_input_iterator_tIbNSD_35transform_pair_of_input_iterators_tIbNS6_6detail15normal_iteratorINS6_10device_ptrIKbEEEESL_NS6_8equal_toIbEEEENSG_9not_fun_tINSD_8identityEEEEENSD_19counting_iterator_tIlEES8_S8_S8_S8_S8_S8_S8_S8_EEEEPS9_S9_NSD_9__find_if7functorIS9_EEEE10hipError_tPvRmT1_T2_T3_mT4_P12ihipStream_tbEUlT_E1_NS1_11comp_targetILNS1_3genE5ELNS1_11target_archE942ELNS1_3gpuE9ELNS1_3repE0EEENS1_30default_config_static_selectorELNS0_4arch9wavefront6targetE1EEEvS14_,comdat
.Lfunc_end753:
	.size	_ZN7rocprim17ROCPRIM_400000_NS6detail17trampoline_kernelINS0_14default_configENS1_22reduce_config_selectorIN6thrust23THRUST_200600_302600_NS5tupleIblNS6_9null_typeES8_S8_S8_S8_S8_S8_S8_EEEEZNS1_11reduce_implILb1ES3_NS6_12zip_iteratorINS7_INS6_11hip_rocprim26transform_input_iterator_tIbNSD_35transform_pair_of_input_iterators_tIbNS6_6detail15normal_iteratorINS6_10device_ptrIKbEEEESL_NS6_8equal_toIbEEEENSG_9not_fun_tINSD_8identityEEEEENSD_19counting_iterator_tIlEES8_S8_S8_S8_S8_S8_S8_S8_EEEEPS9_S9_NSD_9__find_if7functorIS9_EEEE10hipError_tPvRmT1_T2_T3_mT4_P12ihipStream_tbEUlT_E1_NS1_11comp_targetILNS1_3genE5ELNS1_11target_archE942ELNS1_3gpuE9ELNS1_3repE0EEENS1_30default_config_static_selectorELNS0_4arch9wavefront6targetE1EEEvS14_, .Lfunc_end753-_ZN7rocprim17ROCPRIM_400000_NS6detail17trampoline_kernelINS0_14default_configENS1_22reduce_config_selectorIN6thrust23THRUST_200600_302600_NS5tupleIblNS6_9null_typeES8_S8_S8_S8_S8_S8_S8_EEEEZNS1_11reduce_implILb1ES3_NS6_12zip_iteratorINS7_INS6_11hip_rocprim26transform_input_iterator_tIbNSD_35transform_pair_of_input_iterators_tIbNS6_6detail15normal_iteratorINS6_10device_ptrIKbEEEESL_NS6_8equal_toIbEEEENSG_9not_fun_tINSD_8identityEEEEENSD_19counting_iterator_tIlEES8_S8_S8_S8_S8_S8_S8_S8_EEEEPS9_S9_NSD_9__find_if7functorIS9_EEEE10hipError_tPvRmT1_T2_T3_mT4_P12ihipStream_tbEUlT_E1_NS1_11comp_targetILNS1_3genE5ELNS1_11target_archE942ELNS1_3gpuE9ELNS1_3repE0EEENS1_30default_config_static_selectorELNS0_4arch9wavefront6targetE1EEEvS14_
                                        ; -- End function
	.set _ZN7rocprim17ROCPRIM_400000_NS6detail17trampoline_kernelINS0_14default_configENS1_22reduce_config_selectorIN6thrust23THRUST_200600_302600_NS5tupleIblNS6_9null_typeES8_S8_S8_S8_S8_S8_S8_EEEEZNS1_11reduce_implILb1ES3_NS6_12zip_iteratorINS7_INS6_11hip_rocprim26transform_input_iterator_tIbNSD_35transform_pair_of_input_iterators_tIbNS6_6detail15normal_iteratorINS6_10device_ptrIKbEEEESL_NS6_8equal_toIbEEEENSG_9not_fun_tINSD_8identityEEEEENSD_19counting_iterator_tIlEES8_S8_S8_S8_S8_S8_S8_S8_EEEEPS9_S9_NSD_9__find_if7functorIS9_EEEE10hipError_tPvRmT1_T2_T3_mT4_P12ihipStream_tbEUlT_E1_NS1_11comp_targetILNS1_3genE5ELNS1_11target_archE942ELNS1_3gpuE9ELNS1_3repE0EEENS1_30default_config_static_selectorELNS0_4arch9wavefront6targetE1EEEvS14_.num_vgpr, 0
	.set _ZN7rocprim17ROCPRIM_400000_NS6detail17trampoline_kernelINS0_14default_configENS1_22reduce_config_selectorIN6thrust23THRUST_200600_302600_NS5tupleIblNS6_9null_typeES8_S8_S8_S8_S8_S8_S8_EEEEZNS1_11reduce_implILb1ES3_NS6_12zip_iteratorINS7_INS6_11hip_rocprim26transform_input_iterator_tIbNSD_35transform_pair_of_input_iterators_tIbNS6_6detail15normal_iteratorINS6_10device_ptrIKbEEEESL_NS6_8equal_toIbEEEENSG_9not_fun_tINSD_8identityEEEEENSD_19counting_iterator_tIlEES8_S8_S8_S8_S8_S8_S8_S8_EEEEPS9_S9_NSD_9__find_if7functorIS9_EEEE10hipError_tPvRmT1_T2_T3_mT4_P12ihipStream_tbEUlT_E1_NS1_11comp_targetILNS1_3genE5ELNS1_11target_archE942ELNS1_3gpuE9ELNS1_3repE0EEENS1_30default_config_static_selectorELNS0_4arch9wavefront6targetE1EEEvS14_.num_agpr, 0
	.set _ZN7rocprim17ROCPRIM_400000_NS6detail17trampoline_kernelINS0_14default_configENS1_22reduce_config_selectorIN6thrust23THRUST_200600_302600_NS5tupleIblNS6_9null_typeES8_S8_S8_S8_S8_S8_S8_EEEEZNS1_11reduce_implILb1ES3_NS6_12zip_iteratorINS7_INS6_11hip_rocprim26transform_input_iterator_tIbNSD_35transform_pair_of_input_iterators_tIbNS6_6detail15normal_iteratorINS6_10device_ptrIKbEEEESL_NS6_8equal_toIbEEEENSG_9not_fun_tINSD_8identityEEEEENSD_19counting_iterator_tIlEES8_S8_S8_S8_S8_S8_S8_S8_EEEEPS9_S9_NSD_9__find_if7functorIS9_EEEE10hipError_tPvRmT1_T2_T3_mT4_P12ihipStream_tbEUlT_E1_NS1_11comp_targetILNS1_3genE5ELNS1_11target_archE942ELNS1_3gpuE9ELNS1_3repE0EEENS1_30default_config_static_selectorELNS0_4arch9wavefront6targetE1EEEvS14_.numbered_sgpr, 0
	.set _ZN7rocprim17ROCPRIM_400000_NS6detail17trampoline_kernelINS0_14default_configENS1_22reduce_config_selectorIN6thrust23THRUST_200600_302600_NS5tupleIblNS6_9null_typeES8_S8_S8_S8_S8_S8_S8_EEEEZNS1_11reduce_implILb1ES3_NS6_12zip_iteratorINS7_INS6_11hip_rocprim26transform_input_iterator_tIbNSD_35transform_pair_of_input_iterators_tIbNS6_6detail15normal_iteratorINS6_10device_ptrIKbEEEESL_NS6_8equal_toIbEEEENSG_9not_fun_tINSD_8identityEEEEENSD_19counting_iterator_tIlEES8_S8_S8_S8_S8_S8_S8_S8_EEEEPS9_S9_NSD_9__find_if7functorIS9_EEEE10hipError_tPvRmT1_T2_T3_mT4_P12ihipStream_tbEUlT_E1_NS1_11comp_targetILNS1_3genE5ELNS1_11target_archE942ELNS1_3gpuE9ELNS1_3repE0EEENS1_30default_config_static_selectorELNS0_4arch9wavefront6targetE1EEEvS14_.num_named_barrier, 0
	.set _ZN7rocprim17ROCPRIM_400000_NS6detail17trampoline_kernelINS0_14default_configENS1_22reduce_config_selectorIN6thrust23THRUST_200600_302600_NS5tupleIblNS6_9null_typeES8_S8_S8_S8_S8_S8_S8_EEEEZNS1_11reduce_implILb1ES3_NS6_12zip_iteratorINS7_INS6_11hip_rocprim26transform_input_iterator_tIbNSD_35transform_pair_of_input_iterators_tIbNS6_6detail15normal_iteratorINS6_10device_ptrIKbEEEESL_NS6_8equal_toIbEEEENSG_9not_fun_tINSD_8identityEEEEENSD_19counting_iterator_tIlEES8_S8_S8_S8_S8_S8_S8_S8_EEEEPS9_S9_NSD_9__find_if7functorIS9_EEEE10hipError_tPvRmT1_T2_T3_mT4_P12ihipStream_tbEUlT_E1_NS1_11comp_targetILNS1_3genE5ELNS1_11target_archE942ELNS1_3gpuE9ELNS1_3repE0EEENS1_30default_config_static_selectorELNS0_4arch9wavefront6targetE1EEEvS14_.private_seg_size, 0
	.set _ZN7rocprim17ROCPRIM_400000_NS6detail17trampoline_kernelINS0_14default_configENS1_22reduce_config_selectorIN6thrust23THRUST_200600_302600_NS5tupleIblNS6_9null_typeES8_S8_S8_S8_S8_S8_S8_EEEEZNS1_11reduce_implILb1ES3_NS6_12zip_iteratorINS7_INS6_11hip_rocprim26transform_input_iterator_tIbNSD_35transform_pair_of_input_iterators_tIbNS6_6detail15normal_iteratorINS6_10device_ptrIKbEEEESL_NS6_8equal_toIbEEEENSG_9not_fun_tINSD_8identityEEEEENSD_19counting_iterator_tIlEES8_S8_S8_S8_S8_S8_S8_S8_EEEEPS9_S9_NSD_9__find_if7functorIS9_EEEE10hipError_tPvRmT1_T2_T3_mT4_P12ihipStream_tbEUlT_E1_NS1_11comp_targetILNS1_3genE5ELNS1_11target_archE942ELNS1_3gpuE9ELNS1_3repE0EEENS1_30default_config_static_selectorELNS0_4arch9wavefront6targetE1EEEvS14_.uses_vcc, 0
	.set _ZN7rocprim17ROCPRIM_400000_NS6detail17trampoline_kernelINS0_14default_configENS1_22reduce_config_selectorIN6thrust23THRUST_200600_302600_NS5tupleIblNS6_9null_typeES8_S8_S8_S8_S8_S8_S8_EEEEZNS1_11reduce_implILb1ES3_NS6_12zip_iteratorINS7_INS6_11hip_rocprim26transform_input_iterator_tIbNSD_35transform_pair_of_input_iterators_tIbNS6_6detail15normal_iteratorINS6_10device_ptrIKbEEEESL_NS6_8equal_toIbEEEENSG_9not_fun_tINSD_8identityEEEEENSD_19counting_iterator_tIlEES8_S8_S8_S8_S8_S8_S8_S8_EEEEPS9_S9_NSD_9__find_if7functorIS9_EEEE10hipError_tPvRmT1_T2_T3_mT4_P12ihipStream_tbEUlT_E1_NS1_11comp_targetILNS1_3genE5ELNS1_11target_archE942ELNS1_3gpuE9ELNS1_3repE0EEENS1_30default_config_static_selectorELNS0_4arch9wavefront6targetE1EEEvS14_.uses_flat_scratch, 0
	.set _ZN7rocprim17ROCPRIM_400000_NS6detail17trampoline_kernelINS0_14default_configENS1_22reduce_config_selectorIN6thrust23THRUST_200600_302600_NS5tupleIblNS6_9null_typeES8_S8_S8_S8_S8_S8_S8_EEEEZNS1_11reduce_implILb1ES3_NS6_12zip_iteratorINS7_INS6_11hip_rocprim26transform_input_iterator_tIbNSD_35transform_pair_of_input_iterators_tIbNS6_6detail15normal_iteratorINS6_10device_ptrIKbEEEESL_NS6_8equal_toIbEEEENSG_9not_fun_tINSD_8identityEEEEENSD_19counting_iterator_tIlEES8_S8_S8_S8_S8_S8_S8_S8_EEEEPS9_S9_NSD_9__find_if7functorIS9_EEEE10hipError_tPvRmT1_T2_T3_mT4_P12ihipStream_tbEUlT_E1_NS1_11comp_targetILNS1_3genE5ELNS1_11target_archE942ELNS1_3gpuE9ELNS1_3repE0EEENS1_30default_config_static_selectorELNS0_4arch9wavefront6targetE1EEEvS14_.has_dyn_sized_stack, 0
	.set _ZN7rocprim17ROCPRIM_400000_NS6detail17trampoline_kernelINS0_14default_configENS1_22reduce_config_selectorIN6thrust23THRUST_200600_302600_NS5tupleIblNS6_9null_typeES8_S8_S8_S8_S8_S8_S8_EEEEZNS1_11reduce_implILb1ES3_NS6_12zip_iteratorINS7_INS6_11hip_rocprim26transform_input_iterator_tIbNSD_35transform_pair_of_input_iterators_tIbNS6_6detail15normal_iteratorINS6_10device_ptrIKbEEEESL_NS6_8equal_toIbEEEENSG_9not_fun_tINSD_8identityEEEEENSD_19counting_iterator_tIlEES8_S8_S8_S8_S8_S8_S8_S8_EEEEPS9_S9_NSD_9__find_if7functorIS9_EEEE10hipError_tPvRmT1_T2_T3_mT4_P12ihipStream_tbEUlT_E1_NS1_11comp_targetILNS1_3genE5ELNS1_11target_archE942ELNS1_3gpuE9ELNS1_3repE0EEENS1_30default_config_static_selectorELNS0_4arch9wavefront6targetE1EEEvS14_.has_recursion, 0
	.set _ZN7rocprim17ROCPRIM_400000_NS6detail17trampoline_kernelINS0_14default_configENS1_22reduce_config_selectorIN6thrust23THRUST_200600_302600_NS5tupleIblNS6_9null_typeES8_S8_S8_S8_S8_S8_S8_EEEEZNS1_11reduce_implILb1ES3_NS6_12zip_iteratorINS7_INS6_11hip_rocprim26transform_input_iterator_tIbNSD_35transform_pair_of_input_iterators_tIbNS6_6detail15normal_iteratorINS6_10device_ptrIKbEEEESL_NS6_8equal_toIbEEEENSG_9not_fun_tINSD_8identityEEEEENSD_19counting_iterator_tIlEES8_S8_S8_S8_S8_S8_S8_S8_EEEEPS9_S9_NSD_9__find_if7functorIS9_EEEE10hipError_tPvRmT1_T2_T3_mT4_P12ihipStream_tbEUlT_E1_NS1_11comp_targetILNS1_3genE5ELNS1_11target_archE942ELNS1_3gpuE9ELNS1_3repE0EEENS1_30default_config_static_selectorELNS0_4arch9wavefront6targetE1EEEvS14_.has_indirect_call, 0
	.section	.AMDGPU.csdata,"",@progbits
; Kernel info:
; codeLenInByte = 0
; TotalNumSgprs: 4
; NumVgprs: 0
; ScratchSize: 0
; MemoryBound: 0
; FloatMode: 240
; IeeeMode: 1
; LDSByteSize: 0 bytes/workgroup (compile time only)
; SGPRBlocks: 0
; VGPRBlocks: 0
; NumSGPRsForWavesPerEU: 4
; NumVGPRsForWavesPerEU: 1
; Occupancy: 10
; WaveLimiterHint : 0
; COMPUTE_PGM_RSRC2:SCRATCH_EN: 0
; COMPUTE_PGM_RSRC2:USER_SGPR: 6
; COMPUTE_PGM_RSRC2:TRAP_HANDLER: 0
; COMPUTE_PGM_RSRC2:TGID_X_EN: 1
; COMPUTE_PGM_RSRC2:TGID_Y_EN: 0
; COMPUTE_PGM_RSRC2:TGID_Z_EN: 0
; COMPUTE_PGM_RSRC2:TIDIG_COMP_CNT: 0
	.section	.text._ZN7rocprim17ROCPRIM_400000_NS6detail17trampoline_kernelINS0_14default_configENS1_22reduce_config_selectorIN6thrust23THRUST_200600_302600_NS5tupleIblNS6_9null_typeES8_S8_S8_S8_S8_S8_S8_EEEEZNS1_11reduce_implILb1ES3_NS6_12zip_iteratorINS7_INS6_11hip_rocprim26transform_input_iterator_tIbNSD_35transform_pair_of_input_iterators_tIbNS6_6detail15normal_iteratorINS6_10device_ptrIKbEEEESL_NS6_8equal_toIbEEEENSG_9not_fun_tINSD_8identityEEEEENSD_19counting_iterator_tIlEES8_S8_S8_S8_S8_S8_S8_S8_EEEEPS9_S9_NSD_9__find_if7functorIS9_EEEE10hipError_tPvRmT1_T2_T3_mT4_P12ihipStream_tbEUlT_E1_NS1_11comp_targetILNS1_3genE4ELNS1_11target_archE910ELNS1_3gpuE8ELNS1_3repE0EEENS1_30default_config_static_selectorELNS0_4arch9wavefront6targetE1EEEvS14_,"axG",@progbits,_ZN7rocprim17ROCPRIM_400000_NS6detail17trampoline_kernelINS0_14default_configENS1_22reduce_config_selectorIN6thrust23THRUST_200600_302600_NS5tupleIblNS6_9null_typeES8_S8_S8_S8_S8_S8_S8_EEEEZNS1_11reduce_implILb1ES3_NS6_12zip_iteratorINS7_INS6_11hip_rocprim26transform_input_iterator_tIbNSD_35transform_pair_of_input_iterators_tIbNS6_6detail15normal_iteratorINS6_10device_ptrIKbEEEESL_NS6_8equal_toIbEEEENSG_9not_fun_tINSD_8identityEEEEENSD_19counting_iterator_tIlEES8_S8_S8_S8_S8_S8_S8_S8_EEEEPS9_S9_NSD_9__find_if7functorIS9_EEEE10hipError_tPvRmT1_T2_T3_mT4_P12ihipStream_tbEUlT_E1_NS1_11comp_targetILNS1_3genE4ELNS1_11target_archE910ELNS1_3gpuE8ELNS1_3repE0EEENS1_30default_config_static_selectorELNS0_4arch9wavefront6targetE1EEEvS14_,comdat
	.protected	_ZN7rocprim17ROCPRIM_400000_NS6detail17trampoline_kernelINS0_14default_configENS1_22reduce_config_selectorIN6thrust23THRUST_200600_302600_NS5tupleIblNS6_9null_typeES8_S8_S8_S8_S8_S8_S8_EEEEZNS1_11reduce_implILb1ES3_NS6_12zip_iteratorINS7_INS6_11hip_rocprim26transform_input_iterator_tIbNSD_35transform_pair_of_input_iterators_tIbNS6_6detail15normal_iteratorINS6_10device_ptrIKbEEEESL_NS6_8equal_toIbEEEENSG_9not_fun_tINSD_8identityEEEEENSD_19counting_iterator_tIlEES8_S8_S8_S8_S8_S8_S8_S8_EEEEPS9_S9_NSD_9__find_if7functorIS9_EEEE10hipError_tPvRmT1_T2_T3_mT4_P12ihipStream_tbEUlT_E1_NS1_11comp_targetILNS1_3genE4ELNS1_11target_archE910ELNS1_3gpuE8ELNS1_3repE0EEENS1_30default_config_static_selectorELNS0_4arch9wavefront6targetE1EEEvS14_ ; -- Begin function _ZN7rocprim17ROCPRIM_400000_NS6detail17trampoline_kernelINS0_14default_configENS1_22reduce_config_selectorIN6thrust23THRUST_200600_302600_NS5tupleIblNS6_9null_typeES8_S8_S8_S8_S8_S8_S8_EEEEZNS1_11reduce_implILb1ES3_NS6_12zip_iteratorINS7_INS6_11hip_rocprim26transform_input_iterator_tIbNSD_35transform_pair_of_input_iterators_tIbNS6_6detail15normal_iteratorINS6_10device_ptrIKbEEEESL_NS6_8equal_toIbEEEENSG_9not_fun_tINSD_8identityEEEEENSD_19counting_iterator_tIlEES8_S8_S8_S8_S8_S8_S8_S8_EEEEPS9_S9_NSD_9__find_if7functorIS9_EEEE10hipError_tPvRmT1_T2_T3_mT4_P12ihipStream_tbEUlT_E1_NS1_11comp_targetILNS1_3genE4ELNS1_11target_archE910ELNS1_3gpuE8ELNS1_3repE0EEENS1_30default_config_static_selectorELNS0_4arch9wavefront6targetE1EEEvS14_
	.globl	_ZN7rocprim17ROCPRIM_400000_NS6detail17trampoline_kernelINS0_14default_configENS1_22reduce_config_selectorIN6thrust23THRUST_200600_302600_NS5tupleIblNS6_9null_typeES8_S8_S8_S8_S8_S8_S8_EEEEZNS1_11reduce_implILb1ES3_NS6_12zip_iteratorINS7_INS6_11hip_rocprim26transform_input_iterator_tIbNSD_35transform_pair_of_input_iterators_tIbNS6_6detail15normal_iteratorINS6_10device_ptrIKbEEEESL_NS6_8equal_toIbEEEENSG_9not_fun_tINSD_8identityEEEEENSD_19counting_iterator_tIlEES8_S8_S8_S8_S8_S8_S8_S8_EEEEPS9_S9_NSD_9__find_if7functorIS9_EEEE10hipError_tPvRmT1_T2_T3_mT4_P12ihipStream_tbEUlT_E1_NS1_11comp_targetILNS1_3genE4ELNS1_11target_archE910ELNS1_3gpuE8ELNS1_3repE0EEENS1_30default_config_static_selectorELNS0_4arch9wavefront6targetE1EEEvS14_
	.p2align	8
	.type	_ZN7rocprim17ROCPRIM_400000_NS6detail17trampoline_kernelINS0_14default_configENS1_22reduce_config_selectorIN6thrust23THRUST_200600_302600_NS5tupleIblNS6_9null_typeES8_S8_S8_S8_S8_S8_S8_EEEEZNS1_11reduce_implILb1ES3_NS6_12zip_iteratorINS7_INS6_11hip_rocprim26transform_input_iterator_tIbNSD_35transform_pair_of_input_iterators_tIbNS6_6detail15normal_iteratorINS6_10device_ptrIKbEEEESL_NS6_8equal_toIbEEEENSG_9not_fun_tINSD_8identityEEEEENSD_19counting_iterator_tIlEES8_S8_S8_S8_S8_S8_S8_S8_EEEEPS9_S9_NSD_9__find_if7functorIS9_EEEE10hipError_tPvRmT1_T2_T3_mT4_P12ihipStream_tbEUlT_E1_NS1_11comp_targetILNS1_3genE4ELNS1_11target_archE910ELNS1_3gpuE8ELNS1_3repE0EEENS1_30default_config_static_selectorELNS0_4arch9wavefront6targetE1EEEvS14_,@function
_ZN7rocprim17ROCPRIM_400000_NS6detail17trampoline_kernelINS0_14default_configENS1_22reduce_config_selectorIN6thrust23THRUST_200600_302600_NS5tupleIblNS6_9null_typeES8_S8_S8_S8_S8_S8_S8_EEEEZNS1_11reduce_implILb1ES3_NS6_12zip_iteratorINS7_INS6_11hip_rocprim26transform_input_iterator_tIbNSD_35transform_pair_of_input_iterators_tIbNS6_6detail15normal_iteratorINS6_10device_ptrIKbEEEESL_NS6_8equal_toIbEEEENSG_9not_fun_tINSD_8identityEEEEENSD_19counting_iterator_tIlEES8_S8_S8_S8_S8_S8_S8_S8_EEEEPS9_S9_NSD_9__find_if7functorIS9_EEEE10hipError_tPvRmT1_T2_T3_mT4_P12ihipStream_tbEUlT_E1_NS1_11comp_targetILNS1_3genE4ELNS1_11target_archE910ELNS1_3gpuE8ELNS1_3repE0EEENS1_30default_config_static_selectorELNS0_4arch9wavefront6targetE1EEEvS14_: ; @_ZN7rocprim17ROCPRIM_400000_NS6detail17trampoline_kernelINS0_14default_configENS1_22reduce_config_selectorIN6thrust23THRUST_200600_302600_NS5tupleIblNS6_9null_typeES8_S8_S8_S8_S8_S8_S8_EEEEZNS1_11reduce_implILb1ES3_NS6_12zip_iteratorINS7_INS6_11hip_rocprim26transform_input_iterator_tIbNSD_35transform_pair_of_input_iterators_tIbNS6_6detail15normal_iteratorINS6_10device_ptrIKbEEEESL_NS6_8equal_toIbEEEENSG_9not_fun_tINSD_8identityEEEEENSD_19counting_iterator_tIlEES8_S8_S8_S8_S8_S8_S8_S8_EEEEPS9_S9_NSD_9__find_if7functorIS9_EEEE10hipError_tPvRmT1_T2_T3_mT4_P12ihipStream_tbEUlT_E1_NS1_11comp_targetILNS1_3genE4ELNS1_11target_archE910ELNS1_3gpuE8ELNS1_3repE0EEENS1_30default_config_static_selectorELNS0_4arch9wavefront6targetE1EEEvS14_
; %bb.0:
	.section	.rodata,"a",@progbits
	.p2align	6, 0x0
	.amdhsa_kernel _ZN7rocprim17ROCPRIM_400000_NS6detail17trampoline_kernelINS0_14default_configENS1_22reduce_config_selectorIN6thrust23THRUST_200600_302600_NS5tupleIblNS6_9null_typeES8_S8_S8_S8_S8_S8_S8_EEEEZNS1_11reduce_implILb1ES3_NS6_12zip_iteratorINS7_INS6_11hip_rocprim26transform_input_iterator_tIbNSD_35transform_pair_of_input_iterators_tIbNS6_6detail15normal_iteratorINS6_10device_ptrIKbEEEESL_NS6_8equal_toIbEEEENSG_9not_fun_tINSD_8identityEEEEENSD_19counting_iterator_tIlEES8_S8_S8_S8_S8_S8_S8_S8_EEEEPS9_S9_NSD_9__find_if7functorIS9_EEEE10hipError_tPvRmT1_T2_T3_mT4_P12ihipStream_tbEUlT_E1_NS1_11comp_targetILNS1_3genE4ELNS1_11target_archE910ELNS1_3gpuE8ELNS1_3repE0EEENS1_30default_config_static_selectorELNS0_4arch9wavefront6targetE1EEEvS14_
		.amdhsa_group_segment_fixed_size 0
		.amdhsa_private_segment_fixed_size 0
		.amdhsa_kernarg_size 88
		.amdhsa_user_sgpr_count 6
		.amdhsa_user_sgpr_private_segment_buffer 1
		.amdhsa_user_sgpr_dispatch_ptr 0
		.amdhsa_user_sgpr_queue_ptr 0
		.amdhsa_user_sgpr_kernarg_segment_ptr 1
		.amdhsa_user_sgpr_dispatch_id 0
		.amdhsa_user_sgpr_flat_scratch_init 0
		.amdhsa_user_sgpr_private_segment_size 0
		.amdhsa_uses_dynamic_stack 0
		.amdhsa_system_sgpr_private_segment_wavefront_offset 0
		.amdhsa_system_sgpr_workgroup_id_x 1
		.amdhsa_system_sgpr_workgroup_id_y 0
		.amdhsa_system_sgpr_workgroup_id_z 0
		.amdhsa_system_sgpr_workgroup_info 0
		.amdhsa_system_vgpr_workitem_id 0
		.amdhsa_next_free_vgpr 1
		.amdhsa_next_free_sgpr 0
		.amdhsa_reserve_vcc 0
		.amdhsa_reserve_flat_scratch 0
		.amdhsa_float_round_mode_32 0
		.amdhsa_float_round_mode_16_64 0
		.amdhsa_float_denorm_mode_32 3
		.amdhsa_float_denorm_mode_16_64 3
		.amdhsa_dx10_clamp 1
		.amdhsa_ieee_mode 1
		.amdhsa_fp16_overflow 0
		.amdhsa_exception_fp_ieee_invalid_op 0
		.amdhsa_exception_fp_denorm_src 0
		.amdhsa_exception_fp_ieee_div_zero 0
		.amdhsa_exception_fp_ieee_overflow 0
		.amdhsa_exception_fp_ieee_underflow 0
		.amdhsa_exception_fp_ieee_inexact 0
		.amdhsa_exception_int_div_zero 0
	.end_amdhsa_kernel
	.section	.text._ZN7rocprim17ROCPRIM_400000_NS6detail17trampoline_kernelINS0_14default_configENS1_22reduce_config_selectorIN6thrust23THRUST_200600_302600_NS5tupleIblNS6_9null_typeES8_S8_S8_S8_S8_S8_S8_EEEEZNS1_11reduce_implILb1ES3_NS6_12zip_iteratorINS7_INS6_11hip_rocprim26transform_input_iterator_tIbNSD_35transform_pair_of_input_iterators_tIbNS6_6detail15normal_iteratorINS6_10device_ptrIKbEEEESL_NS6_8equal_toIbEEEENSG_9not_fun_tINSD_8identityEEEEENSD_19counting_iterator_tIlEES8_S8_S8_S8_S8_S8_S8_S8_EEEEPS9_S9_NSD_9__find_if7functorIS9_EEEE10hipError_tPvRmT1_T2_T3_mT4_P12ihipStream_tbEUlT_E1_NS1_11comp_targetILNS1_3genE4ELNS1_11target_archE910ELNS1_3gpuE8ELNS1_3repE0EEENS1_30default_config_static_selectorELNS0_4arch9wavefront6targetE1EEEvS14_,"axG",@progbits,_ZN7rocprim17ROCPRIM_400000_NS6detail17trampoline_kernelINS0_14default_configENS1_22reduce_config_selectorIN6thrust23THRUST_200600_302600_NS5tupleIblNS6_9null_typeES8_S8_S8_S8_S8_S8_S8_EEEEZNS1_11reduce_implILb1ES3_NS6_12zip_iteratorINS7_INS6_11hip_rocprim26transform_input_iterator_tIbNSD_35transform_pair_of_input_iterators_tIbNS6_6detail15normal_iteratorINS6_10device_ptrIKbEEEESL_NS6_8equal_toIbEEEENSG_9not_fun_tINSD_8identityEEEEENSD_19counting_iterator_tIlEES8_S8_S8_S8_S8_S8_S8_S8_EEEEPS9_S9_NSD_9__find_if7functorIS9_EEEE10hipError_tPvRmT1_T2_T3_mT4_P12ihipStream_tbEUlT_E1_NS1_11comp_targetILNS1_3genE4ELNS1_11target_archE910ELNS1_3gpuE8ELNS1_3repE0EEENS1_30default_config_static_selectorELNS0_4arch9wavefront6targetE1EEEvS14_,comdat
.Lfunc_end754:
	.size	_ZN7rocprim17ROCPRIM_400000_NS6detail17trampoline_kernelINS0_14default_configENS1_22reduce_config_selectorIN6thrust23THRUST_200600_302600_NS5tupleIblNS6_9null_typeES8_S8_S8_S8_S8_S8_S8_EEEEZNS1_11reduce_implILb1ES3_NS6_12zip_iteratorINS7_INS6_11hip_rocprim26transform_input_iterator_tIbNSD_35transform_pair_of_input_iterators_tIbNS6_6detail15normal_iteratorINS6_10device_ptrIKbEEEESL_NS6_8equal_toIbEEEENSG_9not_fun_tINSD_8identityEEEEENSD_19counting_iterator_tIlEES8_S8_S8_S8_S8_S8_S8_S8_EEEEPS9_S9_NSD_9__find_if7functorIS9_EEEE10hipError_tPvRmT1_T2_T3_mT4_P12ihipStream_tbEUlT_E1_NS1_11comp_targetILNS1_3genE4ELNS1_11target_archE910ELNS1_3gpuE8ELNS1_3repE0EEENS1_30default_config_static_selectorELNS0_4arch9wavefront6targetE1EEEvS14_, .Lfunc_end754-_ZN7rocprim17ROCPRIM_400000_NS6detail17trampoline_kernelINS0_14default_configENS1_22reduce_config_selectorIN6thrust23THRUST_200600_302600_NS5tupleIblNS6_9null_typeES8_S8_S8_S8_S8_S8_S8_EEEEZNS1_11reduce_implILb1ES3_NS6_12zip_iteratorINS7_INS6_11hip_rocprim26transform_input_iterator_tIbNSD_35transform_pair_of_input_iterators_tIbNS6_6detail15normal_iteratorINS6_10device_ptrIKbEEEESL_NS6_8equal_toIbEEEENSG_9not_fun_tINSD_8identityEEEEENSD_19counting_iterator_tIlEES8_S8_S8_S8_S8_S8_S8_S8_EEEEPS9_S9_NSD_9__find_if7functorIS9_EEEE10hipError_tPvRmT1_T2_T3_mT4_P12ihipStream_tbEUlT_E1_NS1_11comp_targetILNS1_3genE4ELNS1_11target_archE910ELNS1_3gpuE8ELNS1_3repE0EEENS1_30default_config_static_selectorELNS0_4arch9wavefront6targetE1EEEvS14_
                                        ; -- End function
	.set _ZN7rocprim17ROCPRIM_400000_NS6detail17trampoline_kernelINS0_14default_configENS1_22reduce_config_selectorIN6thrust23THRUST_200600_302600_NS5tupleIblNS6_9null_typeES8_S8_S8_S8_S8_S8_S8_EEEEZNS1_11reduce_implILb1ES3_NS6_12zip_iteratorINS7_INS6_11hip_rocprim26transform_input_iterator_tIbNSD_35transform_pair_of_input_iterators_tIbNS6_6detail15normal_iteratorINS6_10device_ptrIKbEEEESL_NS6_8equal_toIbEEEENSG_9not_fun_tINSD_8identityEEEEENSD_19counting_iterator_tIlEES8_S8_S8_S8_S8_S8_S8_S8_EEEEPS9_S9_NSD_9__find_if7functorIS9_EEEE10hipError_tPvRmT1_T2_T3_mT4_P12ihipStream_tbEUlT_E1_NS1_11comp_targetILNS1_3genE4ELNS1_11target_archE910ELNS1_3gpuE8ELNS1_3repE0EEENS1_30default_config_static_selectorELNS0_4arch9wavefront6targetE1EEEvS14_.num_vgpr, 0
	.set _ZN7rocprim17ROCPRIM_400000_NS6detail17trampoline_kernelINS0_14default_configENS1_22reduce_config_selectorIN6thrust23THRUST_200600_302600_NS5tupleIblNS6_9null_typeES8_S8_S8_S8_S8_S8_S8_EEEEZNS1_11reduce_implILb1ES3_NS6_12zip_iteratorINS7_INS6_11hip_rocprim26transform_input_iterator_tIbNSD_35transform_pair_of_input_iterators_tIbNS6_6detail15normal_iteratorINS6_10device_ptrIKbEEEESL_NS6_8equal_toIbEEEENSG_9not_fun_tINSD_8identityEEEEENSD_19counting_iterator_tIlEES8_S8_S8_S8_S8_S8_S8_S8_EEEEPS9_S9_NSD_9__find_if7functorIS9_EEEE10hipError_tPvRmT1_T2_T3_mT4_P12ihipStream_tbEUlT_E1_NS1_11comp_targetILNS1_3genE4ELNS1_11target_archE910ELNS1_3gpuE8ELNS1_3repE0EEENS1_30default_config_static_selectorELNS0_4arch9wavefront6targetE1EEEvS14_.num_agpr, 0
	.set _ZN7rocprim17ROCPRIM_400000_NS6detail17trampoline_kernelINS0_14default_configENS1_22reduce_config_selectorIN6thrust23THRUST_200600_302600_NS5tupleIblNS6_9null_typeES8_S8_S8_S8_S8_S8_S8_EEEEZNS1_11reduce_implILb1ES3_NS6_12zip_iteratorINS7_INS6_11hip_rocprim26transform_input_iterator_tIbNSD_35transform_pair_of_input_iterators_tIbNS6_6detail15normal_iteratorINS6_10device_ptrIKbEEEESL_NS6_8equal_toIbEEEENSG_9not_fun_tINSD_8identityEEEEENSD_19counting_iterator_tIlEES8_S8_S8_S8_S8_S8_S8_S8_EEEEPS9_S9_NSD_9__find_if7functorIS9_EEEE10hipError_tPvRmT1_T2_T3_mT4_P12ihipStream_tbEUlT_E1_NS1_11comp_targetILNS1_3genE4ELNS1_11target_archE910ELNS1_3gpuE8ELNS1_3repE0EEENS1_30default_config_static_selectorELNS0_4arch9wavefront6targetE1EEEvS14_.numbered_sgpr, 0
	.set _ZN7rocprim17ROCPRIM_400000_NS6detail17trampoline_kernelINS0_14default_configENS1_22reduce_config_selectorIN6thrust23THRUST_200600_302600_NS5tupleIblNS6_9null_typeES8_S8_S8_S8_S8_S8_S8_EEEEZNS1_11reduce_implILb1ES3_NS6_12zip_iteratorINS7_INS6_11hip_rocprim26transform_input_iterator_tIbNSD_35transform_pair_of_input_iterators_tIbNS6_6detail15normal_iteratorINS6_10device_ptrIKbEEEESL_NS6_8equal_toIbEEEENSG_9not_fun_tINSD_8identityEEEEENSD_19counting_iterator_tIlEES8_S8_S8_S8_S8_S8_S8_S8_EEEEPS9_S9_NSD_9__find_if7functorIS9_EEEE10hipError_tPvRmT1_T2_T3_mT4_P12ihipStream_tbEUlT_E1_NS1_11comp_targetILNS1_3genE4ELNS1_11target_archE910ELNS1_3gpuE8ELNS1_3repE0EEENS1_30default_config_static_selectorELNS0_4arch9wavefront6targetE1EEEvS14_.num_named_barrier, 0
	.set _ZN7rocprim17ROCPRIM_400000_NS6detail17trampoline_kernelINS0_14default_configENS1_22reduce_config_selectorIN6thrust23THRUST_200600_302600_NS5tupleIblNS6_9null_typeES8_S8_S8_S8_S8_S8_S8_EEEEZNS1_11reduce_implILb1ES3_NS6_12zip_iteratorINS7_INS6_11hip_rocprim26transform_input_iterator_tIbNSD_35transform_pair_of_input_iterators_tIbNS6_6detail15normal_iteratorINS6_10device_ptrIKbEEEESL_NS6_8equal_toIbEEEENSG_9not_fun_tINSD_8identityEEEEENSD_19counting_iterator_tIlEES8_S8_S8_S8_S8_S8_S8_S8_EEEEPS9_S9_NSD_9__find_if7functorIS9_EEEE10hipError_tPvRmT1_T2_T3_mT4_P12ihipStream_tbEUlT_E1_NS1_11comp_targetILNS1_3genE4ELNS1_11target_archE910ELNS1_3gpuE8ELNS1_3repE0EEENS1_30default_config_static_selectorELNS0_4arch9wavefront6targetE1EEEvS14_.private_seg_size, 0
	.set _ZN7rocprim17ROCPRIM_400000_NS6detail17trampoline_kernelINS0_14default_configENS1_22reduce_config_selectorIN6thrust23THRUST_200600_302600_NS5tupleIblNS6_9null_typeES8_S8_S8_S8_S8_S8_S8_EEEEZNS1_11reduce_implILb1ES3_NS6_12zip_iteratorINS7_INS6_11hip_rocprim26transform_input_iterator_tIbNSD_35transform_pair_of_input_iterators_tIbNS6_6detail15normal_iteratorINS6_10device_ptrIKbEEEESL_NS6_8equal_toIbEEEENSG_9not_fun_tINSD_8identityEEEEENSD_19counting_iterator_tIlEES8_S8_S8_S8_S8_S8_S8_S8_EEEEPS9_S9_NSD_9__find_if7functorIS9_EEEE10hipError_tPvRmT1_T2_T3_mT4_P12ihipStream_tbEUlT_E1_NS1_11comp_targetILNS1_3genE4ELNS1_11target_archE910ELNS1_3gpuE8ELNS1_3repE0EEENS1_30default_config_static_selectorELNS0_4arch9wavefront6targetE1EEEvS14_.uses_vcc, 0
	.set _ZN7rocprim17ROCPRIM_400000_NS6detail17trampoline_kernelINS0_14default_configENS1_22reduce_config_selectorIN6thrust23THRUST_200600_302600_NS5tupleIblNS6_9null_typeES8_S8_S8_S8_S8_S8_S8_EEEEZNS1_11reduce_implILb1ES3_NS6_12zip_iteratorINS7_INS6_11hip_rocprim26transform_input_iterator_tIbNSD_35transform_pair_of_input_iterators_tIbNS6_6detail15normal_iteratorINS6_10device_ptrIKbEEEESL_NS6_8equal_toIbEEEENSG_9not_fun_tINSD_8identityEEEEENSD_19counting_iterator_tIlEES8_S8_S8_S8_S8_S8_S8_S8_EEEEPS9_S9_NSD_9__find_if7functorIS9_EEEE10hipError_tPvRmT1_T2_T3_mT4_P12ihipStream_tbEUlT_E1_NS1_11comp_targetILNS1_3genE4ELNS1_11target_archE910ELNS1_3gpuE8ELNS1_3repE0EEENS1_30default_config_static_selectorELNS0_4arch9wavefront6targetE1EEEvS14_.uses_flat_scratch, 0
	.set _ZN7rocprim17ROCPRIM_400000_NS6detail17trampoline_kernelINS0_14default_configENS1_22reduce_config_selectorIN6thrust23THRUST_200600_302600_NS5tupleIblNS6_9null_typeES8_S8_S8_S8_S8_S8_S8_EEEEZNS1_11reduce_implILb1ES3_NS6_12zip_iteratorINS7_INS6_11hip_rocprim26transform_input_iterator_tIbNSD_35transform_pair_of_input_iterators_tIbNS6_6detail15normal_iteratorINS6_10device_ptrIKbEEEESL_NS6_8equal_toIbEEEENSG_9not_fun_tINSD_8identityEEEEENSD_19counting_iterator_tIlEES8_S8_S8_S8_S8_S8_S8_S8_EEEEPS9_S9_NSD_9__find_if7functorIS9_EEEE10hipError_tPvRmT1_T2_T3_mT4_P12ihipStream_tbEUlT_E1_NS1_11comp_targetILNS1_3genE4ELNS1_11target_archE910ELNS1_3gpuE8ELNS1_3repE0EEENS1_30default_config_static_selectorELNS0_4arch9wavefront6targetE1EEEvS14_.has_dyn_sized_stack, 0
	.set _ZN7rocprim17ROCPRIM_400000_NS6detail17trampoline_kernelINS0_14default_configENS1_22reduce_config_selectorIN6thrust23THRUST_200600_302600_NS5tupleIblNS6_9null_typeES8_S8_S8_S8_S8_S8_S8_EEEEZNS1_11reduce_implILb1ES3_NS6_12zip_iteratorINS7_INS6_11hip_rocprim26transform_input_iterator_tIbNSD_35transform_pair_of_input_iterators_tIbNS6_6detail15normal_iteratorINS6_10device_ptrIKbEEEESL_NS6_8equal_toIbEEEENSG_9not_fun_tINSD_8identityEEEEENSD_19counting_iterator_tIlEES8_S8_S8_S8_S8_S8_S8_S8_EEEEPS9_S9_NSD_9__find_if7functorIS9_EEEE10hipError_tPvRmT1_T2_T3_mT4_P12ihipStream_tbEUlT_E1_NS1_11comp_targetILNS1_3genE4ELNS1_11target_archE910ELNS1_3gpuE8ELNS1_3repE0EEENS1_30default_config_static_selectorELNS0_4arch9wavefront6targetE1EEEvS14_.has_recursion, 0
	.set _ZN7rocprim17ROCPRIM_400000_NS6detail17trampoline_kernelINS0_14default_configENS1_22reduce_config_selectorIN6thrust23THRUST_200600_302600_NS5tupleIblNS6_9null_typeES8_S8_S8_S8_S8_S8_S8_EEEEZNS1_11reduce_implILb1ES3_NS6_12zip_iteratorINS7_INS6_11hip_rocprim26transform_input_iterator_tIbNSD_35transform_pair_of_input_iterators_tIbNS6_6detail15normal_iteratorINS6_10device_ptrIKbEEEESL_NS6_8equal_toIbEEEENSG_9not_fun_tINSD_8identityEEEEENSD_19counting_iterator_tIlEES8_S8_S8_S8_S8_S8_S8_S8_EEEEPS9_S9_NSD_9__find_if7functorIS9_EEEE10hipError_tPvRmT1_T2_T3_mT4_P12ihipStream_tbEUlT_E1_NS1_11comp_targetILNS1_3genE4ELNS1_11target_archE910ELNS1_3gpuE8ELNS1_3repE0EEENS1_30default_config_static_selectorELNS0_4arch9wavefront6targetE1EEEvS14_.has_indirect_call, 0
	.section	.AMDGPU.csdata,"",@progbits
; Kernel info:
; codeLenInByte = 0
; TotalNumSgprs: 4
; NumVgprs: 0
; ScratchSize: 0
; MemoryBound: 0
; FloatMode: 240
; IeeeMode: 1
; LDSByteSize: 0 bytes/workgroup (compile time only)
; SGPRBlocks: 0
; VGPRBlocks: 0
; NumSGPRsForWavesPerEU: 4
; NumVGPRsForWavesPerEU: 1
; Occupancy: 10
; WaveLimiterHint : 0
; COMPUTE_PGM_RSRC2:SCRATCH_EN: 0
; COMPUTE_PGM_RSRC2:USER_SGPR: 6
; COMPUTE_PGM_RSRC2:TRAP_HANDLER: 0
; COMPUTE_PGM_RSRC2:TGID_X_EN: 1
; COMPUTE_PGM_RSRC2:TGID_Y_EN: 0
; COMPUTE_PGM_RSRC2:TGID_Z_EN: 0
; COMPUTE_PGM_RSRC2:TIDIG_COMP_CNT: 0
	.section	.text._ZN7rocprim17ROCPRIM_400000_NS6detail17trampoline_kernelINS0_14default_configENS1_22reduce_config_selectorIN6thrust23THRUST_200600_302600_NS5tupleIblNS6_9null_typeES8_S8_S8_S8_S8_S8_S8_EEEEZNS1_11reduce_implILb1ES3_NS6_12zip_iteratorINS7_INS6_11hip_rocprim26transform_input_iterator_tIbNSD_35transform_pair_of_input_iterators_tIbNS6_6detail15normal_iteratorINS6_10device_ptrIKbEEEESL_NS6_8equal_toIbEEEENSG_9not_fun_tINSD_8identityEEEEENSD_19counting_iterator_tIlEES8_S8_S8_S8_S8_S8_S8_S8_EEEEPS9_S9_NSD_9__find_if7functorIS9_EEEE10hipError_tPvRmT1_T2_T3_mT4_P12ihipStream_tbEUlT_E1_NS1_11comp_targetILNS1_3genE3ELNS1_11target_archE908ELNS1_3gpuE7ELNS1_3repE0EEENS1_30default_config_static_selectorELNS0_4arch9wavefront6targetE1EEEvS14_,"axG",@progbits,_ZN7rocprim17ROCPRIM_400000_NS6detail17trampoline_kernelINS0_14default_configENS1_22reduce_config_selectorIN6thrust23THRUST_200600_302600_NS5tupleIblNS6_9null_typeES8_S8_S8_S8_S8_S8_S8_EEEEZNS1_11reduce_implILb1ES3_NS6_12zip_iteratorINS7_INS6_11hip_rocprim26transform_input_iterator_tIbNSD_35transform_pair_of_input_iterators_tIbNS6_6detail15normal_iteratorINS6_10device_ptrIKbEEEESL_NS6_8equal_toIbEEEENSG_9not_fun_tINSD_8identityEEEEENSD_19counting_iterator_tIlEES8_S8_S8_S8_S8_S8_S8_S8_EEEEPS9_S9_NSD_9__find_if7functorIS9_EEEE10hipError_tPvRmT1_T2_T3_mT4_P12ihipStream_tbEUlT_E1_NS1_11comp_targetILNS1_3genE3ELNS1_11target_archE908ELNS1_3gpuE7ELNS1_3repE0EEENS1_30default_config_static_selectorELNS0_4arch9wavefront6targetE1EEEvS14_,comdat
	.protected	_ZN7rocprim17ROCPRIM_400000_NS6detail17trampoline_kernelINS0_14default_configENS1_22reduce_config_selectorIN6thrust23THRUST_200600_302600_NS5tupleIblNS6_9null_typeES8_S8_S8_S8_S8_S8_S8_EEEEZNS1_11reduce_implILb1ES3_NS6_12zip_iteratorINS7_INS6_11hip_rocprim26transform_input_iterator_tIbNSD_35transform_pair_of_input_iterators_tIbNS6_6detail15normal_iteratorINS6_10device_ptrIKbEEEESL_NS6_8equal_toIbEEEENSG_9not_fun_tINSD_8identityEEEEENSD_19counting_iterator_tIlEES8_S8_S8_S8_S8_S8_S8_S8_EEEEPS9_S9_NSD_9__find_if7functorIS9_EEEE10hipError_tPvRmT1_T2_T3_mT4_P12ihipStream_tbEUlT_E1_NS1_11comp_targetILNS1_3genE3ELNS1_11target_archE908ELNS1_3gpuE7ELNS1_3repE0EEENS1_30default_config_static_selectorELNS0_4arch9wavefront6targetE1EEEvS14_ ; -- Begin function _ZN7rocprim17ROCPRIM_400000_NS6detail17trampoline_kernelINS0_14default_configENS1_22reduce_config_selectorIN6thrust23THRUST_200600_302600_NS5tupleIblNS6_9null_typeES8_S8_S8_S8_S8_S8_S8_EEEEZNS1_11reduce_implILb1ES3_NS6_12zip_iteratorINS7_INS6_11hip_rocprim26transform_input_iterator_tIbNSD_35transform_pair_of_input_iterators_tIbNS6_6detail15normal_iteratorINS6_10device_ptrIKbEEEESL_NS6_8equal_toIbEEEENSG_9not_fun_tINSD_8identityEEEEENSD_19counting_iterator_tIlEES8_S8_S8_S8_S8_S8_S8_S8_EEEEPS9_S9_NSD_9__find_if7functorIS9_EEEE10hipError_tPvRmT1_T2_T3_mT4_P12ihipStream_tbEUlT_E1_NS1_11comp_targetILNS1_3genE3ELNS1_11target_archE908ELNS1_3gpuE7ELNS1_3repE0EEENS1_30default_config_static_selectorELNS0_4arch9wavefront6targetE1EEEvS14_
	.globl	_ZN7rocprim17ROCPRIM_400000_NS6detail17trampoline_kernelINS0_14default_configENS1_22reduce_config_selectorIN6thrust23THRUST_200600_302600_NS5tupleIblNS6_9null_typeES8_S8_S8_S8_S8_S8_S8_EEEEZNS1_11reduce_implILb1ES3_NS6_12zip_iteratorINS7_INS6_11hip_rocprim26transform_input_iterator_tIbNSD_35transform_pair_of_input_iterators_tIbNS6_6detail15normal_iteratorINS6_10device_ptrIKbEEEESL_NS6_8equal_toIbEEEENSG_9not_fun_tINSD_8identityEEEEENSD_19counting_iterator_tIlEES8_S8_S8_S8_S8_S8_S8_S8_EEEEPS9_S9_NSD_9__find_if7functorIS9_EEEE10hipError_tPvRmT1_T2_T3_mT4_P12ihipStream_tbEUlT_E1_NS1_11comp_targetILNS1_3genE3ELNS1_11target_archE908ELNS1_3gpuE7ELNS1_3repE0EEENS1_30default_config_static_selectorELNS0_4arch9wavefront6targetE1EEEvS14_
	.p2align	8
	.type	_ZN7rocprim17ROCPRIM_400000_NS6detail17trampoline_kernelINS0_14default_configENS1_22reduce_config_selectorIN6thrust23THRUST_200600_302600_NS5tupleIblNS6_9null_typeES8_S8_S8_S8_S8_S8_S8_EEEEZNS1_11reduce_implILb1ES3_NS6_12zip_iteratorINS7_INS6_11hip_rocprim26transform_input_iterator_tIbNSD_35transform_pair_of_input_iterators_tIbNS6_6detail15normal_iteratorINS6_10device_ptrIKbEEEESL_NS6_8equal_toIbEEEENSG_9not_fun_tINSD_8identityEEEEENSD_19counting_iterator_tIlEES8_S8_S8_S8_S8_S8_S8_S8_EEEEPS9_S9_NSD_9__find_if7functorIS9_EEEE10hipError_tPvRmT1_T2_T3_mT4_P12ihipStream_tbEUlT_E1_NS1_11comp_targetILNS1_3genE3ELNS1_11target_archE908ELNS1_3gpuE7ELNS1_3repE0EEENS1_30default_config_static_selectorELNS0_4arch9wavefront6targetE1EEEvS14_,@function
_ZN7rocprim17ROCPRIM_400000_NS6detail17trampoline_kernelINS0_14default_configENS1_22reduce_config_selectorIN6thrust23THRUST_200600_302600_NS5tupleIblNS6_9null_typeES8_S8_S8_S8_S8_S8_S8_EEEEZNS1_11reduce_implILb1ES3_NS6_12zip_iteratorINS7_INS6_11hip_rocprim26transform_input_iterator_tIbNSD_35transform_pair_of_input_iterators_tIbNS6_6detail15normal_iteratorINS6_10device_ptrIKbEEEESL_NS6_8equal_toIbEEEENSG_9not_fun_tINSD_8identityEEEEENSD_19counting_iterator_tIlEES8_S8_S8_S8_S8_S8_S8_S8_EEEEPS9_S9_NSD_9__find_if7functorIS9_EEEE10hipError_tPvRmT1_T2_T3_mT4_P12ihipStream_tbEUlT_E1_NS1_11comp_targetILNS1_3genE3ELNS1_11target_archE908ELNS1_3gpuE7ELNS1_3repE0EEENS1_30default_config_static_selectorELNS0_4arch9wavefront6targetE1EEEvS14_: ; @_ZN7rocprim17ROCPRIM_400000_NS6detail17trampoline_kernelINS0_14default_configENS1_22reduce_config_selectorIN6thrust23THRUST_200600_302600_NS5tupleIblNS6_9null_typeES8_S8_S8_S8_S8_S8_S8_EEEEZNS1_11reduce_implILb1ES3_NS6_12zip_iteratorINS7_INS6_11hip_rocprim26transform_input_iterator_tIbNSD_35transform_pair_of_input_iterators_tIbNS6_6detail15normal_iteratorINS6_10device_ptrIKbEEEESL_NS6_8equal_toIbEEEENSG_9not_fun_tINSD_8identityEEEEENSD_19counting_iterator_tIlEES8_S8_S8_S8_S8_S8_S8_S8_EEEEPS9_S9_NSD_9__find_if7functorIS9_EEEE10hipError_tPvRmT1_T2_T3_mT4_P12ihipStream_tbEUlT_E1_NS1_11comp_targetILNS1_3genE3ELNS1_11target_archE908ELNS1_3gpuE7ELNS1_3repE0EEENS1_30default_config_static_selectorELNS0_4arch9wavefront6targetE1EEEvS14_
; %bb.0:
	.section	.rodata,"a",@progbits
	.p2align	6, 0x0
	.amdhsa_kernel _ZN7rocprim17ROCPRIM_400000_NS6detail17trampoline_kernelINS0_14default_configENS1_22reduce_config_selectorIN6thrust23THRUST_200600_302600_NS5tupleIblNS6_9null_typeES8_S8_S8_S8_S8_S8_S8_EEEEZNS1_11reduce_implILb1ES3_NS6_12zip_iteratorINS7_INS6_11hip_rocprim26transform_input_iterator_tIbNSD_35transform_pair_of_input_iterators_tIbNS6_6detail15normal_iteratorINS6_10device_ptrIKbEEEESL_NS6_8equal_toIbEEEENSG_9not_fun_tINSD_8identityEEEEENSD_19counting_iterator_tIlEES8_S8_S8_S8_S8_S8_S8_S8_EEEEPS9_S9_NSD_9__find_if7functorIS9_EEEE10hipError_tPvRmT1_T2_T3_mT4_P12ihipStream_tbEUlT_E1_NS1_11comp_targetILNS1_3genE3ELNS1_11target_archE908ELNS1_3gpuE7ELNS1_3repE0EEENS1_30default_config_static_selectorELNS0_4arch9wavefront6targetE1EEEvS14_
		.amdhsa_group_segment_fixed_size 0
		.amdhsa_private_segment_fixed_size 0
		.amdhsa_kernarg_size 88
		.amdhsa_user_sgpr_count 6
		.amdhsa_user_sgpr_private_segment_buffer 1
		.amdhsa_user_sgpr_dispatch_ptr 0
		.amdhsa_user_sgpr_queue_ptr 0
		.amdhsa_user_sgpr_kernarg_segment_ptr 1
		.amdhsa_user_sgpr_dispatch_id 0
		.amdhsa_user_sgpr_flat_scratch_init 0
		.amdhsa_user_sgpr_private_segment_size 0
		.amdhsa_uses_dynamic_stack 0
		.amdhsa_system_sgpr_private_segment_wavefront_offset 0
		.amdhsa_system_sgpr_workgroup_id_x 1
		.amdhsa_system_sgpr_workgroup_id_y 0
		.amdhsa_system_sgpr_workgroup_id_z 0
		.amdhsa_system_sgpr_workgroup_info 0
		.amdhsa_system_vgpr_workitem_id 0
		.amdhsa_next_free_vgpr 1
		.amdhsa_next_free_sgpr 0
		.amdhsa_reserve_vcc 0
		.amdhsa_reserve_flat_scratch 0
		.amdhsa_float_round_mode_32 0
		.amdhsa_float_round_mode_16_64 0
		.amdhsa_float_denorm_mode_32 3
		.amdhsa_float_denorm_mode_16_64 3
		.amdhsa_dx10_clamp 1
		.amdhsa_ieee_mode 1
		.amdhsa_fp16_overflow 0
		.amdhsa_exception_fp_ieee_invalid_op 0
		.amdhsa_exception_fp_denorm_src 0
		.amdhsa_exception_fp_ieee_div_zero 0
		.amdhsa_exception_fp_ieee_overflow 0
		.amdhsa_exception_fp_ieee_underflow 0
		.amdhsa_exception_fp_ieee_inexact 0
		.amdhsa_exception_int_div_zero 0
	.end_amdhsa_kernel
	.section	.text._ZN7rocprim17ROCPRIM_400000_NS6detail17trampoline_kernelINS0_14default_configENS1_22reduce_config_selectorIN6thrust23THRUST_200600_302600_NS5tupleIblNS6_9null_typeES8_S8_S8_S8_S8_S8_S8_EEEEZNS1_11reduce_implILb1ES3_NS6_12zip_iteratorINS7_INS6_11hip_rocprim26transform_input_iterator_tIbNSD_35transform_pair_of_input_iterators_tIbNS6_6detail15normal_iteratorINS6_10device_ptrIKbEEEESL_NS6_8equal_toIbEEEENSG_9not_fun_tINSD_8identityEEEEENSD_19counting_iterator_tIlEES8_S8_S8_S8_S8_S8_S8_S8_EEEEPS9_S9_NSD_9__find_if7functorIS9_EEEE10hipError_tPvRmT1_T2_T3_mT4_P12ihipStream_tbEUlT_E1_NS1_11comp_targetILNS1_3genE3ELNS1_11target_archE908ELNS1_3gpuE7ELNS1_3repE0EEENS1_30default_config_static_selectorELNS0_4arch9wavefront6targetE1EEEvS14_,"axG",@progbits,_ZN7rocprim17ROCPRIM_400000_NS6detail17trampoline_kernelINS0_14default_configENS1_22reduce_config_selectorIN6thrust23THRUST_200600_302600_NS5tupleIblNS6_9null_typeES8_S8_S8_S8_S8_S8_S8_EEEEZNS1_11reduce_implILb1ES3_NS6_12zip_iteratorINS7_INS6_11hip_rocprim26transform_input_iterator_tIbNSD_35transform_pair_of_input_iterators_tIbNS6_6detail15normal_iteratorINS6_10device_ptrIKbEEEESL_NS6_8equal_toIbEEEENSG_9not_fun_tINSD_8identityEEEEENSD_19counting_iterator_tIlEES8_S8_S8_S8_S8_S8_S8_S8_EEEEPS9_S9_NSD_9__find_if7functorIS9_EEEE10hipError_tPvRmT1_T2_T3_mT4_P12ihipStream_tbEUlT_E1_NS1_11comp_targetILNS1_3genE3ELNS1_11target_archE908ELNS1_3gpuE7ELNS1_3repE0EEENS1_30default_config_static_selectorELNS0_4arch9wavefront6targetE1EEEvS14_,comdat
.Lfunc_end755:
	.size	_ZN7rocprim17ROCPRIM_400000_NS6detail17trampoline_kernelINS0_14default_configENS1_22reduce_config_selectorIN6thrust23THRUST_200600_302600_NS5tupleIblNS6_9null_typeES8_S8_S8_S8_S8_S8_S8_EEEEZNS1_11reduce_implILb1ES3_NS6_12zip_iteratorINS7_INS6_11hip_rocprim26transform_input_iterator_tIbNSD_35transform_pair_of_input_iterators_tIbNS6_6detail15normal_iteratorINS6_10device_ptrIKbEEEESL_NS6_8equal_toIbEEEENSG_9not_fun_tINSD_8identityEEEEENSD_19counting_iterator_tIlEES8_S8_S8_S8_S8_S8_S8_S8_EEEEPS9_S9_NSD_9__find_if7functorIS9_EEEE10hipError_tPvRmT1_T2_T3_mT4_P12ihipStream_tbEUlT_E1_NS1_11comp_targetILNS1_3genE3ELNS1_11target_archE908ELNS1_3gpuE7ELNS1_3repE0EEENS1_30default_config_static_selectorELNS0_4arch9wavefront6targetE1EEEvS14_, .Lfunc_end755-_ZN7rocprim17ROCPRIM_400000_NS6detail17trampoline_kernelINS0_14default_configENS1_22reduce_config_selectorIN6thrust23THRUST_200600_302600_NS5tupleIblNS6_9null_typeES8_S8_S8_S8_S8_S8_S8_EEEEZNS1_11reduce_implILb1ES3_NS6_12zip_iteratorINS7_INS6_11hip_rocprim26transform_input_iterator_tIbNSD_35transform_pair_of_input_iterators_tIbNS6_6detail15normal_iteratorINS6_10device_ptrIKbEEEESL_NS6_8equal_toIbEEEENSG_9not_fun_tINSD_8identityEEEEENSD_19counting_iterator_tIlEES8_S8_S8_S8_S8_S8_S8_S8_EEEEPS9_S9_NSD_9__find_if7functorIS9_EEEE10hipError_tPvRmT1_T2_T3_mT4_P12ihipStream_tbEUlT_E1_NS1_11comp_targetILNS1_3genE3ELNS1_11target_archE908ELNS1_3gpuE7ELNS1_3repE0EEENS1_30default_config_static_selectorELNS0_4arch9wavefront6targetE1EEEvS14_
                                        ; -- End function
	.set _ZN7rocprim17ROCPRIM_400000_NS6detail17trampoline_kernelINS0_14default_configENS1_22reduce_config_selectorIN6thrust23THRUST_200600_302600_NS5tupleIblNS6_9null_typeES8_S8_S8_S8_S8_S8_S8_EEEEZNS1_11reduce_implILb1ES3_NS6_12zip_iteratorINS7_INS6_11hip_rocprim26transform_input_iterator_tIbNSD_35transform_pair_of_input_iterators_tIbNS6_6detail15normal_iteratorINS6_10device_ptrIKbEEEESL_NS6_8equal_toIbEEEENSG_9not_fun_tINSD_8identityEEEEENSD_19counting_iterator_tIlEES8_S8_S8_S8_S8_S8_S8_S8_EEEEPS9_S9_NSD_9__find_if7functorIS9_EEEE10hipError_tPvRmT1_T2_T3_mT4_P12ihipStream_tbEUlT_E1_NS1_11comp_targetILNS1_3genE3ELNS1_11target_archE908ELNS1_3gpuE7ELNS1_3repE0EEENS1_30default_config_static_selectorELNS0_4arch9wavefront6targetE1EEEvS14_.num_vgpr, 0
	.set _ZN7rocprim17ROCPRIM_400000_NS6detail17trampoline_kernelINS0_14default_configENS1_22reduce_config_selectorIN6thrust23THRUST_200600_302600_NS5tupleIblNS6_9null_typeES8_S8_S8_S8_S8_S8_S8_EEEEZNS1_11reduce_implILb1ES3_NS6_12zip_iteratorINS7_INS6_11hip_rocprim26transform_input_iterator_tIbNSD_35transform_pair_of_input_iterators_tIbNS6_6detail15normal_iteratorINS6_10device_ptrIKbEEEESL_NS6_8equal_toIbEEEENSG_9not_fun_tINSD_8identityEEEEENSD_19counting_iterator_tIlEES8_S8_S8_S8_S8_S8_S8_S8_EEEEPS9_S9_NSD_9__find_if7functorIS9_EEEE10hipError_tPvRmT1_T2_T3_mT4_P12ihipStream_tbEUlT_E1_NS1_11comp_targetILNS1_3genE3ELNS1_11target_archE908ELNS1_3gpuE7ELNS1_3repE0EEENS1_30default_config_static_selectorELNS0_4arch9wavefront6targetE1EEEvS14_.num_agpr, 0
	.set _ZN7rocprim17ROCPRIM_400000_NS6detail17trampoline_kernelINS0_14default_configENS1_22reduce_config_selectorIN6thrust23THRUST_200600_302600_NS5tupleIblNS6_9null_typeES8_S8_S8_S8_S8_S8_S8_EEEEZNS1_11reduce_implILb1ES3_NS6_12zip_iteratorINS7_INS6_11hip_rocprim26transform_input_iterator_tIbNSD_35transform_pair_of_input_iterators_tIbNS6_6detail15normal_iteratorINS6_10device_ptrIKbEEEESL_NS6_8equal_toIbEEEENSG_9not_fun_tINSD_8identityEEEEENSD_19counting_iterator_tIlEES8_S8_S8_S8_S8_S8_S8_S8_EEEEPS9_S9_NSD_9__find_if7functorIS9_EEEE10hipError_tPvRmT1_T2_T3_mT4_P12ihipStream_tbEUlT_E1_NS1_11comp_targetILNS1_3genE3ELNS1_11target_archE908ELNS1_3gpuE7ELNS1_3repE0EEENS1_30default_config_static_selectorELNS0_4arch9wavefront6targetE1EEEvS14_.numbered_sgpr, 0
	.set _ZN7rocprim17ROCPRIM_400000_NS6detail17trampoline_kernelINS0_14default_configENS1_22reduce_config_selectorIN6thrust23THRUST_200600_302600_NS5tupleIblNS6_9null_typeES8_S8_S8_S8_S8_S8_S8_EEEEZNS1_11reduce_implILb1ES3_NS6_12zip_iteratorINS7_INS6_11hip_rocprim26transform_input_iterator_tIbNSD_35transform_pair_of_input_iterators_tIbNS6_6detail15normal_iteratorINS6_10device_ptrIKbEEEESL_NS6_8equal_toIbEEEENSG_9not_fun_tINSD_8identityEEEEENSD_19counting_iterator_tIlEES8_S8_S8_S8_S8_S8_S8_S8_EEEEPS9_S9_NSD_9__find_if7functorIS9_EEEE10hipError_tPvRmT1_T2_T3_mT4_P12ihipStream_tbEUlT_E1_NS1_11comp_targetILNS1_3genE3ELNS1_11target_archE908ELNS1_3gpuE7ELNS1_3repE0EEENS1_30default_config_static_selectorELNS0_4arch9wavefront6targetE1EEEvS14_.num_named_barrier, 0
	.set _ZN7rocprim17ROCPRIM_400000_NS6detail17trampoline_kernelINS0_14default_configENS1_22reduce_config_selectorIN6thrust23THRUST_200600_302600_NS5tupleIblNS6_9null_typeES8_S8_S8_S8_S8_S8_S8_EEEEZNS1_11reduce_implILb1ES3_NS6_12zip_iteratorINS7_INS6_11hip_rocprim26transform_input_iterator_tIbNSD_35transform_pair_of_input_iterators_tIbNS6_6detail15normal_iteratorINS6_10device_ptrIKbEEEESL_NS6_8equal_toIbEEEENSG_9not_fun_tINSD_8identityEEEEENSD_19counting_iterator_tIlEES8_S8_S8_S8_S8_S8_S8_S8_EEEEPS9_S9_NSD_9__find_if7functorIS9_EEEE10hipError_tPvRmT1_T2_T3_mT4_P12ihipStream_tbEUlT_E1_NS1_11comp_targetILNS1_3genE3ELNS1_11target_archE908ELNS1_3gpuE7ELNS1_3repE0EEENS1_30default_config_static_selectorELNS0_4arch9wavefront6targetE1EEEvS14_.private_seg_size, 0
	.set _ZN7rocprim17ROCPRIM_400000_NS6detail17trampoline_kernelINS0_14default_configENS1_22reduce_config_selectorIN6thrust23THRUST_200600_302600_NS5tupleIblNS6_9null_typeES8_S8_S8_S8_S8_S8_S8_EEEEZNS1_11reduce_implILb1ES3_NS6_12zip_iteratorINS7_INS6_11hip_rocprim26transform_input_iterator_tIbNSD_35transform_pair_of_input_iterators_tIbNS6_6detail15normal_iteratorINS6_10device_ptrIKbEEEESL_NS6_8equal_toIbEEEENSG_9not_fun_tINSD_8identityEEEEENSD_19counting_iterator_tIlEES8_S8_S8_S8_S8_S8_S8_S8_EEEEPS9_S9_NSD_9__find_if7functorIS9_EEEE10hipError_tPvRmT1_T2_T3_mT4_P12ihipStream_tbEUlT_E1_NS1_11comp_targetILNS1_3genE3ELNS1_11target_archE908ELNS1_3gpuE7ELNS1_3repE0EEENS1_30default_config_static_selectorELNS0_4arch9wavefront6targetE1EEEvS14_.uses_vcc, 0
	.set _ZN7rocprim17ROCPRIM_400000_NS6detail17trampoline_kernelINS0_14default_configENS1_22reduce_config_selectorIN6thrust23THRUST_200600_302600_NS5tupleIblNS6_9null_typeES8_S8_S8_S8_S8_S8_S8_EEEEZNS1_11reduce_implILb1ES3_NS6_12zip_iteratorINS7_INS6_11hip_rocprim26transform_input_iterator_tIbNSD_35transform_pair_of_input_iterators_tIbNS6_6detail15normal_iteratorINS6_10device_ptrIKbEEEESL_NS6_8equal_toIbEEEENSG_9not_fun_tINSD_8identityEEEEENSD_19counting_iterator_tIlEES8_S8_S8_S8_S8_S8_S8_S8_EEEEPS9_S9_NSD_9__find_if7functorIS9_EEEE10hipError_tPvRmT1_T2_T3_mT4_P12ihipStream_tbEUlT_E1_NS1_11comp_targetILNS1_3genE3ELNS1_11target_archE908ELNS1_3gpuE7ELNS1_3repE0EEENS1_30default_config_static_selectorELNS0_4arch9wavefront6targetE1EEEvS14_.uses_flat_scratch, 0
	.set _ZN7rocprim17ROCPRIM_400000_NS6detail17trampoline_kernelINS0_14default_configENS1_22reduce_config_selectorIN6thrust23THRUST_200600_302600_NS5tupleIblNS6_9null_typeES8_S8_S8_S8_S8_S8_S8_EEEEZNS1_11reduce_implILb1ES3_NS6_12zip_iteratorINS7_INS6_11hip_rocprim26transform_input_iterator_tIbNSD_35transform_pair_of_input_iterators_tIbNS6_6detail15normal_iteratorINS6_10device_ptrIKbEEEESL_NS6_8equal_toIbEEEENSG_9not_fun_tINSD_8identityEEEEENSD_19counting_iterator_tIlEES8_S8_S8_S8_S8_S8_S8_S8_EEEEPS9_S9_NSD_9__find_if7functorIS9_EEEE10hipError_tPvRmT1_T2_T3_mT4_P12ihipStream_tbEUlT_E1_NS1_11comp_targetILNS1_3genE3ELNS1_11target_archE908ELNS1_3gpuE7ELNS1_3repE0EEENS1_30default_config_static_selectorELNS0_4arch9wavefront6targetE1EEEvS14_.has_dyn_sized_stack, 0
	.set _ZN7rocprim17ROCPRIM_400000_NS6detail17trampoline_kernelINS0_14default_configENS1_22reduce_config_selectorIN6thrust23THRUST_200600_302600_NS5tupleIblNS6_9null_typeES8_S8_S8_S8_S8_S8_S8_EEEEZNS1_11reduce_implILb1ES3_NS6_12zip_iteratorINS7_INS6_11hip_rocprim26transform_input_iterator_tIbNSD_35transform_pair_of_input_iterators_tIbNS6_6detail15normal_iteratorINS6_10device_ptrIKbEEEESL_NS6_8equal_toIbEEEENSG_9not_fun_tINSD_8identityEEEEENSD_19counting_iterator_tIlEES8_S8_S8_S8_S8_S8_S8_S8_EEEEPS9_S9_NSD_9__find_if7functorIS9_EEEE10hipError_tPvRmT1_T2_T3_mT4_P12ihipStream_tbEUlT_E1_NS1_11comp_targetILNS1_3genE3ELNS1_11target_archE908ELNS1_3gpuE7ELNS1_3repE0EEENS1_30default_config_static_selectorELNS0_4arch9wavefront6targetE1EEEvS14_.has_recursion, 0
	.set _ZN7rocprim17ROCPRIM_400000_NS6detail17trampoline_kernelINS0_14default_configENS1_22reduce_config_selectorIN6thrust23THRUST_200600_302600_NS5tupleIblNS6_9null_typeES8_S8_S8_S8_S8_S8_S8_EEEEZNS1_11reduce_implILb1ES3_NS6_12zip_iteratorINS7_INS6_11hip_rocprim26transform_input_iterator_tIbNSD_35transform_pair_of_input_iterators_tIbNS6_6detail15normal_iteratorINS6_10device_ptrIKbEEEESL_NS6_8equal_toIbEEEENSG_9not_fun_tINSD_8identityEEEEENSD_19counting_iterator_tIlEES8_S8_S8_S8_S8_S8_S8_S8_EEEEPS9_S9_NSD_9__find_if7functorIS9_EEEE10hipError_tPvRmT1_T2_T3_mT4_P12ihipStream_tbEUlT_E1_NS1_11comp_targetILNS1_3genE3ELNS1_11target_archE908ELNS1_3gpuE7ELNS1_3repE0EEENS1_30default_config_static_selectorELNS0_4arch9wavefront6targetE1EEEvS14_.has_indirect_call, 0
	.section	.AMDGPU.csdata,"",@progbits
; Kernel info:
; codeLenInByte = 0
; TotalNumSgprs: 4
; NumVgprs: 0
; ScratchSize: 0
; MemoryBound: 0
; FloatMode: 240
; IeeeMode: 1
; LDSByteSize: 0 bytes/workgroup (compile time only)
; SGPRBlocks: 0
; VGPRBlocks: 0
; NumSGPRsForWavesPerEU: 4
; NumVGPRsForWavesPerEU: 1
; Occupancy: 10
; WaveLimiterHint : 0
; COMPUTE_PGM_RSRC2:SCRATCH_EN: 0
; COMPUTE_PGM_RSRC2:USER_SGPR: 6
; COMPUTE_PGM_RSRC2:TRAP_HANDLER: 0
; COMPUTE_PGM_RSRC2:TGID_X_EN: 1
; COMPUTE_PGM_RSRC2:TGID_Y_EN: 0
; COMPUTE_PGM_RSRC2:TGID_Z_EN: 0
; COMPUTE_PGM_RSRC2:TIDIG_COMP_CNT: 0
	.section	.text._ZN7rocprim17ROCPRIM_400000_NS6detail17trampoline_kernelINS0_14default_configENS1_22reduce_config_selectorIN6thrust23THRUST_200600_302600_NS5tupleIblNS6_9null_typeES8_S8_S8_S8_S8_S8_S8_EEEEZNS1_11reduce_implILb1ES3_NS6_12zip_iteratorINS7_INS6_11hip_rocprim26transform_input_iterator_tIbNSD_35transform_pair_of_input_iterators_tIbNS6_6detail15normal_iteratorINS6_10device_ptrIKbEEEESL_NS6_8equal_toIbEEEENSG_9not_fun_tINSD_8identityEEEEENSD_19counting_iterator_tIlEES8_S8_S8_S8_S8_S8_S8_S8_EEEEPS9_S9_NSD_9__find_if7functorIS9_EEEE10hipError_tPvRmT1_T2_T3_mT4_P12ihipStream_tbEUlT_E1_NS1_11comp_targetILNS1_3genE2ELNS1_11target_archE906ELNS1_3gpuE6ELNS1_3repE0EEENS1_30default_config_static_selectorELNS0_4arch9wavefront6targetE1EEEvS14_,"axG",@progbits,_ZN7rocprim17ROCPRIM_400000_NS6detail17trampoline_kernelINS0_14default_configENS1_22reduce_config_selectorIN6thrust23THRUST_200600_302600_NS5tupleIblNS6_9null_typeES8_S8_S8_S8_S8_S8_S8_EEEEZNS1_11reduce_implILb1ES3_NS6_12zip_iteratorINS7_INS6_11hip_rocprim26transform_input_iterator_tIbNSD_35transform_pair_of_input_iterators_tIbNS6_6detail15normal_iteratorINS6_10device_ptrIKbEEEESL_NS6_8equal_toIbEEEENSG_9not_fun_tINSD_8identityEEEEENSD_19counting_iterator_tIlEES8_S8_S8_S8_S8_S8_S8_S8_EEEEPS9_S9_NSD_9__find_if7functorIS9_EEEE10hipError_tPvRmT1_T2_T3_mT4_P12ihipStream_tbEUlT_E1_NS1_11comp_targetILNS1_3genE2ELNS1_11target_archE906ELNS1_3gpuE6ELNS1_3repE0EEENS1_30default_config_static_selectorELNS0_4arch9wavefront6targetE1EEEvS14_,comdat
	.protected	_ZN7rocprim17ROCPRIM_400000_NS6detail17trampoline_kernelINS0_14default_configENS1_22reduce_config_selectorIN6thrust23THRUST_200600_302600_NS5tupleIblNS6_9null_typeES8_S8_S8_S8_S8_S8_S8_EEEEZNS1_11reduce_implILb1ES3_NS6_12zip_iteratorINS7_INS6_11hip_rocprim26transform_input_iterator_tIbNSD_35transform_pair_of_input_iterators_tIbNS6_6detail15normal_iteratorINS6_10device_ptrIKbEEEESL_NS6_8equal_toIbEEEENSG_9not_fun_tINSD_8identityEEEEENSD_19counting_iterator_tIlEES8_S8_S8_S8_S8_S8_S8_S8_EEEEPS9_S9_NSD_9__find_if7functorIS9_EEEE10hipError_tPvRmT1_T2_T3_mT4_P12ihipStream_tbEUlT_E1_NS1_11comp_targetILNS1_3genE2ELNS1_11target_archE906ELNS1_3gpuE6ELNS1_3repE0EEENS1_30default_config_static_selectorELNS0_4arch9wavefront6targetE1EEEvS14_ ; -- Begin function _ZN7rocprim17ROCPRIM_400000_NS6detail17trampoline_kernelINS0_14default_configENS1_22reduce_config_selectorIN6thrust23THRUST_200600_302600_NS5tupleIblNS6_9null_typeES8_S8_S8_S8_S8_S8_S8_EEEEZNS1_11reduce_implILb1ES3_NS6_12zip_iteratorINS7_INS6_11hip_rocprim26transform_input_iterator_tIbNSD_35transform_pair_of_input_iterators_tIbNS6_6detail15normal_iteratorINS6_10device_ptrIKbEEEESL_NS6_8equal_toIbEEEENSG_9not_fun_tINSD_8identityEEEEENSD_19counting_iterator_tIlEES8_S8_S8_S8_S8_S8_S8_S8_EEEEPS9_S9_NSD_9__find_if7functorIS9_EEEE10hipError_tPvRmT1_T2_T3_mT4_P12ihipStream_tbEUlT_E1_NS1_11comp_targetILNS1_3genE2ELNS1_11target_archE906ELNS1_3gpuE6ELNS1_3repE0EEENS1_30default_config_static_selectorELNS0_4arch9wavefront6targetE1EEEvS14_
	.globl	_ZN7rocprim17ROCPRIM_400000_NS6detail17trampoline_kernelINS0_14default_configENS1_22reduce_config_selectorIN6thrust23THRUST_200600_302600_NS5tupleIblNS6_9null_typeES8_S8_S8_S8_S8_S8_S8_EEEEZNS1_11reduce_implILb1ES3_NS6_12zip_iteratorINS7_INS6_11hip_rocprim26transform_input_iterator_tIbNSD_35transform_pair_of_input_iterators_tIbNS6_6detail15normal_iteratorINS6_10device_ptrIKbEEEESL_NS6_8equal_toIbEEEENSG_9not_fun_tINSD_8identityEEEEENSD_19counting_iterator_tIlEES8_S8_S8_S8_S8_S8_S8_S8_EEEEPS9_S9_NSD_9__find_if7functorIS9_EEEE10hipError_tPvRmT1_T2_T3_mT4_P12ihipStream_tbEUlT_E1_NS1_11comp_targetILNS1_3genE2ELNS1_11target_archE906ELNS1_3gpuE6ELNS1_3repE0EEENS1_30default_config_static_selectorELNS0_4arch9wavefront6targetE1EEEvS14_
	.p2align	8
	.type	_ZN7rocprim17ROCPRIM_400000_NS6detail17trampoline_kernelINS0_14default_configENS1_22reduce_config_selectorIN6thrust23THRUST_200600_302600_NS5tupleIblNS6_9null_typeES8_S8_S8_S8_S8_S8_S8_EEEEZNS1_11reduce_implILb1ES3_NS6_12zip_iteratorINS7_INS6_11hip_rocprim26transform_input_iterator_tIbNSD_35transform_pair_of_input_iterators_tIbNS6_6detail15normal_iteratorINS6_10device_ptrIKbEEEESL_NS6_8equal_toIbEEEENSG_9not_fun_tINSD_8identityEEEEENSD_19counting_iterator_tIlEES8_S8_S8_S8_S8_S8_S8_S8_EEEEPS9_S9_NSD_9__find_if7functorIS9_EEEE10hipError_tPvRmT1_T2_T3_mT4_P12ihipStream_tbEUlT_E1_NS1_11comp_targetILNS1_3genE2ELNS1_11target_archE906ELNS1_3gpuE6ELNS1_3repE0EEENS1_30default_config_static_selectorELNS0_4arch9wavefront6targetE1EEEvS14_,@function
_ZN7rocprim17ROCPRIM_400000_NS6detail17trampoline_kernelINS0_14default_configENS1_22reduce_config_selectorIN6thrust23THRUST_200600_302600_NS5tupleIblNS6_9null_typeES8_S8_S8_S8_S8_S8_S8_EEEEZNS1_11reduce_implILb1ES3_NS6_12zip_iteratorINS7_INS6_11hip_rocprim26transform_input_iterator_tIbNSD_35transform_pair_of_input_iterators_tIbNS6_6detail15normal_iteratorINS6_10device_ptrIKbEEEESL_NS6_8equal_toIbEEEENSG_9not_fun_tINSD_8identityEEEEENSD_19counting_iterator_tIlEES8_S8_S8_S8_S8_S8_S8_S8_EEEEPS9_S9_NSD_9__find_if7functorIS9_EEEE10hipError_tPvRmT1_T2_T3_mT4_P12ihipStream_tbEUlT_E1_NS1_11comp_targetILNS1_3genE2ELNS1_11target_archE906ELNS1_3gpuE6ELNS1_3repE0EEENS1_30default_config_static_selectorELNS0_4arch9wavefront6targetE1EEEvS14_: ; @_ZN7rocprim17ROCPRIM_400000_NS6detail17trampoline_kernelINS0_14default_configENS1_22reduce_config_selectorIN6thrust23THRUST_200600_302600_NS5tupleIblNS6_9null_typeES8_S8_S8_S8_S8_S8_S8_EEEEZNS1_11reduce_implILb1ES3_NS6_12zip_iteratorINS7_INS6_11hip_rocprim26transform_input_iterator_tIbNSD_35transform_pair_of_input_iterators_tIbNS6_6detail15normal_iteratorINS6_10device_ptrIKbEEEESL_NS6_8equal_toIbEEEENSG_9not_fun_tINSD_8identityEEEEENSD_19counting_iterator_tIlEES8_S8_S8_S8_S8_S8_S8_S8_EEEEPS9_S9_NSD_9__find_if7functorIS9_EEEE10hipError_tPvRmT1_T2_T3_mT4_P12ihipStream_tbEUlT_E1_NS1_11comp_targetILNS1_3genE2ELNS1_11target_archE906ELNS1_3gpuE6ELNS1_3repE0EEENS1_30default_config_static_selectorELNS0_4arch9wavefront6targetE1EEEvS14_
; %bb.0:
	s_load_dword s36, s[4:5], 0x4
	s_load_dwordx4 s[24:27], s[4:5], 0x8
	s_load_dwordx4 s[20:23], s[4:5], 0x28
	s_load_dword s33, s[4:5], 0x40
	s_load_dwordx2 s[18:19], s[4:5], 0x48
	s_waitcnt lgkmcnt(0)
	s_cmp_lt_i32 s36, 4
	s_cbranch_scc1 .LBB756_13
; %bb.1:
	s_cmp_gt_i32 s36, 7
	s_cbranch_scc0 .LBB756_14
; %bb.2:
	s_cmp_eq_u32 s36, 8
	s_mov_b64 s[28:29], 0
	s_cbranch_scc0 .LBB756_15
; %bb.3:
	s_lshl_b32 s12, s6, 10
	s_lshr_b64 s[0:1], s[22:23], 10
	s_add_u32 s16, s24, s12
	s_addc_u32 s17, s25, 0
	s_add_u32 s30, s26, s12
	s_addc_u32 s31, s27, 0
	s_add_u32 s38, s20, s12
	s_mov_b32 s7, 0
	s_addc_u32 s39, s21, 0
	s_cmp_lg_u64 s[0:1], s[6:7]
	s_cbranch_scc0 .LBB756_28
; %bb.4:
	global_load_ubyte v1, v0, s[30:31] offset:768
	global_load_ubyte v2, v0, s[16:17] offset:768
	;; [unrolled: 1-line block ×14, first 2 shown]
	global_load_ubyte v15, v0, s[16:17]
	global_load_ubyte v16, v0, s[30:31]
	v_mov_b32_e32 v18, 0x380
	v_mov_b32_e32 v19, 0x300
	;; [unrolled: 1-line block ×7, first 2 shown]
	s_waitcnt vmcnt(14)
	v_cmp_ne_u16_e32 vcc, v2, v1
	v_mbcnt_lo_u32_b32 v2, -1, 0
	s_waitcnt vmcnt(12)
	v_cmp_ne_u16_e64 s[0:1], v3, v4
	v_mbcnt_hi_u32_b32 v3, -1, v2
	v_cndmask_b32_e32 v2, v18, v19, vcc
	s_or_b64 s[0:1], vcc, s[0:1]
	s_waitcnt vmcnt(10)
	v_cmp_ne_u16_e32 vcc, v6, v5
	v_cndmask_b32_e32 v2, v2, v20, vcc
	s_or_b64 s[0:1], vcc, s[0:1]
	s_waitcnt vmcnt(8)
	v_cmp_ne_u16_e32 vcc, v7, v8
	;; [unrolled: 4-line block ×3, first 2 shown]
	v_add_co_u32_e64 v4, s[2:3], s38, v0
	v_cndmask_b32_e32 v2, v2, v22, vcc
	s_or_b64 s[0:1], vcc, s[0:1]
	s_waitcnt vmcnt(4)
	v_cmp_ne_u16_e32 vcc, v11, v12
	v_mov_b32_e32 v1, 0x80
	v_addc_co_u32_e64 v17, s[2:3], 0, v17, s[2:3]
	v_cndmask_b32_e32 v2, v2, v23, vcc
	s_or_b64 s[0:1], vcc, s[0:1]
	s_waitcnt vmcnt(2)
	v_cmp_ne_u16_e32 vcc, v14, v13
	v_cndmask_b32_e32 v1, v2, v1, vcc
	s_or_b64 s[2:3], vcc, s[0:1]
	s_waitcnt vmcnt(0)
	v_cmp_ne_u16_e32 vcc, v15, v16
	v_cndmask_b32_e64 v1, v1, 0, vcc
	v_add_co_u32_e64 v1, s[0:1], v4, v1
	v_addc_co_u32_e64 v2, s[0:1], 0, v17, s[0:1]
	s_or_b64 s[0:1], vcc, s[2:3]
	v_mov_b32_dpp v4, v1 quad_perm:[1,0,3,2] row_mask:0xf bank_mask:0xf bound_ctrl:1
	v_mov_b32_dpp v5, v2 quad_perm:[1,0,3,2] row_mask:0xf bank_mask:0xf bound_ctrl:1
	v_cndmask_b32_e64 v6, 0, 1, s[0:1]
	v_cmp_lt_i64_e32 vcc, v[1:2], v[4:5]
	s_and_b64 vcc, s[0:1], vcc
	v_mov_b32_dpp v7, v6 quad_perm:[1,0,3,2] row_mask:0xf bank_mask:0xf bound_ctrl:1
	v_and_b32_e32 v7, 1, v7
	v_cndmask_b32_e32 v4, v4, v1, vcc
	v_cndmask_b32_e32 v5, v5, v2, vcc
	v_cmp_eq_u32_e32 vcc, 1, v7
	v_cndmask_b32_e32 v2, v2, v5, vcc
	v_cndmask_b32_e32 v1, v1, v4, vcc
	v_cndmask_b32_e64 v6, v6, 1, vcc
	v_mov_b32_dpp v5, v2 quad_perm:[2,3,0,1] row_mask:0xf bank_mask:0xf bound_ctrl:1
	v_mov_b32_dpp v4, v1 quad_perm:[2,3,0,1] row_mask:0xf bank_mask:0xf bound_ctrl:1
	v_and_b32_e32 v8, 1, v6
	v_cmp_lt_i64_e64 s[0:1], v[1:2], v[4:5]
	v_mov_b32_dpp v7, v6 quad_perm:[2,3,0,1] row_mask:0xf bank_mask:0xf bound_ctrl:1
	v_cmp_eq_u32_e32 vcc, 1, v8
	v_and_b32_e32 v7, 1, v7
	s_and_b64 vcc, vcc, s[0:1]
	v_cmp_eq_u32_e64 s[2:3], 1, v7
	v_cndmask_b32_e32 v4, v4, v1, vcc
	v_cndmask_b32_e32 v5, v5, v2, vcc
	v_cndmask_b32_e64 v1, v1, v4, s[2:3]
	v_cndmask_b32_e64 v2, v2, v5, s[2:3]
	;; [unrolled: 1-line block ×3, first 2 shown]
	v_mov_b32_dpp v4, v1 row_ror:4 row_mask:0xf bank_mask:0xf bound_ctrl:1
	v_mov_b32_dpp v5, v2 row_ror:4 row_mask:0xf bank_mask:0xf bound_ctrl:1
	v_and_b32_e32 v8, 1, v6
	v_cmp_lt_i64_e64 s[2:3], v[1:2], v[4:5]
	v_mov_b32_dpp v7, v6 row_ror:4 row_mask:0xf bank_mask:0xf bound_ctrl:1
	v_cmp_eq_u32_e32 vcc, 1, v8
	v_and_b32_e32 v7, 1, v7
	s_and_b64 vcc, vcc, s[2:3]
	v_cmp_eq_u32_e64 s[0:1], 1, v7
	v_cndmask_b32_e32 v4, v4, v1, vcc
	v_cndmask_b32_e32 v5, v5, v2, vcc
	v_cndmask_b32_e64 v1, v1, v4, s[0:1]
	v_cndmask_b32_e64 v2, v2, v5, s[0:1]
	v_cndmask_b32_e64 v6, v6, 1, s[0:1]
	v_mov_b32_dpp v4, v1 row_ror:8 row_mask:0xf bank_mask:0xf bound_ctrl:1
	v_mov_b32_dpp v5, v2 row_ror:8 row_mask:0xf bank_mask:0xf bound_ctrl:1
	v_and_b32_e32 v8, 1, v6
	v_cmp_lt_i64_e32 vcc, v[1:2], v[4:5]
	v_mov_b32_dpp v7, v6 row_ror:8 row_mask:0xf bank_mask:0xf bound_ctrl:1
	v_cmp_eq_u32_e64 s[8:9], 1, v8
	v_and_b32_e32 v7, 1, v7
	s_and_b64 vcc, s[8:9], vcc
	v_cmp_eq_u32_e64 s[10:11], 1, v7
	v_cndmask_b32_e32 v4, v4, v1, vcc
	v_cndmask_b32_e32 v5, v5, v2, vcc
	v_cndmask_b32_e64 v1, v1, v4, s[10:11]
	v_cndmask_b32_e64 v2, v2, v5, s[10:11]
	;; [unrolled: 1-line block ×3, first 2 shown]
	v_mov_b32_dpp v4, v1 row_bcast:15 row_mask:0xf bank_mask:0xf bound_ctrl:1
	v_mov_b32_dpp v5, v2 row_bcast:15 row_mask:0xf bank_mask:0xf bound_ctrl:1
	v_and_b32_e32 v8, 1, v6
	v_cmp_lt_i64_e64 s[0:1], v[1:2], v[4:5]
	v_mov_b32_dpp v7, v6 row_bcast:15 row_mask:0xf bank_mask:0xf bound_ctrl:1
	v_cmp_eq_u32_e32 vcc, 1, v8
	v_and_b32_e32 v7, 1, v7
	s_and_b64 vcc, vcc, s[0:1]
	v_cmp_eq_u32_e64 s[2:3], 1, v7
	v_cndmask_b32_e32 v4, v4, v1, vcc
	v_cndmask_b32_e32 v5, v5, v2, vcc
	v_cndmask_b32_e64 v2, v2, v5, s[2:3]
	v_cndmask_b32_e64 v1, v1, v4, s[2:3]
	;; [unrolled: 1-line block ×3, first 2 shown]
	v_mov_b32_dpp v5, v2 row_bcast:31 row_mask:0xf bank_mask:0xf bound_ctrl:1
	v_mov_b32_dpp v4, v1 row_bcast:31 row_mask:0xf bank_mask:0xf bound_ctrl:1
	v_and_b32_e32 v8, 1, v6
	v_cmp_lt_i64_e64 s[0:1], v[1:2], v[4:5]
	v_mov_b32_dpp v7, v6 row_bcast:31 row_mask:0xf bank_mask:0xf bound_ctrl:1
	v_cmp_eq_u32_e32 vcc, 1, v8
	v_and_b32_e32 v7, 1, v7
	s_and_b64 vcc, vcc, s[0:1]
	v_cmp_eq_u32_e64 s[2:3], 1, v7
	v_cndmask_b32_e32 v5, v5, v2, vcc
	v_cndmask_b32_e32 v4, v4, v1, vcc
	v_cndmask_b32_e64 v2, v2, v5, s[2:3]
	v_lshlrev_b32_e32 v5, 2, v3
	v_cndmask_b32_e64 v6, v6, 1, s[2:3]
	v_cndmask_b32_e64 v1, v1, v4, s[2:3]
	v_or_b32_e32 v4, 0xfc, v5
	ds_bpermute_b32 v17, v4, v6
	ds_bpermute_b32 v1, v4, v1
	;; [unrolled: 1-line block ×3, first 2 shown]
	v_cmp_eq_u32_e32 vcc, 0, v3
	s_and_saveexec_b64 s[0:1], vcc
	s_cbranch_execz .LBB756_6
; %bb.5:
	v_lshrrev_b32_e32 v4, 2, v0
	v_and_b32_e32 v4, 16, v4
	s_waitcnt lgkmcnt(2)
	ds_write_b8 v4, v17 offset:96
	s_waitcnt lgkmcnt(1)
	ds_write_b64 v4, v[1:2] offset:104
.LBB756_6:
	s_or_b64 exec, exec, s[0:1]
	v_cmp_gt_u32_e32 vcc, 64, v0
	s_waitcnt lgkmcnt(0)
	s_barrier
	s_and_saveexec_b64 s[0:1], vcc
	s_cbranch_execz .LBB756_12
; %bb.7:
	v_and_b32_e32 v1, 1, v3
	v_lshlrev_b32_e32 v1, 4, v1
	ds_read_u8 v7, v1 offset:96
	ds_read_b64 v[3:4], v1 offset:104
	v_or_b32_e32 v2, 4, v5
	s_waitcnt lgkmcnt(1)
	v_and_b32_e32 v1, 0xff, v7
	ds_bpermute_b32 v8, v2, v1
	s_waitcnt lgkmcnt(1)
	ds_bpermute_b32 v5, v2, v3
	ds_bpermute_b32 v6, v2, v4
	s_waitcnt lgkmcnt(2)
	v_and_b32_e32 v1, v7, v8
	v_and_b32_e32 v1, 1, v1
	v_cmp_eq_u32_e32 vcc, 1, v1
                                        ; implicit-def: $vgpr1_vgpr2
	s_and_saveexec_b64 s[2:3], vcc
	s_xor_b64 s[2:3], exec, s[2:3]
	s_cbranch_execz .LBB756_9
; %bb.8:
	s_waitcnt lgkmcnt(0)
	v_cmp_lt_i64_e32 vcc, v[5:6], v[3:4]
                                        ; implicit-def: $vgpr7
                                        ; implicit-def: $vgpr8
	v_cndmask_b32_e32 v2, v4, v6, vcc
	v_cndmask_b32_e32 v1, v3, v5, vcc
                                        ; implicit-def: $vgpr5_vgpr6
                                        ; implicit-def: $vgpr3_vgpr4
.LBB756_9:
	s_or_saveexec_b64 s[2:3], s[2:3]
	v_mov_b32_e32 v17, 1
	s_xor_b64 exec, exec, s[2:3]
	s_cbranch_execz .LBB756_11
; %bb.10:
	v_and_b32_e32 v1, 1, v7
	v_cmp_eq_u32_e32 vcc, 1, v1
	s_waitcnt lgkmcnt(0)
	v_cndmask_b32_e32 v2, v6, v4, vcc
	v_cndmask_b32_e32 v1, v5, v3, vcc
	v_cndmask_b32_e64 v17, v8, 1, vcc
.LBB756_11:
	s_or_b64 exec, exec, s[2:3]
.LBB756_12:
	s_or_b64 exec, exec, s[0:1]
	s_branch .LBB756_145
.LBB756_13:
	s_mov_b64 s[14:15], 0
                                        ; implicit-def: $vgpr3_vgpr4
                                        ; implicit-def: $vgpr5
                                        ; implicit-def: $vgpr1_vgpr2
	s_cbranch_execnz .LBB756_219
	s_branch .LBB756_322
.LBB756_14:
	s_mov_b64 s[28:29], -1
.LBB756_15:
	s_mov_b64 s[14:15], 0
                                        ; implicit-def: $vgpr3_vgpr4
                                        ; implicit-def: $vgpr5
                                        ; implicit-def: $vgpr1_vgpr2
	s_and_b64 vcc, exec, s[28:29]
	s_cbranch_vccz .LBB756_150
.LBB756_16:
	s_cmp_eq_u32 s36, 4
	s_cbranch_scc0 .LBB756_27
; %bb.17:
	s_lshl_b32 s34, s6, 9
	s_lshr_b64 s[0:1], s[22:23], 9
	s_add_u32 s16, s24, s34
	s_addc_u32 s17, s25, 0
	s_add_u32 s28, s26, s34
	s_addc_u32 s29, s27, 0
	s_add_u32 s30, s20, s34
	s_mov_b32 s7, 0
	s_addc_u32 s31, s21, 0
	s_cmp_lg_u64 s[0:1], s[6:7]
	s_cbranch_scc0 .LBB756_51
; %bb.18:
	global_load_ubyte v1, v0, s[28:29] offset:128
	global_load_ubyte v2, v0, s[28:29] offset:256
	s_waitcnt lgkmcnt(0)
	global_load_ubyte v4, v0, s[28:29] offset:384
	global_load_ubyte v6, v0, s[16:17] offset:384
	;; [unrolled: 1-line block ×4, first 2 shown]
	global_load_ubyte v9, v0, s[28:29]
	global_load_ubyte v10, v0, s[16:17]
	v_mov_b32_e32 v3, s31
	v_add_co_u32_e32 v14, vcc, s30, v0
	v_addc_co_u32_e32 v15, vcc, 0, v3, vcc
	v_mov_b32_e32 v11, 0x180
	v_mov_b32_e32 v12, 0x100
	;; [unrolled: 1-line block ×3, first 2 shown]
	v_mbcnt_lo_u32_b32 v5, -1, 0
	v_mbcnt_hi_u32_b32 v3, -1, v5
	v_lshlrev_b32_e32 v5, 2, v3
	v_or_b32_e32 v16, 0xfc, v5
	s_waitcnt vmcnt(4)
	v_cmp_ne_u16_e32 vcc, v6, v4
	s_waitcnt vmcnt(3)
	v_cmp_ne_u16_e64 s[0:1], v7, v2
	v_cndmask_b32_e64 v2, v11, v12, s[0:1]
	s_or_b64 s[0:1], s[0:1], vcc
	s_waitcnt vmcnt(2)
	v_cmp_ne_u16_e32 vcc, v8, v1
	v_cndmask_b32_e32 v1, v2, v13, vcc
	s_or_b64 s[2:3], vcc, s[0:1]
	s_waitcnt vmcnt(0)
	v_cmp_ne_u16_e32 vcc, v10, v9
	v_cndmask_b32_e64 v1, v1, 0, vcc
	v_add_co_u32_e64 v1, s[0:1], v14, v1
	v_addc_co_u32_e64 v2, s[0:1], 0, v15, s[0:1]
	s_or_b64 s[0:1], vcc, s[2:3]
	v_mov_b32_dpp v6, v1 quad_perm:[1,0,3,2] row_mask:0xf bank_mask:0xf bound_ctrl:1
	v_mov_b32_dpp v7, v2 quad_perm:[1,0,3,2] row_mask:0xf bank_mask:0xf bound_ctrl:1
	v_cndmask_b32_e64 v4, 0, 1, s[0:1]
	v_cmp_lt_i64_e32 vcc, v[1:2], v[6:7]
	s_and_b64 vcc, s[0:1], vcc
	v_mov_b32_dpp v8, v4 quad_perm:[1,0,3,2] row_mask:0xf bank_mask:0xf bound_ctrl:1
	v_and_b32_e32 v8, 1, v8
	v_cndmask_b32_e32 v6, v6, v1, vcc
	v_cndmask_b32_e32 v7, v7, v2, vcc
	v_cmp_eq_u32_e32 vcc, 1, v8
	v_cndmask_b32_e32 v2, v2, v7, vcc
	v_cndmask_b32_e32 v1, v1, v6, vcc
	v_cndmask_b32_e64 v4, v4, 1, vcc
	v_mov_b32_dpp v7, v2 quad_perm:[2,3,0,1] row_mask:0xf bank_mask:0xf bound_ctrl:1
	v_mov_b32_dpp v6, v1 quad_perm:[2,3,0,1] row_mask:0xf bank_mask:0xf bound_ctrl:1
	v_and_b32_e32 v9, 1, v4
	v_cmp_lt_i64_e64 s[0:1], v[1:2], v[6:7]
	v_mov_b32_dpp v8, v4 quad_perm:[2,3,0,1] row_mask:0xf bank_mask:0xf bound_ctrl:1
	v_cmp_eq_u32_e32 vcc, 1, v9
	v_and_b32_e32 v8, 1, v8
	s_and_b64 vcc, vcc, s[0:1]
	v_cmp_eq_u32_e64 s[2:3], 1, v8
	v_cndmask_b32_e32 v6, v6, v1, vcc
	v_cndmask_b32_e32 v7, v7, v2, vcc
	v_cndmask_b32_e64 v1, v1, v6, s[2:3]
	v_cndmask_b32_e64 v2, v2, v7, s[2:3]
	;; [unrolled: 1-line block ×3, first 2 shown]
	v_mov_b32_dpp v6, v1 row_ror:4 row_mask:0xf bank_mask:0xf bound_ctrl:1
	v_mov_b32_dpp v7, v2 row_ror:4 row_mask:0xf bank_mask:0xf bound_ctrl:1
	v_and_b32_e32 v9, 1, v4
	v_cmp_lt_i64_e64 s[2:3], v[1:2], v[6:7]
	v_mov_b32_dpp v8, v4 row_ror:4 row_mask:0xf bank_mask:0xf bound_ctrl:1
	v_cmp_eq_u32_e32 vcc, 1, v9
	v_and_b32_e32 v8, 1, v8
	s_and_b64 vcc, vcc, s[2:3]
	v_cmp_eq_u32_e64 s[0:1], 1, v8
	v_cndmask_b32_e32 v6, v6, v1, vcc
	v_cndmask_b32_e32 v7, v7, v2, vcc
	v_cndmask_b32_e64 v1, v1, v6, s[0:1]
	v_cndmask_b32_e64 v2, v2, v7, s[0:1]
	v_cndmask_b32_e64 v4, v4, 1, s[0:1]
	v_mov_b32_dpp v6, v1 row_ror:8 row_mask:0xf bank_mask:0xf bound_ctrl:1
	v_mov_b32_dpp v7, v2 row_ror:8 row_mask:0xf bank_mask:0xf bound_ctrl:1
	v_and_b32_e32 v9, 1, v4
	v_cmp_lt_i64_e64 s[2:3], v[1:2], v[6:7]
	v_mov_b32_dpp v8, v4 row_ror:8 row_mask:0xf bank_mask:0xf bound_ctrl:1
	v_cmp_eq_u32_e64 s[8:9], 1, v9
	v_and_b32_e32 v8, 1, v8
	s_and_b64 s[2:3], s[8:9], s[2:3]
	v_cmp_eq_u32_e64 s[10:11], 1, v8
	v_cndmask_b32_e64 v6, v6, v1, s[2:3]
	v_cndmask_b32_e64 v7, v7, v2, s[2:3]
	;; [unrolled: 1-line block ×5, first 2 shown]
	v_mov_b32_dpp v6, v1 row_bcast:15 row_mask:0xf bank_mask:0xf bound_ctrl:1
	v_mov_b32_dpp v7, v2 row_bcast:15 row_mask:0xf bank_mask:0xf bound_ctrl:1
	v_and_b32_e32 v9, 1, v4
	v_cmp_lt_i64_e64 s[2:3], v[1:2], v[6:7]
	v_mov_b32_dpp v8, v4 row_bcast:15 row_mask:0xf bank_mask:0xf bound_ctrl:1
	v_cmp_eq_u32_e32 vcc, 1, v9
	v_and_b32_e32 v8, 1, v8
	s_and_b64 vcc, vcc, s[2:3]
	v_cmp_eq_u32_e64 s[0:1], 1, v8
	v_cndmask_b32_e32 v6, v6, v1, vcc
	v_cndmask_b32_e32 v7, v7, v2, vcc
	v_cndmask_b32_e64 v4, v4, 1, s[0:1]
	v_cndmask_b32_e64 v1, v1, v6, s[0:1]
	;; [unrolled: 1-line block ×3, first 2 shown]
	v_mov_b32_dpp v8, v4 row_bcast:31 row_mask:0xf bank_mask:0xf bound_ctrl:1
	v_mov_b32_dpp v6, v1 row_bcast:31 row_mask:0xf bank_mask:0xf bound_ctrl:1
	;; [unrolled: 1-line block ×3, first 2 shown]
	v_and_b32_e32 v9, 1, v4
	v_and_b32_e32 v8, 1, v8
	v_cmp_lt_i64_e32 vcc, v[1:2], v[6:7]
	v_cmp_eq_u32_e64 s[12:13], 1, v9
	v_cmp_eq_u32_e64 s[8:9], 1, v8
	v_cndmask_b32_e64 v4, v4, 1, s[8:9]
	s_and_b64 vcc, s[12:13], vcc
	ds_bpermute_b32 v9, v16, v4
	v_cndmask_b32_e32 v4, v6, v1, vcc
	v_cndmask_b32_e32 v6, v7, v2, vcc
	v_cndmask_b32_e64 v1, v1, v4, s[8:9]
	v_cndmask_b32_e64 v2, v2, v6, s[8:9]
	ds_bpermute_b32 v1, v16, v1
	ds_bpermute_b32 v2, v16, v2
	v_cmp_eq_u32_e32 vcc, 0, v3
	s_and_saveexec_b64 s[0:1], vcc
	s_cbranch_execz .LBB756_20
; %bb.19:
	v_lshrrev_b32_e32 v4, 2, v0
	v_and_b32_e32 v4, 16, v4
	s_waitcnt lgkmcnt(2)
	ds_write_b8 v4, v9 offset:64
	s_waitcnt lgkmcnt(1)
	ds_write_b64 v4, v[1:2] offset:72
.LBB756_20:
	s_or_b64 exec, exec, s[0:1]
	v_cmp_gt_u32_e32 vcc, 64, v0
	s_waitcnt lgkmcnt(0)
	s_barrier
	s_and_saveexec_b64 s[0:1], vcc
	s_cbranch_execz .LBB756_26
; %bb.21:
	v_and_b32_e32 v1, 1, v3
	v_lshlrev_b32_e32 v1, 4, v1
	ds_read_u8 v7, v1 offset:64
	ds_read_b64 v[3:4], v1 offset:72
	v_or_b32_e32 v2, 4, v5
	s_waitcnt lgkmcnt(1)
	v_and_b32_e32 v1, 0xff, v7
	ds_bpermute_b32 v8, v2, v1
	s_waitcnt lgkmcnt(1)
	ds_bpermute_b32 v5, v2, v3
	ds_bpermute_b32 v6, v2, v4
	s_waitcnt lgkmcnt(2)
	v_and_b32_e32 v1, v7, v8
	v_and_b32_e32 v1, 1, v1
	v_cmp_eq_u32_e32 vcc, 1, v1
                                        ; implicit-def: $vgpr1_vgpr2
	s_and_saveexec_b64 s[2:3], vcc
	s_xor_b64 s[2:3], exec, s[2:3]
	s_cbranch_execz .LBB756_23
; %bb.22:
	s_waitcnt lgkmcnt(0)
	v_cmp_lt_i64_e32 vcc, v[5:6], v[3:4]
                                        ; implicit-def: $vgpr7
                                        ; implicit-def: $vgpr8
	v_cndmask_b32_e32 v2, v4, v6, vcc
	v_cndmask_b32_e32 v1, v3, v5, vcc
                                        ; implicit-def: $vgpr5_vgpr6
                                        ; implicit-def: $vgpr3_vgpr4
.LBB756_23:
	s_or_saveexec_b64 s[2:3], s[2:3]
	v_mov_b32_e32 v9, 1
	s_xor_b64 exec, exec, s[2:3]
	s_cbranch_execz .LBB756_25
; %bb.24:
	v_and_b32_e32 v1, 1, v7
	v_cmp_eq_u32_e32 vcc, 1, v1
	s_waitcnt lgkmcnt(0)
	v_cndmask_b32_e32 v2, v6, v4, vcc
	v_cndmask_b32_e32 v1, v5, v3, vcc
	v_cndmask_b32_e64 v9, v8, 1, vcc
.LBB756_25:
	s_or_b64 exec, exec, s[2:3]
.LBB756_26:
	s_or_b64 exec, exec, s[0:1]
	s_branch .LBB756_214
.LBB756_27:
                                        ; implicit-def: $vgpr3_vgpr4
                                        ; implicit-def: $vgpr5
                                        ; implicit-def: $vgpr1_vgpr2
	s_branch .LBB756_322
.LBB756_28:
                                        ; implicit-def: $vgpr1_vgpr2
                                        ; implicit-def: $vgpr17
	s_cbranch_execz .LBB756_145
; %bb.29:
	s_sub_i32 s37, s22, s12
	v_mov_b32_e32 v15, 0
	v_mov_b32_e32 v1, 0
	v_cmp_gt_u32_e32 vcc, s37, v0
	v_mov_b32_e32 v24, 0
	v_mov_b32_e32 v16, 0
	v_mov_b32_e32 v2, 0
	v_mov_b32_e32 v17, 0
	s_and_saveexec_b64 s[0:1], vcc
	s_cbranch_execz .LBB756_31
; %bb.30:
	global_load_ubyte v3, v0, s[16:17]
	global_load_ubyte v4, v0, s[30:31]
	v_mov_b32_e32 v2, s39
	v_add_co_u32_e32 v1, vcc, s38, v0
	v_addc_co_u32_e32 v2, vcc, 0, v2, vcc
	s_waitcnt vmcnt(0)
	v_cmp_ne_u16_e32 vcc, v3, v4
	v_cndmask_b32_e64 v17, 0, 1, vcc
.LBB756_31:
	s_or_b64 exec, exec, s[0:1]
	v_or_b32_e32 v3, 0x80, v0
	v_cmp_gt_u32_e64 s[14:15], s37, v3
	s_and_saveexec_b64 s[0:1], s[14:15]
	s_cbranch_execz .LBB756_33
; %bb.32:
	global_load_ubyte v4, v0, s[16:17] offset:128
	s_waitcnt lgkmcnt(1)
	global_load_ubyte v5, v0, s[30:31] offset:128
	s_waitcnt lgkmcnt(0)
	v_mov_b32_e32 v6, s39
	v_add_co_u32_e32 v15, vcc, s38, v3
	v_addc_co_u32_e32 v16, vcc, 0, v6, vcc
	s_waitcnt vmcnt(0)
	v_cmp_ne_u16_e32 vcc, v4, v5
	v_cndmask_b32_e64 v24, 0, 1, vcc
.LBB756_33:
	s_or_b64 exec, exec, s[0:1]
	v_or_b32_e32 v3, 0x100, v0
	v_mov_b32_e32 v11, 0
	v_mov_b32_e32 v13, 0
	v_cmp_gt_u32_e64 s[12:13], s37, v3
	v_mov_b32_e32 v22, 0
	v_mov_b32_e32 v12, 0
	;; [unrolled: 1-line block ×4, first 2 shown]
	s_and_saveexec_b64 s[0:1], s[12:13]
	s_cbranch_execz .LBB756_35
; %bb.34:
	global_load_ubyte v4, v0, s[16:17] offset:256
	s_waitcnt lgkmcnt(1)
	global_load_ubyte v5, v0, s[30:31] offset:256
	s_waitcnt lgkmcnt(0)
	v_mov_b32_e32 v6, s39
	v_add_co_u32_e32 v13, vcc, s38, v3
	v_addc_co_u32_e32 v14, vcc, 0, v6, vcc
	s_waitcnt vmcnt(0)
	v_cmp_ne_u16_e32 vcc, v4, v5
	v_cndmask_b32_e64 v23, 0, 1, vcc
.LBB756_35:
	s_or_b64 exec, exec, s[0:1]
	v_or_b32_e32 v3, 0x180, v0
	v_cmp_gt_u32_e64 s[10:11], s37, v3
	s_and_saveexec_b64 s[0:1], s[10:11]
	s_cbranch_execz .LBB756_37
; %bb.36:
	global_load_ubyte v4, v0, s[16:17] offset:384
	s_waitcnt lgkmcnt(1)
	global_load_ubyte v5, v0, s[30:31] offset:384
	s_waitcnt lgkmcnt(0)
	v_mov_b32_e32 v6, s39
	v_add_co_u32_e32 v11, vcc, s38, v3
	v_addc_co_u32_e32 v12, vcc, 0, v6, vcc
	s_waitcnt vmcnt(0)
	v_cmp_ne_u16_e32 vcc, v4, v5
	v_cndmask_b32_e64 v22, 0, 1, vcc
.LBB756_37:
	s_or_b64 exec, exec, s[0:1]
	v_or_b32_e32 v3, 0x200, v0
	v_mov_b32_e32 v7, 0
	v_mov_b32_e32 v9, 0
	v_cmp_gt_u32_e64 s[8:9], s37, v3
	v_mov_b32_e32 v20, 0
	v_mov_b32_e32 v8, 0
	v_mov_b32_e32 v10, 0
	v_mov_b32_e32 v21, 0
	s_and_saveexec_b64 s[0:1], s[8:9]
	s_cbranch_execz .LBB756_39
; %bb.38:
	global_load_ubyte v4, v0, s[16:17] offset:512
	s_waitcnt lgkmcnt(1)
	global_load_ubyte v5, v0, s[30:31] offset:512
	s_waitcnt lgkmcnt(0)
	v_mov_b32_e32 v6, s39
	v_add_co_u32_e32 v9, vcc, s38, v3
	v_addc_co_u32_e32 v10, vcc, 0, v6, vcc
	s_waitcnt vmcnt(0)
	v_cmp_ne_u16_e32 vcc, v4, v5
	v_cndmask_b32_e64 v21, 0, 1, vcc
.LBB756_39:
	s_or_b64 exec, exec, s[0:1]
	v_or_b32_e32 v3, 0x280, v0
	v_cmp_gt_u32_e64 s[2:3], s37, v3
	s_and_saveexec_b64 s[0:1], s[2:3]
	s_cbranch_execz .LBB756_41
; %bb.40:
	global_load_ubyte v4, v0, s[16:17] offset:640
	s_waitcnt lgkmcnt(1)
	global_load_ubyte v5, v0, s[30:31] offset:640
	s_waitcnt lgkmcnt(0)
	v_mov_b32_e32 v6, s39
	v_add_co_u32_e32 v7, vcc, s38, v3
	v_addc_co_u32_e32 v8, vcc, 0, v6, vcc
	s_waitcnt vmcnt(0)
	v_cmp_ne_u16_e32 vcc, v4, v5
	v_cndmask_b32_e64 v20, 0, 1, vcc
.LBB756_41:
	s_or_b64 exec, exec, s[0:1]
	v_or_b32_e32 v25, 0x300, v0
	v_mov_b32_e32 v3, 0
	s_waitcnt lgkmcnt(0)
	v_mov_b32_e32 v5, 0
	v_cmp_gt_u32_e64 s[0:1], s37, v25
	v_mov_b32_e32 v4, 0
	v_mov_b32_e32 v18, 0
	;; [unrolled: 1-line block ×4, first 2 shown]
	s_and_saveexec_b64 s[34:35], s[0:1]
	s_cbranch_execz .LBB756_43
; %bb.42:
	global_load_ubyte v19, v0, s[16:17] offset:768
	global_load_ubyte v26, v0, s[30:31] offset:768
	v_mov_b32_e32 v6, s39
	v_add_co_u32_e32 v5, vcc, s38, v25
	v_addc_co_u32_e32 v6, vcc, 0, v6, vcc
	s_waitcnt vmcnt(0)
	v_cmp_ne_u16_e32 vcc, v19, v26
	v_cndmask_b32_e64 v19, 0, 1, vcc
.LBB756_43:
	s_or_b64 exec, exec, s[34:35]
	v_or_b32_e32 v25, 0x380, v0
	v_cmp_gt_u32_e32 vcc, s37, v25
	s_and_saveexec_b64 s[34:35], vcc
	s_cbranch_execnz .LBB756_62
; %bb.44:
	s_or_b64 exec, exec, s[34:35]
	s_and_saveexec_b64 s[30:31], s[14:15]
	s_cbranch_execnz .LBB756_63
.LBB756_45:
	s_or_b64 exec, exec, s[30:31]
	s_and_saveexec_b64 s[16:17], s[12:13]
	s_cbranch_execnz .LBB756_68
.LBB756_46:
	s_or_b64 exec, exec, s[16:17]
	s_and_saveexec_b64 s[14:15], s[10:11]
	s_cbranch_execnz .LBB756_73
.LBB756_47:
	s_or_b64 exec, exec, s[14:15]
	s_and_saveexec_b64 s[12:13], s[8:9]
	s_cbranch_execnz .LBB756_78
.LBB756_48:
	s_or_b64 exec, exec, s[12:13]
	s_and_saveexec_b64 s[10:11], s[2:3]
	s_cbranch_execnz .LBB756_83
.LBB756_49:
	s_or_b64 exec, exec, s[10:11]
	s_and_saveexec_b64 s[8:9], s[0:1]
	s_cbranch_execnz .LBB756_88
.LBB756_50:
	s_or_b64 exec, exec, s[8:9]
	s_and_saveexec_b64 s[2:3], vcc
	s_cbranch_execnz .LBB756_93
	s_branch .LBB756_98
.LBB756_51:
                                        ; implicit-def: $vgpr1_vgpr2
                                        ; implicit-def: $vgpr9
	s_cbranch_execz .LBB756_214
; %bb.52:
	s_sub_i32 s12, s22, s34
	s_waitcnt lgkmcnt(1)
	v_mov_b32_e32 v7, 0
	v_mov_b32_e32 v1, 0
	v_cmp_gt_u32_e32 vcc, s12, v0
	v_mov_b32_e32 v12, 0
	v_mov_b32_e32 v8, 0
	;; [unrolled: 1-line block ×4, first 2 shown]
	s_and_saveexec_b64 s[0:1], vcc
	s_cbranch_execz .LBB756_54
; %bb.53:
	global_load_ubyte v3, v0, s[16:17]
	s_waitcnt lgkmcnt(0)
	global_load_ubyte v4, v0, s[28:29]
	v_mov_b32_e32 v2, s31
	v_add_co_u32_e32 v1, vcc, s30, v0
	v_addc_co_u32_e32 v2, vcc, 0, v2, vcc
	s_waitcnt vmcnt(0)
	v_cmp_ne_u16_e32 vcc, v3, v4
	v_cndmask_b32_e64 v9, 0, 1, vcc
.LBB756_54:
	s_or_b64 exec, exec, s[0:1]
	v_or_b32_e32 v3, 0x80, v0
	v_cmp_gt_u32_e64 s[2:3], s12, v3
	s_and_saveexec_b64 s[0:1], s[2:3]
	s_cbranch_execz .LBB756_56
; %bb.55:
	s_waitcnt lgkmcnt(0)
	global_load_ubyte v4, v0, s[16:17] offset:128
	global_load_ubyte v5, v0, s[28:29] offset:128
	v_mov_b32_e32 v6, s31
	v_add_co_u32_e32 v7, vcc, s30, v3
	v_addc_co_u32_e32 v8, vcc, 0, v6, vcc
	s_waitcnt vmcnt(0)
	v_cmp_ne_u16_e32 vcc, v4, v5
	v_cndmask_b32_e64 v12, 0, 1, vcc
.LBB756_56:
	s_or_b64 exec, exec, s[0:1]
	v_or_b32_e32 v13, 0x100, v0
	s_waitcnt lgkmcnt(0)
	v_mov_b32_e32 v3, 0
	v_mov_b32_e32 v5, 0
	v_cmp_gt_u32_e64 s[0:1], s12, v13
	v_mov_b32_e32 v10, 0
	v_mov_b32_e32 v4, 0
	;; [unrolled: 1-line block ×4, first 2 shown]
	s_and_saveexec_b64 s[8:9], s[0:1]
	s_cbranch_execz .LBB756_58
; %bb.57:
	global_load_ubyte v11, v0, s[16:17] offset:256
	global_load_ubyte v14, v0, s[28:29] offset:256
	v_mov_b32_e32 v6, s31
	v_add_co_u32_e32 v5, vcc, s30, v13
	v_addc_co_u32_e32 v6, vcc, 0, v6, vcc
	s_waitcnt vmcnt(0)
	v_cmp_ne_u16_e32 vcc, v11, v14
	v_cndmask_b32_e64 v11, 0, 1, vcc
.LBB756_58:
	s_or_b64 exec, exec, s[8:9]
	v_or_b32_e32 v13, 0x180, v0
	v_cmp_gt_u32_e32 vcc, s12, v13
	s_and_saveexec_b64 s[10:11], vcc
	s_cbranch_execnz .LBB756_151
; %bb.59:
	s_or_b64 exec, exec, s[10:11]
	s_and_saveexec_b64 s[10:11], s[2:3]
	s_cbranch_execnz .LBB756_152
.LBB756_60:
	s_or_b64 exec, exec, s[10:11]
	s_and_saveexec_b64 s[8:9], s[0:1]
	s_cbranch_execnz .LBB756_157
.LBB756_61:
	s_or_b64 exec, exec, s[8:9]
	s_and_saveexec_b64 s[2:3], vcc
	s_cbranch_execnz .LBB756_162
	s_branch .LBB756_167
.LBB756_62:
	global_load_ubyte v18, v0, s[16:17] offset:896
	global_load_ubyte v26, v0, s[30:31] offset:896
	v_mov_b32_e32 v4, s39
	v_add_co_u32_e64 v3, s[16:17], s38, v25
	v_addc_co_u32_e64 v4, s[16:17], 0, v4, s[16:17]
	s_waitcnt vmcnt(0)
	v_cmp_ne_u16_e64 s[16:17], v18, v26
	v_cndmask_b32_e64 v18, 0, 1, s[16:17]
	s_or_b64 exec, exec, s[34:35]
	s_and_saveexec_b64 s[30:31], s[14:15]
	s_cbranch_execz .LBB756_45
.LBB756_63:
	v_and_b32_e32 v17, 1, v17
	v_cmp_eq_u32_e64 s[14:15], 1, v17
	v_and_b32_e32 v17, 1, v24
	v_cmp_eq_u32_e64 s[16:17], 1, v17
	s_and_b64 s[16:17], s[14:15], s[16:17]
	s_xor_b64 s[16:17], s[16:17], -1
                                        ; implicit-def: $vgpr17
	s_and_saveexec_b64 s[34:35], s[16:17]
	s_xor_b64 s[16:17], exec, s[34:35]
; %bb.64:
	v_and_b32_e32 v17, 0xffff, v24
	v_cndmask_b32_e64 v17, v17, 1, s[14:15]
	v_cndmask_b32_e64 v2, v16, v2, s[14:15]
	;; [unrolled: 1-line block ×3, first 2 shown]
                                        ; implicit-def: $vgpr15_vgpr16
; %bb.65:
	s_andn2_saveexec_b64 s[16:17], s[16:17]
; %bb.66:
	v_cmp_lt_i64_e64 s[14:15], v[15:16], v[1:2]
	v_mov_b32_e32 v17, 1
	v_cndmask_b32_e64 v2, v2, v16, s[14:15]
	v_cndmask_b32_e64 v1, v1, v15, s[14:15]
; %bb.67:
	s_or_b64 exec, exec, s[16:17]
	s_or_b64 exec, exec, s[30:31]
	s_and_saveexec_b64 s[16:17], s[12:13]
	s_cbranch_execz .LBB756_46
.LBB756_68:
	v_and_b32_e32 v15, 1, v17
	v_cmp_eq_u32_e64 s[12:13], 1, v15
	v_and_b32_e32 v15, 1, v23
	v_cmp_eq_u32_e64 s[14:15], 1, v15
	s_and_b64 s[14:15], s[12:13], s[14:15]
	s_xor_b64 s[14:15], s[14:15], -1
                                        ; implicit-def: $vgpr17
	s_and_saveexec_b64 s[30:31], s[14:15]
	s_xor_b64 s[14:15], exec, s[30:31]
; %bb.69:
	v_and_b32_e32 v15, 0xffff, v23
	v_cndmask_b32_e64 v17, v15, 1, s[12:13]
	v_cndmask_b32_e64 v2, v14, v2, s[12:13]
	;; [unrolled: 1-line block ×3, first 2 shown]
                                        ; implicit-def: $vgpr13_vgpr14
; %bb.70:
	s_andn2_saveexec_b64 s[14:15], s[14:15]
; %bb.71:
	v_cmp_lt_i64_e64 s[12:13], v[13:14], v[1:2]
	v_mov_b32_e32 v17, 1
	v_cndmask_b32_e64 v2, v2, v14, s[12:13]
	v_cndmask_b32_e64 v1, v1, v13, s[12:13]
; %bb.72:
	s_or_b64 exec, exec, s[14:15]
	s_or_b64 exec, exec, s[16:17]
	s_and_saveexec_b64 s[14:15], s[10:11]
	s_cbranch_execz .LBB756_47
.LBB756_73:
	v_and_b32_e32 v13, 1, v17
	v_cmp_eq_u32_e64 s[10:11], 1, v13
	v_and_b32_e32 v13, 1, v22
	v_cmp_eq_u32_e64 s[12:13], 1, v13
	s_and_b64 s[12:13], s[10:11], s[12:13]
	s_xor_b64 s[12:13], s[12:13], -1
                                        ; implicit-def: $vgpr17
	s_and_saveexec_b64 s[16:17], s[12:13]
	s_xor_b64 s[12:13], exec, s[16:17]
; %bb.74:
	v_and_b32_e32 v13, 0xffff, v22
	v_cndmask_b32_e64 v17, v13, 1, s[10:11]
	v_cndmask_b32_e64 v2, v12, v2, s[10:11]
	v_cndmask_b32_e64 v1, v11, v1, s[10:11]
                                        ; implicit-def: $vgpr11_vgpr12
; %bb.75:
	s_andn2_saveexec_b64 s[12:13], s[12:13]
; %bb.76:
	v_cmp_lt_i64_e64 s[10:11], v[11:12], v[1:2]
	v_mov_b32_e32 v17, 1
	v_cndmask_b32_e64 v2, v2, v12, s[10:11]
	v_cndmask_b32_e64 v1, v1, v11, s[10:11]
; %bb.77:
	s_or_b64 exec, exec, s[12:13]
	s_or_b64 exec, exec, s[14:15]
	s_and_saveexec_b64 s[12:13], s[8:9]
	s_cbranch_execz .LBB756_48
.LBB756_78:
	v_and_b32_e32 v11, 1, v17
	v_cmp_eq_u32_e64 s[8:9], 1, v11
	v_and_b32_e32 v11, 1, v21
	v_cmp_eq_u32_e64 s[10:11], 1, v11
	s_and_b64 s[10:11], s[8:9], s[10:11]
	s_xor_b64 s[10:11], s[10:11], -1
                                        ; implicit-def: $vgpr17
	s_and_saveexec_b64 s[14:15], s[10:11]
	s_xor_b64 s[10:11], exec, s[14:15]
; %bb.79:
	v_and_b32_e32 v11, 0xffff, v21
	v_cndmask_b32_e64 v17, v11, 1, s[8:9]
	v_cndmask_b32_e64 v2, v10, v2, s[8:9]
	;; [unrolled: 1-line block ×3, first 2 shown]
                                        ; implicit-def: $vgpr9_vgpr10
; %bb.80:
	s_andn2_saveexec_b64 s[10:11], s[10:11]
; %bb.81:
	v_cmp_lt_i64_e64 s[8:9], v[9:10], v[1:2]
	v_mov_b32_e32 v17, 1
	v_cndmask_b32_e64 v2, v2, v10, s[8:9]
	v_cndmask_b32_e64 v1, v1, v9, s[8:9]
; %bb.82:
	s_or_b64 exec, exec, s[10:11]
	s_or_b64 exec, exec, s[12:13]
	s_and_saveexec_b64 s[10:11], s[2:3]
	s_cbranch_execz .LBB756_49
.LBB756_83:
	v_and_b32_e32 v9, 1, v17
	v_cmp_eq_u32_e64 s[2:3], 1, v9
	v_and_b32_e32 v9, 1, v20
	v_cmp_eq_u32_e64 s[8:9], 1, v9
	s_and_b64 s[8:9], s[2:3], s[8:9]
	s_xor_b64 s[8:9], s[8:9], -1
                                        ; implicit-def: $vgpr17
	s_and_saveexec_b64 s[12:13], s[8:9]
	s_xor_b64 s[8:9], exec, s[12:13]
; %bb.84:
	v_and_b32_e32 v9, 0xffff, v20
	v_cndmask_b32_e64 v17, v9, 1, s[2:3]
	v_cndmask_b32_e64 v2, v8, v2, s[2:3]
	;; [unrolled: 1-line block ×3, first 2 shown]
                                        ; implicit-def: $vgpr7_vgpr8
; %bb.85:
	s_andn2_saveexec_b64 s[8:9], s[8:9]
; %bb.86:
	v_cmp_lt_i64_e64 s[2:3], v[7:8], v[1:2]
	v_mov_b32_e32 v17, 1
	v_cndmask_b32_e64 v2, v2, v8, s[2:3]
	v_cndmask_b32_e64 v1, v1, v7, s[2:3]
; %bb.87:
	s_or_b64 exec, exec, s[8:9]
	s_or_b64 exec, exec, s[10:11]
	s_and_saveexec_b64 s[8:9], s[0:1]
	s_cbranch_execz .LBB756_50
.LBB756_88:
	v_and_b32_e32 v7, 1, v17
	v_cmp_eq_u32_e64 s[0:1], 1, v7
	v_and_b32_e32 v7, 1, v19
	v_cmp_eq_u32_e64 s[2:3], 1, v7
	s_and_b64 s[2:3], s[0:1], s[2:3]
	s_xor_b64 s[2:3], s[2:3], -1
                                        ; implicit-def: $vgpr17
	s_and_saveexec_b64 s[10:11], s[2:3]
	s_xor_b64 s[2:3], exec, s[10:11]
; %bb.89:
	v_and_b32_e32 v7, 0xffff, v19
	v_cndmask_b32_e64 v17, v7, 1, s[0:1]
	v_cndmask_b32_e64 v2, v6, v2, s[0:1]
	;; [unrolled: 1-line block ×3, first 2 shown]
                                        ; implicit-def: $vgpr5_vgpr6
; %bb.90:
	s_andn2_saveexec_b64 s[2:3], s[2:3]
; %bb.91:
	v_cmp_lt_i64_e64 s[0:1], v[5:6], v[1:2]
	v_mov_b32_e32 v17, 1
	v_cndmask_b32_e64 v2, v2, v6, s[0:1]
	v_cndmask_b32_e64 v1, v1, v5, s[0:1]
; %bb.92:
	s_or_b64 exec, exec, s[2:3]
	s_or_b64 exec, exec, s[8:9]
	s_and_saveexec_b64 s[2:3], vcc
	s_cbranch_execz .LBB756_98
.LBB756_93:
	v_and_b32_e32 v5, 1, v17
	v_cmp_eq_u32_e32 vcc, 1, v5
	v_and_b32_e32 v5, 1, v18
	v_cmp_eq_u32_e64 s[0:1], 1, v5
	s_and_b64 s[0:1], vcc, s[0:1]
	s_xor_b64 s[0:1], s[0:1], -1
                                        ; implicit-def: $vgpr17
	s_and_saveexec_b64 s[8:9], s[0:1]
	s_xor_b64 s[0:1], exec, s[8:9]
; %bb.94:
	v_and_b32_e32 v5, 0xffff, v18
	v_cndmask_b32_e64 v17, v5, 1, vcc
	v_cndmask_b32_e32 v2, v4, v2, vcc
	v_cndmask_b32_e32 v1, v3, v1, vcc
                                        ; implicit-def: $vgpr3_vgpr4
; %bb.95:
	s_andn2_saveexec_b64 s[0:1], s[0:1]
; %bb.96:
	v_cmp_lt_i64_e32 vcc, v[3:4], v[1:2]
	v_mov_b32_e32 v17, 1
	v_cndmask_b32_e32 v2, v2, v4, vcc
	v_cndmask_b32_e32 v1, v1, v3, vcc
; %bb.97:
	s_or_b64 exec, exec, s[0:1]
.LBB756_98:
	s_or_b64 exec, exec, s[2:3]
	v_mbcnt_lo_u32_b32 v3, -1, 0
	v_mbcnt_hi_u32_b32 v5, -1, v3
	v_and_b32_e32 v6, 63, v5
	v_cmp_ne_u32_e32 vcc, 63, v6
	v_addc_co_u32_e32 v3, vcc, 0, v5, vcc
	v_lshlrev_b32_e32 v4, 2, v3
	ds_bpermute_b32 v8, v4, v17
	ds_bpermute_b32 v3, v4, v1
	;; [unrolled: 1-line block ×3, first 2 shown]
	s_min_u32 s8, s37, 0x80
	v_and_b32_e32 v7, 64, v0
	v_sub_u32_e64 v7, s8, v7 clamp
	v_add_u32_e32 v9, 1, v6
	v_cmp_lt_u32_e32 vcc, v9, v7
	s_and_saveexec_b64 s[0:1], vcc
	s_xor_b64 s[0:1], exec, s[0:1]
	s_cbranch_execz .LBB756_104
; %bb.99:
	s_waitcnt lgkmcnt(2)
	v_and_b32_e32 v9, v8, v17
	v_cmp_ne_u32_e32 vcc, 0, v9
	s_and_saveexec_b64 s[2:3], vcc
	s_xor_b64 s[2:3], exec, s[2:3]
	s_cbranch_execz .LBB756_101
; %bb.100:
	s_waitcnt lgkmcnt(0)
	v_cmp_lt_i64_e32 vcc, v[3:4], v[1:2]
                                        ; implicit-def: $vgpr17
                                        ; implicit-def: $vgpr8
	v_cndmask_b32_e32 v2, v2, v4, vcc
	v_cndmask_b32_e32 v1, v1, v3, vcc
                                        ; implicit-def: $vgpr3_vgpr4
.LBB756_101:
	s_or_saveexec_b64 s[2:3], s[2:3]
	v_mov_b32_e32 v9, 1
	s_xor_b64 exec, exec, s[2:3]
	s_cbranch_execz .LBB756_103
; %bb.102:
	v_and_b32_e32 v9, 1, v17
	v_cmp_eq_u32_e32 vcc, 1, v9
	s_waitcnt lgkmcnt(1)
	v_cndmask_b32_e32 v1, v3, v1, vcc
	v_and_b32_e32 v3, 0xff, v8
	s_waitcnt lgkmcnt(0)
	v_cndmask_b32_e32 v2, v4, v2, vcc
	v_cndmask_b32_e64 v9, v3, 1, vcc
.LBB756_103:
	s_or_b64 exec, exec, s[2:3]
	v_mov_b32_e32 v17, v9
.LBB756_104:
	s_or_b64 exec, exec, s[0:1]
	v_cmp_gt_u32_e32 vcc, 62, v6
	s_waitcnt lgkmcnt(1)
	v_cndmask_b32_e64 v3, 0, 2, vcc
	s_waitcnt lgkmcnt(0)
	v_add_lshl_u32 v4, v3, v5, 2
	ds_bpermute_b32 v8, v4, v17
	ds_bpermute_b32 v3, v4, v1
	ds_bpermute_b32 v4, v4, v2
	v_add_u32_e32 v9, 2, v6
	v_cmp_lt_u32_e32 vcc, v9, v7
	s_and_saveexec_b64 s[0:1], vcc
	s_cbranch_execz .LBB756_110
; %bb.105:
	s_waitcnt lgkmcnt(2)
	v_and_b32_e32 v9, v17, v8
	v_and_b32_e32 v9, 1, v9
	v_cmp_eq_u32_e32 vcc, 1, v9
	s_and_saveexec_b64 s[2:3], vcc
	s_xor_b64 s[2:3], exec, s[2:3]
	s_cbranch_execz .LBB756_107
; %bb.106:
	s_waitcnt lgkmcnt(0)
	v_cmp_lt_i64_e32 vcc, v[3:4], v[1:2]
                                        ; implicit-def: $vgpr17
                                        ; implicit-def: $vgpr8
	v_cndmask_b32_e32 v2, v2, v4, vcc
	v_cndmask_b32_e32 v1, v1, v3, vcc
                                        ; implicit-def: $vgpr3_vgpr4
.LBB756_107:
	s_or_saveexec_b64 s[2:3], s[2:3]
	v_mov_b32_e32 v9, 1
	s_xor_b64 exec, exec, s[2:3]
	s_cbranch_execz .LBB756_109
; %bb.108:
	v_and_b32_e32 v9, 1, v17
	v_cmp_eq_u32_e32 vcc, 1, v9
	s_waitcnt lgkmcnt(1)
	v_cndmask_b32_e32 v1, v3, v1, vcc
	v_and_b32_e32 v3, 0xff, v8
	s_waitcnt lgkmcnt(0)
	v_cndmask_b32_e32 v2, v4, v2, vcc
	v_cndmask_b32_e64 v9, v3, 1, vcc
.LBB756_109:
	s_or_b64 exec, exec, s[2:3]
	v_mov_b32_e32 v17, v9
.LBB756_110:
	s_or_b64 exec, exec, s[0:1]
	v_cmp_gt_u32_e32 vcc, 60, v6
	s_waitcnt lgkmcnt(1)
	v_cndmask_b32_e64 v3, 0, 4, vcc
	s_waitcnt lgkmcnt(0)
	v_add_lshl_u32 v4, v3, v5, 2
	ds_bpermute_b32 v8, v4, v17
	ds_bpermute_b32 v3, v4, v1
	ds_bpermute_b32 v4, v4, v2
	v_add_u32_e32 v9, 4, v6
	v_cmp_lt_u32_e32 vcc, v9, v7
	s_and_saveexec_b64 s[0:1], vcc
	s_cbranch_execz .LBB756_116
; %bb.111:
	s_waitcnt lgkmcnt(2)
	v_and_b32_e32 v9, v17, v8
	v_and_b32_e32 v9, 1, v9
	v_cmp_eq_u32_e32 vcc, 1, v9
	s_and_saveexec_b64 s[2:3], vcc
	s_xor_b64 s[2:3], exec, s[2:3]
	s_cbranch_execz .LBB756_113
; %bb.112:
	s_waitcnt lgkmcnt(0)
	v_cmp_lt_i64_e32 vcc, v[3:4], v[1:2]
                                        ; implicit-def: $vgpr17
                                        ; implicit-def: $vgpr8
	v_cndmask_b32_e32 v2, v2, v4, vcc
	v_cndmask_b32_e32 v1, v1, v3, vcc
                                        ; implicit-def: $vgpr3_vgpr4
.LBB756_113:
	s_or_saveexec_b64 s[2:3], s[2:3]
	v_mov_b32_e32 v9, 1
	s_xor_b64 exec, exec, s[2:3]
	s_cbranch_execz .LBB756_115
; %bb.114:
	v_and_b32_e32 v9, 1, v17
	v_cmp_eq_u32_e32 vcc, 1, v9
	s_waitcnt lgkmcnt(1)
	v_cndmask_b32_e32 v1, v3, v1, vcc
	v_and_b32_e32 v3, 0xff, v8
	s_waitcnt lgkmcnt(0)
	v_cndmask_b32_e32 v2, v4, v2, vcc
	v_cndmask_b32_e64 v9, v3, 1, vcc
.LBB756_115:
	s_or_b64 exec, exec, s[2:3]
	v_mov_b32_e32 v17, v9
.LBB756_116:
	;; [unrolled: 47-line block ×4, first 2 shown]
	s_or_b64 exec, exec, s[0:1]
	s_waitcnt lgkmcnt(2)
	v_lshlrev_b32_e32 v8, 2, v5
	s_waitcnt lgkmcnt(0)
	v_or_b32_e32 v4, 0x80, v8
	ds_bpermute_b32 v9, v4, v17
	ds_bpermute_b32 v3, v4, v1
	;; [unrolled: 1-line block ×3, first 2 shown]
	v_add_u32_e32 v6, 32, v6
	v_cmp_lt_u32_e32 vcc, v6, v7
	v_mov_b32_e32 v6, v17
	s_and_saveexec_b64 s[0:1], vcc
	s_cbranch_execz .LBB756_134
; %bb.129:
	s_waitcnt lgkmcnt(2)
	v_and_b32_e32 v6, v17, v9
	v_and_b32_e32 v6, 1, v6
	v_cmp_eq_u32_e32 vcc, 1, v6
	s_and_saveexec_b64 s[2:3], vcc
	s_xor_b64 s[2:3], exec, s[2:3]
	s_cbranch_execz .LBB756_131
; %bb.130:
	s_waitcnt lgkmcnt(0)
	v_cmp_lt_i64_e32 vcc, v[3:4], v[1:2]
                                        ; implicit-def: $vgpr17
                                        ; implicit-def: $vgpr9
	v_cndmask_b32_e32 v2, v2, v4, vcc
	v_cndmask_b32_e32 v1, v1, v3, vcc
                                        ; implicit-def: $vgpr3_vgpr4
.LBB756_131:
	s_or_saveexec_b64 s[2:3], s[2:3]
	v_mov_b32_e32 v6, 1
	s_xor_b64 exec, exec, s[2:3]
	s_cbranch_execz .LBB756_133
; %bb.132:
	v_and_b32_e32 v6, 1, v17
	v_cmp_eq_u32_e32 vcc, 1, v6
	v_cndmask_b32_e64 v6, v9, 1, vcc
	s_waitcnt lgkmcnt(0)
	v_cndmask_b32_e32 v2, v4, v2, vcc
	v_cndmask_b32_e32 v1, v3, v1, vcc
.LBB756_133:
	s_or_b64 exec, exec, s[2:3]
	v_and_b32_e32 v17, 0xff, v6
.LBB756_134:
	s_or_b64 exec, exec, s[0:1]
	v_cmp_eq_u32_e32 vcc, 0, v5
	s_and_saveexec_b64 s[0:1], vcc
	s_cbranch_execz .LBB756_136
; %bb.135:
	s_waitcnt lgkmcnt(1)
	v_lshrrev_b32_e32 v3, 2, v0
	v_and_b32_e32 v3, 16, v3
	ds_write_b8 v3, v6 offset:128
	ds_write_b64 v3, v[1:2] offset:136
.LBB756_136:
	s_or_b64 exec, exec, s[0:1]
	v_cmp_gt_u32_e32 vcc, 2, v0
	s_waitcnt lgkmcnt(0)
	s_barrier
	s_and_saveexec_b64 s[0:1], vcc
	s_cbranch_execz .LBB756_144
; %bb.137:
	v_lshlrev_b32_e32 v1, 4, v5
	ds_read_u8 v6, v1 offset:128
	ds_read_b64 v[1:2], v1 offset:136
	v_or_b32_e32 v4, 4, v8
	s_add_i32 s8, s8, 63
	v_and_b32_e32 v5, 1, v5
	s_waitcnt lgkmcnt(1)
	v_and_b32_e32 v17, 0xff, v6
	s_waitcnt lgkmcnt(0)
	ds_bpermute_b32 v3, v4, v1
	ds_bpermute_b32 v7, v4, v17
	;; [unrolled: 1-line block ×3, first 2 shown]
	s_lshr_b32 s2, s8, 6
	v_add_u32_e32 v5, 1, v5
	v_cmp_gt_u32_e32 vcc, s2, v5
	s_and_saveexec_b64 s[2:3], vcc
	s_cbranch_execz .LBB756_143
; %bb.138:
	s_waitcnt lgkmcnt(1)
	v_and_b32_e32 v5, v17, v7
	v_and_b32_e32 v5, 1, v5
	v_cmp_eq_u32_e32 vcc, 1, v5
	s_and_saveexec_b64 s[8:9], vcc
	s_xor_b64 s[8:9], exec, s[8:9]
	s_cbranch_execz .LBB756_140
; %bb.139:
	s_waitcnt lgkmcnt(0)
	v_cmp_lt_i64_e32 vcc, v[3:4], v[1:2]
                                        ; implicit-def: $vgpr6
                                        ; implicit-def: $vgpr7
	v_cndmask_b32_e32 v2, v2, v4, vcc
	v_cndmask_b32_e32 v1, v1, v3, vcc
                                        ; implicit-def: $vgpr3_vgpr4
.LBB756_140:
	s_or_saveexec_b64 s[8:9], s[8:9]
	v_mov_b32_e32 v17, 1
	s_xor_b64 exec, exec, s[8:9]
	s_cbranch_execz .LBB756_142
; %bb.141:
	v_and_b32_e32 v5, 1, v6
	v_cmp_eq_u32_e32 vcc, 1, v5
	s_waitcnt lgkmcnt(0)
	v_cndmask_b32_e32 v2, v4, v2, vcc
	v_cndmask_b32_e32 v1, v3, v1, vcc
	v_cndmask_b32_e64 v17, v7, 1, vcc
.LBB756_142:
	s_or_b64 exec, exec, s[8:9]
.LBB756_143:
	s_or_b64 exec, exec, s[2:3]
.LBB756_144:
	s_or_b64 exec, exec, s[0:1]
.LBB756_145:
	v_cmp_eq_u32_e32 vcc, 0, v0
	s_mov_b64 s[14:15], 0
                                        ; implicit-def: $vgpr3_vgpr4
                                        ; implicit-def: $vgpr5
	s_and_saveexec_b64 s[0:1], vcc
	s_xor_b64 s[8:9], exec, s[0:1]
	s_cbranch_execz .LBB756_149
; %bb.146:
	s_waitcnt lgkmcnt(0)
	v_mov_b32_e32 v3, s18
	s_cmp_eq_u64 s[22:23], 0
	v_mov_b32_e32 v4, s19
	v_mov_b32_e32 v5, s33
	s_cbranch_scc1 .LBB756_148
; %bb.147:
	v_and_b32_e32 v3, 1, v17
	v_cmp_gt_i64_e64 s[0:1], s[18:19], v[1:2]
	s_bitcmp1_b32 s33, 0
	v_cmp_eq_u32_e32 vcc, 1, v3
	s_cselect_b64 s[2:3], -1, 0
	v_mov_b32_e32 v3, s18
	s_and_b64 vcc, vcc, s[0:1]
	v_mov_b32_e32 v4, s19
	v_cndmask_b32_e32 v3, v3, v1, vcc
	v_cndmask_b32_e32 v4, v4, v2, vcc
	v_cndmask_b32_e64 v5, v17, 1, s[2:3]
	v_cndmask_b32_e64 v4, v2, v4, s[2:3]
	;; [unrolled: 1-line block ×3, first 2 shown]
.LBB756_148:
	s_mov_b64 s[14:15], exec
.LBB756_149:
	s_or_b64 exec, exec, s[8:9]
	v_mov_b32_e32 v1, s6
	v_mov_b32_e32 v2, s7
	s_and_b64 vcc, exec, s[28:29]
	s_cbranch_vccnz .LBB756_16
.LBB756_150:
	s_branch .LBB756_322
.LBB756_151:
	global_load_ubyte v10, v0, s[16:17] offset:384
	global_load_ubyte v14, v0, s[28:29] offset:384
	v_mov_b32_e32 v4, s31
	v_add_co_u32_e64 v3, s[8:9], s30, v13
	v_addc_co_u32_e64 v4, s[8:9], 0, v4, s[8:9]
	s_waitcnt vmcnt(0)
	v_cmp_ne_u16_e64 s[8:9], v10, v14
	v_cndmask_b32_e64 v10, 0, 1, s[8:9]
	s_or_b64 exec, exec, s[10:11]
	s_and_saveexec_b64 s[10:11], s[2:3]
	s_cbranch_execz .LBB756_60
.LBB756_152:
	v_and_b32_e32 v9, 1, v9
	v_cmp_eq_u32_e64 s[2:3], 1, v9
	v_and_b32_e32 v9, 1, v12
	v_cmp_eq_u32_e64 s[8:9], 1, v9
	s_and_b64 s[8:9], s[2:3], s[8:9]
	s_xor_b64 s[8:9], s[8:9], -1
                                        ; implicit-def: $vgpr9
	s_and_saveexec_b64 s[16:17], s[8:9]
	s_xor_b64 s[8:9], exec, s[16:17]
; %bb.153:
	v_and_b32_e32 v9, 0xffff, v12
	v_cndmask_b32_e64 v9, v9, 1, s[2:3]
	v_cndmask_b32_e64 v2, v8, v2, s[2:3]
	;; [unrolled: 1-line block ×3, first 2 shown]
                                        ; implicit-def: $vgpr7_vgpr8
; %bb.154:
	s_andn2_saveexec_b64 s[8:9], s[8:9]
; %bb.155:
	v_cmp_lt_i64_e64 s[2:3], v[7:8], v[1:2]
	v_mov_b32_e32 v9, 1
	v_cndmask_b32_e64 v2, v2, v8, s[2:3]
	v_cndmask_b32_e64 v1, v1, v7, s[2:3]
; %bb.156:
	s_or_b64 exec, exec, s[8:9]
	s_or_b64 exec, exec, s[10:11]
	s_and_saveexec_b64 s[8:9], s[0:1]
	s_cbranch_execz .LBB756_61
.LBB756_157:
	v_and_b32_e32 v7, 1, v9
	v_cmp_eq_u32_e64 s[0:1], 1, v7
	v_and_b32_e32 v7, 1, v11
	v_cmp_eq_u32_e64 s[2:3], 1, v7
	s_and_b64 s[2:3], s[0:1], s[2:3]
	s_xor_b64 s[2:3], s[2:3], -1
                                        ; implicit-def: $vgpr9
	s_and_saveexec_b64 s[10:11], s[2:3]
	s_xor_b64 s[2:3], exec, s[10:11]
; %bb.158:
	v_and_b32_e32 v7, 0xffff, v11
	v_cndmask_b32_e64 v9, v7, 1, s[0:1]
	v_cndmask_b32_e64 v2, v6, v2, s[0:1]
	;; [unrolled: 1-line block ×3, first 2 shown]
                                        ; implicit-def: $vgpr5_vgpr6
; %bb.159:
	s_andn2_saveexec_b64 s[2:3], s[2:3]
; %bb.160:
	v_cmp_lt_i64_e64 s[0:1], v[5:6], v[1:2]
	v_mov_b32_e32 v9, 1
	v_cndmask_b32_e64 v2, v2, v6, s[0:1]
	v_cndmask_b32_e64 v1, v1, v5, s[0:1]
; %bb.161:
	s_or_b64 exec, exec, s[2:3]
	s_or_b64 exec, exec, s[8:9]
	s_and_saveexec_b64 s[2:3], vcc
	s_cbranch_execz .LBB756_167
.LBB756_162:
	v_and_b32_e32 v5, 1, v9
	v_cmp_eq_u32_e32 vcc, 1, v5
	v_and_b32_e32 v5, 1, v10
	v_cmp_eq_u32_e64 s[0:1], 1, v5
	s_and_b64 s[0:1], vcc, s[0:1]
	s_xor_b64 s[0:1], s[0:1], -1
                                        ; implicit-def: $vgpr9
	s_and_saveexec_b64 s[8:9], s[0:1]
	s_xor_b64 s[0:1], exec, s[8:9]
; %bb.163:
	v_and_b32_e32 v5, 0xffff, v10
	v_cndmask_b32_e64 v9, v5, 1, vcc
	v_cndmask_b32_e32 v2, v4, v2, vcc
	v_cndmask_b32_e32 v1, v3, v1, vcc
                                        ; implicit-def: $vgpr3_vgpr4
; %bb.164:
	s_andn2_saveexec_b64 s[0:1], s[0:1]
; %bb.165:
	v_cmp_lt_i64_e32 vcc, v[3:4], v[1:2]
	v_mov_b32_e32 v9, 1
	v_cndmask_b32_e32 v2, v2, v4, vcc
	v_cndmask_b32_e32 v1, v1, v3, vcc
; %bb.166:
	s_or_b64 exec, exec, s[0:1]
.LBB756_167:
	s_or_b64 exec, exec, s[2:3]
	v_mbcnt_lo_u32_b32 v3, -1, 0
	v_mbcnt_hi_u32_b32 v5, -1, v3
	v_and_b32_e32 v6, 63, v5
	v_cmp_ne_u32_e32 vcc, 63, v6
	v_addc_co_u32_e32 v3, vcc, 0, v5, vcc
	v_lshlrev_b32_e32 v4, 2, v3
	ds_bpermute_b32 v8, v4, v9
	ds_bpermute_b32 v3, v4, v1
	;; [unrolled: 1-line block ×3, first 2 shown]
	s_min_u32 s8, s12, 0x80
	v_and_b32_e32 v7, 64, v0
	v_sub_u32_e64 v7, s8, v7 clamp
	v_add_u32_e32 v10, 1, v6
	v_cmp_lt_u32_e32 vcc, v10, v7
	s_and_saveexec_b64 s[0:1], vcc
	s_xor_b64 s[0:1], exec, s[0:1]
	s_cbranch_execz .LBB756_173
; %bb.168:
	s_waitcnt lgkmcnt(2)
	v_and_b32_e32 v10, v8, v9
	v_cmp_ne_u32_e32 vcc, 0, v10
	s_and_saveexec_b64 s[2:3], vcc
	s_xor_b64 s[2:3], exec, s[2:3]
	s_cbranch_execz .LBB756_170
; %bb.169:
	s_waitcnt lgkmcnt(0)
	v_cmp_lt_i64_e32 vcc, v[3:4], v[1:2]
                                        ; implicit-def: $vgpr9
                                        ; implicit-def: $vgpr8
	v_cndmask_b32_e32 v2, v2, v4, vcc
	v_cndmask_b32_e32 v1, v1, v3, vcc
                                        ; implicit-def: $vgpr3_vgpr4
.LBB756_170:
	s_or_saveexec_b64 s[2:3], s[2:3]
	v_mov_b32_e32 v10, 1
	s_xor_b64 exec, exec, s[2:3]
	s_cbranch_execz .LBB756_172
; %bb.171:
	v_and_b32_e32 v9, 1, v9
	v_cmp_eq_u32_e32 vcc, 1, v9
	s_waitcnt lgkmcnt(1)
	v_cndmask_b32_e32 v1, v3, v1, vcc
	v_and_b32_e32 v3, 0xff, v8
	s_waitcnt lgkmcnt(0)
	v_cndmask_b32_e32 v2, v4, v2, vcc
	v_cndmask_b32_e64 v10, v3, 1, vcc
.LBB756_172:
	s_or_b64 exec, exec, s[2:3]
	v_mov_b32_e32 v9, v10
.LBB756_173:
	s_or_b64 exec, exec, s[0:1]
	v_cmp_gt_u32_e32 vcc, 62, v6
	s_waitcnt lgkmcnt(1)
	v_cndmask_b32_e64 v3, 0, 2, vcc
	s_waitcnt lgkmcnt(0)
	v_add_lshl_u32 v4, v3, v5, 2
	ds_bpermute_b32 v8, v4, v9
	ds_bpermute_b32 v3, v4, v1
	ds_bpermute_b32 v4, v4, v2
	v_add_u32_e32 v10, 2, v6
	v_cmp_lt_u32_e32 vcc, v10, v7
	s_and_saveexec_b64 s[0:1], vcc
	s_cbranch_execz .LBB756_179
; %bb.174:
	s_waitcnt lgkmcnt(2)
	v_and_b32_e32 v10, v9, v8
	v_and_b32_e32 v10, 1, v10
	v_cmp_eq_u32_e32 vcc, 1, v10
	s_and_saveexec_b64 s[2:3], vcc
	s_xor_b64 s[2:3], exec, s[2:3]
	s_cbranch_execz .LBB756_176
; %bb.175:
	s_waitcnt lgkmcnt(0)
	v_cmp_lt_i64_e32 vcc, v[3:4], v[1:2]
                                        ; implicit-def: $vgpr9
                                        ; implicit-def: $vgpr8
	v_cndmask_b32_e32 v2, v2, v4, vcc
	v_cndmask_b32_e32 v1, v1, v3, vcc
                                        ; implicit-def: $vgpr3_vgpr4
.LBB756_176:
	s_or_saveexec_b64 s[2:3], s[2:3]
	v_mov_b32_e32 v10, 1
	s_xor_b64 exec, exec, s[2:3]
	s_cbranch_execz .LBB756_178
; %bb.177:
	v_and_b32_e32 v9, 1, v9
	v_cmp_eq_u32_e32 vcc, 1, v9
	s_waitcnt lgkmcnt(1)
	v_cndmask_b32_e32 v1, v3, v1, vcc
	v_and_b32_e32 v3, 0xff, v8
	s_waitcnt lgkmcnt(0)
	v_cndmask_b32_e32 v2, v4, v2, vcc
	v_cndmask_b32_e64 v10, v3, 1, vcc
.LBB756_178:
	s_or_b64 exec, exec, s[2:3]
	v_mov_b32_e32 v9, v10
.LBB756_179:
	s_or_b64 exec, exec, s[0:1]
	v_cmp_gt_u32_e32 vcc, 60, v6
	s_waitcnt lgkmcnt(1)
	v_cndmask_b32_e64 v3, 0, 4, vcc
	s_waitcnt lgkmcnt(0)
	v_add_lshl_u32 v4, v3, v5, 2
	ds_bpermute_b32 v8, v4, v9
	ds_bpermute_b32 v3, v4, v1
	ds_bpermute_b32 v4, v4, v2
	v_add_u32_e32 v10, 4, v6
	v_cmp_lt_u32_e32 vcc, v10, v7
	s_and_saveexec_b64 s[0:1], vcc
	s_cbranch_execz .LBB756_185
; %bb.180:
	s_waitcnt lgkmcnt(2)
	v_and_b32_e32 v10, v9, v8
	v_and_b32_e32 v10, 1, v10
	v_cmp_eq_u32_e32 vcc, 1, v10
	s_and_saveexec_b64 s[2:3], vcc
	s_xor_b64 s[2:3], exec, s[2:3]
	s_cbranch_execz .LBB756_182
; %bb.181:
	s_waitcnt lgkmcnt(0)
	v_cmp_lt_i64_e32 vcc, v[3:4], v[1:2]
                                        ; implicit-def: $vgpr9
                                        ; implicit-def: $vgpr8
	v_cndmask_b32_e32 v2, v2, v4, vcc
	v_cndmask_b32_e32 v1, v1, v3, vcc
                                        ; implicit-def: $vgpr3_vgpr4
.LBB756_182:
	s_or_saveexec_b64 s[2:3], s[2:3]
	v_mov_b32_e32 v10, 1
	s_xor_b64 exec, exec, s[2:3]
	s_cbranch_execz .LBB756_184
; %bb.183:
	v_and_b32_e32 v9, 1, v9
	v_cmp_eq_u32_e32 vcc, 1, v9
	s_waitcnt lgkmcnt(1)
	v_cndmask_b32_e32 v1, v3, v1, vcc
	v_and_b32_e32 v3, 0xff, v8
	s_waitcnt lgkmcnt(0)
	v_cndmask_b32_e32 v2, v4, v2, vcc
	v_cndmask_b32_e64 v10, v3, 1, vcc
.LBB756_184:
	s_or_b64 exec, exec, s[2:3]
	v_mov_b32_e32 v9, v10
.LBB756_185:
	;; [unrolled: 47-line block ×4, first 2 shown]
	s_or_b64 exec, exec, s[0:1]
	s_waitcnt lgkmcnt(2)
	v_lshlrev_b32_e32 v8, 2, v5
	s_waitcnt lgkmcnt(0)
	v_or_b32_e32 v4, 0x80, v8
	ds_bpermute_b32 v10, v4, v9
	ds_bpermute_b32 v3, v4, v1
	;; [unrolled: 1-line block ×3, first 2 shown]
	v_add_u32_e32 v6, 32, v6
	v_cmp_lt_u32_e32 vcc, v6, v7
	v_mov_b32_e32 v6, v9
	s_and_saveexec_b64 s[0:1], vcc
	s_cbranch_execz .LBB756_203
; %bb.198:
	s_waitcnt lgkmcnt(2)
	v_and_b32_e32 v6, v9, v10
	v_and_b32_e32 v6, 1, v6
	v_cmp_eq_u32_e32 vcc, 1, v6
	s_and_saveexec_b64 s[2:3], vcc
	s_xor_b64 s[2:3], exec, s[2:3]
	s_cbranch_execz .LBB756_200
; %bb.199:
	s_waitcnt lgkmcnt(0)
	v_cmp_lt_i64_e32 vcc, v[3:4], v[1:2]
                                        ; implicit-def: $vgpr9
                                        ; implicit-def: $vgpr10
	v_cndmask_b32_e32 v2, v2, v4, vcc
	v_cndmask_b32_e32 v1, v1, v3, vcc
                                        ; implicit-def: $vgpr3_vgpr4
.LBB756_200:
	s_or_saveexec_b64 s[2:3], s[2:3]
	v_mov_b32_e32 v6, 1
	s_xor_b64 exec, exec, s[2:3]
	s_cbranch_execz .LBB756_202
; %bb.201:
	v_and_b32_e32 v6, 1, v9
	v_cmp_eq_u32_e32 vcc, 1, v6
	v_cndmask_b32_e64 v6, v10, 1, vcc
	s_waitcnt lgkmcnt(0)
	v_cndmask_b32_e32 v2, v4, v2, vcc
	v_cndmask_b32_e32 v1, v3, v1, vcc
.LBB756_202:
	s_or_b64 exec, exec, s[2:3]
	v_and_b32_e32 v9, 0xff, v6
.LBB756_203:
	s_or_b64 exec, exec, s[0:1]
	v_cmp_eq_u32_e32 vcc, 0, v5
	s_and_saveexec_b64 s[0:1], vcc
	s_cbranch_execz .LBB756_205
; %bb.204:
	s_waitcnt lgkmcnt(1)
	v_lshrrev_b32_e32 v3, 2, v0
	v_and_b32_e32 v3, 16, v3
	ds_write_b8 v3, v6 offset:128
	ds_write_b64 v3, v[1:2] offset:136
.LBB756_205:
	s_or_b64 exec, exec, s[0:1]
	v_cmp_gt_u32_e32 vcc, 2, v0
	s_waitcnt lgkmcnt(0)
	s_barrier
	s_and_saveexec_b64 s[0:1], vcc
	s_cbranch_execz .LBB756_213
; %bb.206:
	v_lshlrev_b32_e32 v1, 4, v5
	ds_read_u8 v6, v1 offset:128
	ds_read_b64 v[1:2], v1 offset:136
	v_or_b32_e32 v4, 4, v8
	s_add_i32 s8, s8, 63
	v_and_b32_e32 v5, 1, v5
	s_waitcnt lgkmcnt(1)
	v_and_b32_e32 v9, 0xff, v6
	s_waitcnt lgkmcnt(0)
	ds_bpermute_b32 v3, v4, v1
	ds_bpermute_b32 v7, v4, v9
	ds_bpermute_b32 v4, v4, v2
	s_lshr_b32 s2, s8, 6
	v_add_u32_e32 v5, 1, v5
	v_cmp_gt_u32_e32 vcc, s2, v5
	s_and_saveexec_b64 s[2:3], vcc
	s_cbranch_execz .LBB756_212
; %bb.207:
	s_waitcnt lgkmcnt(1)
	v_and_b32_e32 v5, v9, v7
	v_and_b32_e32 v5, 1, v5
	v_cmp_eq_u32_e32 vcc, 1, v5
	s_and_saveexec_b64 s[8:9], vcc
	s_xor_b64 s[8:9], exec, s[8:9]
	s_cbranch_execz .LBB756_209
; %bb.208:
	s_waitcnt lgkmcnt(0)
	v_cmp_lt_i64_e32 vcc, v[3:4], v[1:2]
                                        ; implicit-def: $vgpr6
                                        ; implicit-def: $vgpr7
	v_cndmask_b32_e32 v2, v2, v4, vcc
	v_cndmask_b32_e32 v1, v1, v3, vcc
                                        ; implicit-def: $vgpr3_vgpr4
.LBB756_209:
	s_or_saveexec_b64 s[8:9], s[8:9]
	v_mov_b32_e32 v9, 1
	s_xor_b64 exec, exec, s[8:9]
	s_cbranch_execz .LBB756_211
; %bb.210:
	v_and_b32_e32 v5, 1, v6
	v_cmp_eq_u32_e32 vcc, 1, v5
	s_waitcnt lgkmcnt(0)
	v_cndmask_b32_e32 v2, v4, v2, vcc
	v_cndmask_b32_e32 v1, v3, v1, vcc
	v_cndmask_b32_e64 v9, v7, 1, vcc
.LBB756_211:
	s_or_b64 exec, exec, s[8:9]
.LBB756_212:
	s_or_b64 exec, exec, s[2:3]
.LBB756_213:
	s_or_b64 exec, exec, s[0:1]
.LBB756_214:
	v_cmp_eq_u32_e32 vcc, 0, v0
                                        ; implicit-def: $vgpr3_vgpr4
                                        ; implicit-def: $vgpr5
	s_and_saveexec_b64 s[0:1], vcc
	s_xor_b64 s[8:9], exec, s[0:1]
	s_cbranch_execz .LBB756_218
; %bb.215:
	s_waitcnt lgkmcnt(0)
	v_mov_b32_e32 v3, s18
	s_cmp_eq_u64 s[22:23], 0
	v_mov_b32_e32 v4, s19
	v_mov_b32_e32 v5, s33
	s_cbranch_scc1 .LBB756_217
; %bb.216:
	v_and_b32_e32 v3, 1, v9
	v_cmp_gt_i64_e64 s[0:1], s[18:19], v[1:2]
	s_bitcmp1_b32 s33, 0
	v_cmp_eq_u32_e32 vcc, 1, v3
	s_cselect_b64 s[2:3], -1, 0
	v_mov_b32_e32 v3, s18
	s_and_b64 vcc, vcc, s[0:1]
	v_mov_b32_e32 v4, s19
	v_cndmask_b32_e32 v3, v3, v1, vcc
	v_cndmask_b32_e32 v4, v4, v2, vcc
	v_cndmask_b32_e64 v5, v9, 1, s[2:3]
	v_cndmask_b32_e64 v4, v2, v4, s[2:3]
	;; [unrolled: 1-line block ×3, first 2 shown]
.LBB756_217:
	s_or_b64 s[14:15], s[14:15], exec
.LBB756_218:
	s_or_b64 exec, exec, s[8:9]
	v_mov_b32_e32 v1, s6
	v_mov_b32_e32 v2, s7
	s_branch .LBB756_322
.LBB756_219:
	s_cmp_gt_i32 s36, 1
	s_cbranch_scc0 .LBB756_235
; %bb.220:
	s_cmp_eq_u32 s36, 2
	s_cbranch_scc0 .LBB756_236
; %bb.221:
	s_lshl_b32 s16, s6, 8
	s_lshr_b64 s[0:1], s[22:23], 8
	s_add_u32 s8, s24, s16
	s_addc_u32 s9, s25, 0
	s_add_u32 s10, s26, s16
	s_addc_u32 s11, s27, 0
	s_add_u32 s12, s20, s16
	s_mov_b32 s7, 0
	s_addc_u32 s13, s21, 0
	s_cmp_lg_u64 s[0:1], s[6:7]
	s_cbranch_scc0 .LBB756_237
; %bb.222:
	global_load_ubyte v1, v0, s[10:11]
	global_load_ubyte v2, v0, s[10:11] offset:128
	s_waitcnt lgkmcnt(2)
	global_load_ubyte v3, v0, s[8:9] offset:128
	s_waitcnt lgkmcnt(0)
	global_load_ubyte v4, v0, s[8:9]
	v_mov_b32_e32 v5, s13
	v_add_co_u32_e32 v6, vcc, s12, v0
	v_addc_co_u32_e32 v5, vcc, 0, v5, vcc
	v_add_co_u32_e32 v7, vcc, 0x80, v6
	v_addc_co_u32_e32 v8, vcc, 0, v5, vcc
	s_waitcnt vmcnt(1)
	v_cmp_ne_u16_e32 vcc, v3, v2
	s_waitcnt vmcnt(0)
	v_cmp_ne_u16_e64 s[0:1], v4, v1
	v_cndmask_b32_e64 v2, v8, v5, s[0:1]
	v_cndmask_b32_e64 v1, v7, v6, s[0:1]
	s_or_b64 s[0:1], s[0:1], vcc
	v_mov_b32_dpp v4, v2 quad_perm:[1,0,3,2] row_mask:0xf bank_mask:0xf bound_ctrl:1
	v_mov_b32_dpp v3, v1 quad_perm:[1,0,3,2] row_mask:0xf bank_mask:0xf bound_ctrl:1
	v_cndmask_b32_e64 v5, 0, 1, s[0:1]
	v_cmp_lt_i64_e32 vcc, v[1:2], v[3:4]
	s_and_b64 vcc, s[0:1], vcc
	v_mov_b32_dpp v6, v5 quad_perm:[1,0,3,2] row_mask:0xf bank_mask:0xf bound_ctrl:1
	v_and_b32_e32 v6, 1, v6
	v_cndmask_b32_e32 v3, v3, v1, vcc
	v_cndmask_b32_e32 v4, v4, v2, vcc
	v_cmp_eq_u32_e32 vcc, 1, v6
	v_cndmask_b32_e32 v2, v2, v4, vcc
	v_cndmask_b32_e32 v1, v1, v3, vcc
	v_cndmask_b32_e64 v5, v5, 1, vcc
	v_mov_b32_dpp v4, v2 quad_perm:[2,3,0,1] row_mask:0xf bank_mask:0xf bound_ctrl:1
	v_mov_b32_dpp v3, v1 quad_perm:[2,3,0,1] row_mask:0xf bank_mask:0xf bound_ctrl:1
	;; [unrolled: 1-line block ×3, first 2 shown]
	v_and_b32_e32 v7, 1, v5
	v_and_b32_e32 v6, 1, v6
	v_cmp_lt_i64_e64 s[0:1], v[1:2], v[3:4]
	v_cmp_eq_u32_e32 vcc, 1, v7
	v_cmp_eq_u32_e64 s[2:3], 1, v6
	v_cndmask_b32_e64 v7, v5, 1, s[2:3]
	s_and_b64 vcc, vcc, s[0:1]
	v_cndmask_b32_e32 v3, v3, v1, vcc
	v_mov_b32_dpp v8, v7 row_ror:4 row_mask:0xf bank_mask:0xf bound_ctrl:1
	v_cndmask_b32_e32 v4, v4, v2, vcc
	v_cndmask_b32_e64 v3, v1, v3, s[2:3]
	v_and_b32_e32 v1, v8, v7
	v_cndmask_b32_e64 v4, v2, v4, s[2:3]
	v_and_b32_e32 v1, 1, v1
	v_mov_b32_dpp v5, v3 row_ror:4 row_mask:0xf bank_mask:0xf bound_ctrl:1
	v_mov_b32_dpp v6, v4 row_ror:4 row_mask:0xf bank_mask:0xf bound_ctrl:1
	v_cmp_eq_u32_e32 vcc, 1, v1
                                        ; implicit-def: $vgpr1_vgpr2
	s_and_saveexec_b64 s[0:1], vcc
	s_xor_b64 s[0:1], exec, s[0:1]
; %bb.223:
	v_cmp_lt_i64_e32 vcc, v[3:4], v[5:6]
                                        ; implicit-def: $vgpr8
                                        ; implicit-def: $vgpr7
	v_cndmask_b32_e32 v2, v6, v4, vcc
	v_cndmask_b32_e32 v1, v5, v3, vcc
                                        ; implicit-def: $vgpr3_vgpr4
                                        ; implicit-def: $vgpr5_vgpr6
; %bb.224:
	s_or_saveexec_b64 s[0:1], s[0:1]
	v_mov_b32_e32 v9, 1
	s_xor_b64 exec, exec, s[0:1]
; %bb.225:
	v_and_b32_e32 v1, 1, v8
	v_cmp_eq_u32_e32 vcc, 1, v1
	v_cndmask_b32_e32 v2, v4, v6, vcc
	v_cndmask_b32_e32 v1, v3, v5, vcc
	v_cndmask_b32_e64 v9, v7, 1, vcc
; %bb.226:
	s_or_b64 exec, exec, s[0:1]
	v_mov_b32_dpp v4, v1 row_ror:8 row_mask:0xf bank_mask:0xf bound_ctrl:1
	v_mov_b32_dpp v5, v2 row_ror:8 row_mask:0xf bank_mask:0xf bound_ctrl:1
	v_and_b32_e32 v7, 1, v9
	v_cmp_lt_i64_e64 s[0:1], v[1:2], v[4:5]
	v_mov_b32_dpp v6, v9 row_ror:8 row_mask:0xf bank_mask:0xf bound_ctrl:1
	v_cmp_eq_u32_e32 vcc, 1, v7
	v_and_b32_e32 v6, 1, v6
	s_and_b64 vcc, vcc, s[0:1]
	v_cmp_eq_u32_e64 s[2:3], 1, v6
	v_cndmask_b32_e32 v4, v4, v1, vcc
	v_cndmask_b32_e32 v5, v5, v2, vcc
	v_cndmask_b32_e64 v2, v2, v5, s[2:3]
	v_cndmask_b32_e64 v1, v1, v4, s[2:3]
	;; [unrolled: 1-line block ×3, first 2 shown]
	v_mov_b32_dpp v5, v2 row_bcast:15 row_mask:0xf bank_mask:0xf bound_ctrl:1
	v_mov_b32_dpp v4, v1 row_bcast:15 row_mask:0xf bank_mask:0xf bound_ctrl:1
	v_and_b32_e32 v8, 1, v6
	v_cmp_lt_i64_e64 s[0:1], v[1:2], v[4:5]
	v_mov_b32_dpp v7, v6 row_bcast:15 row_mask:0xf bank_mask:0xf bound_ctrl:1
	v_cmp_eq_u32_e32 vcc, 1, v8
	v_and_b32_e32 v7, 1, v7
	s_and_b64 vcc, vcc, s[0:1]
	v_cmp_eq_u32_e64 s[2:3], 1, v7
	v_cndmask_b32_e32 v4, v4, v1, vcc
	v_cndmask_b32_e32 v5, v5, v2, vcc
	v_cndmask_b32_e64 v2, v2, v5, s[2:3]
	v_cndmask_b32_e64 v1, v1, v4, s[2:3]
	;; [unrolled: 1-line block ×3, first 2 shown]
	v_mov_b32_dpp v5, v2 row_bcast:31 row_mask:0xf bank_mask:0xf bound_ctrl:1
	v_mov_b32_dpp v4, v1 row_bcast:31 row_mask:0xf bank_mask:0xf bound_ctrl:1
	v_and_b32_e32 v8, 1, v6
	v_cmp_lt_i64_e64 s[0:1], v[1:2], v[4:5]
	v_mov_b32_dpp v7, v6 row_bcast:31 row_mask:0xf bank_mask:0xf bound_ctrl:1
	v_cmp_eq_u32_e32 vcc, 1, v8
	v_mbcnt_lo_u32_b32 v3, -1, 0
	v_and_b32_e32 v7, 1, v7
	s_and_b64 vcc, vcc, s[0:1]
	v_mbcnt_hi_u32_b32 v3, -1, v3
	v_cmp_eq_u32_e64 s[2:3], 1, v7
	v_cndmask_b32_e32 v5, v5, v2, vcc
	v_cndmask_b32_e32 v4, v4, v1, vcc
	v_cndmask_b32_e64 v2, v2, v5, s[2:3]
	v_lshlrev_b32_e32 v5, 2, v3
	v_cndmask_b32_e64 v6, v6, 1, s[2:3]
	v_cndmask_b32_e64 v1, v1, v4, s[2:3]
	v_or_b32_e32 v4, 0xfc, v5
	ds_bpermute_b32 v7, v4, v6
	ds_bpermute_b32 v1, v4, v1
	;; [unrolled: 1-line block ×3, first 2 shown]
	v_cmp_eq_u32_e32 vcc, 0, v3
	s_and_saveexec_b64 s[0:1], vcc
	s_cbranch_execz .LBB756_228
; %bb.227:
	v_lshrrev_b32_e32 v4, 2, v0
	v_and_b32_e32 v4, 16, v4
	s_waitcnt lgkmcnt(2)
	ds_write_b8 v4, v7 offset:32
	s_waitcnt lgkmcnt(1)
	ds_write_b64 v4, v[1:2] offset:40
.LBB756_228:
	s_or_b64 exec, exec, s[0:1]
	v_cmp_gt_u32_e32 vcc, 64, v0
	s_waitcnt lgkmcnt(0)
	s_barrier
	s_and_saveexec_b64 s[0:1], vcc
	s_cbranch_execz .LBB756_234
; %bb.229:
	v_and_b32_e32 v1, 1, v3
	v_lshlrev_b32_e32 v1, 4, v1
	ds_read_u8 v8, v1 offset:32
	ds_read_b64 v[3:4], v1 offset:40
	v_or_b32_e32 v2, 4, v5
	s_waitcnt lgkmcnt(1)
	v_and_b32_e32 v1, 0xff, v8
	ds_bpermute_b32 v9, v2, v1
	s_waitcnt lgkmcnt(1)
	ds_bpermute_b32 v5, v2, v3
	ds_bpermute_b32 v6, v2, v4
	s_waitcnt lgkmcnt(2)
	v_and_b32_e32 v1, v8, v9
	v_and_b32_e32 v1, 1, v1
	v_cmp_eq_u32_e32 vcc, 1, v1
                                        ; implicit-def: $vgpr1_vgpr2
	s_and_saveexec_b64 s[2:3], vcc
	s_xor_b64 s[2:3], exec, s[2:3]
	s_cbranch_execz .LBB756_231
; %bb.230:
	s_waitcnt lgkmcnt(0)
	v_cmp_lt_i64_e32 vcc, v[5:6], v[3:4]
                                        ; implicit-def: $vgpr8
                                        ; implicit-def: $vgpr9
	v_cndmask_b32_e32 v2, v4, v6, vcc
	v_cndmask_b32_e32 v1, v3, v5, vcc
                                        ; implicit-def: $vgpr5_vgpr6
                                        ; implicit-def: $vgpr3_vgpr4
.LBB756_231:
	s_or_saveexec_b64 s[2:3], s[2:3]
	v_mov_b32_e32 v7, 1
	s_xor_b64 exec, exec, s[2:3]
	s_cbranch_execz .LBB756_233
; %bb.232:
	v_and_b32_e32 v1, 1, v8
	v_cmp_eq_u32_e32 vcc, 1, v1
	s_waitcnt lgkmcnt(0)
	v_cndmask_b32_e32 v2, v6, v4, vcc
	v_cndmask_b32_e32 v1, v5, v3, vcc
	v_cndmask_b32_e64 v7, v9, 1, vcc
.LBB756_233:
	s_or_b64 exec, exec, s[2:3]
.LBB756_234:
	s_or_b64 exec, exec, s[0:1]
	s_branch .LBB756_289
.LBB756_235:
                                        ; implicit-def: $vgpr3_vgpr4
                                        ; implicit-def: $vgpr5
                                        ; implicit-def: $vgpr1_vgpr2
	s_cbranch_execnz .LBB756_294
	s_branch .LBB756_322
.LBB756_236:
                                        ; implicit-def: $vgpr3_vgpr4
                                        ; implicit-def: $vgpr5
                                        ; implicit-def: $vgpr1_vgpr2
	s_branch .LBB756_322
.LBB756_237:
                                        ; implicit-def: $vgpr1_vgpr2
                                        ; implicit-def: $vgpr7
	s_cbranch_execz .LBB756_289
; %bb.238:
	s_sub_i32 s16, s22, s16
	s_waitcnt lgkmcnt(0)
	v_mov_b32_e32 v3, 0
	v_mov_b32_e32 v1, 0
	v_cmp_gt_u32_e32 vcc, s16, v0
	v_mov_b32_e32 v6, 0
	v_mov_b32_e32 v4, 0
	;; [unrolled: 1-line block ×4, first 2 shown]
	s_and_saveexec_b64 s[0:1], vcc
	s_cbranch_execz .LBB756_240
; %bb.239:
	global_load_ubyte v5, v0, s[8:9]
	global_load_ubyte v7, v0, s[10:11]
	v_mov_b32_e32 v2, s13
	v_add_co_u32_e32 v1, vcc, s12, v0
	v_addc_co_u32_e32 v2, vcc, 0, v2, vcc
	s_waitcnt vmcnt(0)
	v_cmp_ne_u16_e32 vcc, v5, v7
	v_cndmask_b32_e64 v5, 0, 1, vcc
.LBB756_240:
	s_or_b64 exec, exec, s[0:1]
	v_or_b32_e32 v7, 0x80, v0
	v_cmp_gt_u32_e32 vcc, s16, v7
	s_and_saveexec_b64 s[2:3], vcc
	s_cbranch_execz .LBB756_242
; %bb.241:
	global_load_ubyte v6, v0, s[8:9] offset:128
	global_load_ubyte v8, v0, s[10:11] offset:128
	v_mov_b32_e32 v4, s13
	v_add_co_u32_e64 v3, s[0:1], s12, v7
	v_addc_co_u32_e64 v4, s[0:1], 0, v4, s[0:1]
	s_waitcnt vmcnt(0)
	v_cmp_ne_u16_e64 s[0:1], v6, v8
	v_cndmask_b32_e64 v6, 0, 1, s[0:1]
.LBB756_242:
	s_or_b64 exec, exec, s[2:3]
	v_and_b32_e32 v8, 0xffff, v6
	v_and_b32_e32 v6, 1, v6
	v_cmp_lt_i64_e64 s[2:3], v[3:4], v[1:2]
	v_and_b32_e32 v7, 0xffff, v5
	v_cmp_eq_u32_e64 s[0:1], 1, v6
	v_and_b32_e32 v5, 1, v5
	v_cmp_eq_u32_e64 s[8:9], 1, v5
	s_and_b64 s[0:1], s[0:1], s[2:3]
	v_cndmask_b32_e64 v5, v8, 1, s[8:9]
	v_cndmask_b32_e64 v8, v1, v3, s[0:1]
	;; [unrolled: 1-line block ×3, first 2 shown]
	v_cndmask_b32_e32 v1, v1, v3, vcc
	v_mbcnt_lo_u32_b32 v3, -1, 0
	v_cndmask_b32_e64 v6, v2, v4, s[0:1]
	v_cndmask_b32_e32 v7, v7, v5, vcc
	v_mbcnt_hi_u32_b32 v5, -1, v3
	v_cndmask_b32_e64 v4, v4, v6, s[8:9]
	v_and_b32_e32 v6, 63, v5
	v_cndmask_b32_e32 v2, v2, v4, vcc
	v_cmp_ne_u32_e32 vcc, 63, v6
	v_addc_co_u32_e32 v3, vcc, 0, v5, vcc
	v_lshlrev_b32_e32 v4, 2, v3
	ds_bpermute_b32 v9, v4, v7
	ds_bpermute_b32 v3, v4, v1
	;; [unrolled: 1-line block ×3, first 2 shown]
	s_min_u32 s8, s16, 0x80
	v_and_b32_e32 v8, 64, v0
	v_sub_u32_e64 v8, s8, v8 clamp
	v_add_u32_e32 v10, 1, v6
	v_cmp_lt_u32_e32 vcc, v10, v8
	s_and_saveexec_b64 s[0:1], vcc
	s_cbranch_execz .LBB756_248
; %bb.243:
	s_waitcnt lgkmcnt(2)
	v_and_b32_e32 v10, v9, v7
	v_cmp_ne_u32_e32 vcc, 0, v10
	s_and_saveexec_b64 s[2:3], vcc
	s_xor_b64 s[2:3], exec, s[2:3]
	s_cbranch_execz .LBB756_245
; %bb.244:
	s_waitcnt lgkmcnt(0)
	v_cmp_lt_i64_e32 vcc, v[3:4], v[1:2]
                                        ; implicit-def: $vgpr7
                                        ; implicit-def: $vgpr9
	v_cndmask_b32_e32 v2, v2, v4, vcc
	v_cndmask_b32_e32 v1, v1, v3, vcc
                                        ; implicit-def: $vgpr3_vgpr4
.LBB756_245:
	s_or_saveexec_b64 s[2:3], s[2:3]
	v_mov_b32_e32 v10, 1
	s_xor_b64 exec, exec, s[2:3]
	s_cbranch_execz .LBB756_247
; %bb.246:
	v_and_b32_e32 v7, 1, v7
	v_cmp_eq_u32_e32 vcc, 1, v7
	s_waitcnt lgkmcnt(1)
	v_cndmask_b32_e32 v1, v3, v1, vcc
	v_and_b32_e32 v3, 0xff, v9
	s_waitcnt lgkmcnt(0)
	v_cndmask_b32_e32 v2, v4, v2, vcc
	v_cndmask_b32_e64 v10, v3, 1, vcc
.LBB756_247:
	s_or_b64 exec, exec, s[2:3]
	v_mov_b32_e32 v7, v10
.LBB756_248:
	s_or_b64 exec, exec, s[0:1]
	v_cmp_gt_u32_e32 vcc, 62, v6
	s_waitcnt lgkmcnt(1)
	v_cndmask_b32_e64 v3, 0, 2, vcc
	s_waitcnt lgkmcnt(0)
	v_add_lshl_u32 v4, v3, v5, 2
	ds_bpermute_b32 v9, v4, v7
	ds_bpermute_b32 v3, v4, v1
	ds_bpermute_b32 v4, v4, v2
	v_add_u32_e32 v10, 2, v6
	v_cmp_lt_u32_e32 vcc, v10, v8
	s_and_saveexec_b64 s[0:1], vcc
	s_cbranch_execz .LBB756_254
; %bb.249:
	s_waitcnt lgkmcnt(2)
	v_and_b32_e32 v10, v7, v9
	v_and_b32_e32 v10, 1, v10
	v_cmp_eq_u32_e32 vcc, 1, v10
	s_and_saveexec_b64 s[2:3], vcc
	s_xor_b64 s[2:3], exec, s[2:3]
	s_cbranch_execz .LBB756_251
; %bb.250:
	s_waitcnt lgkmcnt(0)
	v_cmp_lt_i64_e32 vcc, v[3:4], v[1:2]
                                        ; implicit-def: $vgpr7
                                        ; implicit-def: $vgpr9
	v_cndmask_b32_e32 v2, v2, v4, vcc
	v_cndmask_b32_e32 v1, v1, v3, vcc
                                        ; implicit-def: $vgpr3_vgpr4
.LBB756_251:
	s_or_saveexec_b64 s[2:3], s[2:3]
	v_mov_b32_e32 v10, 1
	s_xor_b64 exec, exec, s[2:3]
	s_cbranch_execz .LBB756_253
; %bb.252:
	v_and_b32_e32 v7, 1, v7
	v_cmp_eq_u32_e32 vcc, 1, v7
	s_waitcnt lgkmcnt(1)
	v_cndmask_b32_e32 v1, v3, v1, vcc
	v_and_b32_e32 v3, 0xff, v9
	s_waitcnt lgkmcnt(0)
	v_cndmask_b32_e32 v2, v4, v2, vcc
	v_cndmask_b32_e64 v10, v3, 1, vcc
.LBB756_253:
	s_or_b64 exec, exec, s[2:3]
	v_mov_b32_e32 v7, v10
.LBB756_254:
	s_or_b64 exec, exec, s[0:1]
	v_cmp_gt_u32_e32 vcc, 60, v6
	s_waitcnt lgkmcnt(1)
	v_cndmask_b32_e64 v3, 0, 4, vcc
	s_waitcnt lgkmcnt(0)
	v_add_lshl_u32 v4, v3, v5, 2
	ds_bpermute_b32 v9, v4, v7
	ds_bpermute_b32 v3, v4, v1
	ds_bpermute_b32 v4, v4, v2
	v_add_u32_e32 v10, 4, v6
	v_cmp_lt_u32_e32 vcc, v10, v8
	s_and_saveexec_b64 s[0:1], vcc
	s_cbranch_execz .LBB756_260
; %bb.255:
	s_waitcnt lgkmcnt(2)
	v_and_b32_e32 v10, v7, v9
	v_and_b32_e32 v10, 1, v10
	v_cmp_eq_u32_e32 vcc, 1, v10
	s_and_saveexec_b64 s[2:3], vcc
	s_xor_b64 s[2:3], exec, s[2:3]
	s_cbranch_execz .LBB756_257
; %bb.256:
	s_waitcnt lgkmcnt(0)
	v_cmp_lt_i64_e32 vcc, v[3:4], v[1:2]
                                        ; implicit-def: $vgpr7
                                        ; implicit-def: $vgpr9
	v_cndmask_b32_e32 v2, v2, v4, vcc
	v_cndmask_b32_e32 v1, v1, v3, vcc
                                        ; implicit-def: $vgpr3_vgpr4
.LBB756_257:
	s_or_saveexec_b64 s[2:3], s[2:3]
	v_mov_b32_e32 v10, 1
	s_xor_b64 exec, exec, s[2:3]
	s_cbranch_execz .LBB756_259
; %bb.258:
	v_and_b32_e32 v7, 1, v7
	v_cmp_eq_u32_e32 vcc, 1, v7
	s_waitcnt lgkmcnt(1)
	v_cndmask_b32_e32 v1, v3, v1, vcc
	v_and_b32_e32 v3, 0xff, v9
	s_waitcnt lgkmcnt(0)
	v_cndmask_b32_e32 v2, v4, v2, vcc
	v_cndmask_b32_e64 v10, v3, 1, vcc
.LBB756_259:
	s_or_b64 exec, exec, s[2:3]
	v_mov_b32_e32 v7, v10
.LBB756_260:
	;; [unrolled: 47-line block ×4, first 2 shown]
	s_or_b64 exec, exec, s[0:1]
	s_waitcnt lgkmcnt(2)
	v_lshlrev_b32_e32 v9, 2, v5
	s_waitcnt lgkmcnt(0)
	v_or_b32_e32 v4, 0x80, v9
	ds_bpermute_b32 v10, v4, v7
	ds_bpermute_b32 v3, v4, v1
	;; [unrolled: 1-line block ×3, first 2 shown]
	v_add_u32_e32 v6, 32, v6
	v_cmp_lt_u32_e32 vcc, v6, v8
	v_mov_b32_e32 v6, v7
	s_and_saveexec_b64 s[0:1], vcc
	s_cbranch_execz .LBB756_278
; %bb.273:
	s_waitcnt lgkmcnt(2)
	v_and_b32_e32 v6, v7, v10
	v_and_b32_e32 v6, 1, v6
	v_cmp_eq_u32_e32 vcc, 1, v6
	s_and_saveexec_b64 s[2:3], vcc
	s_xor_b64 s[2:3], exec, s[2:3]
	s_cbranch_execz .LBB756_275
; %bb.274:
	s_waitcnt lgkmcnt(0)
	v_cmp_lt_i64_e32 vcc, v[3:4], v[1:2]
                                        ; implicit-def: $vgpr7
                                        ; implicit-def: $vgpr10
	v_cndmask_b32_e32 v2, v2, v4, vcc
	v_cndmask_b32_e32 v1, v1, v3, vcc
                                        ; implicit-def: $vgpr3_vgpr4
.LBB756_275:
	s_or_saveexec_b64 s[2:3], s[2:3]
	v_mov_b32_e32 v6, 1
	s_xor_b64 exec, exec, s[2:3]
	s_cbranch_execz .LBB756_277
; %bb.276:
	v_and_b32_e32 v6, 1, v7
	v_cmp_eq_u32_e32 vcc, 1, v6
	v_cndmask_b32_e64 v6, v10, 1, vcc
	s_waitcnt lgkmcnt(0)
	v_cndmask_b32_e32 v2, v4, v2, vcc
	v_cndmask_b32_e32 v1, v3, v1, vcc
.LBB756_277:
	s_or_b64 exec, exec, s[2:3]
	v_and_b32_e32 v7, 0xff, v6
.LBB756_278:
	s_or_b64 exec, exec, s[0:1]
	v_cmp_eq_u32_e32 vcc, 0, v5
	s_and_saveexec_b64 s[0:1], vcc
	s_cbranch_execz .LBB756_280
; %bb.279:
	s_waitcnt lgkmcnt(1)
	v_lshrrev_b32_e32 v3, 2, v0
	v_and_b32_e32 v3, 16, v3
	ds_write_b8 v3, v6 offset:128
	ds_write_b64 v3, v[1:2] offset:136
.LBB756_280:
	s_or_b64 exec, exec, s[0:1]
	v_cmp_gt_u32_e32 vcc, 2, v0
	s_waitcnt lgkmcnt(0)
	s_barrier
	s_and_saveexec_b64 s[0:1], vcc
	s_cbranch_execz .LBB756_288
; %bb.281:
	v_lshlrev_b32_e32 v1, 4, v5
	ds_read_u8 v6, v1 offset:128
	ds_read_b64 v[1:2], v1 offset:136
	v_or_b32_e32 v4, 4, v9
	s_add_i32 s8, s8, 63
	v_and_b32_e32 v5, 1, v5
	s_waitcnt lgkmcnt(1)
	v_and_b32_e32 v7, 0xff, v6
	s_waitcnt lgkmcnt(0)
	ds_bpermute_b32 v3, v4, v1
	ds_bpermute_b32 v8, v4, v7
	;; [unrolled: 1-line block ×3, first 2 shown]
	s_lshr_b32 s2, s8, 6
	v_add_u32_e32 v5, 1, v5
	v_cmp_gt_u32_e32 vcc, s2, v5
	s_and_saveexec_b64 s[2:3], vcc
	s_cbranch_execz .LBB756_287
; %bb.282:
	s_waitcnt lgkmcnt(1)
	v_and_b32_e32 v5, v7, v8
	v_and_b32_e32 v5, 1, v5
	v_cmp_eq_u32_e32 vcc, 1, v5
	s_and_saveexec_b64 s[8:9], vcc
	s_xor_b64 s[8:9], exec, s[8:9]
	s_cbranch_execz .LBB756_284
; %bb.283:
	s_waitcnt lgkmcnt(0)
	v_cmp_lt_i64_e32 vcc, v[3:4], v[1:2]
                                        ; implicit-def: $vgpr6
                                        ; implicit-def: $vgpr8
	v_cndmask_b32_e32 v2, v2, v4, vcc
	v_cndmask_b32_e32 v1, v1, v3, vcc
                                        ; implicit-def: $vgpr3_vgpr4
.LBB756_284:
	s_or_saveexec_b64 s[8:9], s[8:9]
	v_mov_b32_e32 v7, 1
	s_xor_b64 exec, exec, s[8:9]
	s_cbranch_execz .LBB756_286
; %bb.285:
	v_and_b32_e32 v5, 1, v6
	v_cmp_eq_u32_e32 vcc, 1, v5
	s_waitcnt lgkmcnt(0)
	v_cndmask_b32_e32 v2, v4, v2, vcc
	v_cndmask_b32_e32 v1, v3, v1, vcc
	v_cndmask_b32_e64 v7, v8, 1, vcc
.LBB756_286:
	s_or_b64 exec, exec, s[8:9]
.LBB756_287:
	s_or_b64 exec, exec, s[2:3]
.LBB756_288:
	s_or_b64 exec, exec, s[0:1]
.LBB756_289:
	v_cmp_eq_u32_e32 vcc, 0, v0
                                        ; implicit-def: $vgpr3_vgpr4
                                        ; implicit-def: $vgpr5
	s_and_saveexec_b64 s[0:1], vcc
	s_xor_b64 s[8:9], exec, s[0:1]
	s_cbranch_execz .LBB756_293
; %bb.290:
	s_waitcnt lgkmcnt(0)
	v_mov_b32_e32 v3, s18
	s_cmp_eq_u64 s[22:23], 0
	v_mov_b32_e32 v4, s19
	v_mov_b32_e32 v5, s33
	s_cbranch_scc1 .LBB756_292
; %bb.291:
	v_and_b32_e32 v3, 1, v7
	v_cmp_gt_i64_e64 s[0:1], s[18:19], v[1:2]
	s_bitcmp1_b32 s33, 0
	v_cmp_eq_u32_e32 vcc, 1, v3
	s_cselect_b64 s[2:3], -1, 0
	v_mov_b32_e32 v3, s18
	s_and_b64 vcc, vcc, s[0:1]
	v_mov_b32_e32 v4, s19
	v_cndmask_b32_e32 v3, v3, v1, vcc
	v_cndmask_b32_e32 v4, v4, v2, vcc
	v_cndmask_b32_e64 v5, v7, 1, s[2:3]
	v_cndmask_b32_e64 v4, v2, v4, s[2:3]
	;; [unrolled: 1-line block ×3, first 2 shown]
.LBB756_292:
	s_or_b64 s[14:15], s[14:15], exec
.LBB756_293:
	s_or_b64 exec, exec, s[8:9]
	v_mov_b32_e32 v1, s6
	v_mov_b32_e32 v2, s7
	s_branch .LBB756_322
.LBB756_294:
	s_cmp_eq_u32 s36, 1
	s_cbranch_scc0 .LBB756_321
; %bb.295:
	s_lshl_b32 s8, s6, 7
	s_mov_b32 s7, 0
	s_lshr_b64 s[0:1], s[22:23], 7
	s_cmp_lg_u64 s[0:1], s[6:7]
	s_cbranch_scc0 .LBB756_325
; %bb.296:
	s_add_u32 s0, s24, s8
	s_addc_u32 s1, s25, 0
	s_add_u32 s2, s26, s8
	s_addc_u32 s3, s27, 0
	s_waitcnt lgkmcnt(1)
	global_load_ubyte v5, v0, s[0:1]
	s_waitcnt lgkmcnt(0)
	global_load_ubyte v6, v0, s[2:3]
	s_add_u32 s0, s20, s8
	s_addc_u32 s1, s21, 0
	v_mov_b32_e32 v2, s1
	v_add_co_u32_e32 v1, vcc, s0, v0
	v_addc_co_u32_e32 v2, vcc, 0, v2, vcc
	s_nop 0
	v_mov_b32_dpp v3, v1 quad_perm:[1,0,3,2] row_mask:0xf bank_mask:0xf bound_ctrl:1
	v_mov_b32_dpp v4, v2 quad_perm:[1,0,3,2] row_mask:0xf bank_mask:0xf bound_ctrl:1
	v_cmp_lt_i64_e32 vcc, v[1:2], v[3:4]
                                        ; implicit-def: $vgpr7
	s_waitcnt vmcnt(0)
	v_cmp_ne_u16_e64 s[0:1], v5, v6
	v_cndmask_b32_e64 v5, 0, 1, s[0:1]
	s_and_b64 vcc, s[0:1], vcc
	v_cndmask_b32_e32 v3, v3, v1, vcc
	v_mov_b32_dpp v5, v5 quad_perm:[1,0,3,2] row_mask:0xf bank_mask:0xf bound_ctrl:1
	v_and_b32_e32 v5, 1, v5
	v_cndmask_b32_e32 v4, v4, v2, vcc
	v_cmp_eq_u32_e32 vcc, 1, v5
	s_or_b64 s[0:1], s[0:1], vcc
	v_cndmask_b32_e32 v3, v1, v3, vcc
	v_cndmask_b32_e64 v1, 0, 1, s[0:1]
	v_cndmask_b32_e32 v4, v2, v4, vcc
	v_mov_b32_dpp v5, v3 quad_perm:[2,3,0,1] row_mask:0xf bank_mask:0xf bound_ctrl:1
	v_mov_b32_dpp v1, v1 quad_perm:[2,3,0,1] row_mask:0xf bank_mask:0xf bound_ctrl:1
	v_and_b32_e32 v1, 1, v1
	v_cmp_eq_u32_e32 vcc, 1, v1
	s_and_b64 s[2:3], s[0:1], vcc
	v_mov_b32_dpp v6, v4 quad_perm:[2,3,0,1] row_mask:0xf bank_mask:0xf bound_ctrl:1
	s_xor_b64 s[2:3], s[2:3], -1
                                        ; implicit-def: $vgpr1_vgpr2
	s_and_saveexec_b64 s[10:11], s[2:3]
	s_xor_b64 s[2:3], exec, s[10:11]
; %bb.297:
	s_or_b64 s[0:1], s[0:1], vcc
	v_cndmask_b32_e32 v2, v4, v6, vcc
	v_cndmask_b32_e32 v1, v3, v5, vcc
	v_cndmask_b32_e64 v7, 0, 1, s[0:1]
                                        ; implicit-def: $vgpr3_vgpr4
                                        ; implicit-def: $vgpr5_vgpr6
; %bb.298:
	s_andn2_saveexec_b64 s[0:1], s[2:3]
; %bb.299:
	v_cmp_lt_i64_e32 vcc, v[3:4], v[5:6]
	v_mov_b32_e32 v7, 1
	v_cndmask_b32_e32 v2, v6, v4, vcc
	v_cndmask_b32_e32 v1, v5, v3, vcc
; %bb.300:
	s_or_b64 exec, exec, s[0:1]
	v_mov_b32_dpp v8, v7 row_ror:4 row_mask:0xf bank_mask:0xf bound_ctrl:1
	v_and_b32_e32 v3, v8, v7
	v_mov_b32_dpp v5, v1 row_ror:4 row_mask:0xf bank_mask:0xf bound_ctrl:1
	v_mov_b32_dpp v6, v2 row_ror:4 row_mask:0xf bank_mask:0xf bound_ctrl:1
	v_cmp_ne_u32_e32 vcc, 0, v3
                                        ; implicit-def: $vgpr3_vgpr4
	s_and_saveexec_b64 s[0:1], vcc
	s_xor_b64 s[0:1], exec, s[0:1]
; %bb.301:
	v_cmp_lt_i64_e32 vcc, v[1:2], v[5:6]
                                        ; implicit-def: $vgpr8
                                        ; implicit-def: $vgpr7
	v_cndmask_b32_e32 v4, v6, v2, vcc
	v_cndmask_b32_e32 v3, v5, v1, vcc
                                        ; implicit-def: $vgpr1_vgpr2
                                        ; implicit-def: $vgpr5_vgpr6
; %bb.302:
	s_or_saveexec_b64 s[0:1], s[0:1]
	v_mov_b32_e32 v9, 1
	s_xor_b64 exec, exec, s[0:1]
; %bb.303:
	v_and_b32_e32 v3, 1, v8
	v_cmp_eq_u32_e32 vcc, 1, v3
	v_cndmask_b32_e32 v4, v2, v6, vcc
	v_cndmask_b32_e32 v3, v1, v5, vcc
	v_cndmask_b32_e64 v9, v7, 1, vcc
; %bb.304:
	s_or_b64 exec, exec, s[0:1]
	s_nop 0
	v_mov_b32_dpp v5, v9 row_ror:8 row_mask:0xf bank_mask:0xf bound_ctrl:1
	v_mov_b32_dpp v1, v3 row_ror:8 row_mask:0xf bank_mask:0xf bound_ctrl:1
	;; [unrolled: 1-line block ×3, first 2 shown]
	v_and_b32_e32 v5, 1, v5
	v_and_b32_e32 v6, 1, v9
	v_cmp_lt_i64_e64 s[0:1], v[3:4], v[1:2]
	v_cmp_eq_u32_e32 vcc, 1, v6
	v_cmp_eq_u32_e64 s[2:3], 1, v5
	v_cndmask_b32_e64 v8, v9, 1, s[2:3]
	s_and_b64 vcc, vcc, s[0:1]
	v_cndmask_b32_e32 v1, v1, v3, vcc
	v_cndmask_b32_e32 v2, v2, v4, vcc
	v_mov_b32_dpp v9, v8 row_bcast:15 row_mask:0xf bank_mask:0xf bound_ctrl:1
	v_cndmask_b32_e64 v4, v4, v2, s[2:3]
	v_cndmask_b32_e64 v3, v3, v1, s[2:3]
	v_and_b32_e32 v1, v9, v8
	v_mov_b32_dpp v6, v4 row_bcast:15 row_mask:0xf bank_mask:0xf bound_ctrl:1
	v_mov_b32_dpp v5, v3 row_bcast:15 row_mask:0xf bank_mask:0xf bound_ctrl:1
	v_cmp_ne_u32_e32 vcc, 0, v1
                                        ; implicit-def: $vgpr1_vgpr2
	s_and_saveexec_b64 s[0:1], vcc
	s_xor_b64 s[0:1], exec, s[0:1]
; %bb.305:
	v_cmp_lt_i64_e32 vcc, v[3:4], v[5:6]
                                        ; implicit-def: $vgpr9
                                        ; implicit-def: $vgpr8
	v_cndmask_b32_e32 v2, v6, v4, vcc
	v_cndmask_b32_e32 v1, v5, v3, vcc
                                        ; implicit-def: $vgpr3_vgpr4
                                        ; implicit-def: $vgpr5_vgpr6
; %bb.306:
	s_or_saveexec_b64 s[0:1], s[0:1]
	v_mov_b32_e32 v7, 1
	s_xor_b64 exec, exec, s[0:1]
; %bb.307:
	v_and_b32_e32 v1, 1, v9
	v_cmp_eq_u32_e32 vcc, 1, v1
	v_cndmask_b32_e32 v2, v4, v6, vcc
	v_cndmask_b32_e32 v1, v3, v5, vcc
	v_cndmask_b32_e64 v7, v8, 1, vcc
; %bb.308:
	s_or_b64 exec, exec, s[0:1]
	s_nop 0
	v_mov_b32_dpp v8, v7 row_bcast:31 row_mask:0xf bank_mask:0xf bound_ctrl:1
	v_and_b32_e32 v3, v8, v7
	v_mov_b32_dpp v5, v1 row_bcast:31 row_mask:0xf bank_mask:0xf bound_ctrl:1
	v_mov_b32_dpp v6, v2 row_bcast:31 row_mask:0xf bank_mask:0xf bound_ctrl:1
	v_cmp_ne_u32_e32 vcc, 0, v3
                                        ; implicit-def: $vgpr3_vgpr4
	s_and_saveexec_b64 s[0:1], vcc
	s_xor_b64 s[0:1], exec, s[0:1]
; %bb.309:
	v_cmp_lt_i64_e32 vcc, v[1:2], v[5:6]
                                        ; implicit-def: $vgpr8
                                        ; implicit-def: $vgpr7
	v_cndmask_b32_e32 v4, v6, v2, vcc
	v_cndmask_b32_e32 v3, v5, v1, vcc
                                        ; implicit-def: $vgpr1_vgpr2
                                        ; implicit-def: $vgpr5_vgpr6
; %bb.310:
	s_or_saveexec_b64 s[0:1], s[0:1]
	v_mov_b32_e32 v9, 1
	s_xor_b64 exec, exec, s[0:1]
; %bb.311:
	v_and_b32_e32 v3, 1, v8
	v_cmp_eq_u32_e32 vcc, 1, v3
	v_cndmask_b32_e32 v4, v2, v6, vcc
	v_cndmask_b32_e32 v3, v1, v5, vcc
	v_cndmask_b32_e64 v9, v7, 1, vcc
; %bb.312:
	s_or_b64 exec, exec, s[0:1]
	v_mbcnt_lo_u32_b32 v1, -1, 0
	v_mbcnt_hi_u32_b32 v6, -1, v1
	v_lshlrev_b32_e32 v5, 2, v6
	v_or_b32_e32 v2, 0xfc, v5
	ds_bpermute_b32 v7, v2, v9
	ds_bpermute_b32 v1, v2, v3
	;; [unrolled: 1-line block ×3, first 2 shown]
	v_cmp_eq_u32_e32 vcc, 0, v6
	s_and_saveexec_b64 s[0:1], vcc
	s_cbranch_execz .LBB756_314
; %bb.313:
	v_lshrrev_b32_e32 v3, 2, v0
	v_and_b32_e32 v3, 16, v3
	s_waitcnt lgkmcnt(2)
	ds_write_b8 v3, v7
	s_waitcnt lgkmcnt(1)
	ds_write_b64 v3, v[1:2] offset:8
.LBB756_314:
	s_or_b64 exec, exec, s[0:1]
	v_cmp_gt_u32_e32 vcc, 64, v0
	s_waitcnt lgkmcnt(0)
	s_barrier
	s_and_saveexec_b64 s[0:1], vcc
	s_cbranch_execz .LBB756_320
; %bb.315:
	v_and_b32_e32 v1, 1, v6
	v_lshlrev_b32_e32 v1, 4, v1
	ds_read_u8 v8, v1
	ds_read_b64 v[3:4], v1 offset:8
	v_or_b32_e32 v2, 4, v5
	s_waitcnt lgkmcnt(1)
	v_and_b32_e32 v1, 0xff, v8
	ds_bpermute_b32 v9, v2, v1
	s_waitcnt lgkmcnt(1)
	ds_bpermute_b32 v5, v2, v3
	ds_bpermute_b32 v6, v2, v4
	s_waitcnt lgkmcnt(2)
	v_and_b32_e32 v1, v8, v9
	v_and_b32_e32 v1, 1, v1
	v_cmp_eq_u32_e32 vcc, 1, v1
                                        ; implicit-def: $vgpr1_vgpr2
	s_and_saveexec_b64 s[2:3], vcc
	s_xor_b64 s[2:3], exec, s[2:3]
	s_cbranch_execz .LBB756_317
; %bb.316:
	s_waitcnt lgkmcnt(0)
	v_cmp_lt_i64_e32 vcc, v[5:6], v[3:4]
                                        ; implicit-def: $vgpr8
                                        ; implicit-def: $vgpr9
	v_cndmask_b32_e32 v2, v4, v6, vcc
	v_cndmask_b32_e32 v1, v3, v5, vcc
                                        ; implicit-def: $vgpr5_vgpr6
                                        ; implicit-def: $vgpr3_vgpr4
.LBB756_317:
	s_or_saveexec_b64 s[2:3], s[2:3]
	v_mov_b32_e32 v7, 1
	s_xor_b64 exec, exec, s[2:3]
	s_cbranch_execz .LBB756_319
; %bb.318:
	v_and_b32_e32 v1, 1, v8
	v_cmp_eq_u32_e32 vcc, 1, v1
	s_waitcnt lgkmcnt(0)
	v_cndmask_b32_e32 v2, v6, v4, vcc
	v_cndmask_b32_e32 v1, v5, v3, vcc
	v_cndmask_b32_e64 v7, v9, 1, vcc
.LBB756_319:
	s_or_b64 exec, exec, s[2:3]
.LBB756_320:
	s_or_b64 exec, exec, s[0:1]
	s_branch .LBB756_375
.LBB756_321:
                                        ; implicit-def: $vgpr3_vgpr4
                                        ; implicit-def: $vgpr5
                                        ; implicit-def: $vgpr1_vgpr2
.LBB756_322:
	s_and_saveexec_b64 s[0:1], s[14:15]
	s_cbranch_execz .LBB756_324
.LBB756_323:
	s_load_dwordx2 s[0:1], s[4:5], 0x38
	v_lshlrev_b64 v[0:1], 4, v[1:2]
	s_waitcnt lgkmcnt(0)
	v_mov_b32_e32 v2, s1
	v_add_co_u32_e32 v0, vcc, s0, v0
	v_addc_co_u32_e32 v1, vcc, v2, v1, vcc
	global_store_byte v[0:1], v5, off
	global_store_dwordx2 v[0:1], v[3:4], off offset:8
.LBB756_324:
	s_endpgm
.LBB756_325:
                                        ; implicit-def: $vgpr1_vgpr2
                                        ; implicit-def: $vgpr7
	s_cbranch_execz .LBB756_375
; %bb.326:
	s_sub_i32 s2, s22, s8
	v_mov_b32_e32 v1, 0
	v_cmp_gt_u32_e32 vcc, s2, v0
	v_mov_b32_e32 v2, 0
	v_mov_b32_e32 v9, 0
	s_and_saveexec_b64 s[0:1], vcc
	s_cbranch_execz .LBB756_328
; %bb.327:
	s_add_u32 s10, s26, s8
	s_addc_u32 s11, s27, 0
	s_add_u32 s12, s24, s8
	s_addc_u32 s13, s25, 0
	s_waitcnt lgkmcnt(2)
	global_load_ubyte v3, v0, s[12:13]
	s_waitcnt lgkmcnt(0)
	global_load_ubyte v4, v0, s[10:11]
	s_add_u32 s3, s20, s8
	s_addc_u32 s8, s21, 0
	v_mov_b32_e32 v2, s8
	v_add_co_u32_e32 v1, vcc, s3, v0
	v_addc_co_u32_e32 v2, vcc, 0, v2, vcc
	s_waitcnt vmcnt(0)
	v_cmp_ne_u16_e32 vcc, v3, v4
	v_cndmask_b32_e64 v9, 0, 1, vcc
.LBB756_328:
	s_or_b64 exec, exec, s[0:1]
	s_waitcnt lgkmcnt(2)
	v_mbcnt_lo_u32_b32 v3, -1, 0
	s_waitcnt lgkmcnt(1)
	v_mbcnt_hi_u32_b32 v5, -1, v3
	s_waitcnt lgkmcnt(0)
	v_and_b32_e32 v6, 63, v5
	v_cmp_ne_u32_e32 vcc, 63, v6
	v_addc_co_u32_e32 v3, vcc, 0, v5, vcc
	v_and_b32_e32 v7, 0xffff, v9
	v_lshlrev_b32_e32 v4, 2, v3
	ds_bpermute_b32 v10, v4, v7
	ds_bpermute_b32 v3, v4, v1
	;; [unrolled: 1-line block ×3, first 2 shown]
	s_min_u32 s8, s2, 0x80
	v_and_b32_e32 v8, 64, v0
	v_sub_u32_e64 v8, s8, v8 clamp
	v_add_u32_e32 v11, 1, v6
	v_cmp_lt_u32_e32 vcc, v11, v8
	s_and_saveexec_b64 s[0:1], vcc
	s_cbranch_execz .LBB756_334
; %bb.329:
	s_waitcnt lgkmcnt(2)
	v_and_b32_e32 v7, v10, v7
	v_and_b32_e32 v7, 1, v7
	v_cmp_eq_u32_e32 vcc, 1, v7
	s_and_saveexec_b64 s[2:3], vcc
	s_xor_b64 s[2:3], exec, s[2:3]
	s_cbranch_execz .LBB756_331
; %bb.330:
	s_waitcnt lgkmcnt(0)
	v_cmp_lt_i64_e32 vcc, v[3:4], v[1:2]
                                        ; implicit-def: $vgpr9
                                        ; implicit-def: $vgpr10
	v_cndmask_b32_e32 v2, v2, v4, vcc
	v_cndmask_b32_e32 v1, v1, v3, vcc
                                        ; implicit-def: $vgpr3_vgpr4
.LBB756_331:
	s_or_saveexec_b64 s[2:3], s[2:3]
	v_mov_b32_e32 v7, 1
	s_xor_b64 exec, exec, s[2:3]
	s_cbranch_execz .LBB756_333
; %bb.332:
	v_and_b32_e32 v7, 1, v9
	v_cmp_eq_u32_e32 vcc, 1, v7
	s_waitcnt lgkmcnt(1)
	v_cndmask_b32_e32 v1, v3, v1, vcc
	v_and_b32_e32 v3, 0xff, v10
	s_waitcnt lgkmcnt(0)
	v_cndmask_b32_e32 v2, v4, v2, vcc
	v_cndmask_b32_e64 v7, v3, 1, vcc
.LBB756_333:
	s_or_b64 exec, exec, s[2:3]
.LBB756_334:
	s_or_b64 exec, exec, s[0:1]
	v_cmp_gt_u32_e32 vcc, 62, v6
	s_waitcnt lgkmcnt(1)
	v_cndmask_b32_e64 v3, 0, 2, vcc
	s_waitcnt lgkmcnt(0)
	v_add_lshl_u32 v4, v3, v5, 2
	ds_bpermute_b32 v9, v4, v7
	ds_bpermute_b32 v3, v4, v1
	ds_bpermute_b32 v4, v4, v2
	v_add_u32_e32 v10, 2, v6
	v_cmp_lt_u32_e32 vcc, v10, v8
	s_and_saveexec_b64 s[0:1], vcc
	s_cbranch_execz .LBB756_340
; %bb.335:
	s_waitcnt lgkmcnt(2)
	v_and_b32_e32 v10, v7, v9
	v_and_b32_e32 v10, 1, v10
	v_cmp_eq_u32_e32 vcc, 1, v10
	s_and_saveexec_b64 s[2:3], vcc
	s_xor_b64 s[2:3], exec, s[2:3]
	s_cbranch_execz .LBB756_337
; %bb.336:
	s_waitcnt lgkmcnt(0)
	v_cmp_lt_i64_e32 vcc, v[3:4], v[1:2]
                                        ; implicit-def: $vgpr7
                                        ; implicit-def: $vgpr9
	v_cndmask_b32_e32 v2, v2, v4, vcc
	v_cndmask_b32_e32 v1, v1, v3, vcc
                                        ; implicit-def: $vgpr3_vgpr4
.LBB756_337:
	s_or_saveexec_b64 s[2:3], s[2:3]
	v_mov_b32_e32 v10, 1
	s_xor_b64 exec, exec, s[2:3]
	s_cbranch_execz .LBB756_339
; %bb.338:
	v_and_b32_e32 v7, 1, v7
	v_cmp_eq_u32_e32 vcc, 1, v7
	s_waitcnt lgkmcnt(1)
	v_cndmask_b32_e32 v1, v3, v1, vcc
	v_and_b32_e32 v3, 0xff, v9
	s_waitcnt lgkmcnt(0)
	v_cndmask_b32_e32 v2, v4, v2, vcc
	v_cndmask_b32_e64 v10, v3, 1, vcc
.LBB756_339:
	s_or_b64 exec, exec, s[2:3]
	v_mov_b32_e32 v7, v10
.LBB756_340:
	s_or_b64 exec, exec, s[0:1]
	v_cmp_gt_u32_e32 vcc, 60, v6
	s_waitcnt lgkmcnt(1)
	v_cndmask_b32_e64 v3, 0, 4, vcc
	s_waitcnt lgkmcnt(0)
	v_add_lshl_u32 v4, v3, v5, 2
	ds_bpermute_b32 v9, v4, v7
	ds_bpermute_b32 v3, v4, v1
	ds_bpermute_b32 v4, v4, v2
	v_add_u32_e32 v10, 4, v6
	v_cmp_lt_u32_e32 vcc, v10, v8
	s_and_saveexec_b64 s[0:1], vcc
	s_cbranch_execz .LBB756_346
; %bb.341:
	s_waitcnt lgkmcnt(2)
	v_and_b32_e32 v10, v7, v9
	v_and_b32_e32 v10, 1, v10
	v_cmp_eq_u32_e32 vcc, 1, v10
	s_and_saveexec_b64 s[2:3], vcc
	s_xor_b64 s[2:3], exec, s[2:3]
	s_cbranch_execz .LBB756_343
; %bb.342:
	s_waitcnt lgkmcnt(0)
	v_cmp_lt_i64_e32 vcc, v[3:4], v[1:2]
                                        ; implicit-def: $vgpr7
                                        ; implicit-def: $vgpr9
	v_cndmask_b32_e32 v2, v2, v4, vcc
	v_cndmask_b32_e32 v1, v1, v3, vcc
                                        ; implicit-def: $vgpr3_vgpr4
.LBB756_343:
	s_or_saveexec_b64 s[2:3], s[2:3]
	v_mov_b32_e32 v10, 1
	s_xor_b64 exec, exec, s[2:3]
	s_cbranch_execz .LBB756_345
; %bb.344:
	v_and_b32_e32 v7, 1, v7
	v_cmp_eq_u32_e32 vcc, 1, v7
	s_waitcnt lgkmcnt(1)
	v_cndmask_b32_e32 v1, v3, v1, vcc
	v_and_b32_e32 v3, 0xff, v9
	s_waitcnt lgkmcnt(0)
	v_cndmask_b32_e32 v2, v4, v2, vcc
	v_cndmask_b32_e64 v10, v3, 1, vcc
.LBB756_345:
	s_or_b64 exec, exec, s[2:3]
	v_mov_b32_e32 v7, v10
.LBB756_346:
	;; [unrolled: 47-line block ×4, first 2 shown]
	s_or_b64 exec, exec, s[0:1]
	s_waitcnt lgkmcnt(2)
	v_lshlrev_b32_e32 v9, 2, v5
	s_waitcnt lgkmcnt(0)
	v_or_b32_e32 v4, 0x80, v9
	ds_bpermute_b32 v10, v4, v7
	ds_bpermute_b32 v3, v4, v1
	;; [unrolled: 1-line block ×3, first 2 shown]
	v_add_u32_e32 v6, 32, v6
	v_cmp_lt_u32_e32 vcc, v6, v8
	v_mov_b32_e32 v6, v7
	s_and_saveexec_b64 s[0:1], vcc
	s_cbranch_execz .LBB756_364
; %bb.359:
	s_waitcnt lgkmcnt(2)
	v_and_b32_e32 v6, v7, v10
	v_and_b32_e32 v6, 1, v6
	v_cmp_eq_u32_e32 vcc, 1, v6
	s_and_saveexec_b64 s[2:3], vcc
	s_xor_b64 s[2:3], exec, s[2:3]
	s_cbranch_execz .LBB756_361
; %bb.360:
	s_waitcnt lgkmcnt(0)
	v_cmp_lt_i64_e32 vcc, v[3:4], v[1:2]
                                        ; implicit-def: $vgpr7
                                        ; implicit-def: $vgpr10
	v_cndmask_b32_e32 v2, v2, v4, vcc
	v_cndmask_b32_e32 v1, v1, v3, vcc
                                        ; implicit-def: $vgpr3_vgpr4
.LBB756_361:
	s_or_saveexec_b64 s[2:3], s[2:3]
	v_mov_b32_e32 v6, 1
	s_xor_b64 exec, exec, s[2:3]
	s_cbranch_execz .LBB756_363
; %bb.362:
	v_and_b32_e32 v6, 1, v7
	v_cmp_eq_u32_e32 vcc, 1, v6
	v_cndmask_b32_e64 v6, v10, 1, vcc
	s_waitcnt lgkmcnt(0)
	v_cndmask_b32_e32 v2, v4, v2, vcc
	v_cndmask_b32_e32 v1, v3, v1, vcc
.LBB756_363:
	s_or_b64 exec, exec, s[2:3]
	v_and_b32_e32 v7, 0xff, v6
.LBB756_364:
	s_or_b64 exec, exec, s[0:1]
	v_cmp_eq_u32_e32 vcc, 0, v5
	s_and_saveexec_b64 s[0:1], vcc
	s_cbranch_execz .LBB756_366
; %bb.365:
	s_waitcnt lgkmcnt(1)
	v_lshrrev_b32_e32 v3, 2, v0
	v_and_b32_e32 v3, 16, v3
	ds_write_b8 v3, v6 offset:128
	ds_write_b64 v3, v[1:2] offset:136
.LBB756_366:
	s_or_b64 exec, exec, s[0:1]
	v_cmp_gt_u32_e32 vcc, 2, v0
	s_waitcnt lgkmcnt(0)
	s_barrier
	s_and_saveexec_b64 s[0:1], vcc
	s_cbranch_execz .LBB756_374
; %bb.367:
	v_lshlrev_b32_e32 v1, 4, v5
	ds_read_u8 v6, v1 offset:128
	ds_read_b64 v[1:2], v1 offset:136
	v_or_b32_e32 v4, 4, v9
	s_add_i32 s8, s8, 63
	v_and_b32_e32 v5, 1, v5
	s_waitcnt lgkmcnt(1)
	v_and_b32_e32 v7, 0xff, v6
	s_waitcnt lgkmcnt(0)
	ds_bpermute_b32 v3, v4, v1
	ds_bpermute_b32 v8, v4, v7
	;; [unrolled: 1-line block ×3, first 2 shown]
	s_lshr_b32 s2, s8, 6
	v_add_u32_e32 v5, 1, v5
	v_cmp_gt_u32_e32 vcc, s2, v5
	s_and_saveexec_b64 s[2:3], vcc
	s_cbranch_execz .LBB756_373
; %bb.368:
	s_waitcnt lgkmcnt(1)
	v_and_b32_e32 v5, v7, v8
	v_and_b32_e32 v5, 1, v5
	v_cmp_eq_u32_e32 vcc, 1, v5
	s_and_saveexec_b64 s[8:9], vcc
	s_xor_b64 s[8:9], exec, s[8:9]
	s_cbranch_execz .LBB756_370
; %bb.369:
	s_waitcnt lgkmcnt(0)
	v_cmp_lt_i64_e32 vcc, v[3:4], v[1:2]
                                        ; implicit-def: $vgpr6
                                        ; implicit-def: $vgpr8
	v_cndmask_b32_e32 v2, v2, v4, vcc
	v_cndmask_b32_e32 v1, v1, v3, vcc
                                        ; implicit-def: $vgpr3_vgpr4
.LBB756_370:
	s_or_saveexec_b64 s[8:9], s[8:9]
	v_mov_b32_e32 v7, 1
	s_xor_b64 exec, exec, s[8:9]
	s_cbranch_execz .LBB756_372
; %bb.371:
	v_and_b32_e32 v5, 1, v6
	v_cmp_eq_u32_e32 vcc, 1, v5
	s_waitcnt lgkmcnt(0)
	v_cndmask_b32_e32 v2, v4, v2, vcc
	v_cndmask_b32_e32 v1, v3, v1, vcc
	v_cndmask_b32_e64 v7, v8, 1, vcc
.LBB756_372:
	s_or_b64 exec, exec, s[8:9]
.LBB756_373:
	s_or_b64 exec, exec, s[2:3]
.LBB756_374:
	s_or_b64 exec, exec, s[0:1]
.LBB756_375:
	v_cmp_eq_u32_e32 vcc, 0, v0
                                        ; implicit-def: $vgpr3_vgpr4
                                        ; implicit-def: $vgpr5
	s_and_saveexec_b64 s[8:9], vcc
	s_cbranch_execz .LBB756_379
; %bb.376:
	s_waitcnt lgkmcnt(0)
	v_mov_b32_e32 v3, s18
	s_cmp_eq_u64 s[22:23], 0
	v_mov_b32_e32 v4, s19
	v_mov_b32_e32 v5, s33
	s_cbranch_scc1 .LBB756_378
; %bb.377:
	v_and_b32_e32 v0, 1, v7
	v_cmp_gt_i64_e64 s[0:1], s[18:19], v[1:2]
	s_bitcmp1_b32 s33, 0
	v_cmp_eq_u32_e32 vcc, 1, v0
	s_cselect_b64 s[2:3], -1, 0
	v_mov_b32_e32 v0, s18
	s_and_b64 vcc, vcc, s[0:1]
	v_mov_b32_e32 v3, s19
	v_cndmask_b32_e32 v0, v0, v1, vcc
	v_cndmask_b32_e32 v3, v3, v2, vcc
	v_cndmask_b32_e64 v5, v7, 1, s[2:3]
	v_cndmask_b32_e64 v4, v2, v3, s[2:3]
	;; [unrolled: 1-line block ×3, first 2 shown]
.LBB756_378:
	s_or_b64 s[14:15], s[14:15], exec
.LBB756_379:
	s_or_b64 exec, exec, s[8:9]
	v_mov_b32_e32 v1, s6
	v_mov_b32_e32 v2, s7
	s_and_saveexec_b64 s[0:1], s[14:15]
	s_cbranch_execnz .LBB756_323
	s_branch .LBB756_324
	.section	.rodata,"a",@progbits
	.p2align	6, 0x0
	.amdhsa_kernel _ZN7rocprim17ROCPRIM_400000_NS6detail17trampoline_kernelINS0_14default_configENS1_22reduce_config_selectorIN6thrust23THRUST_200600_302600_NS5tupleIblNS6_9null_typeES8_S8_S8_S8_S8_S8_S8_EEEEZNS1_11reduce_implILb1ES3_NS6_12zip_iteratorINS7_INS6_11hip_rocprim26transform_input_iterator_tIbNSD_35transform_pair_of_input_iterators_tIbNS6_6detail15normal_iteratorINS6_10device_ptrIKbEEEESL_NS6_8equal_toIbEEEENSG_9not_fun_tINSD_8identityEEEEENSD_19counting_iterator_tIlEES8_S8_S8_S8_S8_S8_S8_S8_EEEEPS9_S9_NSD_9__find_if7functorIS9_EEEE10hipError_tPvRmT1_T2_T3_mT4_P12ihipStream_tbEUlT_E1_NS1_11comp_targetILNS1_3genE2ELNS1_11target_archE906ELNS1_3gpuE6ELNS1_3repE0EEENS1_30default_config_static_selectorELNS0_4arch9wavefront6targetE1EEEvS14_
		.amdhsa_group_segment_fixed_size 160
		.amdhsa_private_segment_fixed_size 0
		.amdhsa_kernarg_size 88
		.amdhsa_user_sgpr_count 6
		.amdhsa_user_sgpr_private_segment_buffer 1
		.amdhsa_user_sgpr_dispatch_ptr 0
		.amdhsa_user_sgpr_queue_ptr 0
		.amdhsa_user_sgpr_kernarg_segment_ptr 1
		.amdhsa_user_sgpr_dispatch_id 0
		.amdhsa_user_sgpr_flat_scratch_init 0
		.amdhsa_user_sgpr_private_segment_size 0
		.amdhsa_uses_dynamic_stack 0
		.amdhsa_system_sgpr_private_segment_wavefront_offset 0
		.amdhsa_system_sgpr_workgroup_id_x 1
		.amdhsa_system_sgpr_workgroup_id_y 0
		.amdhsa_system_sgpr_workgroup_id_z 0
		.amdhsa_system_sgpr_workgroup_info 0
		.amdhsa_system_vgpr_workitem_id 0
		.amdhsa_next_free_vgpr 27
		.amdhsa_next_free_sgpr 40
		.amdhsa_reserve_vcc 1
		.amdhsa_reserve_flat_scratch 0
		.amdhsa_float_round_mode_32 0
		.amdhsa_float_round_mode_16_64 0
		.amdhsa_float_denorm_mode_32 3
		.amdhsa_float_denorm_mode_16_64 3
		.amdhsa_dx10_clamp 1
		.amdhsa_ieee_mode 1
		.amdhsa_fp16_overflow 0
		.amdhsa_exception_fp_ieee_invalid_op 0
		.amdhsa_exception_fp_denorm_src 0
		.amdhsa_exception_fp_ieee_div_zero 0
		.amdhsa_exception_fp_ieee_overflow 0
		.amdhsa_exception_fp_ieee_underflow 0
		.amdhsa_exception_fp_ieee_inexact 0
		.amdhsa_exception_int_div_zero 0
	.end_amdhsa_kernel
	.section	.text._ZN7rocprim17ROCPRIM_400000_NS6detail17trampoline_kernelINS0_14default_configENS1_22reduce_config_selectorIN6thrust23THRUST_200600_302600_NS5tupleIblNS6_9null_typeES8_S8_S8_S8_S8_S8_S8_EEEEZNS1_11reduce_implILb1ES3_NS6_12zip_iteratorINS7_INS6_11hip_rocprim26transform_input_iterator_tIbNSD_35transform_pair_of_input_iterators_tIbNS6_6detail15normal_iteratorINS6_10device_ptrIKbEEEESL_NS6_8equal_toIbEEEENSG_9not_fun_tINSD_8identityEEEEENSD_19counting_iterator_tIlEES8_S8_S8_S8_S8_S8_S8_S8_EEEEPS9_S9_NSD_9__find_if7functorIS9_EEEE10hipError_tPvRmT1_T2_T3_mT4_P12ihipStream_tbEUlT_E1_NS1_11comp_targetILNS1_3genE2ELNS1_11target_archE906ELNS1_3gpuE6ELNS1_3repE0EEENS1_30default_config_static_selectorELNS0_4arch9wavefront6targetE1EEEvS14_,"axG",@progbits,_ZN7rocprim17ROCPRIM_400000_NS6detail17trampoline_kernelINS0_14default_configENS1_22reduce_config_selectorIN6thrust23THRUST_200600_302600_NS5tupleIblNS6_9null_typeES8_S8_S8_S8_S8_S8_S8_EEEEZNS1_11reduce_implILb1ES3_NS6_12zip_iteratorINS7_INS6_11hip_rocprim26transform_input_iterator_tIbNSD_35transform_pair_of_input_iterators_tIbNS6_6detail15normal_iteratorINS6_10device_ptrIKbEEEESL_NS6_8equal_toIbEEEENSG_9not_fun_tINSD_8identityEEEEENSD_19counting_iterator_tIlEES8_S8_S8_S8_S8_S8_S8_S8_EEEEPS9_S9_NSD_9__find_if7functorIS9_EEEE10hipError_tPvRmT1_T2_T3_mT4_P12ihipStream_tbEUlT_E1_NS1_11comp_targetILNS1_3genE2ELNS1_11target_archE906ELNS1_3gpuE6ELNS1_3repE0EEENS1_30default_config_static_selectorELNS0_4arch9wavefront6targetE1EEEvS14_,comdat
.Lfunc_end756:
	.size	_ZN7rocprim17ROCPRIM_400000_NS6detail17trampoline_kernelINS0_14default_configENS1_22reduce_config_selectorIN6thrust23THRUST_200600_302600_NS5tupleIblNS6_9null_typeES8_S8_S8_S8_S8_S8_S8_EEEEZNS1_11reduce_implILb1ES3_NS6_12zip_iteratorINS7_INS6_11hip_rocprim26transform_input_iterator_tIbNSD_35transform_pair_of_input_iterators_tIbNS6_6detail15normal_iteratorINS6_10device_ptrIKbEEEESL_NS6_8equal_toIbEEEENSG_9not_fun_tINSD_8identityEEEEENSD_19counting_iterator_tIlEES8_S8_S8_S8_S8_S8_S8_S8_EEEEPS9_S9_NSD_9__find_if7functorIS9_EEEE10hipError_tPvRmT1_T2_T3_mT4_P12ihipStream_tbEUlT_E1_NS1_11comp_targetILNS1_3genE2ELNS1_11target_archE906ELNS1_3gpuE6ELNS1_3repE0EEENS1_30default_config_static_selectorELNS0_4arch9wavefront6targetE1EEEvS14_, .Lfunc_end756-_ZN7rocprim17ROCPRIM_400000_NS6detail17trampoline_kernelINS0_14default_configENS1_22reduce_config_selectorIN6thrust23THRUST_200600_302600_NS5tupleIblNS6_9null_typeES8_S8_S8_S8_S8_S8_S8_EEEEZNS1_11reduce_implILb1ES3_NS6_12zip_iteratorINS7_INS6_11hip_rocprim26transform_input_iterator_tIbNSD_35transform_pair_of_input_iterators_tIbNS6_6detail15normal_iteratorINS6_10device_ptrIKbEEEESL_NS6_8equal_toIbEEEENSG_9not_fun_tINSD_8identityEEEEENSD_19counting_iterator_tIlEES8_S8_S8_S8_S8_S8_S8_S8_EEEEPS9_S9_NSD_9__find_if7functorIS9_EEEE10hipError_tPvRmT1_T2_T3_mT4_P12ihipStream_tbEUlT_E1_NS1_11comp_targetILNS1_3genE2ELNS1_11target_archE906ELNS1_3gpuE6ELNS1_3repE0EEENS1_30default_config_static_selectorELNS0_4arch9wavefront6targetE1EEEvS14_
                                        ; -- End function
	.set _ZN7rocprim17ROCPRIM_400000_NS6detail17trampoline_kernelINS0_14default_configENS1_22reduce_config_selectorIN6thrust23THRUST_200600_302600_NS5tupleIblNS6_9null_typeES8_S8_S8_S8_S8_S8_S8_EEEEZNS1_11reduce_implILb1ES3_NS6_12zip_iteratorINS7_INS6_11hip_rocprim26transform_input_iterator_tIbNSD_35transform_pair_of_input_iterators_tIbNS6_6detail15normal_iteratorINS6_10device_ptrIKbEEEESL_NS6_8equal_toIbEEEENSG_9not_fun_tINSD_8identityEEEEENSD_19counting_iterator_tIlEES8_S8_S8_S8_S8_S8_S8_S8_EEEEPS9_S9_NSD_9__find_if7functorIS9_EEEE10hipError_tPvRmT1_T2_T3_mT4_P12ihipStream_tbEUlT_E1_NS1_11comp_targetILNS1_3genE2ELNS1_11target_archE906ELNS1_3gpuE6ELNS1_3repE0EEENS1_30default_config_static_selectorELNS0_4arch9wavefront6targetE1EEEvS14_.num_vgpr, 27
	.set _ZN7rocprim17ROCPRIM_400000_NS6detail17trampoline_kernelINS0_14default_configENS1_22reduce_config_selectorIN6thrust23THRUST_200600_302600_NS5tupleIblNS6_9null_typeES8_S8_S8_S8_S8_S8_S8_EEEEZNS1_11reduce_implILb1ES3_NS6_12zip_iteratorINS7_INS6_11hip_rocprim26transform_input_iterator_tIbNSD_35transform_pair_of_input_iterators_tIbNS6_6detail15normal_iteratorINS6_10device_ptrIKbEEEESL_NS6_8equal_toIbEEEENSG_9not_fun_tINSD_8identityEEEEENSD_19counting_iterator_tIlEES8_S8_S8_S8_S8_S8_S8_S8_EEEEPS9_S9_NSD_9__find_if7functorIS9_EEEE10hipError_tPvRmT1_T2_T3_mT4_P12ihipStream_tbEUlT_E1_NS1_11comp_targetILNS1_3genE2ELNS1_11target_archE906ELNS1_3gpuE6ELNS1_3repE0EEENS1_30default_config_static_selectorELNS0_4arch9wavefront6targetE1EEEvS14_.num_agpr, 0
	.set _ZN7rocprim17ROCPRIM_400000_NS6detail17trampoline_kernelINS0_14default_configENS1_22reduce_config_selectorIN6thrust23THRUST_200600_302600_NS5tupleIblNS6_9null_typeES8_S8_S8_S8_S8_S8_S8_EEEEZNS1_11reduce_implILb1ES3_NS6_12zip_iteratorINS7_INS6_11hip_rocprim26transform_input_iterator_tIbNSD_35transform_pair_of_input_iterators_tIbNS6_6detail15normal_iteratorINS6_10device_ptrIKbEEEESL_NS6_8equal_toIbEEEENSG_9not_fun_tINSD_8identityEEEEENSD_19counting_iterator_tIlEES8_S8_S8_S8_S8_S8_S8_S8_EEEEPS9_S9_NSD_9__find_if7functorIS9_EEEE10hipError_tPvRmT1_T2_T3_mT4_P12ihipStream_tbEUlT_E1_NS1_11comp_targetILNS1_3genE2ELNS1_11target_archE906ELNS1_3gpuE6ELNS1_3repE0EEENS1_30default_config_static_selectorELNS0_4arch9wavefront6targetE1EEEvS14_.numbered_sgpr, 40
	.set _ZN7rocprim17ROCPRIM_400000_NS6detail17trampoline_kernelINS0_14default_configENS1_22reduce_config_selectorIN6thrust23THRUST_200600_302600_NS5tupleIblNS6_9null_typeES8_S8_S8_S8_S8_S8_S8_EEEEZNS1_11reduce_implILb1ES3_NS6_12zip_iteratorINS7_INS6_11hip_rocprim26transform_input_iterator_tIbNSD_35transform_pair_of_input_iterators_tIbNS6_6detail15normal_iteratorINS6_10device_ptrIKbEEEESL_NS6_8equal_toIbEEEENSG_9not_fun_tINSD_8identityEEEEENSD_19counting_iterator_tIlEES8_S8_S8_S8_S8_S8_S8_S8_EEEEPS9_S9_NSD_9__find_if7functorIS9_EEEE10hipError_tPvRmT1_T2_T3_mT4_P12ihipStream_tbEUlT_E1_NS1_11comp_targetILNS1_3genE2ELNS1_11target_archE906ELNS1_3gpuE6ELNS1_3repE0EEENS1_30default_config_static_selectorELNS0_4arch9wavefront6targetE1EEEvS14_.num_named_barrier, 0
	.set _ZN7rocprim17ROCPRIM_400000_NS6detail17trampoline_kernelINS0_14default_configENS1_22reduce_config_selectorIN6thrust23THRUST_200600_302600_NS5tupleIblNS6_9null_typeES8_S8_S8_S8_S8_S8_S8_EEEEZNS1_11reduce_implILb1ES3_NS6_12zip_iteratorINS7_INS6_11hip_rocprim26transform_input_iterator_tIbNSD_35transform_pair_of_input_iterators_tIbNS6_6detail15normal_iteratorINS6_10device_ptrIKbEEEESL_NS6_8equal_toIbEEEENSG_9not_fun_tINSD_8identityEEEEENSD_19counting_iterator_tIlEES8_S8_S8_S8_S8_S8_S8_S8_EEEEPS9_S9_NSD_9__find_if7functorIS9_EEEE10hipError_tPvRmT1_T2_T3_mT4_P12ihipStream_tbEUlT_E1_NS1_11comp_targetILNS1_3genE2ELNS1_11target_archE906ELNS1_3gpuE6ELNS1_3repE0EEENS1_30default_config_static_selectorELNS0_4arch9wavefront6targetE1EEEvS14_.private_seg_size, 0
	.set _ZN7rocprim17ROCPRIM_400000_NS6detail17trampoline_kernelINS0_14default_configENS1_22reduce_config_selectorIN6thrust23THRUST_200600_302600_NS5tupleIblNS6_9null_typeES8_S8_S8_S8_S8_S8_S8_EEEEZNS1_11reduce_implILb1ES3_NS6_12zip_iteratorINS7_INS6_11hip_rocprim26transform_input_iterator_tIbNSD_35transform_pair_of_input_iterators_tIbNS6_6detail15normal_iteratorINS6_10device_ptrIKbEEEESL_NS6_8equal_toIbEEEENSG_9not_fun_tINSD_8identityEEEEENSD_19counting_iterator_tIlEES8_S8_S8_S8_S8_S8_S8_S8_EEEEPS9_S9_NSD_9__find_if7functorIS9_EEEE10hipError_tPvRmT1_T2_T3_mT4_P12ihipStream_tbEUlT_E1_NS1_11comp_targetILNS1_3genE2ELNS1_11target_archE906ELNS1_3gpuE6ELNS1_3repE0EEENS1_30default_config_static_selectorELNS0_4arch9wavefront6targetE1EEEvS14_.uses_vcc, 1
	.set _ZN7rocprim17ROCPRIM_400000_NS6detail17trampoline_kernelINS0_14default_configENS1_22reduce_config_selectorIN6thrust23THRUST_200600_302600_NS5tupleIblNS6_9null_typeES8_S8_S8_S8_S8_S8_S8_EEEEZNS1_11reduce_implILb1ES3_NS6_12zip_iteratorINS7_INS6_11hip_rocprim26transform_input_iterator_tIbNSD_35transform_pair_of_input_iterators_tIbNS6_6detail15normal_iteratorINS6_10device_ptrIKbEEEESL_NS6_8equal_toIbEEEENSG_9not_fun_tINSD_8identityEEEEENSD_19counting_iterator_tIlEES8_S8_S8_S8_S8_S8_S8_S8_EEEEPS9_S9_NSD_9__find_if7functorIS9_EEEE10hipError_tPvRmT1_T2_T3_mT4_P12ihipStream_tbEUlT_E1_NS1_11comp_targetILNS1_3genE2ELNS1_11target_archE906ELNS1_3gpuE6ELNS1_3repE0EEENS1_30default_config_static_selectorELNS0_4arch9wavefront6targetE1EEEvS14_.uses_flat_scratch, 0
	.set _ZN7rocprim17ROCPRIM_400000_NS6detail17trampoline_kernelINS0_14default_configENS1_22reduce_config_selectorIN6thrust23THRUST_200600_302600_NS5tupleIblNS6_9null_typeES8_S8_S8_S8_S8_S8_S8_EEEEZNS1_11reduce_implILb1ES3_NS6_12zip_iteratorINS7_INS6_11hip_rocprim26transform_input_iterator_tIbNSD_35transform_pair_of_input_iterators_tIbNS6_6detail15normal_iteratorINS6_10device_ptrIKbEEEESL_NS6_8equal_toIbEEEENSG_9not_fun_tINSD_8identityEEEEENSD_19counting_iterator_tIlEES8_S8_S8_S8_S8_S8_S8_S8_EEEEPS9_S9_NSD_9__find_if7functorIS9_EEEE10hipError_tPvRmT1_T2_T3_mT4_P12ihipStream_tbEUlT_E1_NS1_11comp_targetILNS1_3genE2ELNS1_11target_archE906ELNS1_3gpuE6ELNS1_3repE0EEENS1_30default_config_static_selectorELNS0_4arch9wavefront6targetE1EEEvS14_.has_dyn_sized_stack, 0
	.set _ZN7rocprim17ROCPRIM_400000_NS6detail17trampoline_kernelINS0_14default_configENS1_22reduce_config_selectorIN6thrust23THRUST_200600_302600_NS5tupleIblNS6_9null_typeES8_S8_S8_S8_S8_S8_S8_EEEEZNS1_11reduce_implILb1ES3_NS6_12zip_iteratorINS7_INS6_11hip_rocprim26transform_input_iterator_tIbNSD_35transform_pair_of_input_iterators_tIbNS6_6detail15normal_iteratorINS6_10device_ptrIKbEEEESL_NS6_8equal_toIbEEEENSG_9not_fun_tINSD_8identityEEEEENSD_19counting_iterator_tIlEES8_S8_S8_S8_S8_S8_S8_S8_EEEEPS9_S9_NSD_9__find_if7functorIS9_EEEE10hipError_tPvRmT1_T2_T3_mT4_P12ihipStream_tbEUlT_E1_NS1_11comp_targetILNS1_3genE2ELNS1_11target_archE906ELNS1_3gpuE6ELNS1_3repE0EEENS1_30default_config_static_selectorELNS0_4arch9wavefront6targetE1EEEvS14_.has_recursion, 0
	.set _ZN7rocprim17ROCPRIM_400000_NS6detail17trampoline_kernelINS0_14default_configENS1_22reduce_config_selectorIN6thrust23THRUST_200600_302600_NS5tupleIblNS6_9null_typeES8_S8_S8_S8_S8_S8_S8_EEEEZNS1_11reduce_implILb1ES3_NS6_12zip_iteratorINS7_INS6_11hip_rocprim26transform_input_iterator_tIbNSD_35transform_pair_of_input_iterators_tIbNS6_6detail15normal_iteratorINS6_10device_ptrIKbEEEESL_NS6_8equal_toIbEEEENSG_9not_fun_tINSD_8identityEEEEENSD_19counting_iterator_tIlEES8_S8_S8_S8_S8_S8_S8_S8_EEEEPS9_S9_NSD_9__find_if7functorIS9_EEEE10hipError_tPvRmT1_T2_T3_mT4_P12ihipStream_tbEUlT_E1_NS1_11comp_targetILNS1_3genE2ELNS1_11target_archE906ELNS1_3gpuE6ELNS1_3repE0EEENS1_30default_config_static_selectorELNS0_4arch9wavefront6targetE1EEEvS14_.has_indirect_call, 0
	.section	.AMDGPU.csdata,"",@progbits
; Kernel info:
; codeLenInByte = 13004
; TotalNumSgprs: 44
; NumVgprs: 27
; ScratchSize: 0
; MemoryBound: 0
; FloatMode: 240
; IeeeMode: 1
; LDSByteSize: 160 bytes/workgroup (compile time only)
; SGPRBlocks: 5
; VGPRBlocks: 6
; NumSGPRsForWavesPerEU: 44
; NumVGPRsForWavesPerEU: 27
; Occupancy: 9
; WaveLimiterHint : 0
; COMPUTE_PGM_RSRC2:SCRATCH_EN: 0
; COMPUTE_PGM_RSRC2:USER_SGPR: 6
; COMPUTE_PGM_RSRC2:TRAP_HANDLER: 0
; COMPUTE_PGM_RSRC2:TGID_X_EN: 1
; COMPUTE_PGM_RSRC2:TGID_Y_EN: 0
; COMPUTE_PGM_RSRC2:TGID_Z_EN: 0
; COMPUTE_PGM_RSRC2:TIDIG_COMP_CNT: 0
	.section	.text._ZN7rocprim17ROCPRIM_400000_NS6detail17trampoline_kernelINS0_14default_configENS1_22reduce_config_selectorIN6thrust23THRUST_200600_302600_NS5tupleIblNS6_9null_typeES8_S8_S8_S8_S8_S8_S8_EEEEZNS1_11reduce_implILb1ES3_NS6_12zip_iteratorINS7_INS6_11hip_rocprim26transform_input_iterator_tIbNSD_35transform_pair_of_input_iterators_tIbNS6_6detail15normal_iteratorINS6_10device_ptrIKbEEEESL_NS6_8equal_toIbEEEENSG_9not_fun_tINSD_8identityEEEEENSD_19counting_iterator_tIlEES8_S8_S8_S8_S8_S8_S8_S8_EEEEPS9_S9_NSD_9__find_if7functorIS9_EEEE10hipError_tPvRmT1_T2_T3_mT4_P12ihipStream_tbEUlT_E1_NS1_11comp_targetILNS1_3genE10ELNS1_11target_archE1201ELNS1_3gpuE5ELNS1_3repE0EEENS1_30default_config_static_selectorELNS0_4arch9wavefront6targetE1EEEvS14_,"axG",@progbits,_ZN7rocprim17ROCPRIM_400000_NS6detail17trampoline_kernelINS0_14default_configENS1_22reduce_config_selectorIN6thrust23THRUST_200600_302600_NS5tupleIblNS6_9null_typeES8_S8_S8_S8_S8_S8_S8_EEEEZNS1_11reduce_implILb1ES3_NS6_12zip_iteratorINS7_INS6_11hip_rocprim26transform_input_iterator_tIbNSD_35transform_pair_of_input_iterators_tIbNS6_6detail15normal_iteratorINS6_10device_ptrIKbEEEESL_NS6_8equal_toIbEEEENSG_9not_fun_tINSD_8identityEEEEENSD_19counting_iterator_tIlEES8_S8_S8_S8_S8_S8_S8_S8_EEEEPS9_S9_NSD_9__find_if7functorIS9_EEEE10hipError_tPvRmT1_T2_T3_mT4_P12ihipStream_tbEUlT_E1_NS1_11comp_targetILNS1_3genE10ELNS1_11target_archE1201ELNS1_3gpuE5ELNS1_3repE0EEENS1_30default_config_static_selectorELNS0_4arch9wavefront6targetE1EEEvS14_,comdat
	.protected	_ZN7rocprim17ROCPRIM_400000_NS6detail17trampoline_kernelINS0_14default_configENS1_22reduce_config_selectorIN6thrust23THRUST_200600_302600_NS5tupleIblNS6_9null_typeES8_S8_S8_S8_S8_S8_S8_EEEEZNS1_11reduce_implILb1ES3_NS6_12zip_iteratorINS7_INS6_11hip_rocprim26transform_input_iterator_tIbNSD_35transform_pair_of_input_iterators_tIbNS6_6detail15normal_iteratorINS6_10device_ptrIKbEEEESL_NS6_8equal_toIbEEEENSG_9not_fun_tINSD_8identityEEEEENSD_19counting_iterator_tIlEES8_S8_S8_S8_S8_S8_S8_S8_EEEEPS9_S9_NSD_9__find_if7functorIS9_EEEE10hipError_tPvRmT1_T2_T3_mT4_P12ihipStream_tbEUlT_E1_NS1_11comp_targetILNS1_3genE10ELNS1_11target_archE1201ELNS1_3gpuE5ELNS1_3repE0EEENS1_30default_config_static_selectorELNS0_4arch9wavefront6targetE1EEEvS14_ ; -- Begin function _ZN7rocprim17ROCPRIM_400000_NS6detail17trampoline_kernelINS0_14default_configENS1_22reduce_config_selectorIN6thrust23THRUST_200600_302600_NS5tupleIblNS6_9null_typeES8_S8_S8_S8_S8_S8_S8_EEEEZNS1_11reduce_implILb1ES3_NS6_12zip_iteratorINS7_INS6_11hip_rocprim26transform_input_iterator_tIbNSD_35transform_pair_of_input_iterators_tIbNS6_6detail15normal_iteratorINS6_10device_ptrIKbEEEESL_NS6_8equal_toIbEEEENSG_9not_fun_tINSD_8identityEEEEENSD_19counting_iterator_tIlEES8_S8_S8_S8_S8_S8_S8_S8_EEEEPS9_S9_NSD_9__find_if7functorIS9_EEEE10hipError_tPvRmT1_T2_T3_mT4_P12ihipStream_tbEUlT_E1_NS1_11comp_targetILNS1_3genE10ELNS1_11target_archE1201ELNS1_3gpuE5ELNS1_3repE0EEENS1_30default_config_static_selectorELNS0_4arch9wavefront6targetE1EEEvS14_
	.globl	_ZN7rocprim17ROCPRIM_400000_NS6detail17trampoline_kernelINS0_14default_configENS1_22reduce_config_selectorIN6thrust23THRUST_200600_302600_NS5tupleIblNS6_9null_typeES8_S8_S8_S8_S8_S8_S8_EEEEZNS1_11reduce_implILb1ES3_NS6_12zip_iteratorINS7_INS6_11hip_rocprim26transform_input_iterator_tIbNSD_35transform_pair_of_input_iterators_tIbNS6_6detail15normal_iteratorINS6_10device_ptrIKbEEEESL_NS6_8equal_toIbEEEENSG_9not_fun_tINSD_8identityEEEEENSD_19counting_iterator_tIlEES8_S8_S8_S8_S8_S8_S8_S8_EEEEPS9_S9_NSD_9__find_if7functorIS9_EEEE10hipError_tPvRmT1_T2_T3_mT4_P12ihipStream_tbEUlT_E1_NS1_11comp_targetILNS1_3genE10ELNS1_11target_archE1201ELNS1_3gpuE5ELNS1_3repE0EEENS1_30default_config_static_selectorELNS0_4arch9wavefront6targetE1EEEvS14_
	.p2align	8
	.type	_ZN7rocprim17ROCPRIM_400000_NS6detail17trampoline_kernelINS0_14default_configENS1_22reduce_config_selectorIN6thrust23THRUST_200600_302600_NS5tupleIblNS6_9null_typeES8_S8_S8_S8_S8_S8_S8_EEEEZNS1_11reduce_implILb1ES3_NS6_12zip_iteratorINS7_INS6_11hip_rocprim26transform_input_iterator_tIbNSD_35transform_pair_of_input_iterators_tIbNS6_6detail15normal_iteratorINS6_10device_ptrIKbEEEESL_NS6_8equal_toIbEEEENSG_9not_fun_tINSD_8identityEEEEENSD_19counting_iterator_tIlEES8_S8_S8_S8_S8_S8_S8_S8_EEEEPS9_S9_NSD_9__find_if7functorIS9_EEEE10hipError_tPvRmT1_T2_T3_mT4_P12ihipStream_tbEUlT_E1_NS1_11comp_targetILNS1_3genE10ELNS1_11target_archE1201ELNS1_3gpuE5ELNS1_3repE0EEENS1_30default_config_static_selectorELNS0_4arch9wavefront6targetE1EEEvS14_,@function
_ZN7rocprim17ROCPRIM_400000_NS6detail17trampoline_kernelINS0_14default_configENS1_22reduce_config_selectorIN6thrust23THRUST_200600_302600_NS5tupleIblNS6_9null_typeES8_S8_S8_S8_S8_S8_S8_EEEEZNS1_11reduce_implILb1ES3_NS6_12zip_iteratorINS7_INS6_11hip_rocprim26transform_input_iterator_tIbNSD_35transform_pair_of_input_iterators_tIbNS6_6detail15normal_iteratorINS6_10device_ptrIKbEEEESL_NS6_8equal_toIbEEEENSG_9not_fun_tINSD_8identityEEEEENSD_19counting_iterator_tIlEES8_S8_S8_S8_S8_S8_S8_S8_EEEEPS9_S9_NSD_9__find_if7functorIS9_EEEE10hipError_tPvRmT1_T2_T3_mT4_P12ihipStream_tbEUlT_E1_NS1_11comp_targetILNS1_3genE10ELNS1_11target_archE1201ELNS1_3gpuE5ELNS1_3repE0EEENS1_30default_config_static_selectorELNS0_4arch9wavefront6targetE1EEEvS14_: ; @_ZN7rocprim17ROCPRIM_400000_NS6detail17trampoline_kernelINS0_14default_configENS1_22reduce_config_selectorIN6thrust23THRUST_200600_302600_NS5tupleIblNS6_9null_typeES8_S8_S8_S8_S8_S8_S8_EEEEZNS1_11reduce_implILb1ES3_NS6_12zip_iteratorINS7_INS6_11hip_rocprim26transform_input_iterator_tIbNSD_35transform_pair_of_input_iterators_tIbNS6_6detail15normal_iteratorINS6_10device_ptrIKbEEEESL_NS6_8equal_toIbEEEENSG_9not_fun_tINSD_8identityEEEEENSD_19counting_iterator_tIlEES8_S8_S8_S8_S8_S8_S8_S8_EEEEPS9_S9_NSD_9__find_if7functorIS9_EEEE10hipError_tPvRmT1_T2_T3_mT4_P12ihipStream_tbEUlT_E1_NS1_11comp_targetILNS1_3genE10ELNS1_11target_archE1201ELNS1_3gpuE5ELNS1_3repE0EEENS1_30default_config_static_selectorELNS0_4arch9wavefront6targetE1EEEvS14_
; %bb.0:
	.section	.rodata,"a",@progbits
	.p2align	6, 0x0
	.amdhsa_kernel _ZN7rocprim17ROCPRIM_400000_NS6detail17trampoline_kernelINS0_14default_configENS1_22reduce_config_selectorIN6thrust23THRUST_200600_302600_NS5tupleIblNS6_9null_typeES8_S8_S8_S8_S8_S8_S8_EEEEZNS1_11reduce_implILb1ES3_NS6_12zip_iteratorINS7_INS6_11hip_rocprim26transform_input_iterator_tIbNSD_35transform_pair_of_input_iterators_tIbNS6_6detail15normal_iteratorINS6_10device_ptrIKbEEEESL_NS6_8equal_toIbEEEENSG_9not_fun_tINSD_8identityEEEEENSD_19counting_iterator_tIlEES8_S8_S8_S8_S8_S8_S8_S8_EEEEPS9_S9_NSD_9__find_if7functorIS9_EEEE10hipError_tPvRmT1_T2_T3_mT4_P12ihipStream_tbEUlT_E1_NS1_11comp_targetILNS1_3genE10ELNS1_11target_archE1201ELNS1_3gpuE5ELNS1_3repE0EEENS1_30default_config_static_selectorELNS0_4arch9wavefront6targetE1EEEvS14_
		.amdhsa_group_segment_fixed_size 0
		.amdhsa_private_segment_fixed_size 0
		.amdhsa_kernarg_size 88
		.amdhsa_user_sgpr_count 6
		.amdhsa_user_sgpr_private_segment_buffer 1
		.amdhsa_user_sgpr_dispatch_ptr 0
		.amdhsa_user_sgpr_queue_ptr 0
		.amdhsa_user_sgpr_kernarg_segment_ptr 1
		.amdhsa_user_sgpr_dispatch_id 0
		.amdhsa_user_sgpr_flat_scratch_init 0
		.amdhsa_user_sgpr_private_segment_size 0
		.amdhsa_uses_dynamic_stack 0
		.amdhsa_system_sgpr_private_segment_wavefront_offset 0
		.amdhsa_system_sgpr_workgroup_id_x 1
		.amdhsa_system_sgpr_workgroup_id_y 0
		.amdhsa_system_sgpr_workgroup_id_z 0
		.amdhsa_system_sgpr_workgroup_info 0
		.amdhsa_system_vgpr_workitem_id 0
		.amdhsa_next_free_vgpr 1
		.amdhsa_next_free_sgpr 0
		.amdhsa_reserve_vcc 0
		.amdhsa_reserve_flat_scratch 0
		.amdhsa_float_round_mode_32 0
		.amdhsa_float_round_mode_16_64 0
		.amdhsa_float_denorm_mode_32 3
		.amdhsa_float_denorm_mode_16_64 3
		.amdhsa_dx10_clamp 1
		.amdhsa_ieee_mode 1
		.amdhsa_fp16_overflow 0
		.amdhsa_exception_fp_ieee_invalid_op 0
		.amdhsa_exception_fp_denorm_src 0
		.amdhsa_exception_fp_ieee_div_zero 0
		.amdhsa_exception_fp_ieee_overflow 0
		.amdhsa_exception_fp_ieee_underflow 0
		.amdhsa_exception_fp_ieee_inexact 0
		.amdhsa_exception_int_div_zero 0
	.end_amdhsa_kernel
	.section	.text._ZN7rocprim17ROCPRIM_400000_NS6detail17trampoline_kernelINS0_14default_configENS1_22reduce_config_selectorIN6thrust23THRUST_200600_302600_NS5tupleIblNS6_9null_typeES8_S8_S8_S8_S8_S8_S8_EEEEZNS1_11reduce_implILb1ES3_NS6_12zip_iteratorINS7_INS6_11hip_rocprim26transform_input_iterator_tIbNSD_35transform_pair_of_input_iterators_tIbNS6_6detail15normal_iteratorINS6_10device_ptrIKbEEEESL_NS6_8equal_toIbEEEENSG_9not_fun_tINSD_8identityEEEEENSD_19counting_iterator_tIlEES8_S8_S8_S8_S8_S8_S8_S8_EEEEPS9_S9_NSD_9__find_if7functorIS9_EEEE10hipError_tPvRmT1_T2_T3_mT4_P12ihipStream_tbEUlT_E1_NS1_11comp_targetILNS1_3genE10ELNS1_11target_archE1201ELNS1_3gpuE5ELNS1_3repE0EEENS1_30default_config_static_selectorELNS0_4arch9wavefront6targetE1EEEvS14_,"axG",@progbits,_ZN7rocprim17ROCPRIM_400000_NS6detail17trampoline_kernelINS0_14default_configENS1_22reduce_config_selectorIN6thrust23THRUST_200600_302600_NS5tupleIblNS6_9null_typeES8_S8_S8_S8_S8_S8_S8_EEEEZNS1_11reduce_implILb1ES3_NS6_12zip_iteratorINS7_INS6_11hip_rocprim26transform_input_iterator_tIbNSD_35transform_pair_of_input_iterators_tIbNS6_6detail15normal_iteratorINS6_10device_ptrIKbEEEESL_NS6_8equal_toIbEEEENSG_9not_fun_tINSD_8identityEEEEENSD_19counting_iterator_tIlEES8_S8_S8_S8_S8_S8_S8_S8_EEEEPS9_S9_NSD_9__find_if7functorIS9_EEEE10hipError_tPvRmT1_T2_T3_mT4_P12ihipStream_tbEUlT_E1_NS1_11comp_targetILNS1_3genE10ELNS1_11target_archE1201ELNS1_3gpuE5ELNS1_3repE0EEENS1_30default_config_static_selectorELNS0_4arch9wavefront6targetE1EEEvS14_,comdat
.Lfunc_end757:
	.size	_ZN7rocprim17ROCPRIM_400000_NS6detail17trampoline_kernelINS0_14default_configENS1_22reduce_config_selectorIN6thrust23THRUST_200600_302600_NS5tupleIblNS6_9null_typeES8_S8_S8_S8_S8_S8_S8_EEEEZNS1_11reduce_implILb1ES3_NS6_12zip_iteratorINS7_INS6_11hip_rocprim26transform_input_iterator_tIbNSD_35transform_pair_of_input_iterators_tIbNS6_6detail15normal_iteratorINS6_10device_ptrIKbEEEESL_NS6_8equal_toIbEEEENSG_9not_fun_tINSD_8identityEEEEENSD_19counting_iterator_tIlEES8_S8_S8_S8_S8_S8_S8_S8_EEEEPS9_S9_NSD_9__find_if7functorIS9_EEEE10hipError_tPvRmT1_T2_T3_mT4_P12ihipStream_tbEUlT_E1_NS1_11comp_targetILNS1_3genE10ELNS1_11target_archE1201ELNS1_3gpuE5ELNS1_3repE0EEENS1_30default_config_static_selectorELNS0_4arch9wavefront6targetE1EEEvS14_, .Lfunc_end757-_ZN7rocprim17ROCPRIM_400000_NS6detail17trampoline_kernelINS0_14default_configENS1_22reduce_config_selectorIN6thrust23THRUST_200600_302600_NS5tupleIblNS6_9null_typeES8_S8_S8_S8_S8_S8_S8_EEEEZNS1_11reduce_implILb1ES3_NS6_12zip_iteratorINS7_INS6_11hip_rocprim26transform_input_iterator_tIbNSD_35transform_pair_of_input_iterators_tIbNS6_6detail15normal_iteratorINS6_10device_ptrIKbEEEESL_NS6_8equal_toIbEEEENSG_9not_fun_tINSD_8identityEEEEENSD_19counting_iterator_tIlEES8_S8_S8_S8_S8_S8_S8_S8_EEEEPS9_S9_NSD_9__find_if7functorIS9_EEEE10hipError_tPvRmT1_T2_T3_mT4_P12ihipStream_tbEUlT_E1_NS1_11comp_targetILNS1_3genE10ELNS1_11target_archE1201ELNS1_3gpuE5ELNS1_3repE0EEENS1_30default_config_static_selectorELNS0_4arch9wavefront6targetE1EEEvS14_
                                        ; -- End function
	.set _ZN7rocprim17ROCPRIM_400000_NS6detail17trampoline_kernelINS0_14default_configENS1_22reduce_config_selectorIN6thrust23THRUST_200600_302600_NS5tupleIblNS6_9null_typeES8_S8_S8_S8_S8_S8_S8_EEEEZNS1_11reduce_implILb1ES3_NS6_12zip_iteratorINS7_INS6_11hip_rocprim26transform_input_iterator_tIbNSD_35transform_pair_of_input_iterators_tIbNS6_6detail15normal_iteratorINS6_10device_ptrIKbEEEESL_NS6_8equal_toIbEEEENSG_9not_fun_tINSD_8identityEEEEENSD_19counting_iterator_tIlEES8_S8_S8_S8_S8_S8_S8_S8_EEEEPS9_S9_NSD_9__find_if7functorIS9_EEEE10hipError_tPvRmT1_T2_T3_mT4_P12ihipStream_tbEUlT_E1_NS1_11comp_targetILNS1_3genE10ELNS1_11target_archE1201ELNS1_3gpuE5ELNS1_3repE0EEENS1_30default_config_static_selectorELNS0_4arch9wavefront6targetE1EEEvS14_.num_vgpr, 0
	.set _ZN7rocprim17ROCPRIM_400000_NS6detail17trampoline_kernelINS0_14default_configENS1_22reduce_config_selectorIN6thrust23THRUST_200600_302600_NS5tupleIblNS6_9null_typeES8_S8_S8_S8_S8_S8_S8_EEEEZNS1_11reduce_implILb1ES3_NS6_12zip_iteratorINS7_INS6_11hip_rocprim26transform_input_iterator_tIbNSD_35transform_pair_of_input_iterators_tIbNS6_6detail15normal_iteratorINS6_10device_ptrIKbEEEESL_NS6_8equal_toIbEEEENSG_9not_fun_tINSD_8identityEEEEENSD_19counting_iterator_tIlEES8_S8_S8_S8_S8_S8_S8_S8_EEEEPS9_S9_NSD_9__find_if7functorIS9_EEEE10hipError_tPvRmT1_T2_T3_mT4_P12ihipStream_tbEUlT_E1_NS1_11comp_targetILNS1_3genE10ELNS1_11target_archE1201ELNS1_3gpuE5ELNS1_3repE0EEENS1_30default_config_static_selectorELNS0_4arch9wavefront6targetE1EEEvS14_.num_agpr, 0
	.set _ZN7rocprim17ROCPRIM_400000_NS6detail17trampoline_kernelINS0_14default_configENS1_22reduce_config_selectorIN6thrust23THRUST_200600_302600_NS5tupleIblNS6_9null_typeES8_S8_S8_S8_S8_S8_S8_EEEEZNS1_11reduce_implILb1ES3_NS6_12zip_iteratorINS7_INS6_11hip_rocprim26transform_input_iterator_tIbNSD_35transform_pair_of_input_iterators_tIbNS6_6detail15normal_iteratorINS6_10device_ptrIKbEEEESL_NS6_8equal_toIbEEEENSG_9not_fun_tINSD_8identityEEEEENSD_19counting_iterator_tIlEES8_S8_S8_S8_S8_S8_S8_S8_EEEEPS9_S9_NSD_9__find_if7functorIS9_EEEE10hipError_tPvRmT1_T2_T3_mT4_P12ihipStream_tbEUlT_E1_NS1_11comp_targetILNS1_3genE10ELNS1_11target_archE1201ELNS1_3gpuE5ELNS1_3repE0EEENS1_30default_config_static_selectorELNS0_4arch9wavefront6targetE1EEEvS14_.numbered_sgpr, 0
	.set _ZN7rocprim17ROCPRIM_400000_NS6detail17trampoline_kernelINS0_14default_configENS1_22reduce_config_selectorIN6thrust23THRUST_200600_302600_NS5tupleIblNS6_9null_typeES8_S8_S8_S8_S8_S8_S8_EEEEZNS1_11reduce_implILb1ES3_NS6_12zip_iteratorINS7_INS6_11hip_rocprim26transform_input_iterator_tIbNSD_35transform_pair_of_input_iterators_tIbNS6_6detail15normal_iteratorINS6_10device_ptrIKbEEEESL_NS6_8equal_toIbEEEENSG_9not_fun_tINSD_8identityEEEEENSD_19counting_iterator_tIlEES8_S8_S8_S8_S8_S8_S8_S8_EEEEPS9_S9_NSD_9__find_if7functorIS9_EEEE10hipError_tPvRmT1_T2_T3_mT4_P12ihipStream_tbEUlT_E1_NS1_11comp_targetILNS1_3genE10ELNS1_11target_archE1201ELNS1_3gpuE5ELNS1_3repE0EEENS1_30default_config_static_selectorELNS0_4arch9wavefront6targetE1EEEvS14_.num_named_barrier, 0
	.set _ZN7rocprim17ROCPRIM_400000_NS6detail17trampoline_kernelINS0_14default_configENS1_22reduce_config_selectorIN6thrust23THRUST_200600_302600_NS5tupleIblNS6_9null_typeES8_S8_S8_S8_S8_S8_S8_EEEEZNS1_11reduce_implILb1ES3_NS6_12zip_iteratorINS7_INS6_11hip_rocprim26transform_input_iterator_tIbNSD_35transform_pair_of_input_iterators_tIbNS6_6detail15normal_iteratorINS6_10device_ptrIKbEEEESL_NS6_8equal_toIbEEEENSG_9not_fun_tINSD_8identityEEEEENSD_19counting_iterator_tIlEES8_S8_S8_S8_S8_S8_S8_S8_EEEEPS9_S9_NSD_9__find_if7functorIS9_EEEE10hipError_tPvRmT1_T2_T3_mT4_P12ihipStream_tbEUlT_E1_NS1_11comp_targetILNS1_3genE10ELNS1_11target_archE1201ELNS1_3gpuE5ELNS1_3repE0EEENS1_30default_config_static_selectorELNS0_4arch9wavefront6targetE1EEEvS14_.private_seg_size, 0
	.set _ZN7rocprim17ROCPRIM_400000_NS6detail17trampoline_kernelINS0_14default_configENS1_22reduce_config_selectorIN6thrust23THRUST_200600_302600_NS5tupleIblNS6_9null_typeES8_S8_S8_S8_S8_S8_S8_EEEEZNS1_11reduce_implILb1ES3_NS6_12zip_iteratorINS7_INS6_11hip_rocprim26transform_input_iterator_tIbNSD_35transform_pair_of_input_iterators_tIbNS6_6detail15normal_iteratorINS6_10device_ptrIKbEEEESL_NS6_8equal_toIbEEEENSG_9not_fun_tINSD_8identityEEEEENSD_19counting_iterator_tIlEES8_S8_S8_S8_S8_S8_S8_S8_EEEEPS9_S9_NSD_9__find_if7functorIS9_EEEE10hipError_tPvRmT1_T2_T3_mT4_P12ihipStream_tbEUlT_E1_NS1_11comp_targetILNS1_3genE10ELNS1_11target_archE1201ELNS1_3gpuE5ELNS1_3repE0EEENS1_30default_config_static_selectorELNS0_4arch9wavefront6targetE1EEEvS14_.uses_vcc, 0
	.set _ZN7rocprim17ROCPRIM_400000_NS6detail17trampoline_kernelINS0_14default_configENS1_22reduce_config_selectorIN6thrust23THRUST_200600_302600_NS5tupleIblNS6_9null_typeES8_S8_S8_S8_S8_S8_S8_EEEEZNS1_11reduce_implILb1ES3_NS6_12zip_iteratorINS7_INS6_11hip_rocprim26transform_input_iterator_tIbNSD_35transform_pair_of_input_iterators_tIbNS6_6detail15normal_iteratorINS6_10device_ptrIKbEEEESL_NS6_8equal_toIbEEEENSG_9not_fun_tINSD_8identityEEEEENSD_19counting_iterator_tIlEES8_S8_S8_S8_S8_S8_S8_S8_EEEEPS9_S9_NSD_9__find_if7functorIS9_EEEE10hipError_tPvRmT1_T2_T3_mT4_P12ihipStream_tbEUlT_E1_NS1_11comp_targetILNS1_3genE10ELNS1_11target_archE1201ELNS1_3gpuE5ELNS1_3repE0EEENS1_30default_config_static_selectorELNS0_4arch9wavefront6targetE1EEEvS14_.uses_flat_scratch, 0
	.set _ZN7rocprim17ROCPRIM_400000_NS6detail17trampoline_kernelINS0_14default_configENS1_22reduce_config_selectorIN6thrust23THRUST_200600_302600_NS5tupleIblNS6_9null_typeES8_S8_S8_S8_S8_S8_S8_EEEEZNS1_11reduce_implILb1ES3_NS6_12zip_iteratorINS7_INS6_11hip_rocprim26transform_input_iterator_tIbNSD_35transform_pair_of_input_iterators_tIbNS6_6detail15normal_iteratorINS6_10device_ptrIKbEEEESL_NS6_8equal_toIbEEEENSG_9not_fun_tINSD_8identityEEEEENSD_19counting_iterator_tIlEES8_S8_S8_S8_S8_S8_S8_S8_EEEEPS9_S9_NSD_9__find_if7functorIS9_EEEE10hipError_tPvRmT1_T2_T3_mT4_P12ihipStream_tbEUlT_E1_NS1_11comp_targetILNS1_3genE10ELNS1_11target_archE1201ELNS1_3gpuE5ELNS1_3repE0EEENS1_30default_config_static_selectorELNS0_4arch9wavefront6targetE1EEEvS14_.has_dyn_sized_stack, 0
	.set _ZN7rocprim17ROCPRIM_400000_NS6detail17trampoline_kernelINS0_14default_configENS1_22reduce_config_selectorIN6thrust23THRUST_200600_302600_NS5tupleIblNS6_9null_typeES8_S8_S8_S8_S8_S8_S8_EEEEZNS1_11reduce_implILb1ES3_NS6_12zip_iteratorINS7_INS6_11hip_rocprim26transform_input_iterator_tIbNSD_35transform_pair_of_input_iterators_tIbNS6_6detail15normal_iteratorINS6_10device_ptrIKbEEEESL_NS6_8equal_toIbEEEENSG_9not_fun_tINSD_8identityEEEEENSD_19counting_iterator_tIlEES8_S8_S8_S8_S8_S8_S8_S8_EEEEPS9_S9_NSD_9__find_if7functorIS9_EEEE10hipError_tPvRmT1_T2_T3_mT4_P12ihipStream_tbEUlT_E1_NS1_11comp_targetILNS1_3genE10ELNS1_11target_archE1201ELNS1_3gpuE5ELNS1_3repE0EEENS1_30default_config_static_selectorELNS0_4arch9wavefront6targetE1EEEvS14_.has_recursion, 0
	.set _ZN7rocprim17ROCPRIM_400000_NS6detail17trampoline_kernelINS0_14default_configENS1_22reduce_config_selectorIN6thrust23THRUST_200600_302600_NS5tupleIblNS6_9null_typeES8_S8_S8_S8_S8_S8_S8_EEEEZNS1_11reduce_implILb1ES3_NS6_12zip_iteratorINS7_INS6_11hip_rocprim26transform_input_iterator_tIbNSD_35transform_pair_of_input_iterators_tIbNS6_6detail15normal_iteratorINS6_10device_ptrIKbEEEESL_NS6_8equal_toIbEEEENSG_9not_fun_tINSD_8identityEEEEENSD_19counting_iterator_tIlEES8_S8_S8_S8_S8_S8_S8_S8_EEEEPS9_S9_NSD_9__find_if7functorIS9_EEEE10hipError_tPvRmT1_T2_T3_mT4_P12ihipStream_tbEUlT_E1_NS1_11comp_targetILNS1_3genE10ELNS1_11target_archE1201ELNS1_3gpuE5ELNS1_3repE0EEENS1_30default_config_static_selectorELNS0_4arch9wavefront6targetE1EEEvS14_.has_indirect_call, 0
	.section	.AMDGPU.csdata,"",@progbits
; Kernel info:
; codeLenInByte = 0
; TotalNumSgprs: 4
; NumVgprs: 0
; ScratchSize: 0
; MemoryBound: 0
; FloatMode: 240
; IeeeMode: 1
; LDSByteSize: 0 bytes/workgroup (compile time only)
; SGPRBlocks: 0
; VGPRBlocks: 0
; NumSGPRsForWavesPerEU: 4
; NumVGPRsForWavesPerEU: 1
; Occupancy: 10
; WaveLimiterHint : 0
; COMPUTE_PGM_RSRC2:SCRATCH_EN: 0
; COMPUTE_PGM_RSRC2:USER_SGPR: 6
; COMPUTE_PGM_RSRC2:TRAP_HANDLER: 0
; COMPUTE_PGM_RSRC2:TGID_X_EN: 1
; COMPUTE_PGM_RSRC2:TGID_Y_EN: 0
; COMPUTE_PGM_RSRC2:TGID_Z_EN: 0
; COMPUTE_PGM_RSRC2:TIDIG_COMP_CNT: 0
	.section	.text._ZN7rocprim17ROCPRIM_400000_NS6detail17trampoline_kernelINS0_14default_configENS1_22reduce_config_selectorIN6thrust23THRUST_200600_302600_NS5tupleIblNS6_9null_typeES8_S8_S8_S8_S8_S8_S8_EEEEZNS1_11reduce_implILb1ES3_NS6_12zip_iteratorINS7_INS6_11hip_rocprim26transform_input_iterator_tIbNSD_35transform_pair_of_input_iterators_tIbNS6_6detail15normal_iteratorINS6_10device_ptrIKbEEEESL_NS6_8equal_toIbEEEENSG_9not_fun_tINSD_8identityEEEEENSD_19counting_iterator_tIlEES8_S8_S8_S8_S8_S8_S8_S8_EEEEPS9_S9_NSD_9__find_if7functorIS9_EEEE10hipError_tPvRmT1_T2_T3_mT4_P12ihipStream_tbEUlT_E1_NS1_11comp_targetILNS1_3genE10ELNS1_11target_archE1200ELNS1_3gpuE4ELNS1_3repE0EEENS1_30default_config_static_selectorELNS0_4arch9wavefront6targetE1EEEvS14_,"axG",@progbits,_ZN7rocprim17ROCPRIM_400000_NS6detail17trampoline_kernelINS0_14default_configENS1_22reduce_config_selectorIN6thrust23THRUST_200600_302600_NS5tupleIblNS6_9null_typeES8_S8_S8_S8_S8_S8_S8_EEEEZNS1_11reduce_implILb1ES3_NS6_12zip_iteratorINS7_INS6_11hip_rocprim26transform_input_iterator_tIbNSD_35transform_pair_of_input_iterators_tIbNS6_6detail15normal_iteratorINS6_10device_ptrIKbEEEESL_NS6_8equal_toIbEEEENSG_9not_fun_tINSD_8identityEEEEENSD_19counting_iterator_tIlEES8_S8_S8_S8_S8_S8_S8_S8_EEEEPS9_S9_NSD_9__find_if7functorIS9_EEEE10hipError_tPvRmT1_T2_T3_mT4_P12ihipStream_tbEUlT_E1_NS1_11comp_targetILNS1_3genE10ELNS1_11target_archE1200ELNS1_3gpuE4ELNS1_3repE0EEENS1_30default_config_static_selectorELNS0_4arch9wavefront6targetE1EEEvS14_,comdat
	.protected	_ZN7rocprim17ROCPRIM_400000_NS6detail17trampoline_kernelINS0_14default_configENS1_22reduce_config_selectorIN6thrust23THRUST_200600_302600_NS5tupleIblNS6_9null_typeES8_S8_S8_S8_S8_S8_S8_EEEEZNS1_11reduce_implILb1ES3_NS6_12zip_iteratorINS7_INS6_11hip_rocprim26transform_input_iterator_tIbNSD_35transform_pair_of_input_iterators_tIbNS6_6detail15normal_iteratorINS6_10device_ptrIKbEEEESL_NS6_8equal_toIbEEEENSG_9not_fun_tINSD_8identityEEEEENSD_19counting_iterator_tIlEES8_S8_S8_S8_S8_S8_S8_S8_EEEEPS9_S9_NSD_9__find_if7functorIS9_EEEE10hipError_tPvRmT1_T2_T3_mT4_P12ihipStream_tbEUlT_E1_NS1_11comp_targetILNS1_3genE10ELNS1_11target_archE1200ELNS1_3gpuE4ELNS1_3repE0EEENS1_30default_config_static_selectorELNS0_4arch9wavefront6targetE1EEEvS14_ ; -- Begin function _ZN7rocprim17ROCPRIM_400000_NS6detail17trampoline_kernelINS0_14default_configENS1_22reduce_config_selectorIN6thrust23THRUST_200600_302600_NS5tupleIblNS6_9null_typeES8_S8_S8_S8_S8_S8_S8_EEEEZNS1_11reduce_implILb1ES3_NS6_12zip_iteratorINS7_INS6_11hip_rocprim26transform_input_iterator_tIbNSD_35transform_pair_of_input_iterators_tIbNS6_6detail15normal_iteratorINS6_10device_ptrIKbEEEESL_NS6_8equal_toIbEEEENSG_9not_fun_tINSD_8identityEEEEENSD_19counting_iterator_tIlEES8_S8_S8_S8_S8_S8_S8_S8_EEEEPS9_S9_NSD_9__find_if7functorIS9_EEEE10hipError_tPvRmT1_T2_T3_mT4_P12ihipStream_tbEUlT_E1_NS1_11comp_targetILNS1_3genE10ELNS1_11target_archE1200ELNS1_3gpuE4ELNS1_3repE0EEENS1_30default_config_static_selectorELNS0_4arch9wavefront6targetE1EEEvS14_
	.globl	_ZN7rocprim17ROCPRIM_400000_NS6detail17trampoline_kernelINS0_14default_configENS1_22reduce_config_selectorIN6thrust23THRUST_200600_302600_NS5tupleIblNS6_9null_typeES8_S8_S8_S8_S8_S8_S8_EEEEZNS1_11reduce_implILb1ES3_NS6_12zip_iteratorINS7_INS6_11hip_rocprim26transform_input_iterator_tIbNSD_35transform_pair_of_input_iterators_tIbNS6_6detail15normal_iteratorINS6_10device_ptrIKbEEEESL_NS6_8equal_toIbEEEENSG_9not_fun_tINSD_8identityEEEEENSD_19counting_iterator_tIlEES8_S8_S8_S8_S8_S8_S8_S8_EEEEPS9_S9_NSD_9__find_if7functorIS9_EEEE10hipError_tPvRmT1_T2_T3_mT4_P12ihipStream_tbEUlT_E1_NS1_11comp_targetILNS1_3genE10ELNS1_11target_archE1200ELNS1_3gpuE4ELNS1_3repE0EEENS1_30default_config_static_selectorELNS0_4arch9wavefront6targetE1EEEvS14_
	.p2align	8
	.type	_ZN7rocprim17ROCPRIM_400000_NS6detail17trampoline_kernelINS0_14default_configENS1_22reduce_config_selectorIN6thrust23THRUST_200600_302600_NS5tupleIblNS6_9null_typeES8_S8_S8_S8_S8_S8_S8_EEEEZNS1_11reduce_implILb1ES3_NS6_12zip_iteratorINS7_INS6_11hip_rocprim26transform_input_iterator_tIbNSD_35transform_pair_of_input_iterators_tIbNS6_6detail15normal_iteratorINS6_10device_ptrIKbEEEESL_NS6_8equal_toIbEEEENSG_9not_fun_tINSD_8identityEEEEENSD_19counting_iterator_tIlEES8_S8_S8_S8_S8_S8_S8_S8_EEEEPS9_S9_NSD_9__find_if7functorIS9_EEEE10hipError_tPvRmT1_T2_T3_mT4_P12ihipStream_tbEUlT_E1_NS1_11comp_targetILNS1_3genE10ELNS1_11target_archE1200ELNS1_3gpuE4ELNS1_3repE0EEENS1_30default_config_static_selectorELNS0_4arch9wavefront6targetE1EEEvS14_,@function
_ZN7rocprim17ROCPRIM_400000_NS6detail17trampoline_kernelINS0_14default_configENS1_22reduce_config_selectorIN6thrust23THRUST_200600_302600_NS5tupleIblNS6_9null_typeES8_S8_S8_S8_S8_S8_S8_EEEEZNS1_11reduce_implILb1ES3_NS6_12zip_iteratorINS7_INS6_11hip_rocprim26transform_input_iterator_tIbNSD_35transform_pair_of_input_iterators_tIbNS6_6detail15normal_iteratorINS6_10device_ptrIKbEEEESL_NS6_8equal_toIbEEEENSG_9not_fun_tINSD_8identityEEEEENSD_19counting_iterator_tIlEES8_S8_S8_S8_S8_S8_S8_S8_EEEEPS9_S9_NSD_9__find_if7functorIS9_EEEE10hipError_tPvRmT1_T2_T3_mT4_P12ihipStream_tbEUlT_E1_NS1_11comp_targetILNS1_3genE10ELNS1_11target_archE1200ELNS1_3gpuE4ELNS1_3repE0EEENS1_30default_config_static_selectorELNS0_4arch9wavefront6targetE1EEEvS14_: ; @_ZN7rocprim17ROCPRIM_400000_NS6detail17trampoline_kernelINS0_14default_configENS1_22reduce_config_selectorIN6thrust23THRUST_200600_302600_NS5tupleIblNS6_9null_typeES8_S8_S8_S8_S8_S8_S8_EEEEZNS1_11reduce_implILb1ES3_NS6_12zip_iteratorINS7_INS6_11hip_rocprim26transform_input_iterator_tIbNSD_35transform_pair_of_input_iterators_tIbNS6_6detail15normal_iteratorINS6_10device_ptrIKbEEEESL_NS6_8equal_toIbEEEENSG_9not_fun_tINSD_8identityEEEEENSD_19counting_iterator_tIlEES8_S8_S8_S8_S8_S8_S8_S8_EEEEPS9_S9_NSD_9__find_if7functorIS9_EEEE10hipError_tPvRmT1_T2_T3_mT4_P12ihipStream_tbEUlT_E1_NS1_11comp_targetILNS1_3genE10ELNS1_11target_archE1200ELNS1_3gpuE4ELNS1_3repE0EEENS1_30default_config_static_selectorELNS0_4arch9wavefront6targetE1EEEvS14_
; %bb.0:
	.section	.rodata,"a",@progbits
	.p2align	6, 0x0
	.amdhsa_kernel _ZN7rocprim17ROCPRIM_400000_NS6detail17trampoline_kernelINS0_14default_configENS1_22reduce_config_selectorIN6thrust23THRUST_200600_302600_NS5tupleIblNS6_9null_typeES8_S8_S8_S8_S8_S8_S8_EEEEZNS1_11reduce_implILb1ES3_NS6_12zip_iteratorINS7_INS6_11hip_rocprim26transform_input_iterator_tIbNSD_35transform_pair_of_input_iterators_tIbNS6_6detail15normal_iteratorINS6_10device_ptrIKbEEEESL_NS6_8equal_toIbEEEENSG_9not_fun_tINSD_8identityEEEEENSD_19counting_iterator_tIlEES8_S8_S8_S8_S8_S8_S8_S8_EEEEPS9_S9_NSD_9__find_if7functorIS9_EEEE10hipError_tPvRmT1_T2_T3_mT4_P12ihipStream_tbEUlT_E1_NS1_11comp_targetILNS1_3genE10ELNS1_11target_archE1200ELNS1_3gpuE4ELNS1_3repE0EEENS1_30default_config_static_selectorELNS0_4arch9wavefront6targetE1EEEvS14_
		.amdhsa_group_segment_fixed_size 0
		.amdhsa_private_segment_fixed_size 0
		.amdhsa_kernarg_size 88
		.amdhsa_user_sgpr_count 6
		.amdhsa_user_sgpr_private_segment_buffer 1
		.amdhsa_user_sgpr_dispatch_ptr 0
		.amdhsa_user_sgpr_queue_ptr 0
		.amdhsa_user_sgpr_kernarg_segment_ptr 1
		.amdhsa_user_sgpr_dispatch_id 0
		.amdhsa_user_sgpr_flat_scratch_init 0
		.amdhsa_user_sgpr_private_segment_size 0
		.amdhsa_uses_dynamic_stack 0
		.amdhsa_system_sgpr_private_segment_wavefront_offset 0
		.amdhsa_system_sgpr_workgroup_id_x 1
		.amdhsa_system_sgpr_workgroup_id_y 0
		.amdhsa_system_sgpr_workgroup_id_z 0
		.amdhsa_system_sgpr_workgroup_info 0
		.amdhsa_system_vgpr_workitem_id 0
		.amdhsa_next_free_vgpr 1
		.amdhsa_next_free_sgpr 0
		.amdhsa_reserve_vcc 0
		.amdhsa_reserve_flat_scratch 0
		.amdhsa_float_round_mode_32 0
		.amdhsa_float_round_mode_16_64 0
		.amdhsa_float_denorm_mode_32 3
		.amdhsa_float_denorm_mode_16_64 3
		.amdhsa_dx10_clamp 1
		.amdhsa_ieee_mode 1
		.amdhsa_fp16_overflow 0
		.amdhsa_exception_fp_ieee_invalid_op 0
		.amdhsa_exception_fp_denorm_src 0
		.amdhsa_exception_fp_ieee_div_zero 0
		.amdhsa_exception_fp_ieee_overflow 0
		.amdhsa_exception_fp_ieee_underflow 0
		.amdhsa_exception_fp_ieee_inexact 0
		.amdhsa_exception_int_div_zero 0
	.end_amdhsa_kernel
	.section	.text._ZN7rocprim17ROCPRIM_400000_NS6detail17trampoline_kernelINS0_14default_configENS1_22reduce_config_selectorIN6thrust23THRUST_200600_302600_NS5tupleIblNS6_9null_typeES8_S8_S8_S8_S8_S8_S8_EEEEZNS1_11reduce_implILb1ES3_NS6_12zip_iteratorINS7_INS6_11hip_rocprim26transform_input_iterator_tIbNSD_35transform_pair_of_input_iterators_tIbNS6_6detail15normal_iteratorINS6_10device_ptrIKbEEEESL_NS6_8equal_toIbEEEENSG_9not_fun_tINSD_8identityEEEEENSD_19counting_iterator_tIlEES8_S8_S8_S8_S8_S8_S8_S8_EEEEPS9_S9_NSD_9__find_if7functorIS9_EEEE10hipError_tPvRmT1_T2_T3_mT4_P12ihipStream_tbEUlT_E1_NS1_11comp_targetILNS1_3genE10ELNS1_11target_archE1200ELNS1_3gpuE4ELNS1_3repE0EEENS1_30default_config_static_selectorELNS0_4arch9wavefront6targetE1EEEvS14_,"axG",@progbits,_ZN7rocprim17ROCPRIM_400000_NS6detail17trampoline_kernelINS0_14default_configENS1_22reduce_config_selectorIN6thrust23THRUST_200600_302600_NS5tupleIblNS6_9null_typeES8_S8_S8_S8_S8_S8_S8_EEEEZNS1_11reduce_implILb1ES3_NS6_12zip_iteratorINS7_INS6_11hip_rocprim26transform_input_iterator_tIbNSD_35transform_pair_of_input_iterators_tIbNS6_6detail15normal_iteratorINS6_10device_ptrIKbEEEESL_NS6_8equal_toIbEEEENSG_9not_fun_tINSD_8identityEEEEENSD_19counting_iterator_tIlEES8_S8_S8_S8_S8_S8_S8_S8_EEEEPS9_S9_NSD_9__find_if7functorIS9_EEEE10hipError_tPvRmT1_T2_T3_mT4_P12ihipStream_tbEUlT_E1_NS1_11comp_targetILNS1_3genE10ELNS1_11target_archE1200ELNS1_3gpuE4ELNS1_3repE0EEENS1_30default_config_static_selectorELNS0_4arch9wavefront6targetE1EEEvS14_,comdat
.Lfunc_end758:
	.size	_ZN7rocprim17ROCPRIM_400000_NS6detail17trampoline_kernelINS0_14default_configENS1_22reduce_config_selectorIN6thrust23THRUST_200600_302600_NS5tupleIblNS6_9null_typeES8_S8_S8_S8_S8_S8_S8_EEEEZNS1_11reduce_implILb1ES3_NS6_12zip_iteratorINS7_INS6_11hip_rocprim26transform_input_iterator_tIbNSD_35transform_pair_of_input_iterators_tIbNS6_6detail15normal_iteratorINS6_10device_ptrIKbEEEESL_NS6_8equal_toIbEEEENSG_9not_fun_tINSD_8identityEEEEENSD_19counting_iterator_tIlEES8_S8_S8_S8_S8_S8_S8_S8_EEEEPS9_S9_NSD_9__find_if7functorIS9_EEEE10hipError_tPvRmT1_T2_T3_mT4_P12ihipStream_tbEUlT_E1_NS1_11comp_targetILNS1_3genE10ELNS1_11target_archE1200ELNS1_3gpuE4ELNS1_3repE0EEENS1_30default_config_static_selectorELNS0_4arch9wavefront6targetE1EEEvS14_, .Lfunc_end758-_ZN7rocprim17ROCPRIM_400000_NS6detail17trampoline_kernelINS0_14default_configENS1_22reduce_config_selectorIN6thrust23THRUST_200600_302600_NS5tupleIblNS6_9null_typeES8_S8_S8_S8_S8_S8_S8_EEEEZNS1_11reduce_implILb1ES3_NS6_12zip_iteratorINS7_INS6_11hip_rocprim26transform_input_iterator_tIbNSD_35transform_pair_of_input_iterators_tIbNS6_6detail15normal_iteratorINS6_10device_ptrIKbEEEESL_NS6_8equal_toIbEEEENSG_9not_fun_tINSD_8identityEEEEENSD_19counting_iterator_tIlEES8_S8_S8_S8_S8_S8_S8_S8_EEEEPS9_S9_NSD_9__find_if7functorIS9_EEEE10hipError_tPvRmT1_T2_T3_mT4_P12ihipStream_tbEUlT_E1_NS1_11comp_targetILNS1_3genE10ELNS1_11target_archE1200ELNS1_3gpuE4ELNS1_3repE0EEENS1_30default_config_static_selectorELNS0_4arch9wavefront6targetE1EEEvS14_
                                        ; -- End function
	.set _ZN7rocprim17ROCPRIM_400000_NS6detail17trampoline_kernelINS0_14default_configENS1_22reduce_config_selectorIN6thrust23THRUST_200600_302600_NS5tupleIblNS6_9null_typeES8_S8_S8_S8_S8_S8_S8_EEEEZNS1_11reduce_implILb1ES3_NS6_12zip_iteratorINS7_INS6_11hip_rocprim26transform_input_iterator_tIbNSD_35transform_pair_of_input_iterators_tIbNS6_6detail15normal_iteratorINS6_10device_ptrIKbEEEESL_NS6_8equal_toIbEEEENSG_9not_fun_tINSD_8identityEEEEENSD_19counting_iterator_tIlEES8_S8_S8_S8_S8_S8_S8_S8_EEEEPS9_S9_NSD_9__find_if7functorIS9_EEEE10hipError_tPvRmT1_T2_T3_mT4_P12ihipStream_tbEUlT_E1_NS1_11comp_targetILNS1_3genE10ELNS1_11target_archE1200ELNS1_3gpuE4ELNS1_3repE0EEENS1_30default_config_static_selectorELNS0_4arch9wavefront6targetE1EEEvS14_.num_vgpr, 0
	.set _ZN7rocprim17ROCPRIM_400000_NS6detail17trampoline_kernelINS0_14default_configENS1_22reduce_config_selectorIN6thrust23THRUST_200600_302600_NS5tupleIblNS6_9null_typeES8_S8_S8_S8_S8_S8_S8_EEEEZNS1_11reduce_implILb1ES3_NS6_12zip_iteratorINS7_INS6_11hip_rocprim26transform_input_iterator_tIbNSD_35transform_pair_of_input_iterators_tIbNS6_6detail15normal_iteratorINS6_10device_ptrIKbEEEESL_NS6_8equal_toIbEEEENSG_9not_fun_tINSD_8identityEEEEENSD_19counting_iterator_tIlEES8_S8_S8_S8_S8_S8_S8_S8_EEEEPS9_S9_NSD_9__find_if7functorIS9_EEEE10hipError_tPvRmT1_T2_T3_mT4_P12ihipStream_tbEUlT_E1_NS1_11comp_targetILNS1_3genE10ELNS1_11target_archE1200ELNS1_3gpuE4ELNS1_3repE0EEENS1_30default_config_static_selectorELNS0_4arch9wavefront6targetE1EEEvS14_.num_agpr, 0
	.set _ZN7rocprim17ROCPRIM_400000_NS6detail17trampoline_kernelINS0_14default_configENS1_22reduce_config_selectorIN6thrust23THRUST_200600_302600_NS5tupleIblNS6_9null_typeES8_S8_S8_S8_S8_S8_S8_EEEEZNS1_11reduce_implILb1ES3_NS6_12zip_iteratorINS7_INS6_11hip_rocprim26transform_input_iterator_tIbNSD_35transform_pair_of_input_iterators_tIbNS6_6detail15normal_iteratorINS6_10device_ptrIKbEEEESL_NS6_8equal_toIbEEEENSG_9not_fun_tINSD_8identityEEEEENSD_19counting_iterator_tIlEES8_S8_S8_S8_S8_S8_S8_S8_EEEEPS9_S9_NSD_9__find_if7functorIS9_EEEE10hipError_tPvRmT1_T2_T3_mT4_P12ihipStream_tbEUlT_E1_NS1_11comp_targetILNS1_3genE10ELNS1_11target_archE1200ELNS1_3gpuE4ELNS1_3repE0EEENS1_30default_config_static_selectorELNS0_4arch9wavefront6targetE1EEEvS14_.numbered_sgpr, 0
	.set _ZN7rocprim17ROCPRIM_400000_NS6detail17trampoline_kernelINS0_14default_configENS1_22reduce_config_selectorIN6thrust23THRUST_200600_302600_NS5tupleIblNS6_9null_typeES8_S8_S8_S8_S8_S8_S8_EEEEZNS1_11reduce_implILb1ES3_NS6_12zip_iteratorINS7_INS6_11hip_rocprim26transform_input_iterator_tIbNSD_35transform_pair_of_input_iterators_tIbNS6_6detail15normal_iteratorINS6_10device_ptrIKbEEEESL_NS6_8equal_toIbEEEENSG_9not_fun_tINSD_8identityEEEEENSD_19counting_iterator_tIlEES8_S8_S8_S8_S8_S8_S8_S8_EEEEPS9_S9_NSD_9__find_if7functorIS9_EEEE10hipError_tPvRmT1_T2_T3_mT4_P12ihipStream_tbEUlT_E1_NS1_11comp_targetILNS1_3genE10ELNS1_11target_archE1200ELNS1_3gpuE4ELNS1_3repE0EEENS1_30default_config_static_selectorELNS0_4arch9wavefront6targetE1EEEvS14_.num_named_barrier, 0
	.set _ZN7rocprim17ROCPRIM_400000_NS6detail17trampoline_kernelINS0_14default_configENS1_22reduce_config_selectorIN6thrust23THRUST_200600_302600_NS5tupleIblNS6_9null_typeES8_S8_S8_S8_S8_S8_S8_EEEEZNS1_11reduce_implILb1ES3_NS6_12zip_iteratorINS7_INS6_11hip_rocprim26transform_input_iterator_tIbNSD_35transform_pair_of_input_iterators_tIbNS6_6detail15normal_iteratorINS6_10device_ptrIKbEEEESL_NS6_8equal_toIbEEEENSG_9not_fun_tINSD_8identityEEEEENSD_19counting_iterator_tIlEES8_S8_S8_S8_S8_S8_S8_S8_EEEEPS9_S9_NSD_9__find_if7functorIS9_EEEE10hipError_tPvRmT1_T2_T3_mT4_P12ihipStream_tbEUlT_E1_NS1_11comp_targetILNS1_3genE10ELNS1_11target_archE1200ELNS1_3gpuE4ELNS1_3repE0EEENS1_30default_config_static_selectorELNS0_4arch9wavefront6targetE1EEEvS14_.private_seg_size, 0
	.set _ZN7rocprim17ROCPRIM_400000_NS6detail17trampoline_kernelINS0_14default_configENS1_22reduce_config_selectorIN6thrust23THRUST_200600_302600_NS5tupleIblNS6_9null_typeES8_S8_S8_S8_S8_S8_S8_EEEEZNS1_11reduce_implILb1ES3_NS6_12zip_iteratorINS7_INS6_11hip_rocprim26transform_input_iterator_tIbNSD_35transform_pair_of_input_iterators_tIbNS6_6detail15normal_iteratorINS6_10device_ptrIKbEEEESL_NS6_8equal_toIbEEEENSG_9not_fun_tINSD_8identityEEEEENSD_19counting_iterator_tIlEES8_S8_S8_S8_S8_S8_S8_S8_EEEEPS9_S9_NSD_9__find_if7functorIS9_EEEE10hipError_tPvRmT1_T2_T3_mT4_P12ihipStream_tbEUlT_E1_NS1_11comp_targetILNS1_3genE10ELNS1_11target_archE1200ELNS1_3gpuE4ELNS1_3repE0EEENS1_30default_config_static_selectorELNS0_4arch9wavefront6targetE1EEEvS14_.uses_vcc, 0
	.set _ZN7rocprim17ROCPRIM_400000_NS6detail17trampoline_kernelINS0_14default_configENS1_22reduce_config_selectorIN6thrust23THRUST_200600_302600_NS5tupleIblNS6_9null_typeES8_S8_S8_S8_S8_S8_S8_EEEEZNS1_11reduce_implILb1ES3_NS6_12zip_iteratorINS7_INS6_11hip_rocprim26transform_input_iterator_tIbNSD_35transform_pair_of_input_iterators_tIbNS6_6detail15normal_iteratorINS6_10device_ptrIKbEEEESL_NS6_8equal_toIbEEEENSG_9not_fun_tINSD_8identityEEEEENSD_19counting_iterator_tIlEES8_S8_S8_S8_S8_S8_S8_S8_EEEEPS9_S9_NSD_9__find_if7functorIS9_EEEE10hipError_tPvRmT1_T2_T3_mT4_P12ihipStream_tbEUlT_E1_NS1_11comp_targetILNS1_3genE10ELNS1_11target_archE1200ELNS1_3gpuE4ELNS1_3repE0EEENS1_30default_config_static_selectorELNS0_4arch9wavefront6targetE1EEEvS14_.uses_flat_scratch, 0
	.set _ZN7rocprim17ROCPRIM_400000_NS6detail17trampoline_kernelINS0_14default_configENS1_22reduce_config_selectorIN6thrust23THRUST_200600_302600_NS5tupleIblNS6_9null_typeES8_S8_S8_S8_S8_S8_S8_EEEEZNS1_11reduce_implILb1ES3_NS6_12zip_iteratorINS7_INS6_11hip_rocprim26transform_input_iterator_tIbNSD_35transform_pair_of_input_iterators_tIbNS6_6detail15normal_iteratorINS6_10device_ptrIKbEEEESL_NS6_8equal_toIbEEEENSG_9not_fun_tINSD_8identityEEEEENSD_19counting_iterator_tIlEES8_S8_S8_S8_S8_S8_S8_S8_EEEEPS9_S9_NSD_9__find_if7functorIS9_EEEE10hipError_tPvRmT1_T2_T3_mT4_P12ihipStream_tbEUlT_E1_NS1_11comp_targetILNS1_3genE10ELNS1_11target_archE1200ELNS1_3gpuE4ELNS1_3repE0EEENS1_30default_config_static_selectorELNS0_4arch9wavefront6targetE1EEEvS14_.has_dyn_sized_stack, 0
	.set _ZN7rocprim17ROCPRIM_400000_NS6detail17trampoline_kernelINS0_14default_configENS1_22reduce_config_selectorIN6thrust23THRUST_200600_302600_NS5tupleIblNS6_9null_typeES8_S8_S8_S8_S8_S8_S8_EEEEZNS1_11reduce_implILb1ES3_NS6_12zip_iteratorINS7_INS6_11hip_rocprim26transform_input_iterator_tIbNSD_35transform_pair_of_input_iterators_tIbNS6_6detail15normal_iteratorINS6_10device_ptrIKbEEEESL_NS6_8equal_toIbEEEENSG_9not_fun_tINSD_8identityEEEEENSD_19counting_iterator_tIlEES8_S8_S8_S8_S8_S8_S8_S8_EEEEPS9_S9_NSD_9__find_if7functorIS9_EEEE10hipError_tPvRmT1_T2_T3_mT4_P12ihipStream_tbEUlT_E1_NS1_11comp_targetILNS1_3genE10ELNS1_11target_archE1200ELNS1_3gpuE4ELNS1_3repE0EEENS1_30default_config_static_selectorELNS0_4arch9wavefront6targetE1EEEvS14_.has_recursion, 0
	.set _ZN7rocprim17ROCPRIM_400000_NS6detail17trampoline_kernelINS0_14default_configENS1_22reduce_config_selectorIN6thrust23THRUST_200600_302600_NS5tupleIblNS6_9null_typeES8_S8_S8_S8_S8_S8_S8_EEEEZNS1_11reduce_implILb1ES3_NS6_12zip_iteratorINS7_INS6_11hip_rocprim26transform_input_iterator_tIbNSD_35transform_pair_of_input_iterators_tIbNS6_6detail15normal_iteratorINS6_10device_ptrIKbEEEESL_NS6_8equal_toIbEEEENSG_9not_fun_tINSD_8identityEEEEENSD_19counting_iterator_tIlEES8_S8_S8_S8_S8_S8_S8_S8_EEEEPS9_S9_NSD_9__find_if7functorIS9_EEEE10hipError_tPvRmT1_T2_T3_mT4_P12ihipStream_tbEUlT_E1_NS1_11comp_targetILNS1_3genE10ELNS1_11target_archE1200ELNS1_3gpuE4ELNS1_3repE0EEENS1_30default_config_static_selectorELNS0_4arch9wavefront6targetE1EEEvS14_.has_indirect_call, 0
	.section	.AMDGPU.csdata,"",@progbits
; Kernel info:
; codeLenInByte = 0
; TotalNumSgprs: 4
; NumVgprs: 0
; ScratchSize: 0
; MemoryBound: 0
; FloatMode: 240
; IeeeMode: 1
; LDSByteSize: 0 bytes/workgroup (compile time only)
; SGPRBlocks: 0
; VGPRBlocks: 0
; NumSGPRsForWavesPerEU: 4
; NumVGPRsForWavesPerEU: 1
; Occupancy: 10
; WaveLimiterHint : 0
; COMPUTE_PGM_RSRC2:SCRATCH_EN: 0
; COMPUTE_PGM_RSRC2:USER_SGPR: 6
; COMPUTE_PGM_RSRC2:TRAP_HANDLER: 0
; COMPUTE_PGM_RSRC2:TGID_X_EN: 1
; COMPUTE_PGM_RSRC2:TGID_Y_EN: 0
; COMPUTE_PGM_RSRC2:TGID_Z_EN: 0
; COMPUTE_PGM_RSRC2:TIDIG_COMP_CNT: 0
	.section	.text._ZN7rocprim17ROCPRIM_400000_NS6detail17trampoline_kernelINS0_14default_configENS1_22reduce_config_selectorIN6thrust23THRUST_200600_302600_NS5tupleIblNS6_9null_typeES8_S8_S8_S8_S8_S8_S8_EEEEZNS1_11reduce_implILb1ES3_NS6_12zip_iteratorINS7_INS6_11hip_rocprim26transform_input_iterator_tIbNSD_35transform_pair_of_input_iterators_tIbNS6_6detail15normal_iteratorINS6_10device_ptrIKbEEEESL_NS6_8equal_toIbEEEENSG_9not_fun_tINSD_8identityEEEEENSD_19counting_iterator_tIlEES8_S8_S8_S8_S8_S8_S8_S8_EEEEPS9_S9_NSD_9__find_if7functorIS9_EEEE10hipError_tPvRmT1_T2_T3_mT4_P12ihipStream_tbEUlT_E1_NS1_11comp_targetILNS1_3genE9ELNS1_11target_archE1100ELNS1_3gpuE3ELNS1_3repE0EEENS1_30default_config_static_selectorELNS0_4arch9wavefront6targetE1EEEvS14_,"axG",@progbits,_ZN7rocprim17ROCPRIM_400000_NS6detail17trampoline_kernelINS0_14default_configENS1_22reduce_config_selectorIN6thrust23THRUST_200600_302600_NS5tupleIblNS6_9null_typeES8_S8_S8_S8_S8_S8_S8_EEEEZNS1_11reduce_implILb1ES3_NS6_12zip_iteratorINS7_INS6_11hip_rocprim26transform_input_iterator_tIbNSD_35transform_pair_of_input_iterators_tIbNS6_6detail15normal_iteratorINS6_10device_ptrIKbEEEESL_NS6_8equal_toIbEEEENSG_9not_fun_tINSD_8identityEEEEENSD_19counting_iterator_tIlEES8_S8_S8_S8_S8_S8_S8_S8_EEEEPS9_S9_NSD_9__find_if7functorIS9_EEEE10hipError_tPvRmT1_T2_T3_mT4_P12ihipStream_tbEUlT_E1_NS1_11comp_targetILNS1_3genE9ELNS1_11target_archE1100ELNS1_3gpuE3ELNS1_3repE0EEENS1_30default_config_static_selectorELNS0_4arch9wavefront6targetE1EEEvS14_,comdat
	.protected	_ZN7rocprim17ROCPRIM_400000_NS6detail17trampoline_kernelINS0_14default_configENS1_22reduce_config_selectorIN6thrust23THRUST_200600_302600_NS5tupleIblNS6_9null_typeES8_S8_S8_S8_S8_S8_S8_EEEEZNS1_11reduce_implILb1ES3_NS6_12zip_iteratorINS7_INS6_11hip_rocprim26transform_input_iterator_tIbNSD_35transform_pair_of_input_iterators_tIbNS6_6detail15normal_iteratorINS6_10device_ptrIKbEEEESL_NS6_8equal_toIbEEEENSG_9not_fun_tINSD_8identityEEEEENSD_19counting_iterator_tIlEES8_S8_S8_S8_S8_S8_S8_S8_EEEEPS9_S9_NSD_9__find_if7functorIS9_EEEE10hipError_tPvRmT1_T2_T3_mT4_P12ihipStream_tbEUlT_E1_NS1_11comp_targetILNS1_3genE9ELNS1_11target_archE1100ELNS1_3gpuE3ELNS1_3repE0EEENS1_30default_config_static_selectorELNS0_4arch9wavefront6targetE1EEEvS14_ ; -- Begin function _ZN7rocprim17ROCPRIM_400000_NS6detail17trampoline_kernelINS0_14default_configENS1_22reduce_config_selectorIN6thrust23THRUST_200600_302600_NS5tupleIblNS6_9null_typeES8_S8_S8_S8_S8_S8_S8_EEEEZNS1_11reduce_implILb1ES3_NS6_12zip_iteratorINS7_INS6_11hip_rocprim26transform_input_iterator_tIbNSD_35transform_pair_of_input_iterators_tIbNS6_6detail15normal_iteratorINS6_10device_ptrIKbEEEESL_NS6_8equal_toIbEEEENSG_9not_fun_tINSD_8identityEEEEENSD_19counting_iterator_tIlEES8_S8_S8_S8_S8_S8_S8_S8_EEEEPS9_S9_NSD_9__find_if7functorIS9_EEEE10hipError_tPvRmT1_T2_T3_mT4_P12ihipStream_tbEUlT_E1_NS1_11comp_targetILNS1_3genE9ELNS1_11target_archE1100ELNS1_3gpuE3ELNS1_3repE0EEENS1_30default_config_static_selectorELNS0_4arch9wavefront6targetE1EEEvS14_
	.globl	_ZN7rocprim17ROCPRIM_400000_NS6detail17trampoline_kernelINS0_14default_configENS1_22reduce_config_selectorIN6thrust23THRUST_200600_302600_NS5tupleIblNS6_9null_typeES8_S8_S8_S8_S8_S8_S8_EEEEZNS1_11reduce_implILb1ES3_NS6_12zip_iteratorINS7_INS6_11hip_rocprim26transform_input_iterator_tIbNSD_35transform_pair_of_input_iterators_tIbNS6_6detail15normal_iteratorINS6_10device_ptrIKbEEEESL_NS6_8equal_toIbEEEENSG_9not_fun_tINSD_8identityEEEEENSD_19counting_iterator_tIlEES8_S8_S8_S8_S8_S8_S8_S8_EEEEPS9_S9_NSD_9__find_if7functorIS9_EEEE10hipError_tPvRmT1_T2_T3_mT4_P12ihipStream_tbEUlT_E1_NS1_11comp_targetILNS1_3genE9ELNS1_11target_archE1100ELNS1_3gpuE3ELNS1_3repE0EEENS1_30default_config_static_selectorELNS0_4arch9wavefront6targetE1EEEvS14_
	.p2align	8
	.type	_ZN7rocprim17ROCPRIM_400000_NS6detail17trampoline_kernelINS0_14default_configENS1_22reduce_config_selectorIN6thrust23THRUST_200600_302600_NS5tupleIblNS6_9null_typeES8_S8_S8_S8_S8_S8_S8_EEEEZNS1_11reduce_implILb1ES3_NS6_12zip_iteratorINS7_INS6_11hip_rocprim26transform_input_iterator_tIbNSD_35transform_pair_of_input_iterators_tIbNS6_6detail15normal_iteratorINS6_10device_ptrIKbEEEESL_NS6_8equal_toIbEEEENSG_9not_fun_tINSD_8identityEEEEENSD_19counting_iterator_tIlEES8_S8_S8_S8_S8_S8_S8_S8_EEEEPS9_S9_NSD_9__find_if7functorIS9_EEEE10hipError_tPvRmT1_T2_T3_mT4_P12ihipStream_tbEUlT_E1_NS1_11comp_targetILNS1_3genE9ELNS1_11target_archE1100ELNS1_3gpuE3ELNS1_3repE0EEENS1_30default_config_static_selectorELNS0_4arch9wavefront6targetE1EEEvS14_,@function
_ZN7rocprim17ROCPRIM_400000_NS6detail17trampoline_kernelINS0_14default_configENS1_22reduce_config_selectorIN6thrust23THRUST_200600_302600_NS5tupleIblNS6_9null_typeES8_S8_S8_S8_S8_S8_S8_EEEEZNS1_11reduce_implILb1ES3_NS6_12zip_iteratorINS7_INS6_11hip_rocprim26transform_input_iterator_tIbNSD_35transform_pair_of_input_iterators_tIbNS6_6detail15normal_iteratorINS6_10device_ptrIKbEEEESL_NS6_8equal_toIbEEEENSG_9not_fun_tINSD_8identityEEEEENSD_19counting_iterator_tIlEES8_S8_S8_S8_S8_S8_S8_S8_EEEEPS9_S9_NSD_9__find_if7functorIS9_EEEE10hipError_tPvRmT1_T2_T3_mT4_P12ihipStream_tbEUlT_E1_NS1_11comp_targetILNS1_3genE9ELNS1_11target_archE1100ELNS1_3gpuE3ELNS1_3repE0EEENS1_30default_config_static_selectorELNS0_4arch9wavefront6targetE1EEEvS14_: ; @_ZN7rocprim17ROCPRIM_400000_NS6detail17trampoline_kernelINS0_14default_configENS1_22reduce_config_selectorIN6thrust23THRUST_200600_302600_NS5tupleIblNS6_9null_typeES8_S8_S8_S8_S8_S8_S8_EEEEZNS1_11reduce_implILb1ES3_NS6_12zip_iteratorINS7_INS6_11hip_rocprim26transform_input_iterator_tIbNSD_35transform_pair_of_input_iterators_tIbNS6_6detail15normal_iteratorINS6_10device_ptrIKbEEEESL_NS6_8equal_toIbEEEENSG_9not_fun_tINSD_8identityEEEEENSD_19counting_iterator_tIlEES8_S8_S8_S8_S8_S8_S8_S8_EEEEPS9_S9_NSD_9__find_if7functorIS9_EEEE10hipError_tPvRmT1_T2_T3_mT4_P12ihipStream_tbEUlT_E1_NS1_11comp_targetILNS1_3genE9ELNS1_11target_archE1100ELNS1_3gpuE3ELNS1_3repE0EEENS1_30default_config_static_selectorELNS0_4arch9wavefront6targetE1EEEvS14_
; %bb.0:
	.section	.rodata,"a",@progbits
	.p2align	6, 0x0
	.amdhsa_kernel _ZN7rocprim17ROCPRIM_400000_NS6detail17trampoline_kernelINS0_14default_configENS1_22reduce_config_selectorIN6thrust23THRUST_200600_302600_NS5tupleIblNS6_9null_typeES8_S8_S8_S8_S8_S8_S8_EEEEZNS1_11reduce_implILb1ES3_NS6_12zip_iteratorINS7_INS6_11hip_rocprim26transform_input_iterator_tIbNSD_35transform_pair_of_input_iterators_tIbNS6_6detail15normal_iteratorINS6_10device_ptrIKbEEEESL_NS6_8equal_toIbEEEENSG_9not_fun_tINSD_8identityEEEEENSD_19counting_iterator_tIlEES8_S8_S8_S8_S8_S8_S8_S8_EEEEPS9_S9_NSD_9__find_if7functorIS9_EEEE10hipError_tPvRmT1_T2_T3_mT4_P12ihipStream_tbEUlT_E1_NS1_11comp_targetILNS1_3genE9ELNS1_11target_archE1100ELNS1_3gpuE3ELNS1_3repE0EEENS1_30default_config_static_selectorELNS0_4arch9wavefront6targetE1EEEvS14_
		.amdhsa_group_segment_fixed_size 0
		.amdhsa_private_segment_fixed_size 0
		.amdhsa_kernarg_size 88
		.amdhsa_user_sgpr_count 6
		.amdhsa_user_sgpr_private_segment_buffer 1
		.amdhsa_user_sgpr_dispatch_ptr 0
		.amdhsa_user_sgpr_queue_ptr 0
		.amdhsa_user_sgpr_kernarg_segment_ptr 1
		.amdhsa_user_sgpr_dispatch_id 0
		.amdhsa_user_sgpr_flat_scratch_init 0
		.amdhsa_user_sgpr_private_segment_size 0
		.amdhsa_uses_dynamic_stack 0
		.amdhsa_system_sgpr_private_segment_wavefront_offset 0
		.amdhsa_system_sgpr_workgroup_id_x 1
		.amdhsa_system_sgpr_workgroup_id_y 0
		.amdhsa_system_sgpr_workgroup_id_z 0
		.amdhsa_system_sgpr_workgroup_info 0
		.amdhsa_system_vgpr_workitem_id 0
		.amdhsa_next_free_vgpr 1
		.amdhsa_next_free_sgpr 0
		.amdhsa_reserve_vcc 0
		.amdhsa_reserve_flat_scratch 0
		.amdhsa_float_round_mode_32 0
		.amdhsa_float_round_mode_16_64 0
		.amdhsa_float_denorm_mode_32 3
		.amdhsa_float_denorm_mode_16_64 3
		.amdhsa_dx10_clamp 1
		.amdhsa_ieee_mode 1
		.amdhsa_fp16_overflow 0
		.amdhsa_exception_fp_ieee_invalid_op 0
		.amdhsa_exception_fp_denorm_src 0
		.amdhsa_exception_fp_ieee_div_zero 0
		.amdhsa_exception_fp_ieee_overflow 0
		.amdhsa_exception_fp_ieee_underflow 0
		.amdhsa_exception_fp_ieee_inexact 0
		.amdhsa_exception_int_div_zero 0
	.end_amdhsa_kernel
	.section	.text._ZN7rocprim17ROCPRIM_400000_NS6detail17trampoline_kernelINS0_14default_configENS1_22reduce_config_selectorIN6thrust23THRUST_200600_302600_NS5tupleIblNS6_9null_typeES8_S8_S8_S8_S8_S8_S8_EEEEZNS1_11reduce_implILb1ES3_NS6_12zip_iteratorINS7_INS6_11hip_rocprim26transform_input_iterator_tIbNSD_35transform_pair_of_input_iterators_tIbNS6_6detail15normal_iteratorINS6_10device_ptrIKbEEEESL_NS6_8equal_toIbEEEENSG_9not_fun_tINSD_8identityEEEEENSD_19counting_iterator_tIlEES8_S8_S8_S8_S8_S8_S8_S8_EEEEPS9_S9_NSD_9__find_if7functorIS9_EEEE10hipError_tPvRmT1_T2_T3_mT4_P12ihipStream_tbEUlT_E1_NS1_11comp_targetILNS1_3genE9ELNS1_11target_archE1100ELNS1_3gpuE3ELNS1_3repE0EEENS1_30default_config_static_selectorELNS0_4arch9wavefront6targetE1EEEvS14_,"axG",@progbits,_ZN7rocprim17ROCPRIM_400000_NS6detail17trampoline_kernelINS0_14default_configENS1_22reduce_config_selectorIN6thrust23THRUST_200600_302600_NS5tupleIblNS6_9null_typeES8_S8_S8_S8_S8_S8_S8_EEEEZNS1_11reduce_implILb1ES3_NS6_12zip_iteratorINS7_INS6_11hip_rocprim26transform_input_iterator_tIbNSD_35transform_pair_of_input_iterators_tIbNS6_6detail15normal_iteratorINS6_10device_ptrIKbEEEESL_NS6_8equal_toIbEEEENSG_9not_fun_tINSD_8identityEEEEENSD_19counting_iterator_tIlEES8_S8_S8_S8_S8_S8_S8_S8_EEEEPS9_S9_NSD_9__find_if7functorIS9_EEEE10hipError_tPvRmT1_T2_T3_mT4_P12ihipStream_tbEUlT_E1_NS1_11comp_targetILNS1_3genE9ELNS1_11target_archE1100ELNS1_3gpuE3ELNS1_3repE0EEENS1_30default_config_static_selectorELNS0_4arch9wavefront6targetE1EEEvS14_,comdat
.Lfunc_end759:
	.size	_ZN7rocprim17ROCPRIM_400000_NS6detail17trampoline_kernelINS0_14default_configENS1_22reduce_config_selectorIN6thrust23THRUST_200600_302600_NS5tupleIblNS6_9null_typeES8_S8_S8_S8_S8_S8_S8_EEEEZNS1_11reduce_implILb1ES3_NS6_12zip_iteratorINS7_INS6_11hip_rocprim26transform_input_iterator_tIbNSD_35transform_pair_of_input_iterators_tIbNS6_6detail15normal_iteratorINS6_10device_ptrIKbEEEESL_NS6_8equal_toIbEEEENSG_9not_fun_tINSD_8identityEEEEENSD_19counting_iterator_tIlEES8_S8_S8_S8_S8_S8_S8_S8_EEEEPS9_S9_NSD_9__find_if7functorIS9_EEEE10hipError_tPvRmT1_T2_T3_mT4_P12ihipStream_tbEUlT_E1_NS1_11comp_targetILNS1_3genE9ELNS1_11target_archE1100ELNS1_3gpuE3ELNS1_3repE0EEENS1_30default_config_static_selectorELNS0_4arch9wavefront6targetE1EEEvS14_, .Lfunc_end759-_ZN7rocprim17ROCPRIM_400000_NS6detail17trampoline_kernelINS0_14default_configENS1_22reduce_config_selectorIN6thrust23THRUST_200600_302600_NS5tupleIblNS6_9null_typeES8_S8_S8_S8_S8_S8_S8_EEEEZNS1_11reduce_implILb1ES3_NS6_12zip_iteratorINS7_INS6_11hip_rocprim26transform_input_iterator_tIbNSD_35transform_pair_of_input_iterators_tIbNS6_6detail15normal_iteratorINS6_10device_ptrIKbEEEESL_NS6_8equal_toIbEEEENSG_9not_fun_tINSD_8identityEEEEENSD_19counting_iterator_tIlEES8_S8_S8_S8_S8_S8_S8_S8_EEEEPS9_S9_NSD_9__find_if7functorIS9_EEEE10hipError_tPvRmT1_T2_T3_mT4_P12ihipStream_tbEUlT_E1_NS1_11comp_targetILNS1_3genE9ELNS1_11target_archE1100ELNS1_3gpuE3ELNS1_3repE0EEENS1_30default_config_static_selectorELNS0_4arch9wavefront6targetE1EEEvS14_
                                        ; -- End function
	.set _ZN7rocprim17ROCPRIM_400000_NS6detail17trampoline_kernelINS0_14default_configENS1_22reduce_config_selectorIN6thrust23THRUST_200600_302600_NS5tupleIblNS6_9null_typeES8_S8_S8_S8_S8_S8_S8_EEEEZNS1_11reduce_implILb1ES3_NS6_12zip_iteratorINS7_INS6_11hip_rocprim26transform_input_iterator_tIbNSD_35transform_pair_of_input_iterators_tIbNS6_6detail15normal_iteratorINS6_10device_ptrIKbEEEESL_NS6_8equal_toIbEEEENSG_9not_fun_tINSD_8identityEEEEENSD_19counting_iterator_tIlEES8_S8_S8_S8_S8_S8_S8_S8_EEEEPS9_S9_NSD_9__find_if7functorIS9_EEEE10hipError_tPvRmT1_T2_T3_mT4_P12ihipStream_tbEUlT_E1_NS1_11comp_targetILNS1_3genE9ELNS1_11target_archE1100ELNS1_3gpuE3ELNS1_3repE0EEENS1_30default_config_static_selectorELNS0_4arch9wavefront6targetE1EEEvS14_.num_vgpr, 0
	.set _ZN7rocprim17ROCPRIM_400000_NS6detail17trampoline_kernelINS0_14default_configENS1_22reduce_config_selectorIN6thrust23THRUST_200600_302600_NS5tupleIblNS6_9null_typeES8_S8_S8_S8_S8_S8_S8_EEEEZNS1_11reduce_implILb1ES3_NS6_12zip_iteratorINS7_INS6_11hip_rocprim26transform_input_iterator_tIbNSD_35transform_pair_of_input_iterators_tIbNS6_6detail15normal_iteratorINS6_10device_ptrIKbEEEESL_NS6_8equal_toIbEEEENSG_9not_fun_tINSD_8identityEEEEENSD_19counting_iterator_tIlEES8_S8_S8_S8_S8_S8_S8_S8_EEEEPS9_S9_NSD_9__find_if7functorIS9_EEEE10hipError_tPvRmT1_T2_T3_mT4_P12ihipStream_tbEUlT_E1_NS1_11comp_targetILNS1_3genE9ELNS1_11target_archE1100ELNS1_3gpuE3ELNS1_3repE0EEENS1_30default_config_static_selectorELNS0_4arch9wavefront6targetE1EEEvS14_.num_agpr, 0
	.set _ZN7rocprim17ROCPRIM_400000_NS6detail17trampoline_kernelINS0_14default_configENS1_22reduce_config_selectorIN6thrust23THRUST_200600_302600_NS5tupleIblNS6_9null_typeES8_S8_S8_S8_S8_S8_S8_EEEEZNS1_11reduce_implILb1ES3_NS6_12zip_iteratorINS7_INS6_11hip_rocprim26transform_input_iterator_tIbNSD_35transform_pair_of_input_iterators_tIbNS6_6detail15normal_iteratorINS6_10device_ptrIKbEEEESL_NS6_8equal_toIbEEEENSG_9not_fun_tINSD_8identityEEEEENSD_19counting_iterator_tIlEES8_S8_S8_S8_S8_S8_S8_S8_EEEEPS9_S9_NSD_9__find_if7functorIS9_EEEE10hipError_tPvRmT1_T2_T3_mT4_P12ihipStream_tbEUlT_E1_NS1_11comp_targetILNS1_3genE9ELNS1_11target_archE1100ELNS1_3gpuE3ELNS1_3repE0EEENS1_30default_config_static_selectorELNS0_4arch9wavefront6targetE1EEEvS14_.numbered_sgpr, 0
	.set _ZN7rocprim17ROCPRIM_400000_NS6detail17trampoline_kernelINS0_14default_configENS1_22reduce_config_selectorIN6thrust23THRUST_200600_302600_NS5tupleIblNS6_9null_typeES8_S8_S8_S8_S8_S8_S8_EEEEZNS1_11reduce_implILb1ES3_NS6_12zip_iteratorINS7_INS6_11hip_rocprim26transform_input_iterator_tIbNSD_35transform_pair_of_input_iterators_tIbNS6_6detail15normal_iteratorINS6_10device_ptrIKbEEEESL_NS6_8equal_toIbEEEENSG_9not_fun_tINSD_8identityEEEEENSD_19counting_iterator_tIlEES8_S8_S8_S8_S8_S8_S8_S8_EEEEPS9_S9_NSD_9__find_if7functorIS9_EEEE10hipError_tPvRmT1_T2_T3_mT4_P12ihipStream_tbEUlT_E1_NS1_11comp_targetILNS1_3genE9ELNS1_11target_archE1100ELNS1_3gpuE3ELNS1_3repE0EEENS1_30default_config_static_selectorELNS0_4arch9wavefront6targetE1EEEvS14_.num_named_barrier, 0
	.set _ZN7rocprim17ROCPRIM_400000_NS6detail17trampoline_kernelINS0_14default_configENS1_22reduce_config_selectorIN6thrust23THRUST_200600_302600_NS5tupleIblNS6_9null_typeES8_S8_S8_S8_S8_S8_S8_EEEEZNS1_11reduce_implILb1ES3_NS6_12zip_iteratorINS7_INS6_11hip_rocprim26transform_input_iterator_tIbNSD_35transform_pair_of_input_iterators_tIbNS6_6detail15normal_iteratorINS6_10device_ptrIKbEEEESL_NS6_8equal_toIbEEEENSG_9not_fun_tINSD_8identityEEEEENSD_19counting_iterator_tIlEES8_S8_S8_S8_S8_S8_S8_S8_EEEEPS9_S9_NSD_9__find_if7functorIS9_EEEE10hipError_tPvRmT1_T2_T3_mT4_P12ihipStream_tbEUlT_E1_NS1_11comp_targetILNS1_3genE9ELNS1_11target_archE1100ELNS1_3gpuE3ELNS1_3repE0EEENS1_30default_config_static_selectorELNS0_4arch9wavefront6targetE1EEEvS14_.private_seg_size, 0
	.set _ZN7rocprim17ROCPRIM_400000_NS6detail17trampoline_kernelINS0_14default_configENS1_22reduce_config_selectorIN6thrust23THRUST_200600_302600_NS5tupleIblNS6_9null_typeES8_S8_S8_S8_S8_S8_S8_EEEEZNS1_11reduce_implILb1ES3_NS6_12zip_iteratorINS7_INS6_11hip_rocprim26transform_input_iterator_tIbNSD_35transform_pair_of_input_iterators_tIbNS6_6detail15normal_iteratorINS6_10device_ptrIKbEEEESL_NS6_8equal_toIbEEEENSG_9not_fun_tINSD_8identityEEEEENSD_19counting_iterator_tIlEES8_S8_S8_S8_S8_S8_S8_S8_EEEEPS9_S9_NSD_9__find_if7functorIS9_EEEE10hipError_tPvRmT1_T2_T3_mT4_P12ihipStream_tbEUlT_E1_NS1_11comp_targetILNS1_3genE9ELNS1_11target_archE1100ELNS1_3gpuE3ELNS1_3repE0EEENS1_30default_config_static_selectorELNS0_4arch9wavefront6targetE1EEEvS14_.uses_vcc, 0
	.set _ZN7rocprim17ROCPRIM_400000_NS6detail17trampoline_kernelINS0_14default_configENS1_22reduce_config_selectorIN6thrust23THRUST_200600_302600_NS5tupleIblNS6_9null_typeES8_S8_S8_S8_S8_S8_S8_EEEEZNS1_11reduce_implILb1ES3_NS6_12zip_iteratorINS7_INS6_11hip_rocprim26transform_input_iterator_tIbNSD_35transform_pair_of_input_iterators_tIbNS6_6detail15normal_iteratorINS6_10device_ptrIKbEEEESL_NS6_8equal_toIbEEEENSG_9not_fun_tINSD_8identityEEEEENSD_19counting_iterator_tIlEES8_S8_S8_S8_S8_S8_S8_S8_EEEEPS9_S9_NSD_9__find_if7functorIS9_EEEE10hipError_tPvRmT1_T2_T3_mT4_P12ihipStream_tbEUlT_E1_NS1_11comp_targetILNS1_3genE9ELNS1_11target_archE1100ELNS1_3gpuE3ELNS1_3repE0EEENS1_30default_config_static_selectorELNS0_4arch9wavefront6targetE1EEEvS14_.uses_flat_scratch, 0
	.set _ZN7rocprim17ROCPRIM_400000_NS6detail17trampoline_kernelINS0_14default_configENS1_22reduce_config_selectorIN6thrust23THRUST_200600_302600_NS5tupleIblNS6_9null_typeES8_S8_S8_S8_S8_S8_S8_EEEEZNS1_11reduce_implILb1ES3_NS6_12zip_iteratorINS7_INS6_11hip_rocprim26transform_input_iterator_tIbNSD_35transform_pair_of_input_iterators_tIbNS6_6detail15normal_iteratorINS6_10device_ptrIKbEEEESL_NS6_8equal_toIbEEEENSG_9not_fun_tINSD_8identityEEEEENSD_19counting_iterator_tIlEES8_S8_S8_S8_S8_S8_S8_S8_EEEEPS9_S9_NSD_9__find_if7functorIS9_EEEE10hipError_tPvRmT1_T2_T3_mT4_P12ihipStream_tbEUlT_E1_NS1_11comp_targetILNS1_3genE9ELNS1_11target_archE1100ELNS1_3gpuE3ELNS1_3repE0EEENS1_30default_config_static_selectorELNS0_4arch9wavefront6targetE1EEEvS14_.has_dyn_sized_stack, 0
	.set _ZN7rocprim17ROCPRIM_400000_NS6detail17trampoline_kernelINS0_14default_configENS1_22reduce_config_selectorIN6thrust23THRUST_200600_302600_NS5tupleIblNS6_9null_typeES8_S8_S8_S8_S8_S8_S8_EEEEZNS1_11reduce_implILb1ES3_NS6_12zip_iteratorINS7_INS6_11hip_rocprim26transform_input_iterator_tIbNSD_35transform_pair_of_input_iterators_tIbNS6_6detail15normal_iteratorINS6_10device_ptrIKbEEEESL_NS6_8equal_toIbEEEENSG_9not_fun_tINSD_8identityEEEEENSD_19counting_iterator_tIlEES8_S8_S8_S8_S8_S8_S8_S8_EEEEPS9_S9_NSD_9__find_if7functorIS9_EEEE10hipError_tPvRmT1_T2_T3_mT4_P12ihipStream_tbEUlT_E1_NS1_11comp_targetILNS1_3genE9ELNS1_11target_archE1100ELNS1_3gpuE3ELNS1_3repE0EEENS1_30default_config_static_selectorELNS0_4arch9wavefront6targetE1EEEvS14_.has_recursion, 0
	.set _ZN7rocprim17ROCPRIM_400000_NS6detail17trampoline_kernelINS0_14default_configENS1_22reduce_config_selectorIN6thrust23THRUST_200600_302600_NS5tupleIblNS6_9null_typeES8_S8_S8_S8_S8_S8_S8_EEEEZNS1_11reduce_implILb1ES3_NS6_12zip_iteratorINS7_INS6_11hip_rocprim26transform_input_iterator_tIbNSD_35transform_pair_of_input_iterators_tIbNS6_6detail15normal_iteratorINS6_10device_ptrIKbEEEESL_NS6_8equal_toIbEEEENSG_9not_fun_tINSD_8identityEEEEENSD_19counting_iterator_tIlEES8_S8_S8_S8_S8_S8_S8_S8_EEEEPS9_S9_NSD_9__find_if7functorIS9_EEEE10hipError_tPvRmT1_T2_T3_mT4_P12ihipStream_tbEUlT_E1_NS1_11comp_targetILNS1_3genE9ELNS1_11target_archE1100ELNS1_3gpuE3ELNS1_3repE0EEENS1_30default_config_static_selectorELNS0_4arch9wavefront6targetE1EEEvS14_.has_indirect_call, 0
	.section	.AMDGPU.csdata,"",@progbits
; Kernel info:
; codeLenInByte = 0
; TotalNumSgprs: 4
; NumVgprs: 0
; ScratchSize: 0
; MemoryBound: 0
; FloatMode: 240
; IeeeMode: 1
; LDSByteSize: 0 bytes/workgroup (compile time only)
; SGPRBlocks: 0
; VGPRBlocks: 0
; NumSGPRsForWavesPerEU: 4
; NumVGPRsForWavesPerEU: 1
; Occupancy: 10
; WaveLimiterHint : 0
; COMPUTE_PGM_RSRC2:SCRATCH_EN: 0
; COMPUTE_PGM_RSRC2:USER_SGPR: 6
; COMPUTE_PGM_RSRC2:TRAP_HANDLER: 0
; COMPUTE_PGM_RSRC2:TGID_X_EN: 1
; COMPUTE_PGM_RSRC2:TGID_Y_EN: 0
; COMPUTE_PGM_RSRC2:TGID_Z_EN: 0
; COMPUTE_PGM_RSRC2:TIDIG_COMP_CNT: 0
	.section	.text._ZN7rocprim17ROCPRIM_400000_NS6detail17trampoline_kernelINS0_14default_configENS1_22reduce_config_selectorIN6thrust23THRUST_200600_302600_NS5tupleIblNS6_9null_typeES8_S8_S8_S8_S8_S8_S8_EEEEZNS1_11reduce_implILb1ES3_NS6_12zip_iteratorINS7_INS6_11hip_rocprim26transform_input_iterator_tIbNSD_35transform_pair_of_input_iterators_tIbNS6_6detail15normal_iteratorINS6_10device_ptrIKbEEEESL_NS6_8equal_toIbEEEENSG_9not_fun_tINSD_8identityEEEEENSD_19counting_iterator_tIlEES8_S8_S8_S8_S8_S8_S8_S8_EEEEPS9_S9_NSD_9__find_if7functorIS9_EEEE10hipError_tPvRmT1_T2_T3_mT4_P12ihipStream_tbEUlT_E1_NS1_11comp_targetILNS1_3genE8ELNS1_11target_archE1030ELNS1_3gpuE2ELNS1_3repE0EEENS1_30default_config_static_selectorELNS0_4arch9wavefront6targetE1EEEvS14_,"axG",@progbits,_ZN7rocprim17ROCPRIM_400000_NS6detail17trampoline_kernelINS0_14default_configENS1_22reduce_config_selectorIN6thrust23THRUST_200600_302600_NS5tupleIblNS6_9null_typeES8_S8_S8_S8_S8_S8_S8_EEEEZNS1_11reduce_implILb1ES3_NS6_12zip_iteratorINS7_INS6_11hip_rocprim26transform_input_iterator_tIbNSD_35transform_pair_of_input_iterators_tIbNS6_6detail15normal_iteratorINS6_10device_ptrIKbEEEESL_NS6_8equal_toIbEEEENSG_9not_fun_tINSD_8identityEEEEENSD_19counting_iterator_tIlEES8_S8_S8_S8_S8_S8_S8_S8_EEEEPS9_S9_NSD_9__find_if7functorIS9_EEEE10hipError_tPvRmT1_T2_T3_mT4_P12ihipStream_tbEUlT_E1_NS1_11comp_targetILNS1_3genE8ELNS1_11target_archE1030ELNS1_3gpuE2ELNS1_3repE0EEENS1_30default_config_static_selectorELNS0_4arch9wavefront6targetE1EEEvS14_,comdat
	.protected	_ZN7rocprim17ROCPRIM_400000_NS6detail17trampoline_kernelINS0_14default_configENS1_22reduce_config_selectorIN6thrust23THRUST_200600_302600_NS5tupleIblNS6_9null_typeES8_S8_S8_S8_S8_S8_S8_EEEEZNS1_11reduce_implILb1ES3_NS6_12zip_iteratorINS7_INS6_11hip_rocprim26transform_input_iterator_tIbNSD_35transform_pair_of_input_iterators_tIbNS6_6detail15normal_iteratorINS6_10device_ptrIKbEEEESL_NS6_8equal_toIbEEEENSG_9not_fun_tINSD_8identityEEEEENSD_19counting_iterator_tIlEES8_S8_S8_S8_S8_S8_S8_S8_EEEEPS9_S9_NSD_9__find_if7functorIS9_EEEE10hipError_tPvRmT1_T2_T3_mT4_P12ihipStream_tbEUlT_E1_NS1_11comp_targetILNS1_3genE8ELNS1_11target_archE1030ELNS1_3gpuE2ELNS1_3repE0EEENS1_30default_config_static_selectorELNS0_4arch9wavefront6targetE1EEEvS14_ ; -- Begin function _ZN7rocprim17ROCPRIM_400000_NS6detail17trampoline_kernelINS0_14default_configENS1_22reduce_config_selectorIN6thrust23THRUST_200600_302600_NS5tupleIblNS6_9null_typeES8_S8_S8_S8_S8_S8_S8_EEEEZNS1_11reduce_implILb1ES3_NS6_12zip_iteratorINS7_INS6_11hip_rocprim26transform_input_iterator_tIbNSD_35transform_pair_of_input_iterators_tIbNS6_6detail15normal_iteratorINS6_10device_ptrIKbEEEESL_NS6_8equal_toIbEEEENSG_9not_fun_tINSD_8identityEEEEENSD_19counting_iterator_tIlEES8_S8_S8_S8_S8_S8_S8_S8_EEEEPS9_S9_NSD_9__find_if7functorIS9_EEEE10hipError_tPvRmT1_T2_T3_mT4_P12ihipStream_tbEUlT_E1_NS1_11comp_targetILNS1_3genE8ELNS1_11target_archE1030ELNS1_3gpuE2ELNS1_3repE0EEENS1_30default_config_static_selectorELNS0_4arch9wavefront6targetE1EEEvS14_
	.globl	_ZN7rocprim17ROCPRIM_400000_NS6detail17trampoline_kernelINS0_14default_configENS1_22reduce_config_selectorIN6thrust23THRUST_200600_302600_NS5tupleIblNS6_9null_typeES8_S8_S8_S8_S8_S8_S8_EEEEZNS1_11reduce_implILb1ES3_NS6_12zip_iteratorINS7_INS6_11hip_rocprim26transform_input_iterator_tIbNSD_35transform_pair_of_input_iterators_tIbNS6_6detail15normal_iteratorINS6_10device_ptrIKbEEEESL_NS6_8equal_toIbEEEENSG_9not_fun_tINSD_8identityEEEEENSD_19counting_iterator_tIlEES8_S8_S8_S8_S8_S8_S8_S8_EEEEPS9_S9_NSD_9__find_if7functorIS9_EEEE10hipError_tPvRmT1_T2_T3_mT4_P12ihipStream_tbEUlT_E1_NS1_11comp_targetILNS1_3genE8ELNS1_11target_archE1030ELNS1_3gpuE2ELNS1_3repE0EEENS1_30default_config_static_selectorELNS0_4arch9wavefront6targetE1EEEvS14_
	.p2align	8
	.type	_ZN7rocprim17ROCPRIM_400000_NS6detail17trampoline_kernelINS0_14default_configENS1_22reduce_config_selectorIN6thrust23THRUST_200600_302600_NS5tupleIblNS6_9null_typeES8_S8_S8_S8_S8_S8_S8_EEEEZNS1_11reduce_implILb1ES3_NS6_12zip_iteratorINS7_INS6_11hip_rocprim26transform_input_iterator_tIbNSD_35transform_pair_of_input_iterators_tIbNS6_6detail15normal_iteratorINS6_10device_ptrIKbEEEESL_NS6_8equal_toIbEEEENSG_9not_fun_tINSD_8identityEEEEENSD_19counting_iterator_tIlEES8_S8_S8_S8_S8_S8_S8_S8_EEEEPS9_S9_NSD_9__find_if7functorIS9_EEEE10hipError_tPvRmT1_T2_T3_mT4_P12ihipStream_tbEUlT_E1_NS1_11comp_targetILNS1_3genE8ELNS1_11target_archE1030ELNS1_3gpuE2ELNS1_3repE0EEENS1_30default_config_static_selectorELNS0_4arch9wavefront6targetE1EEEvS14_,@function
_ZN7rocprim17ROCPRIM_400000_NS6detail17trampoline_kernelINS0_14default_configENS1_22reduce_config_selectorIN6thrust23THRUST_200600_302600_NS5tupleIblNS6_9null_typeES8_S8_S8_S8_S8_S8_S8_EEEEZNS1_11reduce_implILb1ES3_NS6_12zip_iteratorINS7_INS6_11hip_rocprim26transform_input_iterator_tIbNSD_35transform_pair_of_input_iterators_tIbNS6_6detail15normal_iteratorINS6_10device_ptrIKbEEEESL_NS6_8equal_toIbEEEENSG_9not_fun_tINSD_8identityEEEEENSD_19counting_iterator_tIlEES8_S8_S8_S8_S8_S8_S8_S8_EEEEPS9_S9_NSD_9__find_if7functorIS9_EEEE10hipError_tPvRmT1_T2_T3_mT4_P12ihipStream_tbEUlT_E1_NS1_11comp_targetILNS1_3genE8ELNS1_11target_archE1030ELNS1_3gpuE2ELNS1_3repE0EEENS1_30default_config_static_selectorELNS0_4arch9wavefront6targetE1EEEvS14_: ; @_ZN7rocprim17ROCPRIM_400000_NS6detail17trampoline_kernelINS0_14default_configENS1_22reduce_config_selectorIN6thrust23THRUST_200600_302600_NS5tupleIblNS6_9null_typeES8_S8_S8_S8_S8_S8_S8_EEEEZNS1_11reduce_implILb1ES3_NS6_12zip_iteratorINS7_INS6_11hip_rocprim26transform_input_iterator_tIbNSD_35transform_pair_of_input_iterators_tIbNS6_6detail15normal_iteratorINS6_10device_ptrIKbEEEESL_NS6_8equal_toIbEEEENSG_9not_fun_tINSD_8identityEEEEENSD_19counting_iterator_tIlEES8_S8_S8_S8_S8_S8_S8_S8_EEEEPS9_S9_NSD_9__find_if7functorIS9_EEEE10hipError_tPvRmT1_T2_T3_mT4_P12ihipStream_tbEUlT_E1_NS1_11comp_targetILNS1_3genE8ELNS1_11target_archE1030ELNS1_3gpuE2ELNS1_3repE0EEENS1_30default_config_static_selectorELNS0_4arch9wavefront6targetE1EEEvS14_
; %bb.0:
	.section	.rodata,"a",@progbits
	.p2align	6, 0x0
	.amdhsa_kernel _ZN7rocprim17ROCPRIM_400000_NS6detail17trampoline_kernelINS0_14default_configENS1_22reduce_config_selectorIN6thrust23THRUST_200600_302600_NS5tupleIblNS6_9null_typeES8_S8_S8_S8_S8_S8_S8_EEEEZNS1_11reduce_implILb1ES3_NS6_12zip_iteratorINS7_INS6_11hip_rocprim26transform_input_iterator_tIbNSD_35transform_pair_of_input_iterators_tIbNS6_6detail15normal_iteratorINS6_10device_ptrIKbEEEESL_NS6_8equal_toIbEEEENSG_9not_fun_tINSD_8identityEEEEENSD_19counting_iterator_tIlEES8_S8_S8_S8_S8_S8_S8_S8_EEEEPS9_S9_NSD_9__find_if7functorIS9_EEEE10hipError_tPvRmT1_T2_T3_mT4_P12ihipStream_tbEUlT_E1_NS1_11comp_targetILNS1_3genE8ELNS1_11target_archE1030ELNS1_3gpuE2ELNS1_3repE0EEENS1_30default_config_static_selectorELNS0_4arch9wavefront6targetE1EEEvS14_
		.amdhsa_group_segment_fixed_size 0
		.amdhsa_private_segment_fixed_size 0
		.amdhsa_kernarg_size 88
		.amdhsa_user_sgpr_count 6
		.amdhsa_user_sgpr_private_segment_buffer 1
		.amdhsa_user_sgpr_dispatch_ptr 0
		.amdhsa_user_sgpr_queue_ptr 0
		.amdhsa_user_sgpr_kernarg_segment_ptr 1
		.amdhsa_user_sgpr_dispatch_id 0
		.amdhsa_user_sgpr_flat_scratch_init 0
		.amdhsa_user_sgpr_private_segment_size 0
		.amdhsa_uses_dynamic_stack 0
		.amdhsa_system_sgpr_private_segment_wavefront_offset 0
		.amdhsa_system_sgpr_workgroup_id_x 1
		.amdhsa_system_sgpr_workgroup_id_y 0
		.amdhsa_system_sgpr_workgroup_id_z 0
		.amdhsa_system_sgpr_workgroup_info 0
		.amdhsa_system_vgpr_workitem_id 0
		.amdhsa_next_free_vgpr 1
		.amdhsa_next_free_sgpr 0
		.amdhsa_reserve_vcc 0
		.amdhsa_reserve_flat_scratch 0
		.amdhsa_float_round_mode_32 0
		.amdhsa_float_round_mode_16_64 0
		.amdhsa_float_denorm_mode_32 3
		.amdhsa_float_denorm_mode_16_64 3
		.amdhsa_dx10_clamp 1
		.amdhsa_ieee_mode 1
		.amdhsa_fp16_overflow 0
		.amdhsa_exception_fp_ieee_invalid_op 0
		.amdhsa_exception_fp_denorm_src 0
		.amdhsa_exception_fp_ieee_div_zero 0
		.amdhsa_exception_fp_ieee_overflow 0
		.amdhsa_exception_fp_ieee_underflow 0
		.amdhsa_exception_fp_ieee_inexact 0
		.amdhsa_exception_int_div_zero 0
	.end_amdhsa_kernel
	.section	.text._ZN7rocprim17ROCPRIM_400000_NS6detail17trampoline_kernelINS0_14default_configENS1_22reduce_config_selectorIN6thrust23THRUST_200600_302600_NS5tupleIblNS6_9null_typeES8_S8_S8_S8_S8_S8_S8_EEEEZNS1_11reduce_implILb1ES3_NS6_12zip_iteratorINS7_INS6_11hip_rocprim26transform_input_iterator_tIbNSD_35transform_pair_of_input_iterators_tIbNS6_6detail15normal_iteratorINS6_10device_ptrIKbEEEESL_NS6_8equal_toIbEEEENSG_9not_fun_tINSD_8identityEEEEENSD_19counting_iterator_tIlEES8_S8_S8_S8_S8_S8_S8_S8_EEEEPS9_S9_NSD_9__find_if7functorIS9_EEEE10hipError_tPvRmT1_T2_T3_mT4_P12ihipStream_tbEUlT_E1_NS1_11comp_targetILNS1_3genE8ELNS1_11target_archE1030ELNS1_3gpuE2ELNS1_3repE0EEENS1_30default_config_static_selectorELNS0_4arch9wavefront6targetE1EEEvS14_,"axG",@progbits,_ZN7rocprim17ROCPRIM_400000_NS6detail17trampoline_kernelINS0_14default_configENS1_22reduce_config_selectorIN6thrust23THRUST_200600_302600_NS5tupleIblNS6_9null_typeES8_S8_S8_S8_S8_S8_S8_EEEEZNS1_11reduce_implILb1ES3_NS6_12zip_iteratorINS7_INS6_11hip_rocprim26transform_input_iterator_tIbNSD_35transform_pair_of_input_iterators_tIbNS6_6detail15normal_iteratorINS6_10device_ptrIKbEEEESL_NS6_8equal_toIbEEEENSG_9not_fun_tINSD_8identityEEEEENSD_19counting_iterator_tIlEES8_S8_S8_S8_S8_S8_S8_S8_EEEEPS9_S9_NSD_9__find_if7functorIS9_EEEE10hipError_tPvRmT1_T2_T3_mT4_P12ihipStream_tbEUlT_E1_NS1_11comp_targetILNS1_3genE8ELNS1_11target_archE1030ELNS1_3gpuE2ELNS1_3repE0EEENS1_30default_config_static_selectorELNS0_4arch9wavefront6targetE1EEEvS14_,comdat
.Lfunc_end760:
	.size	_ZN7rocprim17ROCPRIM_400000_NS6detail17trampoline_kernelINS0_14default_configENS1_22reduce_config_selectorIN6thrust23THRUST_200600_302600_NS5tupleIblNS6_9null_typeES8_S8_S8_S8_S8_S8_S8_EEEEZNS1_11reduce_implILb1ES3_NS6_12zip_iteratorINS7_INS6_11hip_rocprim26transform_input_iterator_tIbNSD_35transform_pair_of_input_iterators_tIbNS6_6detail15normal_iteratorINS6_10device_ptrIKbEEEESL_NS6_8equal_toIbEEEENSG_9not_fun_tINSD_8identityEEEEENSD_19counting_iterator_tIlEES8_S8_S8_S8_S8_S8_S8_S8_EEEEPS9_S9_NSD_9__find_if7functorIS9_EEEE10hipError_tPvRmT1_T2_T3_mT4_P12ihipStream_tbEUlT_E1_NS1_11comp_targetILNS1_3genE8ELNS1_11target_archE1030ELNS1_3gpuE2ELNS1_3repE0EEENS1_30default_config_static_selectorELNS0_4arch9wavefront6targetE1EEEvS14_, .Lfunc_end760-_ZN7rocprim17ROCPRIM_400000_NS6detail17trampoline_kernelINS0_14default_configENS1_22reduce_config_selectorIN6thrust23THRUST_200600_302600_NS5tupleIblNS6_9null_typeES8_S8_S8_S8_S8_S8_S8_EEEEZNS1_11reduce_implILb1ES3_NS6_12zip_iteratorINS7_INS6_11hip_rocprim26transform_input_iterator_tIbNSD_35transform_pair_of_input_iterators_tIbNS6_6detail15normal_iteratorINS6_10device_ptrIKbEEEESL_NS6_8equal_toIbEEEENSG_9not_fun_tINSD_8identityEEEEENSD_19counting_iterator_tIlEES8_S8_S8_S8_S8_S8_S8_S8_EEEEPS9_S9_NSD_9__find_if7functorIS9_EEEE10hipError_tPvRmT1_T2_T3_mT4_P12ihipStream_tbEUlT_E1_NS1_11comp_targetILNS1_3genE8ELNS1_11target_archE1030ELNS1_3gpuE2ELNS1_3repE0EEENS1_30default_config_static_selectorELNS0_4arch9wavefront6targetE1EEEvS14_
                                        ; -- End function
	.set _ZN7rocprim17ROCPRIM_400000_NS6detail17trampoline_kernelINS0_14default_configENS1_22reduce_config_selectorIN6thrust23THRUST_200600_302600_NS5tupleIblNS6_9null_typeES8_S8_S8_S8_S8_S8_S8_EEEEZNS1_11reduce_implILb1ES3_NS6_12zip_iteratorINS7_INS6_11hip_rocprim26transform_input_iterator_tIbNSD_35transform_pair_of_input_iterators_tIbNS6_6detail15normal_iteratorINS6_10device_ptrIKbEEEESL_NS6_8equal_toIbEEEENSG_9not_fun_tINSD_8identityEEEEENSD_19counting_iterator_tIlEES8_S8_S8_S8_S8_S8_S8_S8_EEEEPS9_S9_NSD_9__find_if7functorIS9_EEEE10hipError_tPvRmT1_T2_T3_mT4_P12ihipStream_tbEUlT_E1_NS1_11comp_targetILNS1_3genE8ELNS1_11target_archE1030ELNS1_3gpuE2ELNS1_3repE0EEENS1_30default_config_static_selectorELNS0_4arch9wavefront6targetE1EEEvS14_.num_vgpr, 0
	.set _ZN7rocprim17ROCPRIM_400000_NS6detail17trampoline_kernelINS0_14default_configENS1_22reduce_config_selectorIN6thrust23THRUST_200600_302600_NS5tupleIblNS6_9null_typeES8_S8_S8_S8_S8_S8_S8_EEEEZNS1_11reduce_implILb1ES3_NS6_12zip_iteratorINS7_INS6_11hip_rocprim26transform_input_iterator_tIbNSD_35transform_pair_of_input_iterators_tIbNS6_6detail15normal_iteratorINS6_10device_ptrIKbEEEESL_NS6_8equal_toIbEEEENSG_9not_fun_tINSD_8identityEEEEENSD_19counting_iterator_tIlEES8_S8_S8_S8_S8_S8_S8_S8_EEEEPS9_S9_NSD_9__find_if7functorIS9_EEEE10hipError_tPvRmT1_T2_T3_mT4_P12ihipStream_tbEUlT_E1_NS1_11comp_targetILNS1_3genE8ELNS1_11target_archE1030ELNS1_3gpuE2ELNS1_3repE0EEENS1_30default_config_static_selectorELNS0_4arch9wavefront6targetE1EEEvS14_.num_agpr, 0
	.set _ZN7rocprim17ROCPRIM_400000_NS6detail17trampoline_kernelINS0_14default_configENS1_22reduce_config_selectorIN6thrust23THRUST_200600_302600_NS5tupleIblNS6_9null_typeES8_S8_S8_S8_S8_S8_S8_EEEEZNS1_11reduce_implILb1ES3_NS6_12zip_iteratorINS7_INS6_11hip_rocprim26transform_input_iterator_tIbNSD_35transform_pair_of_input_iterators_tIbNS6_6detail15normal_iteratorINS6_10device_ptrIKbEEEESL_NS6_8equal_toIbEEEENSG_9not_fun_tINSD_8identityEEEEENSD_19counting_iterator_tIlEES8_S8_S8_S8_S8_S8_S8_S8_EEEEPS9_S9_NSD_9__find_if7functorIS9_EEEE10hipError_tPvRmT1_T2_T3_mT4_P12ihipStream_tbEUlT_E1_NS1_11comp_targetILNS1_3genE8ELNS1_11target_archE1030ELNS1_3gpuE2ELNS1_3repE0EEENS1_30default_config_static_selectorELNS0_4arch9wavefront6targetE1EEEvS14_.numbered_sgpr, 0
	.set _ZN7rocprim17ROCPRIM_400000_NS6detail17trampoline_kernelINS0_14default_configENS1_22reduce_config_selectorIN6thrust23THRUST_200600_302600_NS5tupleIblNS6_9null_typeES8_S8_S8_S8_S8_S8_S8_EEEEZNS1_11reduce_implILb1ES3_NS6_12zip_iteratorINS7_INS6_11hip_rocprim26transform_input_iterator_tIbNSD_35transform_pair_of_input_iterators_tIbNS6_6detail15normal_iteratorINS6_10device_ptrIKbEEEESL_NS6_8equal_toIbEEEENSG_9not_fun_tINSD_8identityEEEEENSD_19counting_iterator_tIlEES8_S8_S8_S8_S8_S8_S8_S8_EEEEPS9_S9_NSD_9__find_if7functorIS9_EEEE10hipError_tPvRmT1_T2_T3_mT4_P12ihipStream_tbEUlT_E1_NS1_11comp_targetILNS1_3genE8ELNS1_11target_archE1030ELNS1_3gpuE2ELNS1_3repE0EEENS1_30default_config_static_selectorELNS0_4arch9wavefront6targetE1EEEvS14_.num_named_barrier, 0
	.set _ZN7rocprim17ROCPRIM_400000_NS6detail17trampoline_kernelINS0_14default_configENS1_22reduce_config_selectorIN6thrust23THRUST_200600_302600_NS5tupleIblNS6_9null_typeES8_S8_S8_S8_S8_S8_S8_EEEEZNS1_11reduce_implILb1ES3_NS6_12zip_iteratorINS7_INS6_11hip_rocprim26transform_input_iterator_tIbNSD_35transform_pair_of_input_iterators_tIbNS6_6detail15normal_iteratorINS6_10device_ptrIKbEEEESL_NS6_8equal_toIbEEEENSG_9not_fun_tINSD_8identityEEEEENSD_19counting_iterator_tIlEES8_S8_S8_S8_S8_S8_S8_S8_EEEEPS9_S9_NSD_9__find_if7functorIS9_EEEE10hipError_tPvRmT1_T2_T3_mT4_P12ihipStream_tbEUlT_E1_NS1_11comp_targetILNS1_3genE8ELNS1_11target_archE1030ELNS1_3gpuE2ELNS1_3repE0EEENS1_30default_config_static_selectorELNS0_4arch9wavefront6targetE1EEEvS14_.private_seg_size, 0
	.set _ZN7rocprim17ROCPRIM_400000_NS6detail17trampoline_kernelINS0_14default_configENS1_22reduce_config_selectorIN6thrust23THRUST_200600_302600_NS5tupleIblNS6_9null_typeES8_S8_S8_S8_S8_S8_S8_EEEEZNS1_11reduce_implILb1ES3_NS6_12zip_iteratorINS7_INS6_11hip_rocprim26transform_input_iterator_tIbNSD_35transform_pair_of_input_iterators_tIbNS6_6detail15normal_iteratorINS6_10device_ptrIKbEEEESL_NS6_8equal_toIbEEEENSG_9not_fun_tINSD_8identityEEEEENSD_19counting_iterator_tIlEES8_S8_S8_S8_S8_S8_S8_S8_EEEEPS9_S9_NSD_9__find_if7functorIS9_EEEE10hipError_tPvRmT1_T2_T3_mT4_P12ihipStream_tbEUlT_E1_NS1_11comp_targetILNS1_3genE8ELNS1_11target_archE1030ELNS1_3gpuE2ELNS1_3repE0EEENS1_30default_config_static_selectorELNS0_4arch9wavefront6targetE1EEEvS14_.uses_vcc, 0
	.set _ZN7rocprim17ROCPRIM_400000_NS6detail17trampoline_kernelINS0_14default_configENS1_22reduce_config_selectorIN6thrust23THRUST_200600_302600_NS5tupleIblNS6_9null_typeES8_S8_S8_S8_S8_S8_S8_EEEEZNS1_11reduce_implILb1ES3_NS6_12zip_iteratorINS7_INS6_11hip_rocprim26transform_input_iterator_tIbNSD_35transform_pair_of_input_iterators_tIbNS6_6detail15normal_iteratorINS6_10device_ptrIKbEEEESL_NS6_8equal_toIbEEEENSG_9not_fun_tINSD_8identityEEEEENSD_19counting_iterator_tIlEES8_S8_S8_S8_S8_S8_S8_S8_EEEEPS9_S9_NSD_9__find_if7functorIS9_EEEE10hipError_tPvRmT1_T2_T3_mT4_P12ihipStream_tbEUlT_E1_NS1_11comp_targetILNS1_3genE8ELNS1_11target_archE1030ELNS1_3gpuE2ELNS1_3repE0EEENS1_30default_config_static_selectorELNS0_4arch9wavefront6targetE1EEEvS14_.uses_flat_scratch, 0
	.set _ZN7rocprim17ROCPRIM_400000_NS6detail17trampoline_kernelINS0_14default_configENS1_22reduce_config_selectorIN6thrust23THRUST_200600_302600_NS5tupleIblNS6_9null_typeES8_S8_S8_S8_S8_S8_S8_EEEEZNS1_11reduce_implILb1ES3_NS6_12zip_iteratorINS7_INS6_11hip_rocprim26transform_input_iterator_tIbNSD_35transform_pair_of_input_iterators_tIbNS6_6detail15normal_iteratorINS6_10device_ptrIKbEEEESL_NS6_8equal_toIbEEEENSG_9not_fun_tINSD_8identityEEEEENSD_19counting_iterator_tIlEES8_S8_S8_S8_S8_S8_S8_S8_EEEEPS9_S9_NSD_9__find_if7functorIS9_EEEE10hipError_tPvRmT1_T2_T3_mT4_P12ihipStream_tbEUlT_E1_NS1_11comp_targetILNS1_3genE8ELNS1_11target_archE1030ELNS1_3gpuE2ELNS1_3repE0EEENS1_30default_config_static_selectorELNS0_4arch9wavefront6targetE1EEEvS14_.has_dyn_sized_stack, 0
	.set _ZN7rocprim17ROCPRIM_400000_NS6detail17trampoline_kernelINS0_14default_configENS1_22reduce_config_selectorIN6thrust23THRUST_200600_302600_NS5tupleIblNS6_9null_typeES8_S8_S8_S8_S8_S8_S8_EEEEZNS1_11reduce_implILb1ES3_NS6_12zip_iteratorINS7_INS6_11hip_rocprim26transform_input_iterator_tIbNSD_35transform_pair_of_input_iterators_tIbNS6_6detail15normal_iteratorINS6_10device_ptrIKbEEEESL_NS6_8equal_toIbEEEENSG_9not_fun_tINSD_8identityEEEEENSD_19counting_iterator_tIlEES8_S8_S8_S8_S8_S8_S8_S8_EEEEPS9_S9_NSD_9__find_if7functorIS9_EEEE10hipError_tPvRmT1_T2_T3_mT4_P12ihipStream_tbEUlT_E1_NS1_11comp_targetILNS1_3genE8ELNS1_11target_archE1030ELNS1_3gpuE2ELNS1_3repE0EEENS1_30default_config_static_selectorELNS0_4arch9wavefront6targetE1EEEvS14_.has_recursion, 0
	.set _ZN7rocprim17ROCPRIM_400000_NS6detail17trampoline_kernelINS0_14default_configENS1_22reduce_config_selectorIN6thrust23THRUST_200600_302600_NS5tupleIblNS6_9null_typeES8_S8_S8_S8_S8_S8_S8_EEEEZNS1_11reduce_implILb1ES3_NS6_12zip_iteratorINS7_INS6_11hip_rocprim26transform_input_iterator_tIbNSD_35transform_pair_of_input_iterators_tIbNS6_6detail15normal_iteratorINS6_10device_ptrIKbEEEESL_NS6_8equal_toIbEEEENSG_9not_fun_tINSD_8identityEEEEENSD_19counting_iterator_tIlEES8_S8_S8_S8_S8_S8_S8_S8_EEEEPS9_S9_NSD_9__find_if7functorIS9_EEEE10hipError_tPvRmT1_T2_T3_mT4_P12ihipStream_tbEUlT_E1_NS1_11comp_targetILNS1_3genE8ELNS1_11target_archE1030ELNS1_3gpuE2ELNS1_3repE0EEENS1_30default_config_static_selectorELNS0_4arch9wavefront6targetE1EEEvS14_.has_indirect_call, 0
	.section	.AMDGPU.csdata,"",@progbits
; Kernel info:
; codeLenInByte = 0
; TotalNumSgprs: 4
; NumVgprs: 0
; ScratchSize: 0
; MemoryBound: 0
; FloatMode: 240
; IeeeMode: 1
; LDSByteSize: 0 bytes/workgroup (compile time only)
; SGPRBlocks: 0
; VGPRBlocks: 0
; NumSGPRsForWavesPerEU: 4
; NumVGPRsForWavesPerEU: 1
; Occupancy: 10
; WaveLimiterHint : 0
; COMPUTE_PGM_RSRC2:SCRATCH_EN: 0
; COMPUTE_PGM_RSRC2:USER_SGPR: 6
; COMPUTE_PGM_RSRC2:TRAP_HANDLER: 0
; COMPUTE_PGM_RSRC2:TGID_X_EN: 1
; COMPUTE_PGM_RSRC2:TGID_Y_EN: 0
; COMPUTE_PGM_RSRC2:TGID_Z_EN: 0
; COMPUTE_PGM_RSRC2:TIDIG_COMP_CNT: 0
	.section	.text._ZN7rocprim17ROCPRIM_400000_NS6detail17trampoline_kernelINS0_14default_configENS1_29binary_search_config_selectorIN6thrust23THRUST_200600_302600_NS5tupleIiiNS6_9null_typeES8_S8_S8_S8_S8_S8_S8_EEbEEZNS1_14transform_implILb0ES3_SA_NS6_6detail15normal_iteratorINS6_10device_ptrIS9_EEEENSD_INSE_IbEEEEZNS1_13binary_searchIS3_SA_SG_SG_SI_NS1_16binary_search_opENSC_16wrapped_functionINS0_4lessIvEEbEEEE10hipError_tPvRmT1_T2_T3_mmT4_T5_P12ihipStream_tbEUlRKS9_E_EESP_ST_SU_mSV_SY_bEUlT_E_NS1_11comp_targetILNS1_3genE0ELNS1_11target_archE4294967295ELNS1_3gpuE0ELNS1_3repE0EEENS1_30default_config_static_selectorELNS0_4arch9wavefront6targetE1EEEvSS_,"axG",@progbits,_ZN7rocprim17ROCPRIM_400000_NS6detail17trampoline_kernelINS0_14default_configENS1_29binary_search_config_selectorIN6thrust23THRUST_200600_302600_NS5tupleIiiNS6_9null_typeES8_S8_S8_S8_S8_S8_S8_EEbEEZNS1_14transform_implILb0ES3_SA_NS6_6detail15normal_iteratorINS6_10device_ptrIS9_EEEENSD_INSE_IbEEEEZNS1_13binary_searchIS3_SA_SG_SG_SI_NS1_16binary_search_opENSC_16wrapped_functionINS0_4lessIvEEbEEEE10hipError_tPvRmT1_T2_T3_mmT4_T5_P12ihipStream_tbEUlRKS9_E_EESP_ST_SU_mSV_SY_bEUlT_E_NS1_11comp_targetILNS1_3genE0ELNS1_11target_archE4294967295ELNS1_3gpuE0ELNS1_3repE0EEENS1_30default_config_static_selectorELNS0_4arch9wavefront6targetE1EEEvSS_,comdat
	.protected	_ZN7rocprim17ROCPRIM_400000_NS6detail17trampoline_kernelINS0_14default_configENS1_29binary_search_config_selectorIN6thrust23THRUST_200600_302600_NS5tupleIiiNS6_9null_typeES8_S8_S8_S8_S8_S8_S8_EEbEEZNS1_14transform_implILb0ES3_SA_NS6_6detail15normal_iteratorINS6_10device_ptrIS9_EEEENSD_INSE_IbEEEEZNS1_13binary_searchIS3_SA_SG_SG_SI_NS1_16binary_search_opENSC_16wrapped_functionINS0_4lessIvEEbEEEE10hipError_tPvRmT1_T2_T3_mmT4_T5_P12ihipStream_tbEUlRKS9_E_EESP_ST_SU_mSV_SY_bEUlT_E_NS1_11comp_targetILNS1_3genE0ELNS1_11target_archE4294967295ELNS1_3gpuE0ELNS1_3repE0EEENS1_30default_config_static_selectorELNS0_4arch9wavefront6targetE1EEEvSS_ ; -- Begin function _ZN7rocprim17ROCPRIM_400000_NS6detail17trampoline_kernelINS0_14default_configENS1_29binary_search_config_selectorIN6thrust23THRUST_200600_302600_NS5tupleIiiNS6_9null_typeES8_S8_S8_S8_S8_S8_S8_EEbEEZNS1_14transform_implILb0ES3_SA_NS6_6detail15normal_iteratorINS6_10device_ptrIS9_EEEENSD_INSE_IbEEEEZNS1_13binary_searchIS3_SA_SG_SG_SI_NS1_16binary_search_opENSC_16wrapped_functionINS0_4lessIvEEbEEEE10hipError_tPvRmT1_T2_T3_mmT4_T5_P12ihipStream_tbEUlRKS9_E_EESP_ST_SU_mSV_SY_bEUlT_E_NS1_11comp_targetILNS1_3genE0ELNS1_11target_archE4294967295ELNS1_3gpuE0ELNS1_3repE0EEENS1_30default_config_static_selectorELNS0_4arch9wavefront6targetE1EEEvSS_
	.globl	_ZN7rocprim17ROCPRIM_400000_NS6detail17trampoline_kernelINS0_14default_configENS1_29binary_search_config_selectorIN6thrust23THRUST_200600_302600_NS5tupleIiiNS6_9null_typeES8_S8_S8_S8_S8_S8_S8_EEbEEZNS1_14transform_implILb0ES3_SA_NS6_6detail15normal_iteratorINS6_10device_ptrIS9_EEEENSD_INSE_IbEEEEZNS1_13binary_searchIS3_SA_SG_SG_SI_NS1_16binary_search_opENSC_16wrapped_functionINS0_4lessIvEEbEEEE10hipError_tPvRmT1_T2_T3_mmT4_T5_P12ihipStream_tbEUlRKS9_E_EESP_ST_SU_mSV_SY_bEUlT_E_NS1_11comp_targetILNS1_3genE0ELNS1_11target_archE4294967295ELNS1_3gpuE0ELNS1_3repE0EEENS1_30default_config_static_selectorELNS0_4arch9wavefront6targetE1EEEvSS_
	.p2align	8
	.type	_ZN7rocprim17ROCPRIM_400000_NS6detail17trampoline_kernelINS0_14default_configENS1_29binary_search_config_selectorIN6thrust23THRUST_200600_302600_NS5tupleIiiNS6_9null_typeES8_S8_S8_S8_S8_S8_S8_EEbEEZNS1_14transform_implILb0ES3_SA_NS6_6detail15normal_iteratorINS6_10device_ptrIS9_EEEENSD_INSE_IbEEEEZNS1_13binary_searchIS3_SA_SG_SG_SI_NS1_16binary_search_opENSC_16wrapped_functionINS0_4lessIvEEbEEEE10hipError_tPvRmT1_T2_T3_mmT4_T5_P12ihipStream_tbEUlRKS9_E_EESP_ST_SU_mSV_SY_bEUlT_E_NS1_11comp_targetILNS1_3genE0ELNS1_11target_archE4294967295ELNS1_3gpuE0ELNS1_3repE0EEENS1_30default_config_static_selectorELNS0_4arch9wavefront6targetE1EEEvSS_,@function
_ZN7rocprim17ROCPRIM_400000_NS6detail17trampoline_kernelINS0_14default_configENS1_29binary_search_config_selectorIN6thrust23THRUST_200600_302600_NS5tupleIiiNS6_9null_typeES8_S8_S8_S8_S8_S8_S8_EEbEEZNS1_14transform_implILb0ES3_SA_NS6_6detail15normal_iteratorINS6_10device_ptrIS9_EEEENSD_INSE_IbEEEEZNS1_13binary_searchIS3_SA_SG_SG_SI_NS1_16binary_search_opENSC_16wrapped_functionINS0_4lessIvEEbEEEE10hipError_tPvRmT1_T2_T3_mmT4_T5_P12ihipStream_tbEUlRKS9_E_EESP_ST_SU_mSV_SY_bEUlT_E_NS1_11comp_targetILNS1_3genE0ELNS1_11target_archE4294967295ELNS1_3gpuE0ELNS1_3repE0EEENS1_30default_config_static_selectorELNS0_4arch9wavefront6targetE1EEEvSS_: ; @_ZN7rocprim17ROCPRIM_400000_NS6detail17trampoline_kernelINS0_14default_configENS1_29binary_search_config_selectorIN6thrust23THRUST_200600_302600_NS5tupleIiiNS6_9null_typeES8_S8_S8_S8_S8_S8_S8_EEbEEZNS1_14transform_implILb0ES3_SA_NS6_6detail15normal_iteratorINS6_10device_ptrIS9_EEEENSD_INSE_IbEEEEZNS1_13binary_searchIS3_SA_SG_SG_SI_NS1_16binary_search_opENSC_16wrapped_functionINS0_4lessIvEEbEEEE10hipError_tPvRmT1_T2_T3_mmT4_T5_P12ihipStream_tbEUlRKS9_E_EESP_ST_SU_mSV_SY_bEUlT_E_NS1_11comp_targetILNS1_3genE0ELNS1_11target_archE4294967295ELNS1_3gpuE0ELNS1_3repE0EEENS1_30default_config_static_selectorELNS0_4arch9wavefront6targetE1EEEvSS_
; %bb.0:
	.section	.rodata,"a",@progbits
	.p2align	6, 0x0
	.amdhsa_kernel _ZN7rocprim17ROCPRIM_400000_NS6detail17trampoline_kernelINS0_14default_configENS1_29binary_search_config_selectorIN6thrust23THRUST_200600_302600_NS5tupleIiiNS6_9null_typeES8_S8_S8_S8_S8_S8_S8_EEbEEZNS1_14transform_implILb0ES3_SA_NS6_6detail15normal_iteratorINS6_10device_ptrIS9_EEEENSD_INSE_IbEEEEZNS1_13binary_searchIS3_SA_SG_SG_SI_NS1_16binary_search_opENSC_16wrapped_functionINS0_4lessIvEEbEEEE10hipError_tPvRmT1_T2_T3_mmT4_T5_P12ihipStream_tbEUlRKS9_E_EESP_ST_SU_mSV_SY_bEUlT_E_NS1_11comp_targetILNS1_3genE0ELNS1_11target_archE4294967295ELNS1_3gpuE0ELNS1_3repE0EEENS1_30default_config_static_selectorELNS0_4arch9wavefront6targetE1EEEvSS_
		.amdhsa_group_segment_fixed_size 0
		.amdhsa_private_segment_fixed_size 0
		.amdhsa_kernarg_size 56
		.amdhsa_user_sgpr_count 6
		.amdhsa_user_sgpr_private_segment_buffer 1
		.amdhsa_user_sgpr_dispatch_ptr 0
		.amdhsa_user_sgpr_queue_ptr 0
		.amdhsa_user_sgpr_kernarg_segment_ptr 1
		.amdhsa_user_sgpr_dispatch_id 0
		.amdhsa_user_sgpr_flat_scratch_init 0
		.amdhsa_user_sgpr_private_segment_size 0
		.amdhsa_uses_dynamic_stack 0
		.amdhsa_system_sgpr_private_segment_wavefront_offset 0
		.amdhsa_system_sgpr_workgroup_id_x 1
		.amdhsa_system_sgpr_workgroup_id_y 0
		.amdhsa_system_sgpr_workgroup_id_z 0
		.amdhsa_system_sgpr_workgroup_info 0
		.amdhsa_system_vgpr_workitem_id 0
		.amdhsa_next_free_vgpr 1
		.amdhsa_next_free_sgpr 0
		.amdhsa_reserve_vcc 0
		.amdhsa_reserve_flat_scratch 0
		.amdhsa_float_round_mode_32 0
		.amdhsa_float_round_mode_16_64 0
		.amdhsa_float_denorm_mode_32 3
		.amdhsa_float_denorm_mode_16_64 3
		.amdhsa_dx10_clamp 1
		.amdhsa_ieee_mode 1
		.amdhsa_fp16_overflow 0
		.amdhsa_exception_fp_ieee_invalid_op 0
		.amdhsa_exception_fp_denorm_src 0
		.amdhsa_exception_fp_ieee_div_zero 0
		.amdhsa_exception_fp_ieee_overflow 0
		.amdhsa_exception_fp_ieee_underflow 0
		.amdhsa_exception_fp_ieee_inexact 0
		.amdhsa_exception_int_div_zero 0
	.end_amdhsa_kernel
	.section	.text._ZN7rocprim17ROCPRIM_400000_NS6detail17trampoline_kernelINS0_14default_configENS1_29binary_search_config_selectorIN6thrust23THRUST_200600_302600_NS5tupleIiiNS6_9null_typeES8_S8_S8_S8_S8_S8_S8_EEbEEZNS1_14transform_implILb0ES3_SA_NS6_6detail15normal_iteratorINS6_10device_ptrIS9_EEEENSD_INSE_IbEEEEZNS1_13binary_searchIS3_SA_SG_SG_SI_NS1_16binary_search_opENSC_16wrapped_functionINS0_4lessIvEEbEEEE10hipError_tPvRmT1_T2_T3_mmT4_T5_P12ihipStream_tbEUlRKS9_E_EESP_ST_SU_mSV_SY_bEUlT_E_NS1_11comp_targetILNS1_3genE0ELNS1_11target_archE4294967295ELNS1_3gpuE0ELNS1_3repE0EEENS1_30default_config_static_selectorELNS0_4arch9wavefront6targetE1EEEvSS_,"axG",@progbits,_ZN7rocprim17ROCPRIM_400000_NS6detail17trampoline_kernelINS0_14default_configENS1_29binary_search_config_selectorIN6thrust23THRUST_200600_302600_NS5tupleIiiNS6_9null_typeES8_S8_S8_S8_S8_S8_S8_EEbEEZNS1_14transform_implILb0ES3_SA_NS6_6detail15normal_iteratorINS6_10device_ptrIS9_EEEENSD_INSE_IbEEEEZNS1_13binary_searchIS3_SA_SG_SG_SI_NS1_16binary_search_opENSC_16wrapped_functionINS0_4lessIvEEbEEEE10hipError_tPvRmT1_T2_T3_mmT4_T5_P12ihipStream_tbEUlRKS9_E_EESP_ST_SU_mSV_SY_bEUlT_E_NS1_11comp_targetILNS1_3genE0ELNS1_11target_archE4294967295ELNS1_3gpuE0ELNS1_3repE0EEENS1_30default_config_static_selectorELNS0_4arch9wavefront6targetE1EEEvSS_,comdat
.Lfunc_end761:
	.size	_ZN7rocprim17ROCPRIM_400000_NS6detail17trampoline_kernelINS0_14default_configENS1_29binary_search_config_selectorIN6thrust23THRUST_200600_302600_NS5tupleIiiNS6_9null_typeES8_S8_S8_S8_S8_S8_S8_EEbEEZNS1_14transform_implILb0ES3_SA_NS6_6detail15normal_iteratorINS6_10device_ptrIS9_EEEENSD_INSE_IbEEEEZNS1_13binary_searchIS3_SA_SG_SG_SI_NS1_16binary_search_opENSC_16wrapped_functionINS0_4lessIvEEbEEEE10hipError_tPvRmT1_T2_T3_mmT4_T5_P12ihipStream_tbEUlRKS9_E_EESP_ST_SU_mSV_SY_bEUlT_E_NS1_11comp_targetILNS1_3genE0ELNS1_11target_archE4294967295ELNS1_3gpuE0ELNS1_3repE0EEENS1_30default_config_static_selectorELNS0_4arch9wavefront6targetE1EEEvSS_, .Lfunc_end761-_ZN7rocprim17ROCPRIM_400000_NS6detail17trampoline_kernelINS0_14default_configENS1_29binary_search_config_selectorIN6thrust23THRUST_200600_302600_NS5tupleIiiNS6_9null_typeES8_S8_S8_S8_S8_S8_S8_EEbEEZNS1_14transform_implILb0ES3_SA_NS6_6detail15normal_iteratorINS6_10device_ptrIS9_EEEENSD_INSE_IbEEEEZNS1_13binary_searchIS3_SA_SG_SG_SI_NS1_16binary_search_opENSC_16wrapped_functionINS0_4lessIvEEbEEEE10hipError_tPvRmT1_T2_T3_mmT4_T5_P12ihipStream_tbEUlRKS9_E_EESP_ST_SU_mSV_SY_bEUlT_E_NS1_11comp_targetILNS1_3genE0ELNS1_11target_archE4294967295ELNS1_3gpuE0ELNS1_3repE0EEENS1_30default_config_static_selectorELNS0_4arch9wavefront6targetE1EEEvSS_
                                        ; -- End function
	.set _ZN7rocprim17ROCPRIM_400000_NS6detail17trampoline_kernelINS0_14default_configENS1_29binary_search_config_selectorIN6thrust23THRUST_200600_302600_NS5tupleIiiNS6_9null_typeES8_S8_S8_S8_S8_S8_S8_EEbEEZNS1_14transform_implILb0ES3_SA_NS6_6detail15normal_iteratorINS6_10device_ptrIS9_EEEENSD_INSE_IbEEEEZNS1_13binary_searchIS3_SA_SG_SG_SI_NS1_16binary_search_opENSC_16wrapped_functionINS0_4lessIvEEbEEEE10hipError_tPvRmT1_T2_T3_mmT4_T5_P12ihipStream_tbEUlRKS9_E_EESP_ST_SU_mSV_SY_bEUlT_E_NS1_11comp_targetILNS1_3genE0ELNS1_11target_archE4294967295ELNS1_3gpuE0ELNS1_3repE0EEENS1_30default_config_static_selectorELNS0_4arch9wavefront6targetE1EEEvSS_.num_vgpr, 0
	.set _ZN7rocprim17ROCPRIM_400000_NS6detail17trampoline_kernelINS0_14default_configENS1_29binary_search_config_selectorIN6thrust23THRUST_200600_302600_NS5tupleIiiNS6_9null_typeES8_S8_S8_S8_S8_S8_S8_EEbEEZNS1_14transform_implILb0ES3_SA_NS6_6detail15normal_iteratorINS6_10device_ptrIS9_EEEENSD_INSE_IbEEEEZNS1_13binary_searchIS3_SA_SG_SG_SI_NS1_16binary_search_opENSC_16wrapped_functionINS0_4lessIvEEbEEEE10hipError_tPvRmT1_T2_T3_mmT4_T5_P12ihipStream_tbEUlRKS9_E_EESP_ST_SU_mSV_SY_bEUlT_E_NS1_11comp_targetILNS1_3genE0ELNS1_11target_archE4294967295ELNS1_3gpuE0ELNS1_3repE0EEENS1_30default_config_static_selectorELNS0_4arch9wavefront6targetE1EEEvSS_.num_agpr, 0
	.set _ZN7rocprim17ROCPRIM_400000_NS6detail17trampoline_kernelINS0_14default_configENS1_29binary_search_config_selectorIN6thrust23THRUST_200600_302600_NS5tupleIiiNS6_9null_typeES8_S8_S8_S8_S8_S8_S8_EEbEEZNS1_14transform_implILb0ES3_SA_NS6_6detail15normal_iteratorINS6_10device_ptrIS9_EEEENSD_INSE_IbEEEEZNS1_13binary_searchIS3_SA_SG_SG_SI_NS1_16binary_search_opENSC_16wrapped_functionINS0_4lessIvEEbEEEE10hipError_tPvRmT1_T2_T3_mmT4_T5_P12ihipStream_tbEUlRKS9_E_EESP_ST_SU_mSV_SY_bEUlT_E_NS1_11comp_targetILNS1_3genE0ELNS1_11target_archE4294967295ELNS1_3gpuE0ELNS1_3repE0EEENS1_30default_config_static_selectorELNS0_4arch9wavefront6targetE1EEEvSS_.numbered_sgpr, 0
	.set _ZN7rocprim17ROCPRIM_400000_NS6detail17trampoline_kernelINS0_14default_configENS1_29binary_search_config_selectorIN6thrust23THRUST_200600_302600_NS5tupleIiiNS6_9null_typeES8_S8_S8_S8_S8_S8_S8_EEbEEZNS1_14transform_implILb0ES3_SA_NS6_6detail15normal_iteratorINS6_10device_ptrIS9_EEEENSD_INSE_IbEEEEZNS1_13binary_searchIS3_SA_SG_SG_SI_NS1_16binary_search_opENSC_16wrapped_functionINS0_4lessIvEEbEEEE10hipError_tPvRmT1_T2_T3_mmT4_T5_P12ihipStream_tbEUlRKS9_E_EESP_ST_SU_mSV_SY_bEUlT_E_NS1_11comp_targetILNS1_3genE0ELNS1_11target_archE4294967295ELNS1_3gpuE0ELNS1_3repE0EEENS1_30default_config_static_selectorELNS0_4arch9wavefront6targetE1EEEvSS_.num_named_barrier, 0
	.set _ZN7rocprim17ROCPRIM_400000_NS6detail17trampoline_kernelINS0_14default_configENS1_29binary_search_config_selectorIN6thrust23THRUST_200600_302600_NS5tupleIiiNS6_9null_typeES8_S8_S8_S8_S8_S8_S8_EEbEEZNS1_14transform_implILb0ES3_SA_NS6_6detail15normal_iteratorINS6_10device_ptrIS9_EEEENSD_INSE_IbEEEEZNS1_13binary_searchIS3_SA_SG_SG_SI_NS1_16binary_search_opENSC_16wrapped_functionINS0_4lessIvEEbEEEE10hipError_tPvRmT1_T2_T3_mmT4_T5_P12ihipStream_tbEUlRKS9_E_EESP_ST_SU_mSV_SY_bEUlT_E_NS1_11comp_targetILNS1_3genE0ELNS1_11target_archE4294967295ELNS1_3gpuE0ELNS1_3repE0EEENS1_30default_config_static_selectorELNS0_4arch9wavefront6targetE1EEEvSS_.private_seg_size, 0
	.set _ZN7rocprim17ROCPRIM_400000_NS6detail17trampoline_kernelINS0_14default_configENS1_29binary_search_config_selectorIN6thrust23THRUST_200600_302600_NS5tupleIiiNS6_9null_typeES8_S8_S8_S8_S8_S8_S8_EEbEEZNS1_14transform_implILb0ES3_SA_NS6_6detail15normal_iteratorINS6_10device_ptrIS9_EEEENSD_INSE_IbEEEEZNS1_13binary_searchIS3_SA_SG_SG_SI_NS1_16binary_search_opENSC_16wrapped_functionINS0_4lessIvEEbEEEE10hipError_tPvRmT1_T2_T3_mmT4_T5_P12ihipStream_tbEUlRKS9_E_EESP_ST_SU_mSV_SY_bEUlT_E_NS1_11comp_targetILNS1_3genE0ELNS1_11target_archE4294967295ELNS1_3gpuE0ELNS1_3repE0EEENS1_30default_config_static_selectorELNS0_4arch9wavefront6targetE1EEEvSS_.uses_vcc, 0
	.set _ZN7rocprim17ROCPRIM_400000_NS6detail17trampoline_kernelINS0_14default_configENS1_29binary_search_config_selectorIN6thrust23THRUST_200600_302600_NS5tupleIiiNS6_9null_typeES8_S8_S8_S8_S8_S8_S8_EEbEEZNS1_14transform_implILb0ES3_SA_NS6_6detail15normal_iteratorINS6_10device_ptrIS9_EEEENSD_INSE_IbEEEEZNS1_13binary_searchIS3_SA_SG_SG_SI_NS1_16binary_search_opENSC_16wrapped_functionINS0_4lessIvEEbEEEE10hipError_tPvRmT1_T2_T3_mmT4_T5_P12ihipStream_tbEUlRKS9_E_EESP_ST_SU_mSV_SY_bEUlT_E_NS1_11comp_targetILNS1_3genE0ELNS1_11target_archE4294967295ELNS1_3gpuE0ELNS1_3repE0EEENS1_30default_config_static_selectorELNS0_4arch9wavefront6targetE1EEEvSS_.uses_flat_scratch, 0
	.set _ZN7rocprim17ROCPRIM_400000_NS6detail17trampoline_kernelINS0_14default_configENS1_29binary_search_config_selectorIN6thrust23THRUST_200600_302600_NS5tupleIiiNS6_9null_typeES8_S8_S8_S8_S8_S8_S8_EEbEEZNS1_14transform_implILb0ES3_SA_NS6_6detail15normal_iteratorINS6_10device_ptrIS9_EEEENSD_INSE_IbEEEEZNS1_13binary_searchIS3_SA_SG_SG_SI_NS1_16binary_search_opENSC_16wrapped_functionINS0_4lessIvEEbEEEE10hipError_tPvRmT1_T2_T3_mmT4_T5_P12ihipStream_tbEUlRKS9_E_EESP_ST_SU_mSV_SY_bEUlT_E_NS1_11comp_targetILNS1_3genE0ELNS1_11target_archE4294967295ELNS1_3gpuE0ELNS1_3repE0EEENS1_30default_config_static_selectorELNS0_4arch9wavefront6targetE1EEEvSS_.has_dyn_sized_stack, 0
	.set _ZN7rocprim17ROCPRIM_400000_NS6detail17trampoline_kernelINS0_14default_configENS1_29binary_search_config_selectorIN6thrust23THRUST_200600_302600_NS5tupleIiiNS6_9null_typeES8_S8_S8_S8_S8_S8_S8_EEbEEZNS1_14transform_implILb0ES3_SA_NS6_6detail15normal_iteratorINS6_10device_ptrIS9_EEEENSD_INSE_IbEEEEZNS1_13binary_searchIS3_SA_SG_SG_SI_NS1_16binary_search_opENSC_16wrapped_functionINS0_4lessIvEEbEEEE10hipError_tPvRmT1_T2_T3_mmT4_T5_P12ihipStream_tbEUlRKS9_E_EESP_ST_SU_mSV_SY_bEUlT_E_NS1_11comp_targetILNS1_3genE0ELNS1_11target_archE4294967295ELNS1_3gpuE0ELNS1_3repE0EEENS1_30default_config_static_selectorELNS0_4arch9wavefront6targetE1EEEvSS_.has_recursion, 0
	.set _ZN7rocprim17ROCPRIM_400000_NS6detail17trampoline_kernelINS0_14default_configENS1_29binary_search_config_selectorIN6thrust23THRUST_200600_302600_NS5tupleIiiNS6_9null_typeES8_S8_S8_S8_S8_S8_S8_EEbEEZNS1_14transform_implILb0ES3_SA_NS6_6detail15normal_iteratorINS6_10device_ptrIS9_EEEENSD_INSE_IbEEEEZNS1_13binary_searchIS3_SA_SG_SG_SI_NS1_16binary_search_opENSC_16wrapped_functionINS0_4lessIvEEbEEEE10hipError_tPvRmT1_T2_T3_mmT4_T5_P12ihipStream_tbEUlRKS9_E_EESP_ST_SU_mSV_SY_bEUlT_E_NS1_11comp_targetILNS1_3genE0ELNS1_11target_archE4294967295ELNS1_3gpuE0ELNS1_3repE0EEENS1_30default_config_static_selectorELNS0_4arch9wavefront6targetE1EEEvSS_.has_indirect_call, 0
	.section	.AMDGPU.csdata,"",@progbits
; Kernel info:
; codeLenInByte = 0
; TotalNumSgprs: 4
; NumVgprs: 0
; ScratchSize: 0
; MemoryBound: 0
; FloatMode: 240
; IeeeMode: 1
; LDSByteSize: 0 bytes/workgroup (compile time only)
; SGPRBlocks: 0
; VGPRBlocks: 0
; NumSGPRsForWavesPerEU: 4
; NumVGPRsForWavesPerEU: 1
; Occupancy: 10
; WaveLimiterHint : 0
; COMPUTE_PGM_RSRC2:SCRATCH_EN: 0
; COMPUTE_PGM_RSRC2:USER_SGPR: 6
; COMPUTE_PGM_RSRC2:TRAP_HANDLER: 0
; COMPUTE_PGM_RSRC2:TGID_X_EN: 1
; COMPUTE_PGM_RSRC2:TGID_Y_EN: 0
; COMPUTE_PGM_RSRC2:TGID_Z_EN: 0
; COMPUTE_PGM_RSRC2:TIDIG_COMP_CNT: 0
	.section	.text._ZN7rocprim17ROCPRIM_400000_NS6detail17trampoline_kernelINS0_14default_configENS1_29binary_search_config_selectorIN6thrust23THRUST_200600_302600_NS5tupleIiiNS6_9null_typeES8_S8_S8_S8_S8_S8_S8_EEbEEZNS1_14transform_implILb0ES3_SA_NS6_6detail15normal_iteratorINS6_10device_ptrIS9_EEEENSD_INSE_IbEEEEZNS1_13binary_searchIS3_SA_SG_SG_SI_NS1_16binary_search_opENSC_16wrapped_functionINS0_4lessIvEEbEEEE10hipError_tPvRmT1_T2_T3_mmT4_T5_P12ihipStream_tbEUlRKS9_E_EESP_ST_SU_mSV_SY_bEUlT_E_NS1_11comp_targetILNS1_3genE5ELNS1_11target_archE942ELNS1_3gpuE9ELNS1_3repE0EEENS1_30default_config_static_selectorELNS0_4arch9wavefront6targetE1EEEvSS_,"axG",@progbits,_ZN7rocprim17ROCPRIM_400000_NS6detail17trampoline_kernelINS0_14default_configENS1_29binary_search_config_selectorIN6thrust23THRUST_200600_302600_NS5tupleIiiNS6_9null_typeES8_S8_S8_S8_S8_S8_S8_EEbEEZNS1_14transform_implILb0ES3_SA_NS6_6detail15normal_iteratorINS6_10device_ptrIS9_EEEENSD_INSE_IbEEEEZNS1_13binary_searchIS3_SA_SG_SG_SI_NS1_16binary_search_opENSC_16wrapped_functionINS0_4lessIvEEbEEEE10hipError_tPvRmT1_T2_T3_mmT4_T5_P12ihipStream_tbEUlRKS9_E_EESP_ST_SU_mSV_SY_bEUlT_E_NS1_11comp_targetILNS1_3genE5ELNS1_11target_archE942ELNS1_3gpuE9ELNS1_3repE0EEENS1_30default_config_static_selectorELNS0_4arch9wavefront6targetE1EEEvSS_,comdat
	.protected	_ZN7rocprim17ROCPRIM_400000_NS6detail17trampoline_kernelINS0_14default_configENS1_29binary_search_config_selectorIN6thrust23THRUST_200600_302600_NS5tupleIiiNS6_9null_typeES8_S8_S8_S8_S8_S8_S8_EEbEEZNS1_14transform_implILb0ES3_SA_NS6_6detail15normal_iteratorINS6_10device_ptrIS9_EEEENSD_INSE_IbEEEEZNS1_13binary_searchIS3_SA_SG_SG_SI_NS1_16binary_search_opENSC_16wrapped_functionINS0_4lessIvEEbEEEE10hipError_tPvRmT1_T2_T3_mmT4_T5_P12ihipStream_tbEUlRKS9_E_EESP_ST_SU_mSV_SY_bEUlT_E_NS1_11comp_targetILNS1_3genE5ELNS1_11target_archE942ELNS1_3gpuE9ELNS1_3repE0EEENS1_30default_config_static_selectorELNS0_4arch9wavefront6targetE1EEEvSS_ ; -- Begin function _ZN7rocprim17ROCPRIM_400000_NS6detail17trampoline_kernelINS0_14default_configENS1_29binary_search_config_selectorIN6thrust23THRUST_200600_302600_NS5tupleIiiNS6_9null_typeES8_S8_S8_S8_S8_S8_S8_EEbEEZNS1_14transform_implILb0ES3_SA_NS6_6detail15normal_iteratorINS6_10device_ptrIS9_EEEENSD_INSE_IbEEEEZNS1_13binary_searchIS3_SA_SG_SG_SI_NS1_16binary_search_opENSC_16wrapped_functionINS0_4lessIvEEbEEEE10hipError_tPvRmT1_T2_T3_mmT4_T5_P12ihipStream_tbEUlRKS9_E_EESP_ST_SU_mSV_SY_bEUlT_E_NS1_11comp_targetILNS1_3genE5ELNS1_11target_archE942ELNS1_3gpuE9ELNS1_3repE0EEENS1_30default_config_static_selectorELNS0_4arch9wavefront6targetE1EEEvSS_
	.globl	_ZN7rocprim17ROCPRIM_400000_NS6detail17trampoline_kernelINS0_14default_configENS1_29binary_search_config_selectorIN6thrust23THRUST_200600_302600_NS5tupleIiiNS6_9null_typeES8_S8_S8_S8_S8_S8_S8_EEbEEZNS1_14transform_implILb0ES3_SA_NS6_6detail15normal_iteratorINS6_10device_ptrIS9_EEEENSD_INSE_IbEEEEZNS1_13binary_searchIS3_SA_SG_SG_SI_NS1_16binary_search_opENSC_16wrapped_functionINS0_4lessIvEEbEEEE10hipError_tPvRmT1_T2_T3_mmT4_T5_P12ihipStream_tbEUlRKS9_E_EESP_ST_SU_mSV_SY_bEUlT_E_NS1_11comp_targetILNS1_3genE5ELNS1_11target_archE942ELNS1_3gpuE9ELNS1_3repE0EEENS1_30default_config_static_selectorELNS0_4arch9wavefront6targetE1EEEvSS_
	.p2align	8
	.type	_ZN7rocprim17ROCPRIM_400000_NS6detail17trampoline_kernelINS0_14default_configENS1_29binary_search_config_selectorIN6thrust23THRUST_200600_302600_NS5tupleIiiNS6_9null_typeES8_S8_S8_S8_S8_S8_S8_EEbEEZNS1_14transform_implILb0ES3_SA_NS6_6detail15normal_iteratorINS6_10device_ptrIS9_EEEENSD_INSE_IbEEEEZNS1_13binary_searchIS3_SA_SG_SG_SI_NS1_16binary_search_opENSC_16wrapped_functionINS0_4lessIvEEbEEEE10hipError_tPvRmT1_T2_T3_mmT4_T5_P12ihipStream_tbEUlRKS9_E_EESP_ST_SU_mSV_SY_bEUlT_E_NS1_11comp_targetILNS1_3genE5ELNS1_11target_archE942ELNS1_3gpuE9ELNS1_3repE0EEENS1_30default_config_static_selectorELNS0_4arch9wavefront6targetE1EEEvSS_,@function
_ZN7rocprim17ROCPRIM_400000_NS6detail17trampoline_kernelINS0_14default_configENS1_29binary_search_config_selectorIN6thrust23THRUST_200600_302600_NS5tupleIiiNS6_9null_typeES8_S8_S8_S8_S8_S8_S8_EEbEEZNS1_14transform_implILb0ES3_SA_NS6_6detail15normal_iteratorINS6_10device_ptrIS9_EEEENSD_INSE_IbEEEEZNS1_13binary_searchIS3_SA_SG_SG_SI_NS1_16binary_search_opENSC_16wrapped_functionINS0_4lessIvEEbEEEE10hipError_tPvRmT1_T2_T3_mmT4_T5_P12ihipStream_tbEUlRKS9_E_EESP_ST_SU_mSV_SY_bEUlT_E_NS1_11comp_targetILNS1_3genE5ELNS1_11target_archE942ELNS1_3gpuE9ELNS1_3repE0EEENS1_30default_config_static_selectorELNS0_4arch9wavefront6targetE1EEEvSS_: ; @_ZN7rocprim17ROCPRIM_400000_NS6detail17trampoline_kernelINS0_14default_configENS1_29binary_search_config_selectorIN6thrust23THRUST_200600_302600_NS5tupleIiiNS6_9null_typeES8_S8_S8_S8_S8_S8_S8_EEbEEZNS1_14transform_implILb0ES3_SA_NS6_6detail15normal_iteratorINS6_10device_ptrIS9_EEEENSD_INSE_IbEEEEZNS1_13binary_searchIS3_SA_SG_SG_SI_NS1_16binary_search_opENSC_16wrapped_functionINS0_4lessIvEEbEEEE10hipError_tPvRmT1_T2_T3_mmT4_T5_P12ihipStream_tbEUlRKS9_E_EESP_ST_SU_mSV_SY_bEUlT_E_NS1_11comp_targetILNS1_3genE5ELNS1_11target_archE942ELNS1_3gpuE9ELNS1_3repE0EEENS1_30default_config_static_selectorELNS0_4arch9wavefront6targetE1EEEvSS_
; %bb.0:
	.section	.rodata,"a",@progbits
	.p2align	6, 0x0
	.amdhsa_kernel _ZN7rocprim17ROCPRIM_400000_NS6detail17trampoline_kernelINS0_14default_configENS1_29binary_search_config_selectorIN6thrust23THRUST_200600_302600_NS5tupleIiiNS6_9null_typeES8_S8_S8_S8_S8_S8_S8_EEbEEZNS1_14transform_implILb0ES3_SA_NS6_6detail15normal_iteratorINS6_10device_ptrIS9_EEEENSD_INSE_IbEEEEZNS1_13binary_searchIS3_SA_SG_SG_SI_NS1_16binary_search_opENSC_16wrapped_functionINS0_4lessIvEEbEEEE10hipError_tPvRmT1_T2_T3_mmT4_T5_P12ihipStream_tbEUlRKS9_E_EESP_ST_SU_mSV_SY_bEUlT_E_NS1_11comp_targetILNS1_3genE5ELNS1_11target_archE942ELNS1_3gpuE9ELNS1_3repE0EEENS1_30default_config_static_selectorELNS0_4arch9wavefront6targetE1EEEvSS_
		.amdhsa_group_segment_fixed_size 0
		.amdhsa_private_segment_fixed_size 0
		.amdhsa_kernarg_size 56
		.amdhsa_user_sgpr_count 6
		.amdhsa_user_sgpr_private_segment_buffer 1
		.amdhsa_user_sgpr_dispatch_ptr 0
		.amdhsa_user_sgpr_queue_ptr 0
		.amdhsa_user_sgpr_kernarg_segment_ptr 1
		.amdhsa_user_sgpr_dispatch_id 0
		.amdhsa_user_sgpr_flat_scratch_init 0
		.amdhsa_user_sgpr_private_segment_size 0
		.amdhsa_uses_dynamic_stack 0
		.amdhsa_system_sgpr_private_segment_wavefront_offset 0
		.amdhsa_system_sgpr_workgroup_id_x 1
		.amdhsa_system_sgpr_workgroup_id_y 0
		.amdhsa_system_sgpr_workgroup_id_z 0
		.amdhsa_system_sgpr_workgroup_info 0
		.amdhsa_system_vgpr_workitem_id 0
		.amdhsa_next_free_vgpr 1
		.amdhsa_next_free_sgpr 0
		.amdhsa_reserve_vcc 0
		.amdhsa_reserve_flat_scratch 0
		.amdhsa_float_round_mode_32 0
		.amdhsa_float_round_mode_16_64 0
		.amdhsa_float_denorm_mode_32 3
		.amdhsa_float_denorm_mode_16_64 3
		.amdhsa_dx10_clamp 1
		.amdhsa_ieee_mode 1
		.amdhsa_fp16_overflow 0
		.amdhsa_exception_fp_ieee_invalid_op 0
		.amdhsa_exception_fp_denorm_src 0
		.amdhsa_exception_fp_ieee_div_zero 0
		.amdhsa_exception_fp_ieee_overflow 0
		.amdhsa_exception_fp_ieee_underflow 0
		.amdhsa_exception_fp_ieee_inexact 0
		.amdhsa_exception_int_div_zero 0
	.end_amdhsa_kernel
	.section	.text._ZN7rocprim17ROCPRIM_400000_NS6detail17trampoline_kernelINS0_14default_configENS1_29binary_search_config_selectorIN6thrust23THRUST_200600_302600_NS5tupleIiiNS6_9null_typeES8_S8_S8_S8_S8_S8_S8_EEbEEZNS1_14transform_implILb0ES3_SA_NS6_6detail15normal_iteratorINS6_10device_ptrIS9_EEEENSD_INSE_IbEEEEZNS1_13binary_searchIS3_SA_SG_SG_SI_NS1_16binary_search_opENSC_16wrapped_functionINS0_4lessIvEEbEEEE10hipError_tPvRmT1_T2_T3_mmT4_T5_P12ihipStream_tbEUlRKS9_E_EESP_ST_SU_mSV_SY_bEUlT_E_NS1_11comp_targetILNS1_3genE5ELNS1_11target_archE942ELNS1_3gpuE9ELNS1_3repE0EEENS1_30default_config_static_selectorELNS0_4arch9wavefront6targetE1EEEvSS_,"axG",@progbits,_ZN7rocprim17ROCPRIM_400000_NS6detail17trampoline_kernelINS0_14default_configENS1_29binary_search_config_selectorIN6thrust23THRUST_200600_302600_NS5tupleIiiNS6_9null_typeES8_S8_S8_S8_S8_S8_S8_EEbEEZNS1_14transform_implILb0ES3_SA_NS6_6detail15normal_iteratorINS6_10device_ptrIS9_EEEENSD_INSE_IbEEEEZNS1_13binary_searchIS3_SA_SG_SG_SI_NS1_16binary_search_opENSC_16wrapped_functionINS0_4lessIvEEbEEEE10hipError_tPvRmT1_T2_T3_mmT4_T5_P12ihipStream_tbEUlRKS9_E_EESP_ST_SU_mSV_SY_bEUlT_E_NS1_11comp_targetILNS1_3genE5ELNS1_11target_archE942ELNS1_3gpuE9ELNS1_3repE0EEENS1_30default_config_static_selectorELNS0_4arch9wavefront6targetE1EEEvSS_,comdat
.Lfunc_end762:
	.size	_ZN7rocprim17ROCPRIM_400000_NS6detail17trampoline_kernelINS0_14default_configENS1_29binary_search_config_selectorIN6thrust23THRUST_200600_302600_NS5tupleIiiNS6_9null_typeES8_S8_S8_S8_S8_S8_S8_EEbEEZNS1_14transform_implILb0ES3_SA_NS6_6detail15normal_iteratorINS6_10device_ptrIS9_EEEENSD_INSE_IbEEEEZNS1_13binary_searchIS3_SA_SG_SG_SI_NS1_16binary_search_opENSC_16wrapped_functionINS0_4lessIvEEbEEEE10hipError_tPvRmT1_T2_T3_mmT4_T5_P12ihipStream_tbEUlRKS9_E_EESP_ST_SU_mSV_SY_bEUlT_E_NS1_11comp_targetILNS1_3genE5ELNS1_11target_archE942ELNS1_3gpuE9ELNS1_3repE0EEENS1_30default_config_static_selectorELNS0_4arch9wavefront6targetE1EEEvSS_, .Lfunc_end762-_ZN7rocprim17ROCPRIM_400000_NS6detail17trampoline_kernelINS0_14default_configENS1_29binary_search_config_selectorIN6thrust23THRUST_200600_302600_NS5tupleIiiNS6_9null_typeES8_S8_S8_S8_S8_S8_S8_EEbEEZNS1_14transform_implILb0ES3_SA_NS6_6detail15normal_iteratorINS6_10device_ptrIS9_EEEENSD_INSE_IbEEEEZNS1_13binary_searchIS3_SA_SG_SG_SI_NS1_16binary_search_opENSC_16wrapped_functionINS0_4lessIvEEbEEEE10hipError_tPvRmT1_T2_T3_mmT4_T5_P12ihipStream_tbEUlRKS9_E_EESP_ST_SU_mSV_SY_bEUlT_E_NS1_11comp_targetILNS1_3genE5ELNS1_11target_archE942ELNS1_3gpuE9ELNS1_3repE0EEENS1_30default_config_static_selectorELNS0_4arch9wavefront6targetE1EEEvSS_
                                        ; -- End function
	.set _ZN7rocprim17ROCPRIM_400000_NS6detail17trampoline_kernelINS0_14default_configENS1_29binary_search_config_selectorIN6thrust23THRUST_200600_302600_NS5tupleIiiNS6_9null_typeES8_S8_S8_S8_S8_S8_S8_EEbEEZNS1_14transform_implILb0ES3_SA_NS6_6detail15normal_iteratorINS6_10device_ptrIS9_EEEENSD_INSE_IbEEEEZNS1_13binary_searchIS3_SA_SG_SG_SI_NS1_16binary_search_opENSC_16wrapped_functionINS0_4lessIvEEbEEEE10hipError_tPvRmT1_T2_T3_mmT4_T5_P12ihipStream_tbEUlRKS9_E_EESP_ST_SU_mSV_SY_bEUlT_E_NS1_11comp_targetILNS1_3genE5ELNS1_11target_archE942ELNS1_3gpuE9ELNS1_3repE0EEENS1_30default_config_static_selectorELNS0_4arch9wavefront6targetE1EEEvSS_.num_vgpr, 0
	.set _ZN7rocprim17ROCPRIM_400000_NS6detail17trampoline_kernelINS0_14default_configENS1_29binary_search_config_selectorIN6thrust23THRUST_200600_302600_NS5tupleIiiNS6_9null_typeES8_S8_S8_S8_S8_S8_S8_EEbEEZNS1_14transform_implILb0ES3_SA_NS6_6detail15normal_iteratorINS6_10device_ptrIS9_EEEENSD_INSE_IbEEEEZNS1_13binary_searchIS3_SA_SG_SG_SI_NS1_16binary_search_opENSC_16wrapped_functionINS0_4lessIvEEbEEEE10hipError_tPvRmT1_T2_T3_mmT4_T5_P12ihipStream_tbEUlRKS9_E_EESP_ST_SU_mSV_SY_bEUlT_E_NS1_11comp_targetILNS1_3genE5ELNS1_11target_archE942ELNS1_3gpuE9ELNS1_3repE0EEENS1_30default_config_static_selectorELNS0_4arch9wavefront6targetE1EEEvSS_.num_agpr, 0
	.set _ZN7rocprim17ROCPRIM_400000_NS6detail17trampoline_kernelINS0_14default_configENS1_29binary_search_config_selectorIN6thrust23THRUST_200600_302600_NS5tupleIiiNS6_9null_typeES8_S8_S8_S8_S8_S8_S8_EEbEEZNS1_14transform_implILb0ES3_SA_NS6_6detail15normal_iteratorINS6_10device_ptrIS9_EEEENSD_INSE_IbEEEEZNS1_13binary_searchIS3_SA_SG_SG_SI_NS1_16binary_search_opENSC_16wrapped_functionINS0_4lessIvEEbEEEE10hipError_tPvRmT1_T2_T3_mmT4_T5_P12ihipStream_tbEUlRKS9_E_EESP_ST_SU_mSV_SY_bEUlT_E_NS1_11comp_targetILNS1_3genE5ELNS1_11target_archE942ELNS1_3gpuE9ELNS1_3repE0EEENS1_30default_config_static_selectorELNS0_4arch9wavefront6targetE1EEEvSS_.numbered_sgpr, 0
	.set _ZN7rocprim17ROCPRIM_400000_NS6detail17trampoline_kernelINS0_14default_configENS1_29binary_search_config_selectorIN6thrust23THRUST_200600_302600_NS5tupleIiiNS6_9null_typeES8_S8_S8_S8_S8_S8_S8_EEbEEZNS1_14transform_implILb0ES3_SA_NS6_6detail15normal_iteratorINS6_10device_ptrIS9_EEEENSD_INSE_IbEEEEZNS1_13binary_searchIS3_SA_SG_SG_SI_NS1_16binary_search_opENSC_16wrapped_functionINS0_4lessIvEEbEEEE10hipError_tPvRmT1_T2_T3_mmT4_T5_P12ihipStream_tbEUlRKS9_E_EESP_ST_SU_mSV_SY_bEUlT_E_NS1_11comp_targetILNS1_3genE5ELNS1_11target_archE942ELNS1_3gpuE9ELNS1_3repE0EEENS1_30default_config_static_selectorELNS0_4arch9wavefront6targetE1EEEvSS_.num_named_barrier, 0
	.set _ZN7rocprim17ROCPRIM_400000_NS6detail17trampoline_kernelINS0_14default_configENS1_29binary_search_config_selectorIN6thrust23THRUST_200600_302600_NS5tupleIiiNS6_9null_typeES8_S8_S8_S8_S8_S8_S8_EEbEEZNS1_14transform_implILb0ES3_SA_NS6_6detail15normal_iteratorINS6_10device_ptrIS9_EEEENSD_INSE_IbEEEEZNS1_13binary_searchIS3_SA_SG_SG_SI_NS1_16binary_search_opENSC_16wrapped_functionINS0_4lessIvEEbEEEE10hipError_tPvRmT1_T2_T3_mmT4_T5_P12ihipStream_tbEUlRKS9_E_EESP_ST_SU_mSV_SY_bEUlT_E_NS1_11comp_targetILNS1_3genE5ELNS1_11target_archE942ELNS1_3gpuE9ELNS1_3repE0EEENS1_30default_config_static_selectorELNS0_4arch9wavefront6targetE1EEEvSS_.private_seg_size, 0
	.set _ZN7rocprim17ROCPRIM_400000_NS6detail17trampoline_kernelINS0_14default_configENS1_29binary_search_config_selectorIN6thrust23THRUST_200600_302600_NS5tupleIiiNS6_9null_typeES8_S8_S8_S8_S8_S8_S8_EEbEEZNS1_14transform_implILb0ES3_SA_NS6_6detail15normal_iteratorINS6_10device_ptrIS9_EEEENSD_INSE_IbEEEEZNS1_13binary_searchIS3_SA_SG_SG_SI_NS1_16binary_search_opENSC_16wrapped_functionINS0_4lessIvEEbEEEE10hipError_tPvRmT1_T2_T3_mmT4_T5_P12ihipStream_tbEUlRKS9_E_EESP_ST_SU_mSV_SY_bEUlT_E_NS1_11comp_targetILNS1_3genE5ELNS1_11target_archE942ELNS1_3gpuE9ELNS1_3repE0EEENS1_30default_config_static_selectorELNS0_4arch9wavefront6targetE1EEEvSS_.uses_vcc, 0
	.set _ZN7rocprim17ROCPRIM_400000_NS6detail17trampoline_kernelINS0_14default_configENS1_29binary_search_config_selectorIN6thrust23THRUST_200600_302600_NS5tupleIiiNS6_9null_typeES8_S8_S8_S8_S8_S8_S8_EEbEEZNS1_14transform_implILb0ES3_SA_NS6_6detail15normal_iteratorINS6_10device_ptrIS9_EEEENSD_INSE_IbEEEEZNS1_13binary_searchIS3_SA_SG_SG_SI_NS1_16binary_search_opENSC_16wrapped_functionINS0_4lessIvEEbEEEE10hipError_tPvRmT1_T2_T3_mmT4_T5_P12ihipStream_tbEUlRKS9_E_EESP_ST_SU_mSV_SY_bEUlT_E_NS1_11comp_targetILNS1_3genE5ELNS1_11target_archE942ELNS1_3gpuE9ELNS1_3repE0EEENS1_30default_config_static_selectorELNS0_4arch9wavefront6targetE1EEEvSS_.uses_flat_scratch, 0
	.set _ZN7rocprim17ROCPRIM_400000_NS6detail17trampoline_kernelINS0_14default_configENS1_29binary_search_config_selectorIN6thrust23THRUST_200600_302600_NS5tupleIiiNS6_9null_typeES8_S8_S8_S8_S8_S8_S8_EEbEEZNS1_14transform_implILb0ES3_SA_NS6_6detail15normal_iteratorINS6_10device_ptrIS9_EEEENSD_INSE_IbEEEEZNS1_13binary_searchIS3_SA_SG_SG_SI_NS1_16binary_search_opENSC_16wrapped_functionINS0_4lessIvEEbEEEE10hipError_tPvRmT1_T2_T3_mmT4_T5_P12ihipStream_tbEUlRKS9_E_EESP_ST_SU_mSV_SY_bEUlT_E_NS1_11comp_targetILNS1_3genE5ELNS1_11target_archE942ELNS1_3gpuE9ELNS1_3repE0EEENS1_30default_config_static_selectorELNS0_4arch9wavefront6targetE1EEEvSS_.has_dyn_sized_stack, 0
	.set _ZN7rocprim17ROCPRIM_400000_NS6detail17trampoline_kernelINS0_14default_configENS1_29binary_search_config_selectorIN6thrust23THRUST_200600_302600_NS5tupleIiiNS6_9null_typeES8_S8_S8_S8_S8_S8_S8_EEbEEZNS1_14transform_implILb0ES3_SA_NS6_6detail15normal_iteratorINS6_10device_ptrIS9_EEEENSD_INSE_IbEEEEZNS1_13binary_searchIS3_SA_SG_SG_SI_NS1_16binary_search_opENSC_16wrapped_functionINS0_4lessIvEEbEEEE10hipError_tPvRmT1_T2_T3_mmT4_T5_P12ihipStream_tbEUlRKS9_E_EESP_ST_SU_mSV_SY_bEUlT_E_NS1_11comp_targetILNS1_3genE5ELNS1_11target_archE942ELNS1_3gpuE9ELNS1_3repE0EEENS1_30default_config_static_selectorELNS0_4arch9wavefront6targetE1EEEvSS_.has_recursion, 0
	.set _ZN7rocprim17ROCPRIM_400000_NS6detail17trampoline_kernelINS0_14default_configENS1_29binary_search_config_selectorIN6thrust23THRUST_200600_302600_NS5tupleIiiNS6_9null_typeES8_S8_S8_S8_S8_S8_S8_EEbEEZNS1_14transform_implILb0ES3_SA_NS6_6detail15normal_iteratorINS6_10device_ptrIS9_EEEENSD_INSE_IbEEEEZNS1_13binary_searchIS3_SA_SG_SG_SI_NS1_16binary_search_opENSC_16wrapped_functionINS0_4lessIvEEbEEEE10hipError_tPvRmT1_T2_T3_mmT4_T5_P12ihipStream_tbEUlRKS9_E_EESP_ST_SU_mSV_SY_bEUlT_E_NS1_11comp_targetILNS1_3genE5ELNS1_11target_archE942ELNS1_3gpuE9ELNS1_3repE0EEENS1_30default_config_static_selectorELNS0_4arch9wavefront6targetE1EEEvSS_.has_indirect_call, 0
	.section	.AMDGPU.csdata,"",@progbits
; Kernel info:
; codeLenInByte = 0
; TotalNumSgprs: 4
; NumVgprs: 0
; ScratchSize: 0
; MemoryBound: 0
; FloatMode: 240
; IeeeMode: 1
; LDSByteSize: 0 bytes/workgroup (compile time only)
; SGPRBlocks: 0
; VGPRBlocks: 0
; NumSGPRsForWavesPerEU: 4
; NumVGPRsForWavesPerEU: 1
; Occupancy: 10
; WaveLimiterHint : 0
; COMPUTE_PGM_RSRC2:SCRATCH_EN: 0
; COMPUTE_PGM_RSRC2:USER_SGPR: 6
; COMPUTE_PGM_RSRC2:TRAP_HANDLER: 0
; COMPUTE_PGM_RSRC2:TGID_X_EN: 1
; COMPUTE_PGM_RSRC2:TGID_Y_EN: 0
; COMPUTE_PGM_RSRC2:TGID_Z_EN: 0
; COMPUTE_PGM_RSRC2:TIDIG_COMP_CNT: 0
	.section	.text._ZN7rocprim17ROCPRIM_400000_NS6detail17trampoline_kernelINS0_14default_configENS1_29binary_search_config_selectorIN6thrust23THRUST_200600_302600_NS5tupleIiiNS6_9null_typeES8_S8_S8_S8_S8_S8_S8_EEbEEZNS1_14transform_implILb0ES3_SA_NS6_6detail15normal_iteratorINS6_10device_ptrIS9_EEEENSD_INSE_IbEEEEZNS1_13binary_searchIS3_SA_SG_SG_SI_NS1_16binary_search_opENSC_16wrapped_functionINS0_4lessIvEEbEEEE10hipError_tPvRmT1_T2_T3_mmT4_T5_P12ihipStream_tbEUlRKS9_E_EESP_ST_SU_mSV_SY_bEUlT_E_NS1_11comp_targetILNS1_3genE4ELNS1_11target_archE910ELNS1_3gpuE8ELNS1_3repE0EEENS1_30default_config_static_selectorELNS0_4arch9wavefront6targetE1EEEvSS_,"axG",@progbits,_ZN7rocprim17ROCPRIM_400000_NS6detail17trampoline_kernelINS0_14default_configENS1_29binary_search_config_selectorIN6thrust23THRUST_200600_302600_NS5tupleIiiNS6_9null_typeES8_S8_S8_S8_S8_S8_S8_EEbEEZNS1_14transform_implILb0ES3_SA_NS6_6detail15normal_iteratorINS6_10device_ptrIS9_EEEENSD_INSE_IbEEEEZNS1_13binary_searchIS3_SA_SG_SG_SI_NS1_16binary_search_opENSC_16wrapped_functionINS0_4lessIvEEbEEEE10hipError_tPvRmT1_T2_T3_mmT4_T5_P12ihipStream_tbEUlRKS9_E_EESP_ST_SU_mSV_SY_bEUlT_E_NS1_11comp_targetILNS1_3genE4ELNS1_11target_archE910ELNS1_3gpuE8ELNS1_3repE0EEENS1_30default_config_static_selectorELNS0_4arch9wavefront6targetE1EEEvSS_,comdat
	.protected	_ZN7rocprim17ROCPRIM_400000_NS6detail17trampoline_kernelINS0_14default_configENS1_29binary_search_config_selectorIN6thrust23THRUST_200600_302600_NS5tupleIiiNS6_9null_typeES8_S8_S8_S8_S8_S8_S8_EEbEEZNS1_14transform_implILb0ES3_SA_NS6_6detail15normal_iteratorINS6_10device_ptrIS9_EEEENSD_INSE_IbEEEEZNS1_13binary_searchIS3_SA_SG_SG_SI_NS1_16binary_search_opENSC_16wrapped_functionINS0_4lessIvEEbEEEE10hipError_tPvRmT1_T2_T3_mmT4_T5_P12ihipStream_tbEUlRKS9_E_EESP_ST_SU_mSV_SY_bEUlT_E_NS1_11comp_targetILNS1_3genE4ELNS1_11target_archE910ELNS1_3gpuE8ELNS1_3repE0EEENS1_30default_config_static_selectorELNS0_4arch9wavefront6targetE1EEEvSS_ ; -- Begin function _ZN7rocprim17ROCPRIM_400000_NS6detail17trampoline_kernelINS0_14default_configENS1_29binary_search_config_selectorIN6thrust23THRUST_200600_302600_NS5tupleIiiNS6_9null_typeES8_S8_S8_S8_S8_S8_S8_EEbEEZNS1_14transform_implILb0ES3_SA_NS6_6detail15normal_iteratorINS6_10device_ptrIS9_EEEENSD_INSE_IbEEEEZNS1_13binary_searchIS3_SA_SG_SG_SI_NS1_16binary_search_opENSC_16wrapped_functionINS0_4lessIvEEbEEEE10hipError_tPvRmT1_T2_T3_mmT4_T5_P12ihipStream_tbEUlRKS9_E_EESP_ST_SU_mSV_SY_bEUlT_E_NS1_11comp_targetILNS1_3genE4ELNS1_11target_archE910ELNS1_3gpuE8ELNS1_3repE0EEENS1_30default_config_static_selectorELNS0_4arch9wavefront6targetE1EEEvSS_
	.globl	_ZN7rocprim17ROCPRIM_400000_NS6detail17trampoline_kernelINS0_14default_configENS1_29binary_search_config_selectorIN6thrust23THRUST_200600_302600_NS5tupleIiiNS6_9null_typeES8_S8_S8_S8_S8_S8_S8_EEbEEZNS1_14transform_implILb0ES3_SA_NS6_6detail15normal_iteratorINS6_10device_ptrIS9_EEEENSD_INSE_IbEEEEZNS1_13binary_searchIS3_SA_SG_SG_SI_NS1_16binary_search_opENSC_16wrapped_functionINS0_4lessIvEEbEEEE10hipError_tPvRmT1_T2_T3_mmT4_T5_P12ihipStream_tbEUlRKS9_E_EESP_ST_SU_mSV_SY_bEUlT_E_NS1_11comp_targetILNS1_3genE4ELNS1_11target_archE910ELNS1_3gpuE8ELNS1_3repE0EEENS1_30default_config_static_selectorELNS0_4arch9wavefront6targetE1EEEvSS_
	.p2align	8
	.type	_ZN7rocprim17ROCPRIM_400000_NS6detail17trampoline_kernelINS0_14default_configENS1_29binary_search_config_selectorIN6thrust23THRUST_200600_302600_NS5tupleIiiNS6_9null_typeES8_S8_S8_S8_S8_S8_S8_EEbEEZNS1_14transform_implILb0ES3_SA_NS6_6detail15normal_iteratorINS6_10device_ptrIS9_EEEENSD_INSE_IbEEEEZNS1_13binary_searchIS3_SA_SG_SG_SI_NS1_16binary_search_opENSC_16wrapped_functionINS0_4lessIvEEbEEEE10hipError_tPvRmT1_T2_T3_mmT4_T5_P12ihipStream_tbEUlRKS9_E_EESP_ST_SU_mSV_SY_bEUlT_E_NS1_11comp_targetILNS1_3genE4ELNS1_11target_archE910ELNS1_3gpuE8ELNS1_3repE0EEENS1_30default_config_static_selectorELNS0_4arch9wavefront6targetE1EEEvSS_,@function
_ZN7rocprim17ROCPRIM_400000_NS6detail17trampoline_kernelINS0_14default_configENS1_29binary_search_config_selectorIN6thrust23THRUST_200600_302600_NS5tupleIiiNS6_9null_typeES8_S8_S8_S8_S8_S8_S8_EEbEEZNS1_14transform_implILb0ES3_SA_NS6_6detail15normal_iteratorINS6_10device_ptrIS9_EEEENSD_INSE_IbEEEEZNS1_13binary_searchIS3_SA_SG_SG_SI_NS1_16binary_search_opENSC_16wrapped_functionINS0_4lessIvEEbEEEE10hipError_tPvRmT1_T2_T3_mmT4_T5_P12ihipStream_tbEUlRKS9_E_EESP_ST_SU_mSV_SY_bEUlT_E_NS1_11comp_targetILNS1_3genE4ELNS1_11target_archE910ELNS1_3gpuE8ELNS1_3repE0EEENS1_30default_config_static_selectorELNS0_4arch9wavefront6targetE1EEEvSS_: ; @_ZN7rocprim17ROCPRIM_400000_NS6detail17trampoline_kernelINS0_14default_configENS1_29binary_search_config_selectorIN6thrust23THRUST_200600_302600_NS5tupleIiiNS6_9null_typeES8_S8_S8_S8_S8_S8_S8_EEbEEZNS1_14transform_implILb0ES3_SA_NS6_6detail15normal_iteratorINS6_10device_ptrIS9_EEEENSD_INSE_IbEEEEZNS1_13binary_searchIS3_SA_SG_SG_SI_NS1_16binary_search_opENSC_16wrapped_functionINS0_4lessIvEEbEEEE10hipError_tPvRmT1_T2_T3_mmT4_T5_P12ihipStream_tbEUlRKS9_E_EESP_ST_SU_mSV_SY_bEUlT_E_NS1_11comp_targetILNS1_3genE4ELNS1_11target_archE910ELNS1_3gpuE8ELNS1_3repE0EEENS1_30default_config_static_selectorELNS0_4arch9wavefront6targetE1EEEvSS_
; %bb.0:
	.section	.rodata,"a",@progbits
	.p2align	6, 0x0
	.amdhsa_kernel _ZN7rocprim17ROCPRIM_400000_NS6detail17trampoline_kernelINS0_14default_configENS1_29binary_search_config_selectorIN6thrust23THRUST_200600_302600_NS5tupleIiiNS6_9null_typeES8_S8_S8_S8_S8_S8_S8_EEbEEZNS1_14transform_implILb0ES3_SA_NS6_6detail15normal_iteratorINS6_10device_ptrIS9_EEEENSD_INSE_IbEEEEZNS1_13binary_searchIS3_SA_SG_SG_SI_NS1_16binary_search_opENSC_16wrapped_functionINS0_4lessIvEEbEEEE10hipError_tPvRmT1_T2_T3_mmT4_T5_P12ihipStream_tbEUlRKS9_E_EESP_ST_SU_mSV_SY_bEUlT_E_NS1_11comp_targetILNS1_3genE4ELNS1_11target_archE910ELNS1_3gpuE8ELNS1_3repE0EEENS1_30default_config_static_selectorELNS0_4arch9wavefront6targetE1EEEvSS_
		.amdhsa_group_segment_fixed_size 0
		.amdhsa_private_segment_fixed_size 0
		.amdhsa_kernarg_size 56
		.amdhsa_user_sgpr_count 6
		.amdhsa_user_sgpr_private_segment_buffer 1
		.amdhsa_user_sgpr_dispatch_ptr 0
		.amdhsa_user_sgpr_queue_ptr 0
		.amdhsa_user_sgpr_kernarg_segment_ptr 1
		.amdhsa_user_sgpr_dispatch_id 0
		.amdhsa_user_sgpr_flat_scratch_init 0
		.amdhsa_user_sgpr_private_segment_size 0
		.amdhsa_uses_dynamic_stack 0
		.amdhsa_system_sgpr_private_segment_wavefront_offset 0
		.amdhsa_system_sgpr_workgroup_id_x 1
		.amdhsa_system_sgpr_workgroup_id_y 0
		.amdhsa_system_sgpr_workgroup_id_z 0
		.amdhsa_system_sgpr_workgroup_info 0
		.amdhsa_system_vgpr_workitem_id 0
		.amdhsa_next_free_vgpr 1
		.amdhsa_next_free_sgpr 0
		.amdhsa_reserve_vcc 0
		.amdhsa_reserve_flat_scratch 0
		.amdhsa_float_round_mode_32 0
		.amdhsa_float_round_mode_16_64 0
		.amdhsa_float_denorm_mode_32 3
		.amdhsa_float_denorm_mode_16_64 3
		.amdhsa_dx10_clamp 1
		.amdhsa_ieee_mode 1
		.amdhsa_fp16_overflow 0
		.amdhsa_exception_fp_ieee_invalid_op 0
		.amdhsa_exception_fp_denorm_src 0
		.amdhsa_exception_fp_ieee_div_zero 0
		.amdhsa_exception_fp_ieee_overflow 0
		.amdhsa_exception_fp_ieee_underflow 0
		.amdhsa_exception_fp_ieee_inexact 0
		.amdhsa_exception_int_div_zero 0
	.end_amdhsa_kernel
	.section	.text._ZN7rocprim17ROCPRIM_400000_NS6detail17trampoline_kernelINS0_14default_configENS1_29binary_search_config_selectorIN6thrust23THRUST_200600_302600_NS5tupleIiiNS6_9null_typeES8_S8_S8_S8_S8_S8_S8_EEbEEZNS1_14transform_implILb0ES3_SA_NS6_6detail15normal_iteratorINS6_10device_ptrIS9_EEEENSD_INSE_IbEEEEZNS1_13binary_searchIS3_SA_SG_SG_SI_NS1_16binary_search_opENSC_16wrapped_functionINS0_4lessIvEEbEEEE10hipError_tPvRmT1_T2_T3_mmT4_T5_P12ihipStream_tbEUlRKS9_E_EESP_ST_SU_mSV_SY_bEUlT_E_NS1_11comp_targetILNS1_3genE4ELNS1_11target_archE910ELNS1_3gpuE8ELNS1_3repE0EEENS1_30default_config_static_selectorELNS0_4arch9wavefront6targetE1EEEvSS_,"axG",@progbits,_ZN7rocprim17ROCPRIM_400000_NS6detail17trampoline_kernelINS0_14default_configENS1_29binary_search_config_selectorIN6thrust23THRUST_200600_302600_NS5tupleIiiNS6_9null_typeES8_S8_S8_S8_S8_S8_S8_EEbEEZNS1_14transform_implILb0ES3_SA_NS6_6detail15normal_iteratorINS6_10device_ptrIS9_EEEENSD_INSE_IbEEEEZNS1_13binary_searchIS3_SA_SG_SG_SI_NS1_16binary_search_opENSC_16wrapped_functionINS0_4lessIvEEbEEEE10hipError_tPvRmT1_T2_T3_mmT4_T5_P12ihipStream_tbEUlRKS9_E_EESP_ST_SU_mSV_SY_bEUlT_E_NS1_11comp_targetILNS1_3genE4ELNS1_11target_archE910ELNS1_3gpuE8ELNS1_3repE0EEENS1_30default_config_static_selectorELNS0_4arch9wavefront6targetE1EEEvSS_,comdat
.Lfunc_end763:
	.size	_ZN7rocprim17ROCPRIM_400000_NS6detail17trampoline_kernelINS0_14default_configENS1_29binary_search_config_selectorIN6thrust23THRUST_200600_302600_NS5tupleIiiNS6_9null_typeES8_S8_S8_S8_S8_S8_S8_EEbEEZNS1_14transform_implILb0ES3_SA_NS6_6detail15normal_iteratorINS6_10device_ptrIS9_EEEENSD_INSE_IbEEEEZNS1_13binary_searchIS3_SA_SG_SG_SI_NS1_16binary_search_opENSC_16wrapped_functionINS0_4lessIvEEbEEEE10hipError_tPvRmT1_T2_T3_mmT4_T5_P12ihipStream_tbEUlRKS9_E_EESP_ST_SU_mSV_SY_bEUlT_E_NS1_11comp_targetILNS1_3genE4ELNS1_11target_archE910ELNS1_3gpuE8ELNS1_3repE0EEENS1_30default_config_static_selectorELNS0_4arch9wavefront6targetE1EEEvSS_, .Lfunc_end763-_ZN7rocprim17ROCPRIM_400000_NS6detail17trampoline_kernelINS0_14default_configENS1_29binary_search_config_selectorIN6thrust23THRUST_200600_302600_NS5tupleIiiNS6_9null_typeES8_S8_S8_S8_S8_S8_S8_EEbEEZNS1_14transform_implILb0ES3_SA_NS6_6detail15normal_iteratorINS6_10device_ptrIS9_EEEENSD_INSE_IbEEEEZNS1_13binary_searchIS3_SA_SG_SG_SI_NS1_16binary_search_opENSC_16wrapped_functionINS0_4lessIvEEbEEEE10hipError_tPvRmT1_T2_T3_mmT4_T5_P12ihipStream_tbEUlRKS9_E_EESP_ST_SU_mSV_SY_bEUlT_E_NS1_11comp_targetILNS1_3genE4ELNS1_11target_archE910ELNS1_3gpuE8ELNS1_3repE0EEENS1_30default_config_static_selectorELNS0_4arch9wavefront6targetE1EEEvSS_
                                        ; -- End function
	.set _ZN7rocprim17ROCPRIM_400000_NS6detail17trampoline_kernelINS0_14default_configENS1_29binary_search_config_selectorIN6thrust23THRUST_200600_302600_NS5tupleIiiNS6_9null_typeES8_S8_S8_S8_S8_S8_S8_EEbEEZNS1_14transform_implILb0ES3_SA_NS6_6detail15normal_iteratorINS6_10device_ptrIS9_EEEENSD_INSE_IbEEEEZNS1_13binary_searchIS3_SA_SG_SG_SI_NS1_16binary_search_opENSC_16wrapped_functionINS0_4lessIvEEbEEEE10hipError_tPvRmT1_T2_T3_mmT4_T5_P12ihipStream_tbEUlRKS9_E_EESP_ST_SU_mSV_SY_bEUlT_E_NS1_11comp_targetILNS1_3genE4ELNS1_11target_archE910ELNS1_3gpuE8ELNS1_3repE0EEENS1_30default_config_static_selectorELNS0_4arch9wavefront6targetE1EEEvSS_.num_vgpr, 0
	.set _ZN7rocprim17ROCPRIM_400000_NS6detail17trampoline_kernelINS0_14default_configENS1_29binary_search_config_selectorIN6thrust23THRUST_200600_302600_NS5tupleIiiNS6_9null_typeES8_S8_S8_S8_S8_S8_S8_EEbEEZNS1_14transform_implILb0ES3_SA_NS6_6detail15normal_iteratorINS6_10device_ptrIS9_EEEENSD_INSE_IbEEEEZNS1_13binary_searchIS3_SA_SG_SG_SI_NS1_16binary_search_opENSC_16wrapped_functionINS0_4lessIvEEbEEEE10hipError_tPvRmT1_T2_T3_mmT4_T5_P12ihipStream_tbEUlRKS9_E_EESP_ST_SU_mSV_SY_bEUlT_E_NS1_11comp_targetILNS1_3genE4ELNS1_11target_archE910ELNS1_3gpuE8ELNS1_3repE0EEENS1_30default_config_static_selectorELNS0_4arch9wavefront6targetE1EEEvSS_.num_agpr, 0
	.set _ZN7rocprim17ROCPRIM_400000_NS6detail17trampoline_kernelINS0_14default_configENS1_29binary_search_config_selectorIN6thrust23THRUST_200600_302600_NS5tupleIiiNS6_9null_typeES8_S8_S8_S8_S8_S8_S8_EEbEEZNS1_14transform_implILb0ES3_SA_NS6_6detail15normal_iteratorINS6_10device_ptrIS9_EEEENSD_INSE_IbEEEEZNS1_13binary_searchIS3_SA_SG_SG_SI_NS1_16binary_search_opENSC_16wrapped_functionINS0_4lessIvEEbEEEE10hipError_tPvRmT1_T2_T3_mmT4_T5_P12ihipStream_tbEUlRKS9_E_EESP_ST_SU_mSV_SY_bEUlT_E_NS1_11comp_targetILNS1_3genE4ELNS1_11target_archE910ELNS1_3gpuE8ELNS1_3repE0EEENS1_30default_config_static_selectorELNS0_4arch9wavefront6targetE1EEEvSS_.numbered_sgpr, 0
	.set _ZN7rocprim17ROCPRIM_400000_NS6detail17trampoline_kernelINS0_14default_configENS1_29binary_search_config_selectorIN6thrust23THRUST_200600_302600_NS5tupleIiiNS6_9null_typeES8_S8_S8_S8_S8_S8_S8_EEbEEZNS1_14transform_implILb0ES3_SA_NS6_6detail15normal_iteratorINS6_10device_ptrIS9_EEEENSD_INSE_IbEEEEZNS1_13binary_searchIS3_SA_SG_SG_SI_NS1_16binary_search_opENSC_16wrapped_functionINS0_4lessIvEEbEEEE10hipError_tPvRmT1_T2_T3_mmT4_T5_P12ihipStream_tbEUlRKS9_E_EESP_ST_SU_mSV_SY_bEUlT_E_NS1_11comp_targetILNS1_3genE4ELNS1_11target_archE910ELNS1_3gpuE8ELNS1_3repE0EEENS1_30default_config_static_selectorELNS0_4arch9wavefront6targetE1EEEvSS_.num_named_barrier, 0
	.set _ZN7rocprim17ROCPRIM_400000_NS6detail17trampoline_kernelINS0_14default_configENS1_29binary_search_config_selectorIN6thrust23THRUST_200600_302600_NS5tupleIiiNS6_9null_typeES8_S8_S8_S8_S8_S8_S8_EEbEEZNS1_14transform_implILb0ES3_SA_NS6_6detail15normal_iteratorINS6_10device_ptrIS9_EEEENSD_INSE_IbEEEEZNS1_13binary_searchIS3_SA_SG_SG_SI_NS1_16binary_search_opENSC_16wrapped_functionINS0_4lessIvEEbEEEE10hipError_tPvRmT1_T2_T3_mmT4_T5_P12ihipStream_tbEUlRKS9_E_EESP_ST_SU_mSV_SY_bEUlT_E_NS1_11comp_targetILNS1_3genE4ELNS1_11target_archE910ELNS1_3gpuE8ELNS1_3repE0EEENS1_30default_config_static_selectorELNS0_4arch9wavefront6targetE1EEEvSS_.private_seg_size, 0
	.set _ZN7rocprim17ROCPRIM_400000_NS6detail17trampoline_kernelINS0_14default_configENS1_29binary_search_config_selectorIN6thrust23THRUST_200600_302600_NS5tupleIiiNS6_9null_typeES8_S8_S8_S8_S8_S8_S8_EEbEEZNS1_14transform_implILb0ES3_SA_NS6_6detail15normal_iteratorINS6_10device_ptrIS9_EEEENSD_INSE_IbEEEEZNS1_13binary_searchIS3_SA_SG_SG_SI_NS1_16binary_search_opENSC_16wrapped_functionINS0_4lessIvEEbEEEE10hipError_tPvRmT1_T2_T3_mmT4_T5_P12ihipStream_tbEUlRKS9_E_EESP_ST_SU_mSV_SY_bEUlT_E_NS1_11comp_targetILNS1_3genE4ELNS1_11target_archE910ELNS1_3gpuE8ELNS1_3repE0EEENS1_30default_config_static_selectorELNS0_4arch9wavefront6targetE1EEEvSS_.uses_vcc, 0
	.set _ZN7rocprim17ROCPRIM_400000_NS6detail17trampoline_kernelINS0_14default_configENS1_29binary_search_config_selectorIN6thrust23THRUST_200600_302600_NS5tupleIiiNS6_9null_typeES8_S8_S8_S8_S8_S8_S8_EEbEEZNS1_14transform_implILb0ES3_SA_NS6_6detail15normal_iteratorINS6_10device_ptrIS9_EEEENSD_INSE_IbEEEEZNS1_13binary_searchIS3_SA_SG_SG_SI_NS1_16binary_search_opENSC_16wrapped_functionINS0_4lessIvEEbEEEE10hipError_tPvRmT1_T2_T3_mmT4_T5_P12ihipStream_tbEUlRKS9_E_EESP_ST_SU_mSV_SY_bEUlT_E_NS1_11comp_targetILNS1_3genE4ELNS1_11target_archE910ELNS1_3gpuE8ELNS1_3repE0EEENS1_30default_config_static_selectorELNS0_4arch9wavefront6targetE1EEEvSS_.uses_flat_scratch, 0
	.set _ZN7rocprim17ROCPRIM_400000_NS6detail17trampoline_kernelINS0_14default_configENS1_29binary_search_config_selectorIN6thrust23THRUST_200600_302600_NS5tupleIiiNS6_9null_typeES8_S8_S8_S8_S8_S8_S8_EEbEEZNS1_14transform_implILb0ES3_SA_NS6_6detail15normal_iteratorINS6_10device_ptrIS9_EEEENSD_INSE_IbEEEEZNS1_13binary_searchIS3_SA_SG_SG_SI_NS1_16binary_search_opENSC_16wrapped_functionINS0_4lessIvEEbEEEE10hipError_tPvRmT1_T2_T3_mmT4_T5_P12ihipStream_tbEUlRKS9_E_EESP_ST_SU_mSV_SY_bEUlT_E_NS1_11comp_targetILNS1_3genE4ELNS1_11target_archE910ELNS1_3gpuE8ELNS1_3repE0EEENS1_30default_config_static_selectorELNS0_4arch9wavefront6targetE1EEEvSS_.has_dyn_sized_stack, 0
	.set _ZN7rocprim17ROCPRIM_400000_NS6detail17trampoline_kernelINS0_14default_configENS1_29binary_search_config_selectorIN6thrust23THRUST_200600_302600_NS5tupleIiiNS6_9null_typeES8_S8_S8_S8_S8_S8_S8_EEbEEZNS1_14transform_implILb0ES3_SA_NS6_6detail15normal_iteratorINS6_10device_ptrIS9_EEEENSD_INSE_IbEEEEZNS1_13binary_searchIS3_SA_SG_SG_SI_NS1_16binary_search_opENSC_16wrapped_functionINS0_4lessIvEEbEEEE10hipError_tPvRmT1_T2_T3_mmT4_T5_P12ihipStream_tbEUlRKS9_E_EESP_ST_SU_mSV_SY_bEUlT_E_NS1_11comp_targetILNS1_3genE4ELNS1_11target_archE910ELNS1_3gpuE8ELNS1_3repE0EEENS1_30default_config_static_selectorELNS0_4arch9wavefront6targetE1EEEvSS_.has_recursion, 0
	.set _ZN7rocprim17ROCPRIM_400000_NS6detail17trampoline_kernelINS0_14default_configENS1_29binary_search_config_selectorIN6thrust23THRUST_200600_302600_NS5tupleIiiNS6_9null_typeES8_S8_S8_S8_S8_S8_S8_EEbEEZNS1_14transform_implILb0ES3_SA_NS6_6detail15normal_iteratorINS6_10device_ptrIS9_EEEENSD_INSE_IbEEEEZNS1_13binary_searchIS3_SA_SG_SG_SI_NS1_16binary_search_opENSC_16wrapped_functionINS0_4lessIvEEbEEEE10hipError_tPvRmT1_T2_T3_mmT4_T5_P12ihipStream_tbEUlRKS9_E_EESP_ST_SU_mSV_SY_bEUlT_E_NS1_11comp_targetILNS1_3genE4ELNS1_11target_archE910ELNS1_3gpuE8ELNS1_3repE0EEENS1_30default_config_static_selectorELNS0_4arch9wavefront6targetE1EEEvSS_.has_indirect_call, 0
	.section	.AMDGPU.csdata,"",@progbits
; Kernel info:
; codeLenInByte = 0
; TotalNumSgprs: 4
; NumVgprs: 0
; ScratchSize: 0
; MemoryBound: 0
; FloatMode: 240
; IeeeMode: 1
; LDSByteSize: 0 bytes/workgroup (compile time only)
; SGPRBlocks: 0
; VGPRBlocks: 0
; NumSGPRsForWavesPerEU: 4
; NumVGPRsForWavesPerEU: 1
; Occupancy: 10
; WaveLimiterHint : 0
; COMPUTE_PGM_RSRC2:SCRATCH_EN: 0
; COMPUTE_PGM_RSRC2:USER_SGPR: 6
; COMPUTE_PGM_RSRC2:TRAP_HANDLER: 0
; COMPUTE_PGM_RSRC2:TGID_X_EN: 1
; COMPUTE_PGM_RSRC2:TGID_Y_EN: 0
; COMPUTE_PGM_RSRC2:TGID_Z_EN: 0
; COMPUTE_PGM_RSRC2:TIDIG_COMP_CNT: 0
	.section	.text._ZN7rocprim17ROCPRIM_400000_NS6detail17trampoline_kernelINS0_14default_configENS1_29binary_search_config_selectorIN6thrust23THRUST_200600_302600_NS5tupleIiiNS6_9null_typeES8_S8_S8_S8_S8_S8_S8_EEbEEZNS1_14transform_implILb0ES3_SA_NS6_6detail15normal_iteratorINS6_10device_ptrIS9_EEEENSD_INSE_IbEEEEZNS1_13binary_searchIS3_SA_SG_SG_SI_NS1_16binary_search_opENSC_16wrapped_functionINS0_4lessIvEEbEEEE10hipError_tPvRmT1_T2_T3_mmT4_T5_P12ihipStream_tbEUlRKS9_E_EESP_ST_SU_mSV_SY_bEUlT_E_NS1_11comp_targetILNS1_3genE3ELNS1_11target_archE908ELNS1_3gpuE7ELNS1_3repE0EEENS1_30default_config_static_selectorELNS0_4arch9wavefront6targetE1EEEvSS_,"axG",@progbits,_ZN7rocprim17ROCPRIM_400000_NS6detail17trampoline_kernelINS0_14default_configENS1_29binary_search_config_selectorIN6thrust23THRUST_200600_302600_NS5tupleIiiNS6_9null_typeES8_S8_S8_S8_S8_S8_S8_EEbEEZNS1_14transform_implILb0ES3_SA_NS6_6detail15normal_iteratorINS6_10device_ptrIS9_EEEENSD_INSE_IbEEEEZNS1_13binary_searchIS3_SA_SG_SG_SI_NS1_16binary_search_opENSC_16wrapped_functionINS0_4lessIvEEbEEEE10hipError_tPvRmT1_T2_T3_mmT4_T5_P12ihipStream_tbEUlRKS9_E_EESP_ST_SU_mSV_SY_bEUlT_E_NS1_11comp_targetILNS1_3genE3ELNS1_11target_archE908ELNS1_3gpuE7ELNS1_3repE0EEENS1_30default_config_static_selectorELNS0_4arch9wavefront6targetE1EEEvSS_,comdat
	.protected	_ZN7rocprim17ROCPRIM_400000_NS6detail17trampoline_kernelINS0_14default_configENS1_29binary_search_config_selectorIN6thrust23THRUST_200600_302600_NS5tupleIiiNS6_9null_typeES8_S8_S8_S8_S8_S8_S8_EEbEEZNS1_14transform_implILb0ES3_SA_NS6_6detail15normal_iteratorINS6_10device_ptrIS9_EEEENSD_INSE_IbEEEEZNS1_13binary_searchIS3_SA_SG_SG_SI_NS1_16binary_search_opENSC_16wrapped_functionINS0_4lessIvEEbEEEE10hipError_tPvRmT1_T2_T3_mmT4_T5_P12ihipStream_tbEUlRKS9_E_EESP_ST_SU_mSV_SY_bEUlT_E_NS1_11comp_targetILNS1_3genE3ELNS1_11target_archE908ELNS1_3gpuE7ELNS1_3repE0EEENS1_30default_config_static_selectorELNS0_4arch9wavefront6targetE1EEEvSS_ ; -- Begin function _ZN7rocprim17ROCPRIM_400000_NS6detail17trampoline_kernelINS0_14default_configENS1_29binary_search_config_selectorIN6thrust23THRUST_200600_302600_NS5tupleIiiNS6_9null_typeES8_S8_S8_S8_S8_S8_S8_EEbEEZNS1_14transform_implILb0ES3_SA_NS6_6detail15normal_iteratorINS6_10device_ptrIS9_EEEENSD_INSE_IbEEEEZNS1_13binary_searchIS3_SA_SG_SG_SI_NS1_16binary_search_opENSC_16wrapped_functionINS0_4lessIvEEbEEEE10hipError_tPvRmT1_T2_T3_mmT4_T5_P12ihipStream_tbEUlRKS9_E_EESP_ST_SU_mSV_SY_bEUlT_E_NS1_11comp_targetILNS1_3genE3ELNS1_11target_archE908ELNS1_3gpuE7ELNS1_3repE0EEENS1_30default_config_static_selectorELNS0_4arch9wavefront6targetE1EEEvSS_
	.globl	_ZN7rocprim17ROCPRIM_400000_NS6detail17trampoline_kernelINS0_14default_configENS1_29binary_search_config_selectorIN6thrust23THRUST_200600_302600_NS5tupleIiiNS6_9null_typeES8_S8_S8_S8_S8_S8_S8_EEbEEZNS1_14transform_implILb0ES3_SA_NS6_6detail15normal_iteratorINS6_10device_ptrIS9_EEEENSD_INSE_IbEEEEZNS1_13binary_searchIS3_SA_SG_SG_SI_NS1_16binary_search_opENSC_16wrapped_functionINS0_4lessIvEEbEEEE10hipError_tPvRmT1_T2_T3_mmT4_T5_P12ihipStream_tbEUlRKS9_E_EESP_ST_SU_mSV_SY_bEUlT_E_NS1_11comp_targetILNS1_3genE3ELNS1_11target_archE908ELNS1_3gpuE7ELNS1_3repE0EEENS1_30default_config_static_selectorELNS0_4arch9wavefront6targetE1EEEvSS_
	.p2align	8
	.type	_ZN7rocprim17ROCPRIM_400000_NS6detail17trampoline_kernelINS0_14default_configENS1_29binary_search_config_selectorIN6thrust23THRUST_200600_302600_NS5tupleIiiNS6_9null_typeES8_S8_S8_S8_S8_S8_S8_EEbEEZNS1_14transform_implILb0ES3_SA_NS6_6detail15normal_iteratorINS6_10device_ptrIS9_EEEENSD_INSE_IbEEEEZNS1_13binary_searchIS3_SA_SG_SG_SI_NS1_16binary_search_opENSC_16wrapped_functionINS0_4lessIvEEbEEEE10hipError_tPvRmT1_T2_T3_mmT4_T5_P12ihipStream_tbEUlRKS9_E_EESP_ST_SU_mSV_SY_bEUlT_E_NS1_11comp_targetILNS1_3genE3ELNS1_11target_archE908ELNS1_3gpuE7ELNS1_3repE0EEENS1_30default_config_static_selectorELNS0_4arch9wavefront6targetE1EEEvSS_,@function
_ZN7rocprim17ROCPRIM_400000_NS6detail17trampoline_kernelINS0_14default_configENS1_29binary_search_config_selectorIN6thrust23THRUST_200600_302600_NS5tupleIiiNS6_9null_typeES8_S8_S8_S8_S8_S8_S8_EEbEEZNS1_14transform_implILb0ES3_SA_NS6_6detail15normal_iteratorINS6_10device_ptrIS9_EEEENSD_INSE_IbEEEEZNS1_13binary_searchIS3_SA_SG_SG_SI_NS1_16binary_search_opENSC_16wrapped_functionINS0_4lessIvEEbEEEE10hipError_tPvRmT1_T2_T3_mmT4_T5_P12ihipStream_tbEUlRKS9_E_EESP_ST_SU_mSV_SY_bEUlT_E_NS1_11comp_targetILNS1_3genE3ELNS1_11target_archE908ELNS1_3gpuE7ELNS1_3repE0EEENS1_30default_config_static_selectorELNS0_4arch9wavefront6targetE1EEEvSS_: ; @_ZN7rocprim17ROCPRIM_400000_NS6detail17trampoline_kernelINS0_14default_configENS1_29binary_search_config_selectorIN6thrust23THRUST_200600_302600_NS5tupleIiiNS6_9null_typeES8_S8_S8_S8_S8_S8_S8_EEbEEZNS1_14transform_implILb0ES3_SA_NS6_6detail15normal_iteratorINS6_10device_ptrIS9_EEEENSD_INSE_IbEEEEZNS1_13binary_searchIS3_SA_SG_SG_SI_NS1_16binary_search_opENSC_16wrapped_functionINS0_4lessIvEEbEEEE10hipError_tPvRmT1_T2_T3_mmT4_T5_P12ihipStream_tbEUlRKS9_E_EESP_ST_SU_mSV_SY_bEUlT_E_NS1_11comp_targetILNS1_3genE3ELNS1_11target_archE908ELNS1_3gpuE7ELNS1_3repE0EEENS1_30default_config_static_selectorELNS0_4arch9wavefront6targetE1EEEvSS_
; %bb.0:
	.section	.rodata,"a",@progbits
	.p2align	6, 0x0
	.amdhsa_kernel _ZN7rocprim17ROCPRIM_400000_NS6detail17trampoline_kernelINS0_14default_configENS1_29binary_search_config_selectorIN6thrust23THRUST_200600_302600_NS5tupleIiiNS6_9null_typeES8_S8_S8_S8_S8_S8_S8_EEbEEZNS1_14transform_implILb0ES3_SA_NS6_6detail15normal_iteratorINS6_10device_ptrIS9_EEEENSD_INSE_IbEEEEZNS1_13binary_searchIS3_SA_SG_SG_SI_NS1_16binary_search_opENSC_16wrapped_functionINS0_4lessIvEEbEEEE10hipError_tPvRmT1_T2_T3_mmT4_T5_P12ihipStream_tbEUlRKS9_E_EESP_ST_SU_mSV_SY_bEUlT_E_NS1_11comp_targetILNS1_3genE3ELNS1_11target_archE908ELNS1_3gpuE7ELNS1_3repE0EEENS1_30default_config_static_selectorELNS0_4arch9wavefront6targetE1EEEvSS_
		.amdhsa_group_segment_fixed_size 0
		.amdhsa_private_segment_fixed_size 0
		.amdhsa_kernarg_size 56
		.amdhsa_user_sgpr_count 6
		.amdhsa_user_sgpr_private_segment_buffer 1
		.amdhsa_user_sgpr_dispatch_ptr 0
		.amdhsa_user_sgpr_queue_ptr 0
		.amdhsa_user_sgpr_kernarg_segment_ptr 1
		.amdhsa_user_sgpr_dispatch_id 0
		.amdhsa_user_sgpr_flat_scratch_init 0
		.amdhsa_user_sgpr_private_segment_size 0
		.amdhsa_uses_dynamic_stack 0
		.amdhsa_system_sgpr_private_segment_wavefront_offset 0
		.amdhsa_system_sgpr_workgroup_id_x 1
		.amdhsa_system_sgpr_workgroup_id_y 0
		.amdhsa_system_sgpr_workgroup_id_z 0
		.amdhsa_system_sgpr_workgroup_info 0
		.amdhsa_system_vgpr_workitem_id 0
		.amdhsa_next_free_vgpr 1
		.amdhsa_next_free_sgpr 0
		.amdhsa_reserve_vcc 0
		.amdhsa_reserve_flat_scratch 0
		.amdhsa_float_round_mode_32 0
		.amdhsa_float_round_mode_16_64 0
		.amdhsa_float_denorm_mode_32 3
		.amdhsa_float_denorm_mode_16_64 3
		.amdhsa_dx10_clamp 1
		.amdhsa_ieee_mode 1
		.amdhsa_fp16_overflow 0
		.amdhsa_exception_fp_ieee_invalid_op 0
		.amdhsa_exception_fp_denorm_src 0
		.amdhsa_exception_fp_ieee_div_zero 0
		.amdhsa_exception_fp_ieee_overflow 0
		.amdhsa_exception_fp_ieee_underflow 0
		.amdhsa_exception_fp_ieee_inexact 0
		.amdhsa_exception_int_div_zero 0
	.end_amdhsa_kernel
	.section	.text._ZN7rocprim17ROCPRIM_400000_NS6detail17trampoline_kernelINS0_14default_configENS1_29binary_search_config_selectorIN6thrust23THRUST_200600_302600_NS5tupleIiiNS6_9null_typeES8_S8_S8_S8_S8_S8_S8_EEbEEZNS1_14transform_implILb0ES3_SA_NS6_6detail15normal_iteratorINS6_10device_ptrIS9_EEEENSD_INSE_IbEEEEZNS1_13binary_searchIS3_SA_SG_SG_SI_NS1_16binary_search_opENSC_16wrapped_functionINS0_4lessIvEEbEEEE10hipError_tPvRmT1_T2_T3_mmT4_T5_P12ihipStream_tbEUlRKS9_E_EESP_ST_SU_mSV_SY_bEUlT_E_NS1_11comp_targetILNS1_3genE3ELNS1_11target_archE908ELNS1_3gpuE7ELNS1_3repE0EEENS1_30default_config_static_selectorELNS0_4arch9wavefront6targetE1EEEvSS_,"axG",@progbits,_ZN7rocprim17ROCPRIM_400000_NS6detail17trampoline_kernelINS0_14default_configENS1_29binary_search_config_selectorIN6thrust23THRUST_200600_302600_NS5tupleIiiNS6_9null_typeES8_S8_S8_S8_S8_S8_S8_EEbEEZNS1_14transform_implILb0ES3_SA_NS6_6detail15normal_iteratorINS6_10device_ptrIS9_EEEENSD_INSE_IbEEEEZNS1_13binary_searchIS3_SA_SG_SG_SI_NS1_16binary_search_opENSC_16wrapped_functionINS0_4lessIvEEbEEEE10hipError_tPvRmT1_T2_T3_mmT4_T5_P12ihipStream_tbEUlRKS9_E_EESP_ST_SU_mSV_SY_bEUlT_E_NS1_11comp_targetILNS1_3genE3ELNS1_11target_archE908ELNS1_3gpuE7ELNS1_3repE0EEENS1_30default_config_static_selectorELNS0_4arch9wavefront6targetE1EEEvSS_,comdat
.Lfunc_end764:
	.size	_ZN7rocprim17ROCPRIM_400000_NS6detail17trampoline_kernelINS0_14default_configENS1_29binary_search_config_selectorIN6thrust23THRUST_200600_302600_NS5tupleIiiNS6_9null_typeES8_S8_S8_S8_S8_S8_S8_EEbEEZNS1_14transform_implILb0ES3_SA_NS6_6detail15normal_iteratorINS6_10device_ptrIS9_EEEENSD_INSE_IbEEEEZNS1_13binary_searchIS3_SA_SG_SG_SI_NS1_16binary_search_opENSC_16wrapped_functionINS0_4lessIvEEbEEEE10hipError_tPvRmT1_T2_T3_mmT4_T5_P12ihipStream_tbEUlRKS9_E_EESP_ST_SU_mSV_SY_bEUlT_E_NS1_11comp_targetILNS1_3genE3ELNS1_11target_archE908ELNS1_3gpuE7ELNS1_3repE0EEENS1_30default_config_static_selectorELNS0_4arch9wavefront6targetE1EEEvSS_, .Lfunc_end764-_ZN7rocprim17ROCPRIM_400000_NS6detail17trampoline_kernelINS0_14default_configENS1_29binary_search_config_selectorIN6thrust23THRUST_200600_302600_NS5tupleIiiNS6_9null_typeES8_S8_S8_S8_S8_S8_S8_EEbEEZNS1_14transform_implILb0ES3_SA_NS6_6detail15normal_iteratorINS6_10device_ptrIS9_EEEENSD_INSE_IbEEEEZNS1_13binary_searchIS3_SA_SG_SG_SI_NS1_16binary_search_opENSC_16wrapped_functionINS0_4lessIvEEbEEEE10hipError_tPvRmT1_T2_T3_mmT4_T5_P12ihipStream_tbEUlRKS9_E_EESP_ST_SU_mSV_SY_bEUlT_E_NS1_11comp_targetILNS1_3genE3ELNS1_11target_archE908ELNS1_3gpuE7ELNS1_3repE0EEENS1_30default_config_static_selectorELNS0_4arch9wavefront6targetE1EEEvSS_
                                        ; -- End function
	.set _ZN7rocprim17ROCPRIM_400000_NS6detail17trampoline_kernelINS0_14default_configENS1_29binary_search_config_selectorIN6thrust23THRUST_200600_302600_NS5tupleIiiNS6_9null_typeES8_S8_S8_S8_S8_S8_S8_EEbEEZNS1_14transform_implILb0ES3_SA_NS6_6detail15normal_iteratorINS6_10device_ptrIS9_EEEENSD_INSE_IbEEEEZNS1_13binary_searchIS3_SA_SG_SG_SI_NS1_16binary_search_opENSC_16wrapped_functionINS0_4lessIvEEbEEEE10hipError_tPvRmT1_T2_T3_mmT4_T5_P12ihipStream_tbEUlRKS9_E_EESP_ST_SU_mSV_SY_bEUlT_E_NS1_11comp_targetILNS1_3genE3ELNS1_11target_archE908ELNS1_3gpuE7ELNS1_3repE0EEENS1_30default_config_static_selectorELNS0_4arch9wavefront6targetE1EEEvSS_.num_vgpr, 0
	.set _ZN7rocprim17ROCPRIM_400000_NS6detail17trampoline_kernelINS0_14default_configENS1_29binary_search_config_selectorIN6thrust23THRUST_200600_302600_NS5tupleIiiNS6_9null_typeES8_S8_S8_S8_S8_S8_S8_EEbEEZNS1_14transform_implILb0ES3_SA_NS6_6detail15normal_iteratorINS6_10device_ptrIS9_EEEENSD_INSE_IbEEEEZNS1_13binary_searchIS3_SA_SG_SG_SI_NS1_16binary_search_opENSC_16wrapped_functionINS0_4lessIvEEbEEEE10hipError_tPvRmT1_T2_T3_mmT4_T5_P12ihipStream_tbEUlRKS9_E_EESP_ST_SU_mSV_SY_bEUlT_E_NS1_11comp_targetILNS1_3genE3ELNS1_11target_archE908ELNS1_3gpuE7ELNS1_3repE0EEENS1_30default_config_static_selectorELNS0_4arch9wavefront6targetE1EEEvSS_.num_agpr, 0
	.set _ZN7rocprim17ROCPRIM_400000_NS6detail17trampoline_kernelINS0_14default_configENS1_29binary_search_config_selectorIN6thrust23THRUST_200600_302600_NS5tupleIiiNS6_9null_typeES8_S8_S8_S8_S8_S8_S8_EEbEEZNS1_14transform_implILb0ES3_SA_NS6_6detail15normal_iteratorINS6_10device_ptrIS9_EEEENSD_INSE_IbEEEEZNS1_13binary_searchIS3_SA_SG_SG_SI_NS1_16binary_search_opENSC_16wrapped_functionINS0_4lessIvEEbEEEE10hipError_tPvRmT1_T2_T3_mmT4_T5_P12ihipStream_tbEUlRKS9_E_EESP_ST_SU_mSV_SY_bEUlT_E_NS1_11comp_targetILNS1_3genE3ELNS1_11target_archE908ELNS1_3gpuE7ELNS1_3repE0EEENS1_30default_config_static_selectorELNS0_4arch9wavefront6targetE1EEEvSS_.numbered_sgpr, 0
	.set _ZN7rocprim17ROCPRIM_400000_NS6detail17trampoline_kernelINS0_14default_configENS1_29binary_search_config_selectorIN6thrust23THRUST_200600_302600_NS5tupleIiiNS6_9null_typeES8_S8_S8_S8_S8_S8_S8_EEbEEZNS1_14transform_implILb0ES3_SA_NS6_6detail15normal_iteratorINS6_10device_ptrIS9_EEEENSD_INSE_IbEEEEZNS1_13binary_searchIS3_SA_SG_SG_SI_NS1_16binary_search_opENSC_16wrapped_functionINS0_4lessIvEEbEEEE10hipError_tPvRmT1_T2_T3_mmT4_T5_P12ihipStream_tbEUlRKS9_E_EESP_ST_SU_mSV_SY_bEUlT_E_NS1_11comp_targetILNS1_3genE3ELNS1_11target_archE908ELNS1_3gpuE7ELNS1_3repE0EEENS1_30default_config_static_selectorELNS0_4arch9wavefront6targetE1EEEvSS_.num_named_barrier, 0
	.set _ZN7rocprim17ROCPRIM_400000_NS6detail17trampoline_kernelINS0_14default_configENS1_29binary_search_config_selectorIN6thrust23THRUST_200600_302600_NS5tupleIiiNS6_9null_typeES8_S8_S8_S8_S8_S8_S8_EEbEEZNS1_14transform_implILb0ES3_SA_NS6_6detail15normal_iteratorINS6_10device_ptrIS9_EEEENSD_INSE_IbEEEEZNS1_13binary_searchIS3_SA_SG_SG_SI_NS1_16binary_search_opENSC_16wrapped_functionINS0_4lessIvEEbEEEE10hipError_tPvRmT1_T2_T3_mmT4_T5_P12ihipStream_tbEUlRKS9_E_EESP_ST_SU_mSV_SY_bEUlT_E_NS1_11comp_targetILNS1_3genE3ELNS1_11target_archE908ELNS1_3gpuE7ELNS1_3repE0EEENS1_30default_config_static_selectorELNS0_4arch9wavefront6targetE1EEEvSS_.private_seg_size, 0
	.set _ZN7rocprim17ROCPRIM_400000_NS6detail17trampoline_kernelINS0_14default_configENS1_29binary_search_config_selectorIN6thrust23THRUST_200600_302600_NS5tupleIiiNS6_9null_typeES8_S8_S8_S8_S8_S8_S8_EEbEEZNS1_14transform_implILb0ES3_SA_NS6_6detail15normal_iteratorINS6_10device_ptrIS9_EEEENSD_INSE_IbEEEEZNS1_13binary_searchIS3_SA_SG_SG_SI_NS1_16binary_search_opENSC_16wrapped_functionINS0_4lessIvEEbEEEE10hipError_tPvRmT1_T2_T3_mmT4_T5_P12ihipStream_tbEUlRKS9_E_EESP_ST_SU_mSV_SY_bEUlT_E_NS1_11comp_targetILNS1_3genE3ELNS1_11target_archE908ELNS1_3gpuE7ELNS1_3repE0EEENS1_30default_config_static_selectorELNS0_4arch9wavefront6targetE1EEEvSS_.uses_vcc, 0
	.set _ZN7rocprim17ROCPRIM_400000_NS6detail17trampoline_kernelINS0_14default_configENS1_29binary_search_config_selectorIN6thrust23THRUST_200600_302600_NS5tupleIiiNS6_9null_typeES8_S8_S8_S8_S8_S8_S8_EEbEEZNS1_14transform_implILb0ES3_SA_NS6_6detail15normal_iteratorINS6_10device_ptrIS9_EEEENSD_INSE_IbEEEEZNS1_13binary_searchIS3_SA_SG_SG_SI_NS1_16binary_search_opENSC_16wrapped_functionINS0_4lessIvEEbEEEE10hipError_tPvRmT1_T2_T3_mmT4_T5_P12ihipStream_tbEUlRKS9_E_EESP_ST_SU_mSV_SY_bEUlT_E_NS1_11comp_targetILNS1_3genE3ELNS1_11target_archE908ELNS1_3gpuE7ELNS1_3repE0EEENS1_30default_config_static_selectorELNS0_4arch9wavefront6targetE1EEEvSS_.uses_flat_scratch, 0
	.set _ZN7rocprim17ROCPRIM_400000_NS6detail17trampoline_kernelINS0_14default_configENS1_29binary_search_config_selectorIN6thrust23THRUST_200600_302600_NS5tupleIiiNS6_9null_typeES8_S8_S8_S8_S8_S8_S8_EEbEEZNS1_14transform_implILb0ES3_SA_NS6_6detail15normal_iteratorINS6_10device_ptrIS9_EEEENSD_INSE_IbEEEEZNS1_13binary_searchIS3_SA_SG_SG_SI_NS1_16binary_search_opENSC_16wrapped_functionINS0_4lessIvEEbEEEE10hipError_tPvRmT1_T2_T3_mmT4_T5_P12ihipStream_tbEUlRKS9_E_EESP_ST_SU_mSV_SY_bEUlT_E_NS1_11comp_targetILNS1_3genE3ELNS1_11target_archE908ELNS1_3gpuE7ELNS1_3repE0EEENS1_30default_config_static_selectorELNS0_4arch9wavefront6targetE1EEEvSS_.has_dyn_sized_stack, 0
	.set _ZN7rocprim17ROCPRIM_400000_NS6detail17trampoline_kernelINS0_14default_configENS1_29binary_search_config_selectorIN6thrust23THRUST_200600_302600_NS5tupleIiiNS6_9null_typeES8_S8_S8_S8_S8_S8_S8_EEbEEZNS1_14transform_implILb0ES3_SA_NS6_6detail15normal_iteratorINS6_10device_ptrIS9_EEEENSD_INSE_IbEEEEZNS1_13binary_searchIS3_SA_SG_SG_SI_NS1_16binary_search_opENSC_16wrapped_functionINS0_4lessIvEEbEEEE10hipError_tPvRmT1_T2_T3_mmT4_T5_P12ihipStream_tbEUlRKS9_E_EESP_ST_SU_mSV_SY_bEUlT_E_NS1_11comp_targetILNS1_3genE3ELNS1_11target_archE908ELNS1_3gpuE7ELNS1_3repE0EEENS1_30default_config_static_selectorELNS0_4arch9wavefront6targetE1EEEvSS_.has_recursion, 0
	.set _ZN7rocprim17ROCPRIM_400000_NS6detail17trampoline_kernelINS0_14default_configENS1_29binary_search_config_selectorIN6thrust23THRUST_200600_302600_NS5tupleIiiNS6_9null_typeES8_S8_S8_S8_S8_S8_S8_EEbEEZNS1_14transform_implILb0ES3_SA_NS6_6detail15normal_iteratorINS6_10device_ptrIS9_EEEENSD_INSE_IbEEEEZNS1_13binary_searchIS3_SA_SG_SG_SI_NS1_16binary_search_opENSC_16wrapped_functionINS0_4lessIvEEbEEEE10hipError_tPvRmT1_T2_T3_mmT4_T5_P12ihipStream_tbEUlRKS9_E_EESP_ST_SU_mSV_SY_bEUlT_E_NS1_11comp_targetILNS1_3genE3ELNS1_11target_archE908ELNS1_3gpuE7ELNS1_3repE0EEENS1_30default_config_static_selectorELNS0_4arch9wavefront6targetE1EEEvSS_.has_indirect_call, 0
	.section	.AMDGPU.csdata,"",@progbits
; Kernel info:
; codeLenInByte = 0
; TotalNumSgprs: 4
; NumVgprs: 0
; ScratchSize: 0
; MemoryBound: 0
; FloatMode: 240
; IeeeMode: 1
; LDSByteSize: 0 bytes/workgroup (compile time only)
; SGPRBlocks: 0
; VGPRBlocks: 0
; NumSGPRsForWavesPerEU: 4
; NumVGPRsForWavesPerEU: 1
; Occupancy: 10
; WaveLimiterHint : 0
; COMPUTE_PGM_RSRC2:SCRATCH_EN: 0
; COMPUTE_PGM_RSRC2:USER_SGPR: 6
; COMPUTE_PGM_RSRC2:TRAP_HANDLER: 0
; COMPUTE_PGM_RSRC2:TGID_X_EN: 1
; COMPUTE_PGM_RSRC2:TGID_Y_EN: 0
; COMPUTE_PGM_RSRC2:TGID_Z_EN: 0
; COMPUTE_PGM_RSRC2:TIDIG_COMP_CNT: 0
	.section	.text._ZN7rocprim17ROCPRIM_400000_NS6detail17trampoline_kernelINS0_14default_configENS1_29binary_search_config_selectorIN6thrust23THRUST_200600_302600_NS5tupleIiiNS6_9null_typeES8_S8_S8_S8_S8_S8_S8_EEbEEZNS1_14transform_implILb0ES3_SA_NS6_6detail15normal_iteratorINS6_10device_ptrIS9_EEEENSD_INSE_IbEEEEZNS1_13binary_searchIS3_SA_SG_SG_SI_NS1_16binary_search_opENSC_16wrapped_functionINS0_4lessIvEEbEEEE10hipError_tPvRmT1_T2_T3_mmT4_T5_P12ihipStream_tbEUlRKS9_E_EESP_ST_SU_mSV_SY_bEUlT_E_NS1_11comp_targetILNS1_3genE2ELNS1_11target_archE906ELNS1_3gpuE6ELNS1_3repE0EEENS1_30default_config_static_selectorELNS0_4arch9wavefront6targetE1EEEvSS_,"axG",@progbits,_ZN7rocprim17ROCPRIM_400000_NS6detail17trampoline_kernelINS0_14default_configENS1_29binary_search_config_selectorIN6thrust23THRUST_200600_302600_NS5tupleIiiNS6_9null_typeES8_S8_S8_S8_S8_S8_S8_EEbEEZNS1_14transform_implILb0ES3_SA_NS6_6detail15normal_iteratorINS6_10device_ptrIS9_EEEENSD_INSE_IbEEEEZNS1_13binary_searchIS3_SA_SG_SG_SI_NS1_16binary_search_opENSC_16wrapped_functionINS0_4lessIvEEbEEEE10hipError_tPvRmT1_T2_T3_mmT4_T5_P12ihipStream_tbEUlRKS9_E_EESP_ST_SU_mSV_SY_bEUlT_E_NS1_11comp_targetILNS1_3genE2ELNS1_11target_archE906ELNS1_3gpuE6ELNS1_3repE0EEENS1_30default_config_static_selectorELNS0_4arch9wavefront6targetE1EEEvSS_,comdat
	.protected	_ZN7rocprim17ROCPRIM_400000_NS6detail17trampoline_kernelINS0_14default_configENS1_29binary_search_config_selectorIN6thrust23THRUST_200600_302600_NS5tupleIiiNS6_9null_typeES8_S8_S8_S8_S8_S8_S8_EEbEEZNS1_14transform_implILb0ES3_SA_NS6_6detail15normal_iteratorINS6_10device_ptrIS9_EEEENSD_INSE_IbEEEEZNS1_13binary_searchIS3_SA_SG_SG_SI_NS1_16binary_search_opENSC_16wrapped_functionINS0_4lessIvEEbEEEE10hipError_tPvRmT1_T2_T3_mmT4_T5_P12ihipStream_tbEUlRKS9_E_EESP_ST_SU_mSV_SY_bEUlT_E_NS1_11comp_targetILNS1_3genE2ELNS1_11target_archE906ELNS1_3gpuE6ELNS1_3repE0EEENS1_30default_config_static_selectorELNS0_4arch9wavefront6targetE1EEEvSS_ ; -- Begin function _ZN7rocprim17ROCPRIM_400000_NS6detail17trampoline_kernelINS0_14default_configENS1_29binary_search_config_selectorIN6thrust23THRUST_200600_302600_NS5tupleIiiNS6_9null_typeES8_S8_S8_S8_S8_S8_S8_EEbEEZNS1_14transform_implILb0ES3_SA_NS6_6detail15normal_iteratorINS6_10device_ptrIS9_EEEENSD_INSE_IbEEEEZNS1_13binary_searchIS3_SA_SG_SG_SI_NS1_16binary_search_opENSC_16wrapped_functionINS0_4lessIvEEbEEEE10hipError_tPvRmT1_T2_T3_mmT4_T5_P12ihipStream_tbEUlRKS9_E_EESP_ST_SU_mSV_SY_bEUlT_E_NS1_11comp_targetILNS1_3genE2ELNS1_11target_archE906ELNS1_3gpuE6ELNS1_3repE0EEENS1_30default_config_static_selectorELNS0_4arch9wavefront6targetE1EEEvSS_
	.globl	_ZN7rocprim17ROCPRIM_400000_NS6detail17trampoline_kernelINS0_14default_configENS1_29binary_search_config_selectorIN6thrust23THRUST_200600_302600_NS5tupleIiiNS6_9null_typeES8_S8_S8_S8_S8_S8_S8_EEbEEZNS1_14transform_implILb0ES3_SA_NS6_6detail15normal_iteratorINS6_10device_ptrIS9_EEEENSD_INSE_IbEEEEZNS1_13binary_searchIS3_SA_SG_SG_SI_NS1_16binary_search_opENSC_16wrapped_functionINS0_4lessIvEEbEEEE10hipError_tPvRmT1_T2_T3_mmT4_T5_P12ihipStream_tbEUlRKS9_E_EESP_ST_SU_mSV_SY_bEUlT_E_NS1_11comp_targetILNS1_3genE2ELNS1_11target_archE906ELNS1_3gpuE6ELNS1_3repE0EEENS1_30default_config_static_selectorELNS0_4arch9wavefront6targetE1EEEvSS_
	.p2align	8
	.type	_ZN7rocprim17ROCPRIM_400000_NS6detail17trampoline_kernelINS0_14default_configENS1_29binary_search_config_selectorIN6thrust23THRUST_200600_302600_NS5tupleIiiNS6_9null_typeES8_S8_S8_S8_S8_S8_S8_EEbEEZNS1_14transform_implILb0ES3_SA_NS6_6detail15normal_iteratorINS6_10device_ptrIS9_EEEENSD_INSE_IbEEEEZNS1_13binary_searchIS3_SA_SG_SG_SI_NS1_16binary_search_opENSC_16wrapped_functionINS0_4lessIvEEbEEEE10hipError_tPvRmT1_T2_T3_mmT4_T5_P12ihipStream_tbEUlRKS9_E_EESP_ST_SU_mSV_SY_bEUlT_E_NS1_11comp_targetILNS1_3genE2ELNS1_11target_archE906ELNS1_3gpuE6ELNS1_3repE0EEENS1_30default_config_static_selectorELNS0_4arch9wavefront6targetE1EEEvSS_,@function
_ZN7rocprim17ROCPRIM_400000_NS6detail17trampoline_kernelINS0_14default_configENS1_29binary_search_config_selectorIN6thrust23THRUST_200600_302600_NS5tupleIiiNS6_9null_typeES8_S8_S8_S8_S8_S8_S8_EEbEEZNS1_14transform_implILb0ES3_SA_NS6_6detail15normal_iteratorINS6_10device_ptrIS9_EEEENSD_INSE_IbEEEEZNS1_13binary_searchIS3_SA_SG_SG_SI_NS1_16binary_search_opENSC_16wrapped_functionINS0_4lessIvEEbEEEE10hipError_tPvRmT1_T2_T3_mmT4_T5_P12ihipStream_tbEUlRKS9_E_EESP_ST_SU_mSV_SY_bEUlT_E_NS1_11comp_targetILNS1_3genE2ELNS1_11target_archE906ELNS1_3gpuE6ELNS1_3repE0EEENS1_30default_config_static_selectorELNS0_4arch9wavefront6targetE1EEEvSS_: ; @_ZN7rocprim17ROCPRIM_400000_NS6detail17trampoline_kernelINS0_14default_configENS1_29binary_search_config_selectorIN6thrust23THRUST_200600_302600_NS5tupleIiiNS6_9null_typeES8_S8_S8_S8_S8_S8_S8_EEbEEZNS1_14transform_implILb0ES3_SA_NS6_6detail15normal_iteratorINS6_10device_ptrIS9_EEEENSD_INSE_IbEEEEZNS1_13binary_searchIS3_SA_SG_SG_SI_NS1_16binary_search_opENSC_16wrapped_functionINS0_4lessIvEEbEEEE10hipError_tPvRmT1_T2_T3_mmT4_T5_P12ihipStream_tbEUlRKS9_E_EESP_ST_SU_mSV_SY_bEUlT_E_NS1_11comp_targetILNS1_3genE2ELNS1_11target_archE906ELNS1_3gpuE6ELNS1_3repE0EEENS1_30default_config_static_selectorELNS0_4arch9wavefront6targetE1EEEvSS_
; %bb.0:
	s_load_dwordx4 s[8:11], s[4:5], 0x0
	s_load_dwordx4 s[12:15], s[4:5], 0x18
	s_load_dwordx2 s[16:17], s[4:5], 0x28
	s_load_dword s2, s[4:5], 0x38
	s_waitcnt lgkmcnt(0)
	s_lshl_b64 s[0:1], s[10:11], 3
	s_add_u32 s20, s8, s0
	s_addc_u32 s21, s9, s1
	s_lshl_b32 s8, s6, 8
	s_add_i32 s2, s2, -1
	s_cmp_lg_u32 s6, s2
	s_mov_b32 s9, 0
	s_cbranch_scc0 .LBB765_6
; %bb.1:
	s_lshl_b64 s[0:1], s[8:9], 3
	s_add_u32 s0, s20, s0
	s_addc_u32 s1, s21, s1
	v_lshlrev_b32_e32 v1, 3, v0
	v_mov_b32_e32 v2, s1
	v_add_co_u32_e32 v1, vcc, s0, v1
	v_addc_co_u32_e32 v2, vcc, 0, v2, vcc
	flat_load_dwordx2 v[1:2], v[1:2]
	v_mov_b32_e32 v3, 0
	v_mov_b32_e32 v7, 0
	s_cmp_eq_u64 s[16:17], 0
	s_mov_b64 s[6:7], 0
	v_mov_b32_e32 v4, 0
	s_cbranch_scc1 .LBB765_5
; %bb.2:
	v_mov_b32_e32 v5, s16
	v_mov_b32_e32 v6, s17
	;; [unrolled: 1-line block ×3, first 2 shown]
.LBB765_3:                              ; =>This Inner Loop Header: Depth=1
	v_sub_co_u32_e32 v9, vcc, v5, v3
	v_subb_co_u32_e32 v10, vcc, v6, v4, vcc
	v_lshrrev_b64 v[11:12], 1, v[9:10]
	v_lshrrev_b64 v[9:10], 6, v[9:10]
	v_add_co_u32_e32 v11, vcc, v11, v3
	v_addc_co_u32_e32 v12, vcc, v12, v4, vcc
	v_add_co_u32_e32 v9, vcc, v11, v9
	v_addc_co_u32_e32 v10, vcc, v12, v10, vcc
	v_lshlrev_b64 v[11:12], 3, v[9:10]
	v_add_co_u32_e32 v11, vcc, s14, v11
	v_addc_co_u32_e32 v12, vcc, v8, v12, vcc
	global_load_dwordx2 v[11:12], v[11:12], off
	v_add_co_u32_e32 v13, vcc, 1, v9
	v_addc_co_u32_e32 v14, vcc, 0, v10, vcc
	s_waitcnt vmcnt(0) lgkmcnt(0)
	v_cmp_ge_i32_e64 s[0:1], v1, v11
	v_cmp_lt_i32_e64 s[2:3], v12, v2
	v_cmp_lt_i32_e32 vcc, v11, v1
	s_and_b64 s[0:1], s[0:1], s[2:3]
	s_or_b64 vcc, vcc, s[0:1]
	v_cndmask_b32_e32 v6, v10, v6, vcc
	v_cndmask_b32_e32 v5, v9, v5, vcc
	;; [unrolled: 1-line block ×4, first 2 shown]
	v_cmp_ge_u64_e32 vcc, v[3:4], v[5:6]
	s_or_b64 s[6:7], vcc, s[6:7]
	s_andn2_b64 exec, exec, s[6:7]
	s_cbranch_execnz .LBB765_3
; %bb.4:
	s_or_b64 exec, exec, s[6:7]
.LBB765_5:
	v_cmp_eq_u64_e64 s[6:7], s[16:17], v[3:4]
	v_cmp_ne_u64_e64 s[18:19], s[16:17], v[3:4]
	s_branch .LBB765_14
.LBB765_6:
	s_mov_b64 s[18:19], 0
	s_mov_b64 s[6:7], 0
                                        ; implicit-def: $vgpr2
                                        ; implicit-def: $vgpr3_vgpr4
                                        ; implicit-def: $vgpr7
	s_cbranch_execz .LBB765_14
; %bb.7:
	s_load_dword s0, s[4:5], 0x10
                                        ; implicit-def: $vgpr2
                                        ; implicit-def: $vgpr3_vgpr4
	s_waitcnt lgkmcnt(0)
	s_sub_i32 s0, s0, s8
	v_cmp_gt_u32_e32 vcc, s0, v0
	s_and_saveexec_b64 s[4:5], vcc
                                        ; implicit-def: $vgpr7
	s_cbranch_execz .LBB765_13
; %bb.8:
	s_lshl_b64 s[0:1], s[8:9], 3
	s_add_u32 s0, s20, s0
	s_addc_u32 s1, s21, s1
	s_waitcnt vmcnt(0)
	v_lshlrev_b32_e32 v1, 3, v0
	v_mov_b32_e32 v2, s1
	v_add_co_u32_e32 v1, vcc, s0, v1
	v_addc_co_u32_e32 v2, vcc, 0, v2, vcc
	flat_load_dwordx2 v[1:2], v[1:2]
	v_mov_b32_e32 v3, 0
	v_mov_b32_e32 v7, 0
	s_cmp_eq_u64 s[16:17], 0
	s_mov_b64 s[20:21], 0
	v_mov_b32_e32 v4, 0
	s_cbranch_scc1 .LBB765_12
; %bb.9:
	v_mov_b32_e32 v5, s16
	v_mov_b32_e32 v6, s17
	;; [unrolled: 1-line block ×3, first 2 shown]
.LBB765_10:                             ; =>This Inner Loop Header: Depth=1
	v_sub_co_u32_e32 v9, vcc, v5, v3
	v_subb_co_u32_e32 v10, vcc, v6, v4, vcc
	v_lshrrev_b64 v[11:12], 1, v[9:10]
	v_lshrrev_b64 v[9:10], 6, v[9:10]
	v_add_co_u32_e32 v11, vcc, v11, v3
	v_addc_co_u32_e32 v12, vcc, v12, v4, vcc
	v_add_co_u32_e32 v9, vcc, v11, v9
	v_addc_co_u32_e32 v10, vcc, v12, v10, vcc
	v_lshlrev_b64 v[11:12], 3, v[9:10]
	v_add_co_u32_e32 v11, vcc, s14, v11
	v_addc_co_u32_e32 v12, vcc, v8, v12, vcc
	global_load_dwordx2 v[11:12], v[11:12], off
	v_add_co_u32_e32 v13, vcc, 1, v9
	v_addc_co_u32_e32 v14, vcc, 0, v10, vcc
	s_waitcnt vmcnt(0) lgkmcnt(0)
	v_cmp_ge_i32_e64 s[0:1], v1, v11
	v_cmp_lt_i32_e64 s[2:3], v12, v2
	v_cmp_lt_i32_e32 vcc, v11, v1
	s_and_b64 s[0:1], s[0:1], s[2:3]
	s_or_b64 vcc, vcc, s[0:1]
	v_cndmask_b32_e32 v6, v10, v6, vcc
	v_cndmask_b32_e32 v5, v9, v5, vcc
	;; [unrolled: 1-line block ×4, first 2 shown]
	v_cmp_ge_u64_e32 vcc, v[3:4], v[5:6]
	s_or_b64 s[20:21], vcc, s[20:21]
	s_andn2_b64 exec, exec, s[20:21]
	s_cbranch_execnz .LBB765_10
; %bb.11:
	s_or_b64 exec, exec, s[20:21]
.LBB765_12:
	v_cmp_eq_u64_e32 vcc, s[16:17], v[3:4]
	v_cmp_ne_u64_e64 s[0:1], s[16:17], v[3:4]
	s_andn2_b64 s[2:3], s[6:7], exec
	s_and_b64 s[6:7], vcc, exec
	s_or_b64 s[6:7], s[2:3], s[6:7]
	s_andn2_b64 s[2:3], s[18:19], exec
	s_and_b64 s[0:1], s[0:1], exec
	s_or_b64 s[18:19], s[2:3], s[0:1]
.LBB765_13:
	s_or_b64 exec, exec, s[4:5]
.LBB765_14:
	s_mov_b64 s[0:1], 0
	s_and_saveexec_b64 s[4:5], s[18:19]
	s_cbranch_execnz .LBB765_17
; %bb.15:
	s_or_b64 exec, exec, s[4:5]
	s_and_saveexec_b64 s[2:3], s[6:7]
	s_cbranch_execnz .LBB765_18
.LBB765_16:
	s_endpgm
.LBB765_17:
	v_lshlrev_b64 v[3:4], 3, v[3:4]
	v_mov_b32_e32 v5, s15
	v_add_co_u32_e32 v3, vcc, s14, v3
	v_addc_co_u32_e32 v4, vcc, v5, v4, vcc
	global_load_dwordx2 v[3:4], v[3:4], off
	s_or_b64 s[6:7], s[6:7], exec
	s_waitcnt vmcnt(0) lgkmcnt(0)
	v_cmp_lt_i32_e64 s[0:1], v3, v1
	v_cmp_ge_i32_e64 s[2:3], v2, v4
	v_cmp_ge_i32_e32 vcc, v1, v3
	s_or_b64 s[0:1], s[0:1], s[2:3]
	s_and_b64 s[0:1], vcc, s[0:1]
	s_and_b64 s[0:1], s[0:1], exec
	s_or_b64 exec, exec, s[4:5]
	s_and_saveexec_b64 s[2:3], s[6:7]
	s_cbranch_execz .LBB765_16
.LBB765_18:
	s_add_u32 s2, s12, s10
	s_addc_u32 s3, s13, s11
	s_waitcnt vmcnt(0) lgkmcnt(0)
	v_cndmask_b32_e64 v2, 0, 1, s[0:1]
	s_add_u32 s0, s2, s8
	s_addc_u32 s1, s3, 0
	v_mov_b32_e32 v1, s1
	v_add_co_u32_e32 v0, vcc, s0, v0
	v_addc_co_u32_e32 v1, vcc, v1, v7, vcc
	flat_store_byte v[0:1], v2
	s_endpgm
	.section	.rodata,"a",@progbits
	.p2align	6, 0x0
	.amdhsa_kernel _ZN7rocprim17ROCPRIM_400000_NS6detail17trampoline_kernelINS0_14default_configENS1_29binary_search_config_selectorIN6thrust23THRUST_200600_302600_NS5tupleIiiNS6_9null_typeES8_S8_S8_S8_S8_S8_S8_EEbEEZNS1_14transform_implILb0ES3_SA_NS6_6detail15normal_iteratorINS6_10device_ptrIS9_EEEENSD_INSE_IbEEEEZNS1_13binary_searchIS3_SA_SG_SG_SI_NS1_16binary_search_opENSC_16wrapped_functionINS0_4lessIvEEbEEEE10hipError_tPvRmT1_T2_T3_mmT4_T5_P12ihipStream_tbEUlRKS9_E_EESP_ST_SU_mSV_SY_bEUlT_E_NS1_11comp_targetILNS1_3genE2ELNS1_11target_archE906ELNS1_3gpuE6ELNS1_3repE0EEENS1_30default_config_static_selectorELNS0_4arch9wavefront6targetE1EEEvSS_
		.amdhsa_group_segment_fixed_size 0
		.amdhsa_private_segment_fixed_size 0
		.amdhsa_kernarg_size 312
		.amdhsa_user_sgpr_count 6
		.amdhsa_user_sgpr_private_segment_buffer 1
		.amdhsa_user_sgpr_dispatch_ptr 0
		.amdhsa_user_sgpr_queue_ptr 0
		.amdhsa_user_sgpr_kernarg_segment_ptr 1
		.amdhsa_user_sgpr_dispatch_id 0
		.amdhsa_user_sgpr_flat_scratch_init 0
		.amdhsa_user_sgpr_private_segment_size 0
		.amdhsa_uses_dynamic_stack 0
		.amdhsa_system_sgpr_private_segment_wavefront_offset 0
		.amdhsa_system_sgpr_workgroup_id_x 1
		.amdhsa_system_sgpr_workgroup_id_y 0
		.amdhsa_system_sgpr_workgroup_id_z 0
		.amdhsa_system_sgpr_workgroup_info 0
		.amdhsa_system_vgpr_workitem_id 0
		.amdhsa_next_free_vgpr 15
		.amdhsa_next_free_sgpr 22
		.amdhsa_reserve_vcc 1
		.amdhsa_reserve_flat_scratch 0
		.amdhsa_float_round_mode_32 0
		.amdhsa_float_round_mode_16_64 0
		.amdhsa_float_denorm_mode_32 3
		.amdhsa_float_denorm_mode_16_64 3
		.amdhsa_dx10_clamp 1
		.amdhsa_ieee_mode 1
		.amdhsa_fp16_overflow 0
		.amdhsa_exception_fp_ieee_invalid_op 0
		.amdhsa_exception_fp_denorm_src 0
		.amdhsa_exception_fp_ieee_div_zero 0
		.amdhsa_exception_fp_ieee_overflow 0
		.amdhsa_exception_fp_ieee_underflow 0
		.amdhsa_exception_fp_ieee_inexact 0
		.amdhsa_exception_int_div_zero 0
	.end_amdhsa_kernel
	.section	.text._ZN7rocprim17ROCPRIM_400000_NS6detail17trampoline_kernelINS0_14default_configENS1_29binary_search_config_selectorIN6thrust23THRUST_200600_302600_NS5tupleIiiNS6_9null_typeES8_S8_S8_S8_S8_S8_S8_EEbEEZNS1_14transform_implILb0ES3_SA_NS6_6detail15normal_iteratorINS6_10device_ptrIS9_EEEENSD_INSE_IbEEEEZNS1_13binary_searchIS3_SA_SG_SG_SI_NS1_16binary_search_opENSC_16wrapped_functionINS0_4lessIvEEbEEEE10hipError_tPvRmT1_T2_T3_mmT4_T5_P12ihipStream_tbEUlRKS9_E_EESP_ST_SU_mSV_SY_bEUlT_E_NS1_11comp_targetILNS1_3genE2ELNS1_11target_archE906ELNS1_3gpuE6ELNS1_3repE0EEENS1_30default_config_static_selectorELNS0_4arch9wavefront6targetE1EEEvSS_,"axG",@progbits,_ZN7rocprim17ROCPRIM_400000_NS6detail17trampoline_kernelINS0_14default_configENS1_29binary_search_config_selectorIN6thrust23THRUST_200600_302600_NS5tupleIiiNS6_9null_typeES8_S8_S8_S8_S8_S8_S8_EEbEEZNS1_14transform_implILb0ES3_SA_NS6_6detail15normal_iteratorINS6_10device_ptrIS9_EEEENSD_INSE_IbEEEEZNS1_13binary_searchIS3_SA_SG_SG_SI_NS1_16binary_search_opENSC_16wrapped_functionINS0_4lessIvEEbEEEE10hipError_tPvRmT1_T2_T3_mmT4_T5_P12ihipStream_tbEUlRKS9_E_EESP_ST_SU_mSV_SY_bEUlT_E_NS1_11comp_targetILNS1_3genE2ELNS1_11target_archE906ELNS1_3gpuE6ELNS1_3repE0EEENS1_30default_config_static_selectorELNS0_4arch9wavefront6targetE1EEEvSS_,comdat
.Lfunc_end765:
	.size	_ZN7rocprim17ROCPRIM_400000_NS6detail17trampoline_kernelINS0_14default_configENS1_29binary_search_config_selectorIN6thrust23THRUST_200600_302600_NS5tupleIiiNS6_9null_typeES8_S8_S8_S8_S8_S8_S8_EEbEEZNS1_14transform_implILb0ES3_SA_NS6_6detail15normal_iteratorINS6_10device_ptrIS9_EEEENSD_INSE_IbEEEEZNS1_13binary_searchIS3_SA_SG_SG_SI_NS1_16binary_search_opENSC_16wrapped_functionINS0_4lessIvEEbEEEE10hipError_tPvRmT1_T2_T3_mmT4_T5_P12ihipStream_tbEUlRKS9_E_EESP_ST_SU_mSV_SY_bEUlT_E_NS1_11comp_targetILNS1_3genE2ELNS1_11target_archE906ELNS1_3gpuE6ELNS1_3repE0EEENS1_30default_config_static_selectorELNS0_4arch9wavefront6targetE1EEEvSS_, .Lfunc_end765-_ZN7rocprim17ROCPRIM_400000_NS6detail17trampoline_kernelINS0_14default_configENS1_29binary_search_config_selectorIN6thrust23THRUST_200600_302600_NS5tupleIiiNS6_9null_typeES8_S8_S8_S8_S8_S8_S8_EEbEEZNS1_14transform_implILb0ES3_SA_NS6_6detail15normal_iteratorINS6_10device_ptrIS9_EEEENSD_INSE_IbEEEEZNS1_13binary_searchIS3_SA_SG_SG_SI_NS1_16binary_search_opENSC_16wrapped_functionINS0_4lessIvEEbEEEE10hipError_tPvRmT1_T2_T3_mmT4_T5_P12ihipStream_tbEUlRKS9_E_EESP_ST_SU_mSV_SY_bEUlT_E_NS1_11comp_targetILNS1_3genE2ELNS1_11target_archE906ELNS1_3gpuE6ELNS1_3repE0EEENS1_30default_config_static_selectorELNS0_4arch9wavefront6targetE1EEEvSS_
                                        ; -- End function
	.set _ZN7rocprim17ROCPRIM_400000_NS6detail17trampoline_kernelINS0_14default_configENS1_29binary_search_config_selectorIN6thrust23THRUST_200600_302600_NS5tupleIiiNS6_9null_typeES8_S8_S8_S8_S8_S8_S8_EEbEEZNS1_14transform_implILb0ES3_SA_NS6_6detail15normal_iteratorINS6_10device_ptrIS9_EEEENSD_INSE_IbEEEEZNS1_13binary_searchIS3_SA_SG_SG_SI_NS1_16binary_search_opENSC_16wrapped_functionINS0_4lessIvEEbEEEE10hipError_tPvRmT1_T2_T3_mmT4_T5_P12ihipStream_tbEUlRKS9_E_EESP_ST_SU_mSV_SY_bEUlT_E_NS1_11comp_targetILNS1_3genE2ELNS1_11target_archE906ELNS1_3gpuE6ELNS1_3repE0EEENS1_30default_config_static_selectorELNS0_4arch9wavefront6targetE1EEEvSS_.num_vgpr, 15
	.set _ZN7rocprim17ROCPRIM_400000_NS6detail17trampoline_kernelINS0_14default_configENS1_29binary_search_config_selectorIN6thrust23THRUST_200600_302600_NS5tupleIiiNS6_9null_typeES8_S8_S8_S8_S8_S8_S8_EEbEEZNS1_14transform_implILb0ES3_SA_NS6_6detail15normal_iteratorINS6_10device_ptrIS9_EEEENSD_INSE_IbEEEEZNS1_13binary_searchIS3_SA_SG_SG_SI_NS1_16binary_search_opENSC_16wrapped_functionINS0_4lessIvEEbEEEE10hipError_tPvRmT1_T2_T3_mmT4_T5_P12ihipStream_tbEUlRKS9_E_EESP_ST_SU_mSV_SY_bEUlT_E_NS1_11comp_targetILNS1_3genE2ELNS1_11target_archE906ELNS1_3gpuE6ELNS1_3repE0EEENS1_30default_config_static_selectorELNS0_4arch9wavefront6targetE1EEEvSS_.num_agpr, 0
	.set _ZN7rocprim17ROCPRIM_400000_NS6detail17trampoline_kernelINS0_14default_configENS1_29binary_search_config_selectorIN6thrust23THRUST_200600_302600_NS5tupleIiiNS6_9null_typeES8_S8_S8_S8_S8_S8_S8_EEbEEZNS1_14transform_implILb0ES3_SA_NS6_6detail15normal_iteratorINS6_10device_ptrIS9_EEEENSD_INSE_IbEEEEZNS1_13binary_searchIS3_SA_SG_SG_SI_NS1_16binary_search_opENSC_16wrapped_functionINS0_4lessIvEEbEEEE10hipError_tPvRmT1_T2_T3_mmT4_T5_P12ihipStream_tbEUlRKS9_E_EESP_ST_SU_mSV_SY_bEUlT_E_NS1_11comp_targetILNS1_3genE2ELNS1_11target_archE906ELNS1_3gpuE6ELNS1_3repE0EEENS1_30default_config_static_selectorELNS0_4arch9wavefront6targetE1EEEvSS_.numbered_sgpr, 22
	.set _ZN7rocprim17ROCPRIM_400000_NS6detail17trampoline_kernelINS0_14default_configENS1_29binary_search_config_selectorIN6thrust23THRUST_200600_302600_NS5tupleIiiNS6_9null_typeES8_S8_S8_S8_S8_S8_S8_EEbEEZNS1_14transform_implILb0ES3_SA_NS6_6detail15normal_iteratorINS6_10device_ptrIS9_EEEENSD_INSE_IbEEEEZNS1_13binary_searchIS3_SA_SG_SG_SI_NS1_16binary_search_opENSC_16wrapped_functionINS0_4lessIvEEbEEEE10hipError_tPvRmT1_T2_T3_mmT4_T5_P12ihipStream_tbEUlRKS9_E_EESP_ST_SU_mSV_SY_bEUlT_E_NS1_11comp_targetILNS1_3genE2ELNS1_11target_archE906ELNS1_3gpuE6ELNS1_3repE0EEENS1_30default_config_static_selectorELNS0_4arch9wavefront6targetE1EEEvSS_.num_named_barrier, 0
	.set _ZN7rocprim17ROCPRIM_400000_NS6detail17trampoline_kernelINS0_14default_configENS1_29binary_search_config_selectorIN6thrust23THRUST_200600_302600_NS5tupleIiiNS6_9null_typeES8_S8_S8_S8_S8_S8_S8_EEbEEZNS1_14transform_implILb0ES3_SA_NS6_6detail15normal_iteratorINS6_10device_ptrIS9_EEEENSD_INSE_IbEEEEZNS1_13binary_searchIS3_SA_SG_SG_SI_NS1_16binary_search_opENSC_16wrapped_functionINS0_4lessIvEEbEEEE10hipError_tPvRmT1_T2_T3_mmT4_T5_P12ihipStream_tbEUlRKS9_E_EESP_ST_SU_mSV_SY_bEUlT_E_NS1_11comp_targetILNS1_3genE2ELNS1_11target_archE906ELNS1_3gpuE6ELNS1_3repE0EEENS1_30default_config_static_selectorELNS0_4arch9wavefront6targetE1EEEvSS_.private_seg_size, 0
	.set _ZN7rocprim17ROCPRIM_400000_NS6detail17trampoline_kernelINS0_14default_configENS1_29binary_search_config_selectorIN6thrust23THRUST_200600_302600_NS5tupleIiiNS6_9null_typeES8_S8_S8_S8_S8_S8_S8_EEbEEZNS1_14transform_implILb0ES3_SA_NS6_6detail15normal_iteratorINS6_10device_ptrIS9_EEEENSD_INSE_IbEEEEZNS1_13binary_searchIS3_SA_SG_SG_SI_NS1_16binary_search_opENSC_16wrapped_functionINS0_4lessIvEEbEEEE10hipError_tPvRmT1_T2_T3_mmT4_T5_P12ihipStream_tbEUlRKS9_E_EESP_ST_SU_mSV_SY_bEUlT_E_NS1_11comp_targetILNS1_3genE2ELNS1_11target_archE906ELNS1_3gpuE6ELNS1_3repE0EEENS1_30default_config_static_selectorELNS0_4arch9wavefront6targetE1EEEvSS_.uses_vcc, 1
	.set _ZN7rocprim17ROCPRIM_400000_NS6detail17trampoline_kernelINS0_14default_configENS1_29binary_search_config_selectorIN6thrust23THRUST_200600_302600_NS5tupleIiiNS6_9null_typeES8_S8_S8_S8_S8_S8_S8_EEbEEZNS1_14transform_implILb0ES3_SA_NS6_6detail15normal_iteratorINS6_10device_ptrIS9_EEEENSD_INSE_IbEEEEZNS1_13binary_searchIS3_SA_SG_SG_SI_NS1_16binary_search_opENSC_16wrapped_functionINS0_4lessIvEEbEEEE10hipError_tPvRmT1_T2_T3_mmT4_T5_P12ihipStream_tbEUlRKS9_E_EESP_ST_SU_mSV_SY_bEUlT_E_NS1_11comp_targetILNS1_3genE2ELNS1_11target_archE906ELNS1_3gpuE6ELNS1_3repE0EEENS1_30default_config_static_selectorELNS0_4arch9wavefront6targetE1EEEvSS_.uses_flat_scratch, 0
	.set _ZN7rocprim17ROCPRIM_400000_NS6detail17trampoline_kernelINS0_14default_configENS1_29binary_search_config_selectorIN6thrust23THRUST_200600_302600_NS5tupleIiiNS6_9null_typeES8_S8_S8_S8_S8_S8_S8_EEbEEZNS1_14transform_implILb0ES3_SA_NS6_6detail15normal_iteratorINS6_10device_ptrIS9_EEEENSD_INSE_IbEEEEZNS1_13binary_searchIS3_SA_SG_SG_SI_NS1_16binary_search_opENSC_16wrapped_functionINS0_4lessIvEEbEEEE10hipError_tPvRmT1_T2_T3_mmT4_T5_P12ihipStream_tbEUlRKS9_E_EESP_ST_SU_mSV_SY_bEUlT_E_NS1_11comp_targetILNS1_3genE2ELNS1_11target_archE906ELNS1_3gpuE6ELNS1_3repE0EEENS1_30default_config_static_selectorELNS0_4arch9wavefront6targetE1EEEvSS_.has_dyn_sized_stack, 0
	.set _ZN7rocprim17ROCPRIM_400000_NS6detail17trampoline_kernelINS0_14default_configENS1_29binary_search_config_selectorIN6thrust23THRUST_200600_302600_NS5tupleIiiNS6_9null_typeES8_S8_S8_S8_S8_S8_S8_EEbEEZNS1_14transform_implILb0ES3_SA_NS6_6detail15normal_iteratorINS6_10device_ptrIS9_EEEENSD_INSE_IbEEEEZNS1_13binary_searchIS3_SA_SG_SG_SI_NS1_16binary_search_opENSC_16wrapped_functionINS0_4lessIvEEbEEEE10hipError_tPvRmT1_T2_T3_mmT4_T5_P12ihipStream_tbEUlRKS9_E_EESP_ST_SU_mSV_SY_bEUlT_E_NS1_11comp_targetILNS1_3genE2ELNS1_11target_archE906ELNS1_3gpuE6ELNS1_3repE0EEENS1_30default_config_static_selectorELNS0_4arch9wavefront6targetE1EEEvSS_.has_recursion, 0
	.set _ZN7rocprim17ROCPRIM_400000_NS6detail17trampoline_kernelINS0_14default_configENS1_29binary_search_config_selectorIN6thrust23THRUST_200600_302600_NS5tupleIiiNS6_9null_typeES8_S8_S8_S8_S8_S8_S8_EEbEEZNS1_14transform_implILb0ES3_SA_NS6_6detail15normal_iteratorINS6_10device_ptrIS9_EEEENSD_INSE_IbEEEEZNS1_13binary_searchIS3_SA_SG_SG_SI_NS1_16binary_search_opENSC_16wrapped_functionINS0_4lessIvEEbEEEE10hipError_tPvRmT1_T2_T3_mmT4_T5_P12ihipStream_tbEUlRKS9_E_EESP_ST_SU_mSV_SY_bEUlT_E_NS1_11comp_targetILNS1_3genE2ELNS1_11target_archE906ELNS1_3gpuE6ELNS1_3repE0EEENS1_30default_config_static_selectorELNS0_4arch9wavefront6targetE1EEEvSS_.has_indirect_call, 0
	.section	.AMDGPU.csdata,"",@progbits
; Kernel info:
; codeLenInByte = 756
; TotalNumSgprs: 26
; NumVgprs: 15
; ScratchSize: 0
; MemoryBound: 0
; FloatMode: 240
; IeeeMode: 1
; LDSByteSize: 0 bytes/workgroup (compile time only)
; SGPRBlocks: 3
; VGPRBlocks: 3
; NumSGPRsForWavesPerEU: 26
; NumVGPRsForWavesPerEU: 15
; Occupancy: 10
; WaveLimiterHint : 0
; COMPUTE_PGM_RSRC2:SCRATCH_EN: 0
; COMPUTE_PGM_RSRC2:USER_SGPR: 6
; COMPUTE_PGM_RSRC2:TRAP_HANDLER: 0
; COMPUTE_PGM_RSRC2:TGID_X_EN: 1
; COMPUTE_PGM_RSRC2:TGID_Y_EN: 0
; COMPUTE_PGM_RSRC2:TGID_Z_EN: 0
; COMPUTE_PGM_RSRC2:TIDIG_COMP_CNT: 0
	.section	.text._ZN7rocprim17ROCPRIM_400000_NS6detail17trampoline_kernelINS0_14default_configENS1_29binary_search_config_selectorIN6thrust23THRUST_200600_302600_NS5tupleIiiNS6_9null_typeES8_S8_S8_S8_S8_S8_S8_EEbEEZNS1_14transform_implILb0ES3_SA_NS6_6detail15normal_iteratorINS6_10device_ptrIS9_EEEENSD_INSE_IbEEEEZNS1_13binary_searchIS3_SA_SG_SG_SI_NS1_16binary_search_opENSC_16wrapped_functionINS0_4lessIvEEbEEEE10hipError_tPvRmT1_T2_T3_mmT4_T5_P12ihipStream_tbEUlRKS9_E_EESP_ST_SU_mSV_SY_bEUlT_E_NS1_11comp_targetILNS1_3genE10ELNS1_11target_archE1201ELNS1_3gpuE5ELNS1_3repE0EEENS1_30default_config_static_selectorELNS0_4arch9wavefront6targetE1EEEvSS_,"axG",@progbits,_ZN7rocprim17ROCPRIM_400000_NS6detail17trampoline_kernelINS0_14default_configENS1_29binary_search_config_selectorIN6thrust23THRUST_200600_302600_NS5tupleIiiNS6_9null_typeES8_S8_S8_S8_S8_S8_S8_EEbEEZNS1_14transform_implILb0ES3_SA_NS6_6detail15normal_iteratorINS6_10device_ptrIS9_EEEENSD_INSE_IbEEEEZNS1_13binary_searchIS3_SA_SG_SG_SI_NS1_16binary_search_opENSC_16wrapped_functionINS0_4lessIvEEbEEEE10hipError_tPvRmT1_T2_T3_mmT4_T5_P12ihipStream_tbEUlRKS9_E_EESP_ST_SU_mSV_SY_bEUlT_E_NS1_11comp_targetILNS1_3genE10ELNS1_11target_archE1201ELNS1_3gpuE5ELNS1_3repE0EEENS1_30default_config_static_selectorELNS0_4arch9wavefront6targetE1EEEvSS_,comdat
	.protected	_ZN7rocprim17ROCPRIM_400000_NS6detail17trampoline_kernelINS0_14default_configENS1_29binary_search_config_selectorIN6thrust23THRUST_200600_302600_NS5tupleIiiNS6_9null_typeES8_S8_S8_S8_S8_S8_S8_EEbEEZNS1_14transform_implILb0ES3_SA_NS6_6detail15normal_iteratorINS6_10device_ptrIS9_EEEENSD_INSE_IbEEEEZNS1_13binary_searchIS3_SA_SG_SG_SI_NS1_16binary_search_opENSC_16wrapped_functionINS0_4lessIvEEbEEEE10hipError_tPvRmT1_T2_T3_mmT4_T5_P12ihipStream_tbEUlRKS9_E_EESP_ST_SU_mSV_SY_bEUlT_E_NS1_11comp_targetILNS1_3genE10ELNS1_11target_archE1201ELNS1_3gpuE5ELNS1_3repE0EEENS1_30default_config_static_selectorELNS0_4arch9wavefront6targetE1EEEvSS_ ; -- Begin function _ZN7rocprim17ROCPRIM_400000_NS6detail17trampoline_kernelINS0_14default_configENS1_29binary_search_config_selectorIN6thrust23THRUST_200600_302600_NS5tupleIiiNS6_9null_typeES8_S8_S8_S8_S8_S8_S8_EEbEEZNS1_14transform_implILb0ES3_SA_NS6_6detail15normal_iteratorINS6_10device_ptrIS9_EEEENSD_INSE_IbEEEEZNS1_13binary_searchIS3_SA_SG_SG_SI_NS1_16binary_search_opENSC_16wrapped_functionINS0_4lessIvEEbEEEE10hipError_tPvRmT1_T2_T3_mmT4_T5_P12ihipStream_tbEUlRKS9_E_EESP_ST_SU_mSV_SY_bEUlT_E_NS1_11comp_targetILNS1_3genE10ELNS1_11target_archE1201ELNS1_3gpuE5ELNS1_3repE0EEENS1_30default_config_static_selectorELNS0_4arch9wavefront6targetE1EEEvSS_
	.globl	_ZN7rocprim17ROCPRIM_400000_NS6detail17trampoline_kernelINS0_14default_configENS1_29binary_search_config_selectorIN6thrust23THRUST_200600_302600_NS5tupleIiiNS6_9null_typeES8_S8_S8_S8_S8_S8_S8_EEbEEZNS1_14transform_implILb0ES3_SA_NS6_6detail15normal_iteratorINS6_10device_ptrIS9_EEEENSD_INSE_IbEEEEZNS1_13binary_searchIS3_SA_SG_SG_SI_NS1_16binary_search_opENSC_16wrapped_functionINS0_4lessIvEEbEEEE10hipError_tPvRmT1_T2_T3_mmT4_T5_P12ihipStream_tbEUlRKS9_E_EESP_ST_SU_mSV_SY_bEUlT_E_NS1_11comp_targetILNS1_3genE10ELNS1_11target_archE1201ELNS1_3gpuE5ELNS1_3repE0EEENS1_30default_config_static_selectorELNS0_4arch9wavefront6targetE1EEEvSS_
	.p2align	8
	.type	_ZN7rocprim17ROCPRIM_400000_NS6detail17trampoline_kernelINS0_14default_configENS1_29binary_search_config_selectorIN6thrust23THRUST_200600_302600_NS5tupleIiiNS6_9null_typeES8_S8_S8_S8_S8_S8_S8_EEbEEZNS1_14transform_implILb0ES3_SA_NS6_6detail15normal_iteratorINS6_10device_ptrIS9_EEEENSD_INSE_IbEEEEZNS1_13binary_searchIS3_SA_SG_SG_SI_NS1_16binary_search_opENSC_16wrapped_functionINS0_4lessIvEEbEEEE10hipError_tPvRmT1_T2_T3_mmT4_T5_P12ihipStream_tbEUlRKS9_E_EESP_ST_SU_mSV_SY_bEUlT_E_NS1_11comp_targetILNS1_3genE10ELNS1_11target_archE1201ELNS1_3gpuE5ELNS1_3repE0EEENS1_30default_config_static_selectorELNS0_4arch9wavefront6targetE1EEEvSS_,@function
_ZN7rocprim17ROCPRIM_400000_NS6detail17trampoline_kernelINS0_14default_configENS1_29binary_search_config_selectorIN6thrust23THRUST_200600_302600_NS5tupleIiiNS6_9null_typeES8_S8_S8_S8_S8_S8_S8_EEbEEZNS1_14transform_implILb0ES3_SA_NS6_6detail15normal_iteratorINS6_10device_ptrIS9_EEEENSD_INSE_IbEEEEZNS1_13binary_searchIS3_SA_SG_SG_SI_NS1_16binary_search_opENSC_16wrapped_functionINS0_4lessIvEEbEEEE10hipError_tPvRmT1_T2_T3_mmT4_T5_P12ihipStream_tbEUlRKS9_E_EESP_ST_SU_mSV_SY_bEUlT_E_NS1_11comp_targetILNS1_3genE10ELNS1_11target_archE1201ELNS1_3gpuE5ELNS1_3repE0EEENS1_30default_config_static_selectorELNS0_4arch9wavefront6targetE1EEEvSS_: ; @_ZN7rocprim17ROCPRIM_400000_NS6detail17trampoline_kernelINS0_14default_configENS1_29binary_search_config_selectorIN6thrust23THRUST_200600_302600_NS5tupleIiiNS6_9null_typeES8_S8_S8_S8_S8_S8_S8_EEbEEZNS1_14transform_implILb0ES3_SA_NS6_6detail15normal_iteratorINS6_10device_ptrIS9_EEEENSD_INSE_IbEEEEZNS1_13binary_searchIS3_SA_SG_SG_SI_NS1_16binary_search_opENSC_16wrapped_functionINS0_4lessIvEEbEEEE10hipError_tPvRmT1_T2_T3_mmT4_T5_P12ihipStream_tbEUlRKS9_E_EESP_ST_SU_mSV_SY_bEUlT_E_NS1_11comp_targetILNS1_3genE10ELNS1_11target_archE1201ELNS1_3gpuE5ELNS1_3repE0EEENS1_30default_config_static_selectorELNS0_4arch9wavefront6targetE1EEEvSS_
; %bb.0:
	.section	.rodata,"a",@progbits
	.p2align	6, 0x0
	.amdhsa_kernel _ZN7rocprim17ROCPRIM_400000_NS6detail17trampoline_kernelINS0_14default_configENS1_29binary_search_config_selectorIN6thrust23THRUST_200600_302600_NS5tupleIiiNS6_9null_typeES8_S8_S8_S8_S8_S8_S8_EEbEEZNS1_14transform_implILb0ES3_SA_NS6_6detail15normal_iteratorINS6_10device_ptrIS9_EEEENSD_INSE_IbEEEEZNS1_13binary_searchIS3_SA_SG_SG_SI_NS1_16binary_search_opENSC_16wrapped_functionINS0_4lessIvEEbEEEE10hipError_tPvRmT1_T2_T3_mmT4_T5_P12ihipStream_tbEUlRKS9_E_EESP_ST_SU_mSV_SY_bEUlT_E_NS1_11comp_targetILNS1_3genE10ELNS1_11target_archE1201ELNS1_3gpuE5ELNS1_3repE0EEENS1_30default_config_static_selectorELNS0_4arch9wavefront6targetE1EEEvSS_
		.amdhsa_group_segment_fixed_size 0
		.amdhsa_private_segment_fixed_size 0
		.amdhsa_kernarg_size 56
		.amdhsa_user_sgpr_count 6
		.amdhsa_user_sgpr_private_segment_buffer 1
		.amdhsa_user_sgpr_dispatch_ptr 0
		.amdhsa_user_sgpr_queue_ptr 0
		.amdhsa_user_sgpr_kernarg_segment_ptr 1
		.amdhsa_user_sgpr_dispatch_id 0
		.amdhsa_user_sgpr_flat_scratch_init 0
		.amdhsa_user_sgpr_private_segment_size 0
		.amdhsa_uses_dynamic_stack 0
		.amdhsa_system_sgpr_private_segment_wavefront_offset 0
		.amdhsa_system_sgpr_workgroup_id_x 1
		.amdhsa_system_sgpr_workgroup_id_y 0
		.amdhsa_system_sgpr_workgroup_id_z 0
		.amdhsa_system_sgpr_workgroup_info 0
		.amdhsa_system_vgpr_workitem_id 0
		.amdhsa_next_free_vgpr 1
		.amdhsa_next_free_sgpr 0
		.amdhsa_reserve_vcc 0
		.amdhsa_reserve_flat_scratch 0
		.amdhsa_float_round_mode_32 0
		.amdhsa_float_round_mode_16_64 0
		.amdhsa_float_denorm_mode_32 3
		.amdhsa_float_denorm_mode_16_64 3
		.amdhsa_dx10_clamp 1
		.amdhsa_ieee_mode 1
		.amdhsa_fp16_overflow 0
		.amdhsa_exception_fp_ieee_invalid_op 0
		.amdhsa_exception_fp_denorm_src 0
		.amdhsa_exception_fp_ieee_div_zero 0
		.amdhsa_exception_fp_ieee_overflow 0
		.amdhsa_exception_fp_ieee_underflow 0
		.amdhsa_exception_fp_ieee_inexact 0
		.amdhsa_exception_int_div_zero 0
	.end_amdhsa_kernel
	.section	.text._ZN7rocprim17ROCPRIM_400000_NS6detail17trampoline_kernelINS0_14default_configENS1_29binary_search_config_selectorIN6thrust23THRUST_200600_302600_NS5tupleIiiNS6_9null_typeES8_S8_S8_S8_S8_S8_S8_EEbEEZNS1_14transform_implILb0ES3_SA_NS6_6detail15normal_iteratorINS6_10device_ptrIS9_EEEENSD_INSE_IbEEEEZNS1_13binary_searchIS3_SA_SG_SG_SI_NS1_16binary_search_opENSC_16wrapped_functionINS0_4lessIvEEbEEEE10hipError_tPvRmT1_T2_T3_mmT4_T5_P12ihipStream_tbEUlRKS9_E_EESP_ST_SU_mSV_SY_bEUlT_E_NS1_11comp_targetILNS1_3genE10ELNS1_11target_archE1201ELNS1_3gpuE5ELNS1_3repE0EEENS1_30default_config_static_selectorELNS0_4arch9wavefront6targetE1EEEvSS_,"axG",@progbits,_ZN7rocprim17ROCPRIM_400000_NS6detail17trampoline_kernelINS0_14default_configENS1_29binary_search_config_selectorIN6thrust23THRUST_200600_302600_NS5tupleIiiNS6_9null_typeES8_S8_S8_S8_S8_S8_S8_EEbEEZNS1_14transform_implILb0ES3_SA_NS6_6detail15normal_iteratorINS6_10device_ptrIS9_EEEENSD_INSE_IbEEEEZNS1_13binary_searchIS3_SA_SG_SG_SI_NS1_16binary_search_opENSC_16wrapped_functionINS0_4lessIvEEbEEEE10hipError_tPvRmT1_T2_T3_mmT4_T5_P12ihipStream_tbEUlRKS9_E_EESP_ST_SU_mSV_SY_bEUlT_E_NS1_11comp_targetILNS1_3genE10ELNS1_11target_archE1201ELNS1_3gpuE5ELNS1_3repE0EEENS1_30default_config_static_selectorELNS0_4arch9wavefront6targetE1EEEvSS_,comdat
.Lfunc_end766:
	.size	_ZN7rocprim17ROCPRIM_400000_NS6detail17trampoline_kernelINS0_14default_configENS1_29binary_search_config_selectorIN6thrust23THRUST_200600_302600_NS5tupleIiiNS6_9null_typeES8_S8_S8_S8_S8_S8_S8_EEbEEZNS1_14transform_implILb0ES3_SA_NS6_6detail15normal_iteratorINS6_10device_ptrIS9_EEEENSD_INSE_IbEEEEZNS1_13binary_searchIS3_SA_SG_SG_SI_NS1_16binary_search_opENSC_16wrapped_functionINS0_4lessIvEEbEEEE10hipError_tPvRmT1_T2_T3_mmT4_T5_P12ihipStream_tbEUlRKS9_E_EESP_ST_SU_mSV_SY_bEUlT_E_NS1_11comp_targetILNS1_3genE10ELNS1_11target_archE1201ELNS1_3gpuE5ELNS1_3repE0EEENS1_30default_config_static_selectorELNS0_4arch9wavefront6targetE1EEEvSS_, .Lfunc_end766-_ZN7rocprim17ROCPRIM_400000_NS6detail17trampoline_kernelINS0_14default_configENS1_29binary_search_config_selectorIN6thrust23THRUST_200600_302600_NS5tupleIiiNS6_9null_typeES8_S8_S8_S8_S8_S8_S8_EEbEEZNS1_14transform_implILb0ES3_SA_NS6_6detail15normal_iteratorINS6_10device_ptrIS9_EEEENSD_INSE_IbEEEEZNS1_13binary_searchIS3_SA_SG_SG_SI_NS1_16binary_search_opENSC_16wrapped_functionINS0_4lessIvEEbEEEE10hipError_tPvRmT1_T2_T3_mmT4_T5_P12ihipStream_tbEUlRKS9_E_EESP_ST_SU_mSV_SY_bEUlT_E_NS1_11comp_targetILNS1_3genE10ELNS1_11target_archE1201ELNS1_3gpuE5ELNS1_3repE0EEENS1_30default_config_static_selectorELNS0_4arch9wavefront6targetE1EEEvSS_
                                        ; -- End function
	.set _ZN7rocprim17ROCPRIM_400000_NS6detail17trampoline_kernelINS0_14default_configENS1_29binary_search_config_selectorIN6thrust23THRUST_200600_302600_NS5tupleIiiNS6_9null_typeES8_S8_S8_S8_S8_S8_S8_EEbEEZNS1_14transform_implILb0ES3_SA_NS6_6detail15normal_iteratorINS6_10device_ptrIS9_EEEENSD_INSE_IbEEEEZNS1_13binary_searchIS3_SA_SG_SG_SI_NS1_16binary_search_opENSC_16wrapped_functionINS0_4lessIvEEbEEEE10hipError_tPvRmT1_T2_T3_mmT4_T5_P12ihipStream_tbEUlRKS9_E_EESP_ST_SU_mSV_SY_bEUlT_E_NS1_11comp_targetILNS1_3genE10ELNS1_11target_archE1201ELNS1_3gpuE5ELNS1_3repE0EEENS1_30default_config_static_selectorELNS0_4arch9wavefront6targetE1EEEvSS_.num_vgpr, 0
	.set _ZN7rocprim17ROCPRIM_400000_NS6detail17trampoline_kernelINS0_14default_configENS1_29binary_search_config_selectorIN6thrust23THRUST_200600_302600_NS5tupleIiiNS6_9null_typeES8_S8_S8_S8_S8_S8_S8_EEbEEZNS1_14transform_implILb0ES3_SA_NS6_6detail15normal_iteratorINS6_10device_ptrIS9_EEEENSD_INSE_IbEEEEZNS1_13binary_searchIS3_SA_SG_SG_SI_NS1_16binary_search_opENSC_16wrapped_functionINS0_4lessIvEEbEEEE10hipError_tPvRmT1_T2_T3_mmT4_T5_P12ihipStream_tbEUlRKS9_E_EESP_ST_SU_mSV_SY_bEUlT_E_NS1_11comp_targetILNS1_3genE10ELNS1_11target_archE1201ELNS1_3gpuE5ELNS1_3repE0EEENS1_30default_config_static_selectorELNS0_4arch9wavefront6targetE1EEEvSS_.num_agpr, 0
	.set _ZN7rocprim17ROCPRIM_400000_NS6detail17trampoline_kernelINS0_14default_configENS1_29binary_search_config_selectorIN6thrust23THRUST_200600_302600_NS5tupleIiiNS6_9null_typeES8_S8_S8_S8_S8_S8_S8_EEbEEZNS1_14transform_implILb0ES3_SA_NS6_6detail15normal_iteratorINS6_10device_ptrIS9_EEEENSD_INSE_IbEEEEZNS1_13binary_searchIS3_SA_SG_SG_SI_NS1_16binary_search_opENSC_16wrapped_functionINS0_4lessIvEEbEEEE10hipError_tPvRmT1_T2_T3_mmT4_T5_P12ihipStream_tbEUlRKS9_E_EESP_ST_SU_mSV_SY_bEUlT_E_NS1_11comp_targetILNS1_3genE10ELNS1_11target_archE1201ELNS1_3gpuE5ELNS1_3repE0EEENS1_30default_config_static_selectorELNS0_4arch9wavefront6targetE1EEEvSS_.numbered_sgpr, 0
	.set _ZN7rocprim17ROCPRIM_400000_NS6detail17trampoline_kernelINS0_14default_configENS1_29binary_search_config_selectorIN6thrust23THRUST_200600_302600_NS5tupleIiiNS6_9null_typeES8_S8_S8_S8_S8_S8_S8_EEbEEZNS1_14transform_implILb0ES3_SA_NS6_6detail15normal_iteratorINS6_10device_ptrIS9_EEEENSD_INSE_IbEEEEZNS1_13binary_searchIS3_SA_SG_SG_SI_NS1_16binary_search_opENSC_16wrapped_functionINS0_4lessIvEEbEEEE10hipError_tPvRmT1_T2_T3_mmT4_T5_P12ihipStream_tbEUlRKS9_E_EESP_ST_SU_mSV_SY_bEUlT_E_NS1_11comp_targetILNS1_3genE10ELNS1_11target_archE1201ELNS1_3gpuE5ELNS1_3repE0EEENS1_30default_config_static_selectorELNS0_4arch9wavefront6targetE1EEEvSS_.num_named_barrier, 0
	.set _ZN7rocprim17ROCPRIM_400000_NS6detail17trampoline_kernelINS0_14default_configENS1_29binary_search_config_selectorIN6thrust23THRUST_200600_302600_NS5tupleIiiNS6_9null_typeES8_S8_S8_S8_S8_S8_S8_EEbEEZNS1_14transform_implILb0ES3_SA_NS6_6detail15normal_iteratorINS6_10device_ptrIS9_EEEENSD_INSE_IbEEEEZNS1_13binary_searchIS3_SA_SG_SG_SI_NS1_16binary_search_opENSC_16wrapped_functionINS0_4lessIvEEbEEEE10hipError_tPvRmT1_T2_T3_mmT4_T5_P12ihipStream_tbEUlRKS9_E_EESP_ST_SU_mSV_SY_bEUlT_E_NS1_11comp_targetILNS1_3genE10ELNS1_11target_archE1201ELNS1_3gpuE5ELNS1_3repE0EEENS1_30default_config_static_selectorELNS0_4arch9wavefront6targetE1EEEvSS_.private_seg_size, 0
	.set _ZN7rocprim17ROCPRIM_400000_NS6detail17trampoline_kernelINS0_14default_configENS1_29binary_search_config_selectorIN6thrust23THRUST_200600_302600_NS5tupleIiiNS6_9null_typeES8_S8_S8_S8_S8_S8_S8_EEbEEZNS1_14transform_implILb0ES3_SA_NS6_6detail15normal_iteratorINS6_10device_ptrIS9_EEEENSD_INSE_IbEEEEZNS1_13binary_searchIS3_SA_SG_SG_SI_NS1_16binary_search_opENSC_16wrapped_functionINS0_4lessIvEEbEEEE10hipError_tPvRmT1_T2_T3_mmT4_T5_P12ihipStream_tbEUlRKS9_E_EESP_ST_SU_mSV_SY_bEUlT_E_NS1_11comp_targetILNS1_3genE10ELNS1_11target_archE1201ELNS1_3gpuE5ELNS1_3repE0EEENS1_30default_config_static_selectorELNS0_4arch9wavefront6targetE1EEEvSS_.uses_vcc, 0
	.set _ZN7rocprim17ROCPRIM_400000_NS6detail17trampoline_kernelINS0_14default_configENS1_29binary_search_config_selectorIN6thrust23THRUST_200600_302600_NS5tupleIiiNS6_9null_typeES8_S8_S8_S8_S8_S8_S8_EEbEEZNS1_14transform_implILb0ES3_SA_NS6_6detail15normal_iteratorINS6_10device_ptrIS9_EEEENSD_INSE_IbEEEEZNS1_13binary_searchIS3_SA_SG_SG_SI_NS1_16binary_search_opENSC_16wrapped_functionINS0_4lessIvEEbEEEE10hipError_tPvRmT1_T2_T3_mmT4_T5_P12ihipStream_tbEUlRKS9_E_EESP_ST_SU_mSV_SY_bEUlT_E_NS1_11comp_targetILNS1_3genE10ELNS1_11target_archE1201ELNS1_3gpuE5ELNS1_3repE0EEENS1_30default_config_static_selectorELNS0_4arch9wavefront6targetE1EEEvSS_.uses_flat_scratch, 0
	.set _ZN7rocprim17ROCPRIM_400000_NS6detail17trampoline_kernelINS0_14default_configENS1_29binary_search_config_selectorIN6thrust23THRUST_200600_302600_NS5tupleIiiNS6_9null_typeES8_S8_S8_S8_S8_S8_S8_EEbEEZNS1_14transform_implILb0ES3_SA_NS6_6detail15normal_iteratorINS6_10device_ptrIS9_EEEENSD_INSE_IbEEEEZNS1_13binary_searchIS3_SA_SG_SG_SI_NS1_16binary_search_opENSC_16wrapped_functionINS0_4lessIvEEbEEEE10hipError_tPvRmT1_T2_T3_mmT4_T5_P12ihipStream_tbEUlRKS9_E_EESP_ST_SU_mSV_SY_bEUlT_E_NS1_11comp_targetILNS1_3genE10ELNS1_11target_archE1201ELNS1_3gpuE5ELNS1_3repE0EEENS1_30default_config_static_selectorELNS0_4arch9wavefront6targetE1EEEvSS_.has_dyn_sized_stack, 0
	.set _ZN7rocprim17ROCPRIM_400000_NS6detail17trampoline_kernelINS0_14default_configENS1_29binary_search_config_selectorIN6thrust23THRUST_200600_302600_NS5tupleIiiNS6_9null_typeES8_S8_S8_S8_S8_S8_S8_EEbEEZNS1_14transform_implILb0ES3_SA_NS6_6detail15normal_iteratorINS6_10device_ptrIS9_EEEENSD_INSE_IbEEEEZNS1_13binary_searchIS3_SA_SG_SG_SI_NS1_16binary_search_opENSC_16wrapped_functionINS0_4lessIvEEbEEEE10hipError_tPvRmT1_T2_T3_mmT4_T5_P12ihipStream_tbEUlRKS9_E_EESP_ST_SU_mSV_SY_bEUlT_E_NS1_11comp_targetILNS1_3genE10ELNS1_11target_archE1201ELNS1_3gpuE5ELNS1_3repE0EEENS1_30default_config_static_selectorELNS0_4arch9wavefront6targetE1EEEvSS_.has_recursion, 0
	.set _ZN7rocprim17ROCPRIM_400000_NS6detail17trampoline_kernelINS0_14default_configENS1_29binary_search_config_selectorIN6thrust23THRUST_200600_302600_NS5tupleIiiNS6_9null_typeES8_S8_S8_S8_S8_S8_S8_EEbEEZNS1_14transform_implILb0ES3_SA_NS6_6detail15normal_iteratorINS6_10device_ptrIS9_EEEENSD_INSE_IbEEEEZNS1_13binary_searchIS3_SA_SG_SG_SI_NS1_16binary_search_opENSC_16wrapped_functionINS0_4lessIvEEbEEEE10hipError_tPvRmT1_T2_T3_mmT4_T5_P12ihipStream_tbEUlRKS9_E_EESP_ST_SU_mSV_SY_bEUlT_E_NS1_11comp_targetILNS1_3genE10ELNS1_11target_archE1201ELNS1_3gpuE5ELNS1_3repE0EEENS1_30default_config_static_selectorELNS0_4arch9wavefront6targetE1EEEvSS_.has_indirect_call, 0
	.section	.AMDGPU.csdata,"",@progbits
; Kernel info:
; codeLenInByte = 0
; TotalNumSgprs: 4
; NumVgprs: 0
; ScratchSize: 0
; MemoryBound: 0
; FloatMode: 240
; IeeeMode: 1
; LDSByteSize: 0 bytes/workgroup (compile time only)
; SGPRBlocks: 0
; VGPRBlocks: 0
; NumSGPRsForWavesPerEU: 4
; NumVGPRsForWavesPerEU: 1
; Occupancy: 10
; WaveLimiterHint : 0
; COMPUTE_PGM_RSRC2:SCRATCH_EN: 0
; COMPUTE_PGM_RSRC2:USER_SGPR: 6
; COMPUTE_PGM_RSRC2:TRAP_HANDLER: 0
; COMPUTE_PGM_RSRC2:TGID_X_EN: 1
; COMPUTE_PGM_RSRC2:TGID_Y_EN: 0
; COMPUTE_PGM_RSRC2:TGID_Z_EN: 0
; COMPUTE_PGM_RSRC2:TIDIG_COMP_CNT: 0
	.section	.text._ZN7rocprim17ROCPRIM_400000_NS6detail17trampoline_kernelINS0_14default_configENS1_29binary_search_config_selectorIN6thrust23THRUST_200600_302600_NS5tupleIiiNS6_9null_typeES8_S8_S8_S8_S8_S8_S8_EEbEEZNS1_14transform_implILb0ES3_SA_NS6_6detail15normal_iteratorINS6_10device_ptrIS9_EEEENSD_INSE_IbEEEEZNS1_13binary_searchIS3_SA_SG_SG_SI_NS1_16binary_search_opENSC_16wrapped_functionINS0_4lessIvEEbEEEE10hipError_tPvRmT1_T2_T3_mmT4_T5_P12ihipStream_tbEUlRKS9_E_EESP_ST_SU_mSV_SY_bEUlT_E_NS1_11comp_targetILNS1_3genE10ELNS1_11target_archE1200ELNS1_3gpuE4ELNS1_3repE0EEENS1_30default_config_static_selectorELNS0_4arch9wavefront6targetE1EEEvSS_,"axG",@progbits,_ZN7rocprim17ROCPRIM_400000_NS6detail17trampoline_kernelINS0_14default_configENS1_29binary_search_config_selectorIN6thrust23THRUST_200600_302600_NS5tupleIiiNS6_9null_typeES8_S8_S8_S8_S8_S8_S8_EEbEEZNS1_14transform_implILb0ES3_SA_NS6_6detail15normal_iteratorINS6_10device_ptrIS9_EEEENSD_INSE_IbEEEEZNS1_13binary_searchIS3_SA_SG_SG_SI_NS1_16binary_search_opENSC_16wrapped_functionINS0_4lessIvEEbEEEE10hipError_tPvRmT1_T2_T3_mmT4_T5_P12ihipStream_tbEUlRKS9_E_EESP_ST_SU_mSV_SY_bEUlT_E_NS1_11comp_targetILNS1_3genE10ELNS1_11target_archE1200ELNS1_3gpuE4ELNS1_3repE0EEENS1_30default_config_static_selectorELNS0_4arch9wavefront6targetE1EEEvSS_,comdat
	.protected	_ZN7rocprim17ROCPRIM_400000_NS6detail17trampoline_kernelINS0_14default_configENS1_29binary_search_config_selectorIN6thrust23THRUST_200600_302600_NS5tupleIiiNS6_9null_typeES8_S8_S8_S8_S8_S8_S8_EEbEEZNS1_14transform_implILb0ES3_SA_NS6_6detail15normal_iteratorINS6_10device_ptrIS9_EEEENSD_INSE_IbEEEEZNS1_13binary_searchIS3_SA_SG_SG_SI_NS1_16binary_search_opENSC_16wrapped_functionINS0_4lessIvEEbEEEE10hipError_tPvRmT1_T2_T3_mmT4_T5_P12ihipStream_tbEUlRKS9_E_EESP_ST_SU_mSV_SY_bEUlT_E_NS1_11comp_targetILNS1_3genE10ELNS1_11target_archE1200ELNS1_3gpuE4ELNS1_3repE0EEENS1_30default_config_static_selectorELNS0_4arch9wavefront6targetE1EEEvSS_ ; -- Begin function _ZN7rocprim17ROCPRIM_400000_NS6detail17trampoline_kernelINS0_14default_configENS1_29binary_search_config_selectorIN6thrust23THRUST_200600_302600_NS5tupleIiiNS6_9null_typeES8_S8_S8_S8_S8_S8_S8_EEbEEZNS1_14transform_implILb0ES3_SA_NS6_6detail15normal_iteratorINS6_10device_ptrIS9_EEEENSD_INSE_IbEEEEZNS1_13binary_searchIS3_SA_SG_SG_SI_NS1_16binary_search_opENSC_16wrapped_functionINS0_4lessIvEEbEEEE10hipError_tPvRmT1_T2_T3_mmT4_T5_P12ihipStream_tbEUlRKS9_E_EESP_ST_SU_mSV_SY_bEUlT_E_NS1_11comp_targetILNS1_3genE10ELNS1_11target_archE1200ELNS1_3gpuE4ELNS1_3repE0EEENS1_30default_config_static_selectorELNS0_4arch9wavefront6targetE1EEEvSS_
	.globl	_ZN7rocprim17ROCPRIM_400000_NS6detail17trampoline_kernelINS0_14default_configENS1_29binary_search_config_selectorIN6thrust23THRUST_200600_302600_NS5tupleIiiNS6_9null_typeES8_S8_S8_S8_S8_S8_S8_EEbEEZNS1_14transform_implILb0ES3_SA_NS6_6detail15normal_iteratorINS6_10device_ptrIS9_EEEENSD_INSE_IbEEEEZNS1_13binary_searchIS3_SA_SG_SG_SI_NS1_16binary_search_opENSC_16wrapped_functionINS0_4lessIvEEbEEEE10hipError_tPvRmT1_T2_T3_mmT4_T5_P12ihipStream_tbEUlRKS9_E_EESP_ST_SU_mSV_SY_bEUlT_E_NS1_11comp_targetILNS1_3genE10ELNS1_11target_archE1200ELNS1_3gpuE4ELNS1_3repE0EEENS1_30default_config_static_selectorELNS0_4arch9wavefront6targetE1EEEvSS_
	.p2align	8
	.type	_ZN7rocprim17ROCPRIM_400000_NS6detail17trampoline_kernelINS0_14default_configENS1_29binary_search_config_selectorIN6thrust23THRUST_200600_302600_NS5tupleIiiNS6_9null_typeES8_S8_S8_S8_S8_S8_S8_EEbEEZNS1_14transform_implILb0ES3_SA_NS6_6detail15normal_iteratorINS6_10device_ptrIS9_EEEENSD_INSE_IbEEEEZNS1_13binary_searchIS3_SA_SG_SG_SI_NS1_16binary_search_opENSC_16wrapped_functionINS0_4lessIvEEbEEEE10hipError_tPvRmT1_T2_T3_mmT4_T5_P12ihipStream_tbEUlRKS9_E_EESP_ST_SU_mSV_SY_bEUlT_E_NS1_11comp_targetILNS1_3genE10ELNS1_11target_archE1200ELNS1_3gpuE4ELNS1_3repE0EEENS1_30default_config_static_selectorELNS0_4arch9wavefront6targetE1EEEvSS_,@function
_ZN7rocprim17ROCPRIM_400000_NS6detail17trampoline_kernelINS0_14default_configENS1_29binary_search_config_selectorIN6thrust23THRUST_200600_302600_NS5tupleIiiNS6_9null_typeES8_S8_S8_S8_S8_S8_S8_EEbEEZNS1_14transform_implILb0ES3_SA_NS6_6detail15normal_iteratorINS6_10device_ptrIS9_EEEENSD_INSE_IbEEEEZNS1_13binary_searchIS3_SA_SG_SG_SI_NS1_16binary_search_opENSC_16wrapped_functionINS0_4lessIvEEbEEEE10hipError_tPvRmT1_T2_T3_mmT4_T5_P12ihipStream_tbEUlRKS9_E_EESP_ST_SU_mSV_SY_bEUlT_E_NS1_11comp_targetILNS1_3genE10ELNS1_11target_archE1200ELNS1_3gpuE4ELNS1_3repE0EEENS1_30default_config_static_selectorELNS0_4arch9wavefront6targetE1EEEvSS_: ; @_ZN7rocprim17ROCPRIM_400000_NS6detail17trampoline_kernelINS0_14default_configENS1_29binary_search_config_selectorIN6thrust23THRUST_200600_302600_NS5tupleIiiNS6_9null_typeES8_S8_S8_S8_S8_S8_S8_EEbEEZNS1_14transform_implILb0ES3_SA_NS6_6detail15normal_iteratorINS6_10device_ptrIS9_EEEENSD_INSE_IbEEEEZNS1_13binary_searchIS3_SA_SG_SG_SI_NS1_16binary_search_opENSC_16wrapped_functionINS0_4lessIvEEbEEEE10hipError_tPvRmT1_T2_T3_mmT4_T5_P12ihipStream_tbEUlRKS9_E_EESP_ST_SU_mSV_SY_bEUlT_E_NS1_11comp_targetILNS1_3genE10ELNS1_11target_archE1200ELNS1_3gpuE4ELNS1_3repE0EEENS1_30default_config_static_selectorELNS0_4arch9wavefront6targetE1EEEvSS_
; %bb.0:
	.section	.rodata,"a",@progbits
	.p2align	6, 0x0
	.amdhsa_kernel _ZN7rocprim17ROCPRIM_400000_NS6detail17trampoline_kernelINS0_14default_configENS1_29binary_search_config_selectorIN6thrust23THRUST_200600_302600_NS5tupleIiiNS6_9null_typeES8_S8_S8_S8_S8_S8_S8_EEbEEZNS1_14transform_implILb0ES3_SA_NS6_6detail15normal_iteratorINS6_10device_ptrIS9_EEEENSD_INSE_IbEEEEZNS1_13binary_searchIS3_SA_SG_SG_SI_NS1_16binary_search_opENSC_16wrapped_functionINS0_4lessIvEEbEEEE10hipError_tPvRmT1_T2_T3_mmT4_T5_P12ihipStream_tbEUlRKS9_E_EESP_ST_SU_mSV_SY_bEUlT_E_NS1_11comp_targetILNS1_3genE10ELNS1_11target_archE1200ELNS1_3gpuE4ELNS1_3repE0EEENS1_30default_config_static_selectorELNS0_4arch9wavefront6targetE1EEEvSS_
		.amdhsa_group_segment_fixed_size 0
		.amdhsa_private_segment_fixed_size 0
		.amdhsa_kernarg_size 56
		.amdhsa_user_sgpr_count 6
		.amdhsa_user_sgpr_private_segment_buffer 1
		.amdhsa_user_sgpr_dispatch_ptr 0
		.amdhsa_user_sgpr_queue_ptr 0
		.amdhsa_user_sgpr_kernarg_segment_ptr 1
		.amdhsa_user_sgpr_dispatch_id 0
		.amdhsa_user_sgpr_flat_scratch_init 0
		.amdhsa_user_sgpr_private_segment_size 0
		.amdhsa_uses_dynamic_stack 0
		.amdhsa_system_sgpr_private_segment_wavefront_offset 0
		.amdhsa_system_sgpr_workgroup_id_x 1
		.amdhsa_system_sgpr_workgroup_id_y 0
		.amdhsa_system_sgpr_workgroup_id_z 0
		.amdhsa_system_sgpr_workgroup_info 0
		.amdhsa_system_vgpr_workitem_id 0
		.amdhsa_next_free_vgpr 1
		.amdhsa_next_free_sgpr 0
		.amdhsa_reserve_vcc 0
		.amdhsa_reserve_flat_scratch 0
		.amdhsa_float_round_mode_32 0
		.amdhsa_float_round_mode_16_64 0
		.amdhsa_float_denorm_mode_32 3
		.amdhsa_float_denorm_mode_16_64 3
		.amdhsa_dx10_clamp 1
		.amdhsa_ieee_mode 1
		.amdhsa_fp16_overflow 0
		.amdhsa_exception_fp_ieee_invalid_op 0
		.amdhsa_exception_fp_denorm_src 0
		.amdhsa_exception_fp_ieee_div_zero 0
		.amdhsa_exception_fp_ieee_overflow 0
		.amdhsa_exception_fp_ieee_underflow 0
		.amdhsa_exception_fp_ieee_inexact 0
		.amdhsa_exception_int_div_zero 0
	.end_amdhsa_kernel
	.section	.text._ZN7rocprim17ROCPRIM_400000_NS6detail17trampoline_kernelINS0_14default_configENS1_29binary_search_config_selectorIN6thrust23THRUST_200600_302600_NS5tupleIiiNS6_9null_typeES8_S8_S8_S8_S8_S8_S8_EEbEEZNS1_14transform_implILb0ES3_SA_NS6_6detail15normal_iteratorINS6_10device_ptrIS9_EEEENSD_INSE_IbEEEEZNS1_13binary_searchIS3_SA_SG_SG_SI_NS1_16binary_search_opENSC_16wrapped_functionINS0_4lessIvEEbEEEE10hipError_tPvRmT1_T2_T3_mmT4_T5_P12ihipStream_tbEUlRKS9_E_EESP_ST_SU_mSV_SY_bEUlT_E_NS1_11comp_targetILNS1_3genE10ELNS1_11target_archE1200ELNS1_3gpuE4ELNS1_3repE0EEENS1_30default_config_static_selectorELNS0_4arch9wavefront6targetE1EEEvSS_,"axG",@progbits,_ZN7rocprim17ROCPRIM_400000_NS6detail17trampoline_kernelINS0_14default_configENS1_29binary_search_config_selectorIN6thrust23THRUST_200600_302600_NS5tupleIiiNS6_9null_typeES8_S8_S8_S8_S8_S8_S8_EEbEEZNS1_14transform_implILb0ES3_SA_NS6_6detail15normal_iteratorINS6_10device_ptrIS9_EEEENSD_INSE_IbEEEEZNS1_13binary_searchIS3_SA_SG_SG_SI_NS1_16binary_search_opENSC_16wrapped_functionINS0_4lessIvEEbEEEE10hipError_tPvRmT1_T2_T3_mmT4_T5_P12ihipStream_tbEUlRKS9_E_EESP_ST_SU_mSV_SY_bEUlT_E_NS1_11comp_targetILNS1_3genE10ELNS1_11target_archE1200ELNS1_3gpuE4ELNS1_3repE0EEENS1_30default_config_static_selectorELNS0_4arch9wavefront6targetE1EEEvSS_,comdat
.Lfunc_end767:
	.size	_ZN7rocprim17ROCPRIM_400000_NS6detail17trampoline_kernelINS0_14default_configENS1_29binary_search_config_selectorIN6thrust23THRUST_200600_302600_NS5tupleIiiNS6_9null_typeES8_S8_S8_S8_S8_S8_S8_EEbEEZNS1_14transform_implILb0ES3_SA_NS6_6detail15normal_iteratorINS6_10device_ptrIS9_EEEENSD_INSE_IbEEEEZNS1_13binary_searchIS3_SA_SG_SG_SI_NS1_16binary_search_opENSC_16wrapped_functionINS0_4lessIvEEbEEEE10hipError_tPvRmT1_T2_T3_mmT4_T5_P12ihipStream_tbEUlRKS9_E_EESP_ST_SU_mSV_SY_bEUlT_E_NS1_11comp_targetILNS1_3genE10ELNS1_11target_archE1200ELNS1_3gpuE4ELNS1_3repE0EEENS1_30default_config_static_selectorELNS0_4arch9wavefront6targetE1EEEvSS_, .Lfunc_end767-_ZN7rocprim17ROCPRIM_400000_NS6detail17trampoline_kernelINS0_14default_configENS1_29binary_search_config_selectorIN6thrust23THRUST_200600_302600_NS5tupleIiiNS6_9null_typeES8_S8_S8_S8_S8_S8_S8_EEbEEZNS1_14transform_implILb0ES3_SA_NS6_6detail15normal_iteratorINS6_10device_ptrIS9_EEEENSD_INSE_IbEEEEZNS1_13binary_searchIS3_SA_SG_SG_SI_NS1_16binary_search_opENSC_16wrapped_functionINS0_4lessIvEEbEEEE10hipError_tPvRmT1_T2_T3_mmT4_T5_P12ihipStream_tbEUlRKS9_E_EESP_ST_SU_mSV_SY_bEUlT_E_NS1_11comp_targetILNS1_3genE10ELNS1_11target_archE1200ELNS1_3gpuE4ELNS1_3repE0EEENS1_30default_config_static_selectorELNS0_4arch9wavefront6targetE1EEEvSS_
                                        ; -- End function
	.set _ZN7rocprim17ROCPRIM_400000_NS6detail17trampoline_kernelINS0_14default_configENS1_29binary_search_config_selectorIN6thrust23THRUST_200600_302600_NS5tupleIiiNS6_9null_typeES8_S8_S8_S8_S8_S8_S8_EEbEEZNS1_14transform_implILb0ES3_SA_NS6_6detail15normal_iteratorINS6_10device_ptrIS9_EEEENSD_INSE_IbEEEEZNS1_13binary_searchIS3_SA_SG_SG_SI_NS1_16binary_search_opENSC_16wrapped_functionINS0_4lessIvEEbEEEE10hipError_tPvRmT1_T2_T3_mmT4_T5_P12ihipStream_tbEUlRKS9_E_EESP_ST_SU_mSV_SY_bEUlT_E_NS1_11comp_targetILNS1_3genE10ELNS1_11target_archE1200ELNS1_3gpuE4ELNS1_3repE0EEENS1_30default_config_static_selectorELNS0_4arch9wavefront6targetE1EEEvSS_.num_vgpr, 0
	.set _ZN7rocprim17ROCPRIM_400000_NS6detail17trampoline_kernelINS0_14default_configENS1_29binary_search_config_selectorIN6thrust23THRUST_200600_302600_NS5tupleIiiNS6_9null_typeES8_S8_S8_S8_S8_S8_S8_EEbEEZNS1_14transform_implILb0ES3_SA_NS6_6detail15normal_iteratorINS6_10device_ptrIS9_EEEENSD_INSE_IbEEEEZNS1_13binary_searchIS3_SA_SG_SG_SI_NS1_16binary_search_opENSC_16wrapped_functionINS0_4lessIvEEbEEEE10hipError_tPvRmT1_T2_T3_mmT4_T5_P12ihipStream_tbEUlRKS9_E_EESP_ST_SU_mSV_SY_bEUlT_E_NS1_11comp_targetILNS1_3genE10ELNS1_11target_archE1200ELNS1_3gpuE4ELNS1_3repE0EEENS1_30default_config_static_selectorELNS0_4arch9wavefront6targetE1EEEvSS_.num_agpr, 0
	.set _ZN7rocprim17ROCPRIM_400000_NS6detail17trampoline_kernelINS0_14default_configENS1_29binary_search_config_selectorIN6thrust23THRUST_200600_302600_NS5tupleIiiNS6_9null_typeES8_S8_S8_S8_S8_S8_S8_EEbEEZNS1_14transform_implILb0ES3_SA_NS6_6detail15normal_iteratorINS6_10device_ptrIS9_EEEENSD_INSE_IbEEEEZNS1_13binary_searchIS3_SA_SG_SG_SI_NS1_16binary_search_opENSC_16wrapped_functionINS0_4lessIvEEbEEEE10hipError_tPvRmT1_T2_T3_mmT4_T5_P12ihipStream_tbEUlRKS9_E_EESP_ST_SU_mSV_SY_bEUlT_E_NS1_11comp_targetILNS1_3genE10ELNS1_11target_archE1200ELNS1_3gpuE4ELNS1_3repE0EEENS1_30default_config_static_selectorELNS0_4arch9wavefront6targetE1EEEvSS_.numbered_sgpr, 0
	.set _ZN7rocprim17ROCPRIM_400000_NS6detail17trampoline_kernelINS0_14default_configENS1_29binary_search_config_selectorIN6thrust23THRUST_200600_302600_NS5tupleIiiNS6_9null_typeES8_S8_S8_S8_S8_S8_S8_EEbEEZNS1_14transform_implILb0ES3_SA_NS6_6detail15normal_iteratorINS6_10device_ptrIS9_EEEENSD_INSE_IbEEEEZNS1_13binary_searchIS3_SA_SG_SG_SI_NS1_16binary_search_opENSC_16wrapped_functionINS0_4lessIvEEbEEEE10hipError_tPvRmT1_T2_T3_mmT4_T5_P12ihipStream_tbEUlRKS9_E_EESP_ST_SU_mSV_SY_bEUlT_E_NS1_11comp_targetILNS1_3genE10ELNS1_11target_archE1200ELNS1_3gpuE4ELNS1_3repE0EEENS1_30default_config_static_selectorELNS0_4arch9wavefront6targetE1EEEvSS_.num_named_barrier, 0
	.set _ZN7rocprim17ROCPRIM_400000_NS6detail17trampoline_kernelINS0_14default_configENS1_29binary_search_config_selectorIN6thrust23THRUST_200600_302600_NS5tupleIiiNS6_9null_typeES8_S8_S8_S8_S8_S8_S8_EEbEEZNS1_14transform_implILb0ES3_SA_NS6_6detail15normal_iteratorINS6_10device_ptrIS9_EEEENSD_INSE_IbEEEEZNS1_13binary_searchIS3_SA_SG_SG_SI_NS1_16binary_search_opENSC_16wrapped_functionINS0_4lessIvEEbEEEE10hipError_tPvRmT1_T2_T3_mmT4_T5_P12ihipStream_tbEUlRKS9_E_EESP_ST_SU_mSV_SY_bEUlT_E_NS1_11comp_targetILNS1_3genE10ELNS1_11target_archE1200ELNS1_3gpuE4ELNS1_3repE0EEENS1_30default_config_static_selectorELNS0_4arch9wavefront6targetE1EEEvSS_.private_seg_size, 0
	.set _ZN7rocprim17ROCPRIM_400000_NS6detail17trampoline_kernelINS0_14default_configENS1_29binary_search_config_selectorIN6thrust23THRUST_200600_302600_NS5tupleIiiNS6_9null_typeES8_S8_S8_S8_S8_S8_S8_EEbEEZNS1_14transform_implILb0ES3_SA_NS6_6detail15normal_iteratorINS6_10device_ptrIS9_EEEENSD_INSE_IbEEEEZNS1_13binary_searchIS3_SA_SG_SG_SI_NS1_16binary_search_opENSC_16wrapped_functionINS0_4lessIvEEbEEEE10hipError_tPvRmT1_T2_T3_mmT4_T5_P12ihipStream_tbEUlRKS9_E_EESP_ST_SU_mSV_SY_bEUlT_E_NS1_11comp_targetILNS1_3genE10ELNS1_11target_archE1200ELNS1_3gpuE4ELNS1_3repE0EEENS1_30default_config_static_selectorELNS0_4arch9wavefront6targetE1EEEvSS_.uses_vcc, 0
	.set _ZN7rocprim17ROCPRIM_400000_NS6detail17trampoline_kernelINS0_14default_configENS1_29binary_search_config_selectorIN6thrust23THRUST_200600_302600_NS5tupleIiiNS6_9null_typeES8_S8_S8_S8_S8_S8_S8_EEbEEZNS1_14transform_implILb0ES3_SA_NS6_6detail15normal_iteratorINS6_10device_ptrIS9_EEEENSD_INSE_IbEEEEZNS1_13binary_searchIS3_SA_SG_SG_SI_NS1_16binary_search_opENSC_16wrapped_functionINS0_4lessIvEEbEEEE10hipError_tPvRmT1_T2_T3_mmT4_T5_P12ihipStream_tbEUlRKS9_E_EESP_ST_SU_mSV_SY_bEUlT_E_NS1_11comp_targetILNS1_3genE10ELNS1_11target_archE1200ELNS1_3gpuE4ELNS1_3repE0EEENS1_30default_config_static_selectorELNS0_4arch9wavefront6targetE1EEEvSS_.uses_flat_scratch, 0
	.set _ZN7rocprim17ROCPRIM_400000_NS6detail17trampoline_kernelINS0_14default_configENS1_29binary_search_config_selectorIN6thrust23THRUST_200600_302600_NS5tupleIiiNS6_9null_typeES8_S8_S8_S8_S8_S8_S8_EEbEEZNS1_14transform_implILb0ES3_SA_NS6_6detail15normal_iteratorINS6_10device_ptrIS9_EEEENSD_INSE_IbEEEEZNS1_13binary_searchIS3_SA_SG_SG_SI_NS1_16binary_search_opENSC_16wrapped_functionINS0_4lessIvEEbEEEE10hipError_tPvRmT1_T2_T3_mmT4_T5_P12ihipStream_tbEUlRKS9_E_EESP_ST_SU_mSV_SY_bEUlT_E_NS1_11comp_targetILNS1_3genE10ELNS1_11target_archE1200ELNS1_3gpuE4ELNS1_3repE0EEENS1_30default_config_static_selectorELNS0_4arch9wavefront6targetE1EEEvSS_.has_dyn_sized_stack, 0
	.set _ZN7rocprim17ROCPRIM_400000_NS6detail17trampoline_kernelINS0_14default_configENS1_29binary_search_config_selectorIN6thrust23THRUST_200600_302600_NS5tupleIiiNS6_9null_typeES8_S8_S8_S8_S8_S8_S8_EEbEEZNS1_14transform_implILb0ES3_SA_NS6_6detail15normal_iteratorINS6_10device_ptrIS9_EEEENSD_INSE_IbEEEEZNS1_13binary_searchIS3_SA_SG_SG_SI_NS1_16binary_search_opENSC_16wrapped_functionINS0_4lessIvEEbEEEE10hipError_tPvRmT1_T2_T3_mmT4_T5_P12ihipStream_tbEUlRKS9_E_EESP_ST_SU_mSV_SY_bEUlT_E_NS1_11comp_targetILNS1_3genE10ELNS1_11target_archE1200ELNS1_3gpuE4ELNS1_3repE0EEENS1_30default_config_static_selectorELNS0_4arch9wavefront6targetE1EEEvSS_.has_recursion, 0
	.set _ZN7rocprim17ROCPRIM_400000_NS6detail17trampoline_kernelINS0_14default_configENS1_29binary_search_config_selectorIN6thrust23THRUST_200600_302600_NS5tupleIiiNS6_9null_typeES8_S8_S8_S8_S8_S8_S8_EEbEEZNS1_14transform_implILb0ES3_SA_NS6_6detail15normal_iteratorINS6_10device_ptrIS9_EEEENSD_INSE_IbEEEEZNS1_13binary_searchIS3_SA_SG_SG_SI_NS1_16binary_search_opENSC_16wrapped_functionINS0_4lessIvEEbEEEE10hipError_tPvRmT1_T2_T3_mmT4_T5_P12ihipStream_tbEUlRKS9_E_EESP_ST_SU_mSV_SY_bEUlT_E_NS1_11comp_targetILNS1_3genE10ELNS1_11target_archE1200ELNS1_3gpuE4ELNS1_3repE0EEENS1_30default_config_static_selectorELNS0_4arch9wavefront6targetE1EEEvSS_.has_indirect_call, 0
	.section	.AMDGPU.csdata,"",@progbits
; Kernel info:
; codeLenInByte = 0
; TotalNumSgprs: 4
; NumVgprs: 0
; ScratchSize: 0
; MemoryBound: 0
; FloatMode: 240
; IeeeMode: 1
; LDSByteSize: 0 bytes/workgroup (compile time only)
; SGPRBlocks: 0
; VGPRBlocks: 0
; NumSGPRsForWavesPerEU: 4
; NumVGPRsForWavesPerEU: 1
; Occupancy: 10
; WaveLimiterHint : 0
; COMPUTE_PGM_RSRC2:SCRATCH_EN: 0
; COMPUTE_PGM_RSRC2:USER_SGPR: 6
; COMPUTE_PGM_RSRC2:TRAP_HANDLER: 0
; COMPUTE_PGM_RSRC2:TGID_X_EN: 1
; COMPUTE_PGM_RSRC2:TGID_Y_EN: 0
; COMPUTE_PGM_RSRC2:TGID_Z_EN: 0
; COMPUTE_PGM_RSRC2:TIDIG_COMP_CNT: 0
	.section	.text._ZN7rocprim17ROCPRIM_400000_NS6detail17trampoline_kernelINS0_14default_configENS1_29binary_search_config_selectorIN6thrust23THRUST_200600_302600_NS5tupleIiiNS6_9null_typeES8_S8_S8_S8_S8_S8_S8_EEbEEZNS1_14transform_implILb0ES3_SA_NS6_6detail15normal_iteratorINS6_10device_ptrIS9_EEEENSD_INSE_IbEEEEZNS1_13binary_searchIS3_SA_SG_SG_SI_NS1_16binary_search_opENSC_16wrapped_functionINS0_4lessIvEEbEEEE10hipError_tPvRmT1_T2_T3_mmT4_T5_P12ihipStream_tbEUlRKS9_E_EESP_ST_SU_mSV_SY_bEUlT_E_NS1_11comp_targetILNS1_3genE9ELNS1_11target_archE1100ELNS1_3gpuE3ELNS1_3repE0EEENS1_30default_config_static_selectorELNS0_4arch9wavefront6targetE1EEEvSS_,"axG",@progbits,_ZN7rocprim17ROCPRIM_400000_NS6detail17trampoline_kernelINS0_14default_configENS1_29binary_search_config_selectorIN6thrust23THRUST_200600_302600_NS5tupleIiiNS6_9null_typeES8_S8_S8_S8_S8_S8_S8_EEbEEZNS1_14transform_implILb0ES3_SA_NS6_6detail15normal_iteratorINS6_10device_ptrIS9_EEEENSD_INSE_IbEEEEZNS1_13binary_searchIS3_SA_SG_SG_SI_NS1_16binary_search_opENSC_16wrapped_functionINS0_4lessIvEEbEEEE10hipError_tPvRmT1_T2_T3_mmT4_T5_P12ihipStream_tbEUlRKS9_E_EESP_ST_SU_mSV_SY_bEUlT_E_NS1_11comp_targetILNS1_3genE9ELNS1_11target_archE1100ELNS1_3gpuE3ELNS1_3repE0EEENS1_30default_config_static_selectorELNS0_4arch9wavefront6targetE1EEEvSS_,comdat
	.protected	_ZN7rocprim17ROCPRIM_400000_NS6detail17trampoline_kernelINS0_14default_configENS1_29binary_search_config_selectorIN6thrust23THRUST_200600_302600_NS5tupleIiiNS6_9null_typeES8_S8_S8_S8_S8_S8_S8_EEbEEZNS1_14transform_implILb0ES3_SA_NS6_6detail15normal_iteratorINS6_10device_ptrIS9_EEEENSD_INSE_IbEEEEZNS1_13binary_searchIS3_SA_SG_SG_SI_NS1_16binary_search_opENSC_16wrapped_functionINS0_4lessIvEEbEEEE10hipError_tPvRmT1_T2_T3_mmT4_T5_P12ihipStream_tbEUlRKS9_E_EESP_ST_SU_mSV_SY_bEUlT_E_NS1_11comp_targetILNS1_3genE9ELNS1_11target_archE1100ELNS1_3gpuE3ELNS1_3repE0EEENS1_30default_config_static_selectorELNS0_4arch9wavefront6targetE1EEEvSS_ ; -- Begin function _ZN7rocprim17ROCPRIM_400000_NS6detail17trampoline_kernelINS0_14default_configENS1_29binary_search_config_selectorIN6thrust23THRUST_200600_302600_NS5tupleIiiNS6_9null_typeES8_S8_S8_S8_S8_S8_S8_EEbEEZNS1_14transform_implILb0ES3_SA_NS6_6detail15normal_iteratorINS6_10device_ptrIS9_EEEENSD_INSE_IbEEEEZNS1_13binary_searchIS3_SA_SG_SG_SI_NS1_16binary_search_opENSC_16wrapped_functionINS0_4lessIvEEbEEEE10hipError_tPvRmT1_T2_T3_mmT4_T5_P12ihipStream_tbEUlRKS9_E_EESP_ST_SU_mSV_SY_bEUlT_E_NS1_11comp_targetILNS1_3genE9ELNS1_11target_archE1100ELNS1_3gpuE3ELNS1_3repE0EEENS1_30default_config_static_selectorELNS0_4arch9wavefront6targetE1EEEvSS_
	.globl	_ZN7rocprim17ROCPRIM_400000_NS6detail17trampoline_kernelINS0_14default_configENS1_29binary_search_config_selectorIN6thrust23THRUST_200600_302600_NS5tupleIiiNS6_9null_typeES8_S8_S8_S8_S8_S8_S8_EEbEEZNS1_14transform_implILb0ES3_SA_NS6_6detail15normal_iteratorINS6_10device_ptrIS9_EEEENSD_INSE_IbEEEEZNS1_13binary_searchIS3_SA_SG_SG_SI_NS1_16binary_search_opENSC_16wrapped_functionINS0_4lessIvEEbEEEE10hipError_tPvRmT1_T2_T3_mmT4_T5_P12ihipStream_tbEUlRKS9_E_EESP_ST_SU_mSV_SY_bEUlT_E_NS1_11comp_targetILNS1_3genE9ELNS1_11target_archE1100ELNS1_3gpuE3ELNS1_3repE0EEENS1_30default_config_static_selectorELNS0_4arch9wavefront6targetE1EEEvSS_
	.p2align	8
	.type	_ZN7rocprim17ROCPRIM_400000_NS6detail17trampoline_kernelINS0_14default_configENS1_29binary_search_config_selectorIN6thrust23THRUST_200600_302600_NS5tupleIiiNS6_9null_typeES8_S8_S8_S8_S8_S8_S8_EEbEEZNS1_14transform_implILb0ES3_SA_NS6_6detail15normal_iteratorINS6_10device_ptrIS9_EEEENSD_INSE_IbEEEEZNS1_13binary_searchIS3_SA_SG_SG_SI_NS1_16binary_search_opENSC_16wrapped_functionINS0_4lessIvEEbEEEE10hipError_tPvRmT1_T2_T3_mmT4_T5_P12ihipStream_tbEUlRKS9_E_EESP_ST_SU_mSV_SY_bEUlT_E_NS1_11comp_targetILNS1_3genE9ELNS1_11target_archE1100ELNS1_3gpuE3ELNS1_3repE0EEENS1_30default_config_static_selectorELNS0_4arch9wavefront6targetE1EEEvSS_,@function
_ZN7rocprim17ROCPRIM_400000_NS6detail17trampoline_kernelINS0_14default_configENS1_29binary_search_config_selectorIN6thrust23THRUST_200600_302600_NS5tupleIiiNS6_9null_typeES8_S8_S8_S8_S8_S8_S8_EEbEEZNS1_14transform_implILb0ES3_SA_NS6_6detail15normal_iteratorINS6_10device_ptrIS9_EEEENSD_INSE_IbEEEEZNS1_13binary_searchIS3_SA_SG_SG_SI_NS1_16binary_search_opENSC_16wrapped_functionINS0_4lessIvEEbEEEE10hipError_tPvRmT1_T2_T3_mmT4_T5_P12ihipStream_tbEUlRKS9_E_EESP_ST_SU_mSV_SY_bEUlT_E_NS1_11comp_targetILNS1_3genE9ELNS1_11target_archE1100ELNS1_3gpuE3ELNS1_3repE0EEENS1_30default_config_static_selectorELNS0_4arch9wavefront6targetE1EEEvSS_: ; @_ZN7rocprim17ROCPRIM_400000_NS6detail17trampoline_kernelINS0_14default_configENS1_29binary_search_config_selectorIN6thrust23THRUST_200600_302600_NS5tupleIiiNS6_9null_typeES8_S8_S8_S8_S8_S8_S8_EEbEEZNS1_14transform_implILb0ES3_SA_NS6_6detail15normal_iteratorINS6_10device_ptrIS9_EEEENSD_INSE_IbEEEEZNS1_13binary_searchIS3_SA_SG_SG_SI_NS1_16binary_search_opENSC_16wrapped_functionINS0_4lessIvEEbEEEE10hipError_tPvRmT1_T2_T3_mmT4_T5_P12ihipStream_tbEUlRKS9_E_EESP_ST_SU_mSV_SY_bEUlT_E_NS1_11comp_targetILNS1_3genE9ELNS1_11target_archE1100ELNS1_3gpuE3ELNS1_3repE0EEENS1_30default_config_static_selectorELNS0_4arch9wavefront6targetE1EEEvSS_
; %bb.0:
	.section	.rodata,"a",@progbits
	.p2align	6, 0x0
	.amdhsa_kernel _ZN7rocprim17ROCPRIM_400000_NS6detail17trampoline_kernelINS0_14default_configENS1_29binary_search_config_selectorIN6thrust23THRUST_200600_302600_NS5tupleIiiNS6_9null_typeES8_S8_S8_S8_S8_S8_S8_EEbEEZNS1_14transform_implILb0ES3_SA_NS6_6detail15normal_iteratorINS6_10device_ptrIS9_EEEENSD_INSE_IbEEEEZNS1_13binary_searchIS3_SA_SG_SG_SI_NS1_16binary_search_opENSC_16wrapped_functionINS0_4lessIvEEbEEEE10hipError_tPvRmT1_T2_T3_mmT4_T5_P12ihipStream_tbEUlRKS9_E_EESP_ST_SU_mSV_SY_bEUlT_E_NS1_11comp_targetILNS1_3genE9ELNS1_11target_archE1100ELNS1_3gpuE3ELNS1_3repE0EEENS1_30default_config_static_selectorELNS0_4arch9wavefront6targetE1EEEvSS_
		.amdhsa_group_segment_fixed_size 0
		.amdhsa_private_segment_fixed_size 0
		.amdhsa_kernarg_size 56
		.amdhsa_user_sgpr_count 6
		.amdhsa_user_sgpr_private_segment_buffer 1
		.amdhsa_user_sgpr_dispatch_ptr 0
		.amdhsa_user_sgpr_queue_ptr 0
		.amdhsa_user_sgpr_kernarg_segment_ptr 1
		.amdhsa_user_sgpr_dispatch_id 0
		.amdhsa_user_sgpr_flat_scratch_init 0
		.amdhsa_user_sgpr_private_segment_size 0
		.amdhsa_uses_dynamic_stack 0
		.amdhsa_system_sgpr_private_segment_wavefront_offset 0
		.amdhsa_system_sgpr_workgroup_id_x 1
		.amdhsa_system_sgpr_workgroup_id_y 0
		.amdhsa_system_sgpr_workgroup_id_z 0
		.amdhsa_system_sgpr_workgroup_info 0
		.amdhsa_system_vgpr_workitem_id 0
		.amdhsa_next_free_vgpr 1
		.amdhsa_next_free_sgpr 0
		.amdhsa_reserve_vcc 0
		.amdhsa_reserve_flat_scratch 0
		.amdhsa_float_round_mode_32 0
		.amdhsa_float_round_mode_16_64 0
		.amdhsa_float_denorm_mode_32 3
		.amdhsa_float_denorm_mode_16_64 3
		.amdhsa_dx10_clamp 1
		.amdhsa_ieee_mode 1
		.amdhsa_fp16_overflow 0
		.amdhsa_exception_fp_ieee_invalid_op 0
		.amdhsa_exception_fp_denorm_src 0
		.amdhsa_exception_fp_ieee_div_zero 0
		.amdhsa_exception_fp_ieee_overflow 0
		.amdhsa_exception_fp_ieee_underflow 0
		.amdhsa_exception_fp_ieee_inexact 0
		.amdhsa_exception_int_div_zero 0
	.end_amdhsa_kernel
	.section	.text._ZN7rocprim17ROCPRIM_400000_NS6detail17trampoline_kernelINS0_14default_configENS1_29binary_search_config_selectorIN6thrust23THRUST_200600_302600_NS5tupleIiiNS6_9null_typeES8_S8_S8_S8_S8_S8_S8_EEbEEZNS1_14transform_implILb0ES3_SA_NS6_6detail15normal_iteratorINS6_10device_ptrIS9_EEEENSD_INSE_IbEEEEZNS1_13binary_searchIS3_SA_SG_SG_SI_NS1_16binary_search_opENSC_16wrapped_functionINS0_4lessIvEEbEEEE10hipError_tPvRmT1_T2_T3_mmT4_T5_P12ihipStream_tbEUlRKS9_E_EESP_ST_SU_mSV_SY_bEUlT_E_NS1_11comp_targetILNS1_3genE9ELNS1_11target_archE1100ELNS1_3gpuE3ELNS1_3repE0EEENS1_30default_config_static_selectorELNS0_4arch9wavefront6targetE1EEEvSS_,"axG",@progbits,_ZN7rocprim17ROCPRIM_400000_NS6detail17trampoline_kernelINS0_14default_configENS1_29binary_search_config_selectorIN6thrust23THRUST_200600_302600_NS5tupleIiiNS6_9null_typeES8_S8_S8_S8_S8_S8_S8_EEbEEZNS1_14transform_implILb0ES3_SA_NS6_6detail15normal_iteratorINS6_10device_ptrIS9_EEEENSD_INSE_IbEEEEZNS1_13binary_searchIS3_SA_SG_SG_SI_NS1_16binary_search_opENSC_16wrapped_functionINS0_4lessIvEEbEEEE10hipError_tPvRmT1_T2_T3_mmT4_T5_P12ihipStream_tbEUlRKS9_E_EESP_ST_SU_mSV_SY_bEUlT_E_NS1_11comp_targetILNS1_3genE9ELNS1_11target_archE1100ELNS1_3gpuE3ELNS1_3repE0EEENS1_30default_config_static_selectorELNS0_4arch9wavefront6targetE1EEEvSS_,comdat
.Lfunc_end768:
	.size	_ZN7rocprim17ROCPRIM_400000_NS6detail17trampoline_kernelINS0_14default_configENS1_29binary_search_config_selectorIN6thrust23THRUST_200600_302600_NS5tupleIiiNS6_9null_typeES8_S8_S8_S8_S8_S8_S8_EEbEEZNS1_14transform_implILb0ES3_SA_NS6_6detail15normal_iteratorINS6_10device_ptrIS9_EEEENSD_INSE_IbEEEEZNS1_13binary_searchIS3_SA_SG_SG_SI_NS1_16binary_search_opENSC_16wrapped_functionINS0_4lessIvEEbEEEE10hipError_tPvRmT1_T2_T3_mmT4_T5_P12ihipStream_tbEUlRKS9_E_EESP_ST_SU_mSV_SY_bEUlT_E_NS1_11comp_targetILNS1_3genE9ELNS1_11target_archE1100ELNS1_3gpuE3ELNS1_3repE0EEENS1_30default_config_static_selectorELNS0_4arch9wavefront6targetE1EEEvSS_, .Lfunc_end768-_ZN7rocprim17ROCPRIM_400000_NS6detail17trampoline_kernelINS0_14default_configENS1_29binary_search_config_selectorIN6thrust23THRUST_200600_302600_NS5tupleIiiNS6_9null_typeES8_S8_S8_S8_S8_S8_S8_EEbEEZNS1_14transform_implILb0ES3_SA_NS6_6detail15normal_iteratorINS6_10device_ptrIS9_EEEENSD_INSE_IbEEEEZNS1_13binary_searchIS3_SA_SG_SG_SI_NS1_16binary_search_opENSC_16wrapped_functionINS0_4lessIvEEbEEEE10hipError_tPvRmT1_T2_T3_mmT4_T5_P12ihipStream_tbEUlRKS9_E_EESP_ST_SU_mSV_SY_bEUlT_E_NS1_11comp_targetILNS1_3genE9ELNS1_11target_archE1100ELNS1_3gpuE3ELNS1_3repE0EEENS1_30default_config_static_selectorELNS0_4arch9wavefront6targetE1EEEvSS_
                                        ; -- End function
	.set _ZN7rocprim17ROCPRIM_400000_NS6detail17trampoline_kernelINS0_14default_configENS1_29binary_search_config_selectorIN6thrust23THRUST_200600_302600_NS5tupleIiiNS6_9null_typeES8_S8_S8_S8_S8_S8_S8_EEbEEZNS1_14transform_implILb0ES3_SA_NS6_6detail15normal_iteratorINS6_10device_ptrIS9_EEEENSD_INSE_IbEEEEZNS1_13binary_searchIS3_SA_SG_SG_SI_NS1_16binary_search_opENSC_16wrapped_functionINS0_4lessIvEEbEEEE10hipError_tPvRmT1_T2_T3_mmT4_T5_P12ihipStream_tbEUlRKS9_E_EESP_ST_SU_mSV_SY_bEUlT_E_NS1_11comp_targetILNS1_3genE9ELNS1_11target_archE1100ELNS1_3gpuE3ELNS1_3repE0EEENS1_30default_config_static_selectorELNS0_4arch9wavefront6targetE1EEEvSS_.num_vgpr, 0
	.set _ZN7rocprim17ROCPRIM_400000_NS6detail17trampoline_kernelINS0_14default_configENS1_29binary_search_config_selectorIN6thrust23THRUST_200600_302600_NS5tupleIiiNS6_9null_typeES8_S8_S8_S8_S8_S8_S8_EEbEEZNS1_14transform_implILb0ES3_SA_NS6_6detail15normal_iteratorINS6_10device_ptrIS9_EEEENSD_INSE_IbEEEEZNS1_13binary_searchIS3_SA_SG_SG_SI_NS1_16binary_search_opENSC_16wrapped_functionINS0_4lessIvEEbEEEE10hipError_tPvRmT1_T2_T3_mmT4_T5_P12ihipStream_tbEUlRKS9_E_EESP_ST_SU_mSV_SY_bEUlT_E_NS1_11comp_targetILNS1_3genE9ELNS1_11target_archE1100ELNS1_3gpuE3ELNS1_3repE0EEENS1_30default_config_static_selectorELNS0_4arch9wavefront6targetE1EEEvSS_.num_agpr, 0
	.set _ZN7rocprim17ROCPRIM_400000_NS6detail17trampoline_kernelINS0_14default_configENS1_29binary_search_config_selectorIN6thrust23THRUST_200600_302600_NS5tupleIiiNS6_9null_typeES8_S8_S8_S8_S8_S8_S8_EEbEEZNS1_14transform_implILb0ES3_SA_NS6_6detail15normal_iteratorINS6_10device_ptrIS9_EEEENSD_INSE_IbEEEEZNS1_13binary_searchIS3_SA_SG_SG_SI_NS1_16binary_search_opENSC_16wrapped_functionINS0_4lessIvEEbEEEE10hipError_tPvRmT1_T2_T3_mmT4_T5_P12ihipStream_tbEUlRKS9_E_EESP_ST_SU_mSV_SY_bEUlT_E_NS1_11comp_targetILNS1_3genE9ELNS1_11target_archE1100ELNS1_3gpuE3ELNS1_3repE0EEENS1_30default_config_static_selectorELNS0_4arch9wavefront6targetE1EEEvSS_.numbered_sgpr, 0
	.set _ZN7rocprim17ROCPRIM_400000_NS6detail17trampoline_kernelINS0_14default_configENS1_29binary_search_config_selectorIN6thrust23THRUST_200600_302600_NS5tupleIiiNS6_9null_typeES8_S8_S8_S8_S8_S8_S8_EEbEEZNS1_14transform_implILb0ES3_SA_NS6_6detail15normal_iteratorINS6_10device_ptrIS9_EEEENSD_INSE_IbEEEEZNS1_13binary_searchIS3_SA_SG_SG_SI_NS1_16binary_search_opENSC_16wrapped_functionINS0_4lessIvEEbEEEE10hipError_tPvRmT1_T2_T3_mmT4_T5_P12ihipStream_tbEUlRKS9_E_EESP_ST_SU_mSV_SY_bEUlT_E_NS1_11comp_targetILNS1_3genE9ELNS1_11target_archE1100ELNS1_3gpuE3ELNS1_3repE0EEENS1_30default_config_static_selectorELNS0_4arch9wavefront6targetE1EEEvSS_.num_named_barrier, 0
	.set _ZN7rocprim17ROCPRIM_400000_NS6detail17trampoline_kernelINS0_14default_configENS1_29binary_search_config_selectorIN6thrust23THRUST_200600_302600_NS5tupleIiiNS6_9null_typeES8_S8_S8_S8_S8_S8_S8_EEbEEZNS1_14transform_implILb0ES3_SA_NS6_6detail15normal_iteratorINS6_10device_ptrIS9_EEEENSD_INSE_IbEEEEZNS1_13binary_searchIS3_SA_SG_SG_SI_NS1_16binary_search_opENSC_16wrapped_functionINS0_4lessIvEEbEEEE10hipError_tPvRmT1_T2_T3_mmT4_T5_P12ihipStream_tbEUlRKS9_E_EESP_ST_SU_mSV_SY_bEUlT_E_NS1_11comp_targetILNS1_3genE9ELNS1_11target_archE1100ELNS1_3gpuE3ELNS1_3repE0EEENS1_30default_config_static_selectorELNS0_4arch9wavefront6targetE1EEEvSS_.private_seg_size, 0
	.set _ZN7rocprim17ROCPRIM_400000_NS6detail17trampoline_kernelINS0_14default_configENS1_29binary_search_config_selectorIN6thrust23THRUST_200600_302600_NS5tupleIiiNS6_9null_typeES8_S8_S8_S8_S8_S8_S8_EEbEEZNS1_14transform_implILb0ES3_SA_NS6_6detail15normal_iteratorINS6_10device_ptrIS9_EEEENSD_INSE_IbEEEEZNS1_13binary_searchIS3_SA_SG_SG_SI_NS1_16binary_search_opENSC_16wrapped_functionINS0_4lessIvEEbEEEE10hipError_tPvRmT1_T2_T3_mmT4_T5_P12ihipStream_tbEUlRKS9_E_EESP_ST_SU_mSV_SY_bEUlT_E_NS1_11comp_targetILNS1_3genE9ELNS1_11target_archE1100ELNS1_3gpuE3ELNS1_3repE0EEENS1_30default_config_static_selectorELNS0_4arch9wavefront6targetE1EEEvSS_.uses_vcc, 0
	.set _ZN7rocprim17ROCPRIM_400000_NS6detail17trampoline_kernelINS0_14default_configENS1_29binary_search_config_selectorIN6thrust23THRUST_200600_302600_NS5tupleIiiNS6_9null_typeES8_S8_S8_S8_S8_S8_S8_EEbEEZNS1_14transform_implILb0ES3_SA_NS6_6detail15normal_iteratorINS6_10device_ptrIS9_EEEENSD_INSE_IbEEEEZNS1_13binary_searchIS3_SA_SG_SG_SI_NS1_16binary_search_opENSC_16wrapped_functionINS0_4lessIvEEbEEEE10hipError_tPvRmT1_T2_T3_mmT4_T5_P12ihipStream_tbEUlRKS9_E_EESP_ST_SU_mSV_SY_bEUlT_E_NS1_11comp_targetILNS1_3genE9ELNS1_11target_archE1100ELNS1_3gpuE3ELNS1_3repE0EEENS1_30default_config_static_selectorELNS0_4arch9wavefront6targetE1EEEvSS_.uses_flat_scratch, 0
	.set _ZN7rocprim17ROCPRIM_400000_NS6detail17trampoline_kernelINS0_14default_configENS1_29binary_search_config_selectorIN6thrust23THRUST_200600_302600_NS5tupleIiiNS6_9null_typeES8_S8_S8_S8_S8_S8_S8_EEbEEZNS1_14transform_implILb0ES3_SA_NS6_6detail15normal_iteratorINS6_10device_ptrIS9_EEEENSD_INSE_IbEEEEZNS1_13binary_searchIS3_SA_SG_SG_SI_NS1_16binary_search_opENSC_16wrapped_functionINS0_4lessIvEEbEEEE10hipError_tPvRmT1_T2_T3_mmT4_T5_P12ihipStream_tbEUlRKS9_E_EESP_ST_SU_mSV_SY_bEUlT_E_NS1_11comp_targetILNS1_3genE9ELNS1_11target_archE1100ELNS1_3gpuE3ELNS1_3repE0EEENS1_30default_config_static_selectorELNS0_4arch9wavefront6targetE1EEEvSS_.has_dyn_sized_stack, 0
	.set _ZN7rocprim17ROCPRIM_400000_NS6detail17trampoline_kernelINS0_14default_configENS1_29binary_search_config_selectorIN6thrust23THRUST_200600_302600_NS5tupleIiiNS6_9null_typeES8_S8_S8_S8_S8_S8_S8_EEbEEZNS1_14transform_implILb0ES3_SA_NS6_6detail15normal_iteratorINS6_10device_ptrIS9_EEEENSD_INSE_IbEEEEZNS1_13binary_searchIS3_SA_SG_SG_SI_NS1_16binary_search_opENSC_16wrapped_functionINS0_4lessIvEEbEEEE10hipError_tPvRmT1_T2_T3_mmT4_T5_P12ihipStream_tbEUlRKS9_E_EESP_ST_SU_mSV_SY_bEUlT_E_NS1_11comp_targetILNS1_3genE9ELNS1_11target_archE1100ELNS1_3gpuE3ELNS1_3repE0EEENS1_30default_config_static_selectorELNS0_4arch9wavefront6targetE1EEEvSS_.has_recursion, 0
	.set _ZN7rocprim17ROCPRIM_400000_NS6detail17trampoline_kernelINS0_14default_configENS1_29binary_search_config_selectorIN6thrust23THRUST_200600_302600_NS5tupleIiiNS6_9null_typeES8_S8_S8_S8_S8_S8_S8_EEbEEZNS1_14transform_implILb0ES3_SA_NS6_6detail15normal_iteratorINS6_10device_ptrIS9_EEEENSD_INSE_IbEEEEZNS1_13binary_searchIS3_SA_SG_SG_SI_NS1_16binary_search_opENSC_16wrapped_functionINS0_4lessIvEEbEEEE10hipError_tPvRmT1_T2_T3_mmT4_T5_P12ihipStream_tbEUlRKS9_E_EESP_ST_SU_mSV_SY_bEUlT_E_NS1_11comp_targetILNS1_3genE9ELNS1_11target_archE1100ELNS1_3gpuE3ELNS1_3repE0EEENS1_30default_config_static_selectorELNS0_4arch9wavefront6targetE1EEEvSS_.has_indirect_call, 0
	.section	.AMDGPU.csdata,"",@progbits
; Kernel info:
; codeLenInByte = 0
; TotalNumSgprs: 4
; NumVgprs: 0
; ScratchSize: 0
; MemoryBound: 0
; FloatMode: 240
; IeeeMode: 1
; LDSByteSize: 0 bytes/workgroup (compile time only)
; SGPRBlocks: 0
; VGPRBlocks: 0
; NumSGPRsForWavesPerEU: 4
; NumVGPRsForWavesPerEU: 1
; Occupancy: 10
; WaveLimiterHint : 0
; COMPUTE_PGM_RSRC2:SCRATCH_EN: 0
; COMPUTE_PGM_RSRC2:USER_SGPR: 6
; COMPUTE_PGM_RSRC2:TRAP_HANDLER: 0
; COMPUTE_PGM_RSRC2:TGID_X_EN: 1
; COMPUTE_PGM_RSRC2:TGID_Y_EN: 0
; COMPUTE_PGM_RSRC2:TGID_Z_EN: 0
; COMPUTE_PGM_RSRC2:TIDIG_COMP_CNT: 0
	.section	.text._ZN7rocprim17ROCPRIM_400000_NS6detail17trampoline_kernelINS0_14default_configENS1_29binary_search_config_selectorIN6thrust23THRUST_200600_302600_NS5tupleIiiNS6_9null_typeES8_S8_S8_S8_S8_S8_S8_EEbEEZNS1_14transform_implILb0ES3_SA_NS6_6detail15normal_iteratorINS6_10device_ptrIS9_EEEENSD_INSE_IbEEEEZNS1_13binary_searchIS3_SA_SG_SG_SI_NS1_16binary_search_opENSC_16wrapped_functionINS0_4lessIvEEbEEEE10hipError_tPvRmT1_T2_T3_mmT4_T5_P12ihipStream_tbEUlRKS9_E_EESP_ST_SU_mSV_SY_bEUlT_E_NS1_11comp_targetILNS1_3genE8ELNS1_11target_archE1030ELNS1_3gpuE2ELNS1_3repE0EEENS1_30default_config_static_selectorELNS0_4arch9wavefront6targetE1EEEvSS_,"axG",@progbits,_ZN7rocprim17ROCPRIM_400000_NS6detail17trampoline_kernelINS0_14default_configENS1_29binary_search_config_selectorIN6thrust23THRUST_200600_302600_NS5tupleIiiNS6_9null_typeES8_S8_S8_S8_S8_S8_S8_EEbEEZNS1_14transform_implILb0ES3_SA_NS6_6detail15normal_iteratorINS6_10device_ptrIS9_EEEENSD_INSE_IbEEEEZNS1_13binary_searchIS3_SA_SG_SG_SI_NS1_16binary_search_opENSC_16wrapped_functionINS0_4lessIvEEbEEEE10hipError_tPvRmT1_T2_T3_mmT4_T5_P12ihipStream_tbEUlRKS9_E_EESP_ST_SU_mSV_SY_bEUlT_E_NS1_11comp_targetILNS1_3genE8ELNS1_11target_archE1030ELNS1_3gpuE2ELNS1_3repE0EEENS1_30default_config_static_selectorELNS0_4arch9wavefront6targetE1EEEvSS_,comdat
	.protected	_ZN7rocprim17ROCPRIM_400000_NS6detail17trampoline_kernelINS0_14default_configENS1_29binary_search_config_selectorIN6thrust23THRUST_200600_302600_NS5tupleIiiNS6_9null_typeES8_S8_S8_S8_S8_S8_S8_EEbEEZNS1_14transform_implILb0ES3_SA_NS6_6detail15normal_iteratorINS6_10device_ptrIS9_EEEENSD_INSE_IbEEEEZNS1_13binary_searchIS3_SA_SG_SG_SI_NS1_16binary_search_opENSC_16wrapped_functionINS0_4lessIvEEbEEEE10hipError_tPvRmT1_T2_T3_mmT4_T5_P12ihipStream_tbEUlRKS9_E_EESP_ST_SU_mSV_SY_bEUlT_E_NS1_11comp_targetILNS1_3genE8ELNS1_11target_archE1030ELNS1_3gpuE2ELNS1_3repE0EEENS1_30default_config_static_selectorELNS0_4arch9wavefront6targetE1EEEvSS_ ; -- Begin function _ZN7rocprim17ROCPRIM_400000_NS6detail17trampoline_kernelINS0_14default_configENS1_29binary_search_config_selectorIN6thrust23THRUST_200600_302600_NS5tupleIiiNS6_9null_typeES8_S8_S8_S8_S8_S8_S8_EEbEEZNS1_14transform_implILb0ES3_SA_NS6_6detail15normal_iteratorINS6_10device_ptrIS9_EEEENSD_INSE_IbEEEEZNS1_13binary_searchIS3_SA_SG_SG_SI_NS1_16binary_search_opENSC_16wrapped_functionINS0_4lessIvEEbEEEE10hipError_tPvRmT1_T2_T3_mmT4_T5_P12ihipStream_tbEUlRKS9_E_EESP_ST_SU_mSV_SY_bEUlT_E_NS1_11comp_targetILNS1_3genE8ELNS1_11target_archE1030ELNS1_3gpuE2ELNS1_3repE0EEENS1_30default_config_static_selectorELNS0_4arch9wavefront6targetE1EEEvSS_
	.globl	_ZN7rocprim17ROCPRIM_400000_NS6detail17trampoline_kernelINS0_14default_configENS1_29binary_search_config_selectorIN6thrust23THRUST_200600_302600_NS5tupleIiiNS6_9null_typeES8_S8_S8_S8_S8_S8_S8_EEbEEZNS1_14transform_implILb0ES3_SA_NS6_6detail15normal_iteratorINS6_10device_ptrIS9_EEEENSD_INSE_IbEEEEZNS1_13binary_searchIS3_SA_SG_SG_SI_NS1_16binary_search_opENSC_16wrapped_functionINS0_4lessIvEEbEEEE10hipError_tPvRmT1_T2_T3_mmT4_T5_P12ihipStream_tbEUlRKS9_E_EESP_ST_SU_mSV_SY_bEUlT_E_NS1_11comp_targetILNS1_3genE8ELNS1_11target_archE1030ELNS1_3gpuE2ELNS1_3repE0EEENS1_30default_config_static_selectorELNS0_4arch9wavefront6targetE1EEEvSS_
	.p2align	8
	.type	_ZN7rocprim17ROCPRIM_400000_NS6detail17trampoline_kernelINS0_14default_configENS1_29binary_search_config_selectorIN6thrust23THRUST_200600_302600_NS5tupleIiiNS6_9null_typeES8_S8_S8_S8_S8_S8_S8_EEbEEZNS1_14transform_implILb0ES3_SA_NS6_6detail15normal_iteratorINS6_10device_ptrIS9_EEEENSD_INSE_IbEEEEZNS1_13binary_searchIS3_SA_SG_SG_SI_NS1_16binary_search_opENSC_16wrapped_functionINS0_4lessIvEEbEEEE10hipError_tPvRmT1_T2_T3_mmT4_T5_P12ihipStream_tbEUlRKS9_E_EESP_ST_SU_mSV_SY_bEUlT_E_NS1_11comp_targetILNS1_3genE8ELNS1_11target_archE1030ELNS1_3gpuE2ELNS1_3repE0EEENS1_30default_config_static_selectorELNS0_4arch9wavefront6targetE1EEEvSS_,@function
_ZN7rocprim17ROCPRIM_400000_NS6detail17trampoline_kernelINS0_14default_configENS1_29binary_search_config_selectorIN6thrust23THRUST_200600_302600_NS5tupleIiiNS6_9null_typeES8_S8_S8_S8_S8_S8_S8_EEbEEZNS1_14transform_implILb0ES3_SA_NS6_6detail15normal_iteratorINS6_10device_ptrIS9_EEEENSD_INSE_IbEEEEZNS1_13binary_searchIS3_SA_SG_SG_SI_NS1_16binary_search_opENSC_16wrapped_functionINS0_4lessIvEEbEEEE10hipError_tPvRmT1_T2_T3_mmT4_T5_P12ihipStream_tbEUlRKS9_E_EESP_ST_SU_mSV_SY_bEUlT_E_NS1_11comp_targetILNS1_3genE8ELNS1_11target_archE1030ELNS1_3gpuE2ELNS1_3repE0EEENS1_30default_config_static_selectorELNS0_4arch9wavefront6targetE1EEEvSS_: ; @_ZN7rocprim17ROCPRIM_400000_NS6detail17trampoline_kernelINS0_14default_configENS1_29binary_search_config_selectorIN6thrust23THRUST_200600_302600_NS5tupleIiiNS6_9null_typeES8_S8_S8_S8_S8_S8_S8_EEbEEZNS1_14transform_implILb0ES3_SA_NS6_6detail15normal_iteratorINS6_10device_ptrIS9_EEEENSD_INSE_IbEEEEZNS1_13binary_searchIS3_SA_SG_SG_SI_NS1_16binary_search_opENSC_16wrapped_functionINS0_4lessIvEEbEEEE10hipError_tPvRmT1_T2_T3_mmT4_T5_P12ihipStream_tbEUlRKS9_E_EESP_ST_SU_mSV_SY_bEUlT_E_NS1_11comp_targetILNS1_3genE8ELNS1_11target_archE1030ELNS1_3gpuE2ELNS1_3repE0EEENS1_30default_config_static_selectorELNS0_4arch9wavefront6targetE1EEEvSS_
; %bb.0:
	.section	.rodata,"a",@progbits
	.p2align	6, 0x0
	.amdhsa_kernel _ZN7rocprim17ROCPRIM_400000_NS6detail17trampoline_kernelINS0_14default_configENS1_29binary_search_config_selectorIN6thrust23THRUST_200600_302600_NS5tupleIiiNS6_9null_typeES8_S8_S8_S8_S8_S8_S8_EEbEEZNS1_14transform_implILb0ES3_SA_NS6_6detail15normal_iteratorINS6_10device_ptrIS9_EEEENSD_INSE_IbEEEEZNS1_13binary_searchIS3_SA_SG_SG_SI_NS1_16binary_search_opENSC_16wrapped_functionINS0_4lessIvEEbEEEE10hipError_tPvRmT1_T2_T3_mmT4_T5_P12ihipStream_tbEUlRKS9_E_EESP_ST_SU_mSV_SY_bEUlT_E_NS1_11comp_targetILNS1_3genE8ELNS1_11target_archE1030ELNS1_3gpuE2ELNS1_3repE0EEENS1_30default_config_static_selectorELNS0_4arch9wavefront6targetE1EEEvSS_
		.amdhsa_group_segment_fixed_size 0
		.amdhsa_private_segment_fixed_size 0
		.amdhsa_kernarg_size 56
		.amdhsa_user_sgpr_count 6
		.amdhsa_user_sgpr_private_segment_buffer 1
		.amdhsa_user_sgpr_dispatch_ptr 0
		.amdhsa_user_sgpr_queue_ptr 0
		.amdhsa_user_sgpr_kernarg_segment_ptr 1
		.amdhsa_user_sgpr_dispatch_id 0
		.amdhsa_user_sgpr_flat_scratch_init 0
		.amdhsa_user_sgpr_private_segment_size 0
		.amdhsa_uses_dynamic_stack 0
		.amdhsa_system_sgpr_private_segment_wavefront_offset 0
		.amdhsa_system_sgpr_workgroup_id_x 1
		.amdhsa_system_sgpr_workgroup_id_y 0
		.amdhsa_system_sgpr_workgroup_id_z 0
		.amdhsa_system_sgpr_workgroup_info 0
		.amdhsa_system_vgpr_workitem_id 0
		.amdhsa_next_free_vgpr 1
		.amdhsa_next_free_sgpr 0
		.amdhsa_reserve_vcc 0
		.amdhsa_reserve_flat_scratch 0
		.amdhsa_float_round_mode_32 0
		.amdhsa_float_round_mode_16_64 0
		.amdhsa_float_denorm_mode_32 3
		.amdhsa_float_denorm_mode_16_64 3
		.amdhsa_dx10_clamp 1
		.amdhsa_ieee_mode 1
		.amdhsa_fp16_overflow 0
		.amdhsa_exception_fp_ieee_invalid_op 0
		.amdhsa_exception_fp_denorm_src 0
		.amdhsa_exception_fp_ieee_div_zero 0
		.amdhsa_exception_fp_ieee_overflow 0
		.amdhsa_exception_fp_ieee_underflow 0
		.amdhsa_exception_fp_ieee_inexact 0
		.amdhsa_exception_int_div_zero 0
	.end_amdhsa_kernel
	.section	.text._ZN7rocprim17ROCPRIM_400000_NS6detail17trampoline_kernelINS0_14default_configENS1_29binary_search_config_selectorIN6thrust23THRUST_200600_302600_NS5tupleIiiNS6_9null_typeES8_S8_S8_S8_S8_S8_S8_EEbEEZNS1_14transform_implILb0ES3_SA_NS6_6detail15normal_iteratorINS6_10device_ptrIS9_EEEENSD_INSE_IbEEEEZNS1_13binary_searchIS3_SA_SG_SG_SI_NS1_16binary_search_opENSC_16wrapped_functionINS0_4lessIvEEbEEEE10hipError_tPvRmT1_T2_T3_mmT4_T5_P12ihipStream_tbEUlRKS9_E_EESP_ST_SU_mSV_SY_bEUlT_E_NS1_11comp_targetILNS1_3genE8ELNS1_11target_archE1030ELNS1_3gpuE2ELNS1_3repE0EEENS1_30default_config_static_selectorELNS0_4arch9wavefront6targetE1EEEvSS_,"axG",@progbits,_ZN7rocprim17ROCPRIM_400000_NS6detail17trampoline_kernelINS0_14default_configENS1_29binary_search_config_selectorIN6thrust23THRUST_200600_302600_NS5tupleIiiNS6_9null_typeES8_S8_S8_S8_S8_S8_S8_EEbEEZNS1_14transform_implILb0ES3_SA_NS6_6detail15normal_iteratorINS6_10device_ptrIS9_EEEENSD_INSE_IbEEEEZNS1_13binary_searchIS3_SA_SG_SG_SI_NS1_16binary_search_opENSC_16wrapped_functionINS0_4lessIvEEbEEEE10hipError_tPvRmT1_T2_T3_mmT4_T5_P12ihipStream_tbEUlRKS9_E_EESP_ST_SU_mSV_SY_bEUlT_E_NS1_11comp_targetILNS1_3genE8ELNS1_11target_archE1030ELNS1_3gpuE2ELNS1_3repE0EEENS1_30default_config_static_selectorELNS0_4arch9wavefront6targetE1EEEvSS_,comdat
.Lfunc_end769:
	.size	_ZN7rocprim17ROCPRIM_400000_NS6detail17trampoline_kernelINS0_14default_configENS1_29binary_search_config_selectorIN6thrust23THRUST_200600_302600_NS5tupleIiiNS6_9null_typeES8_S8_S8_S8_S8_S8_S8_EEbEEZNS1_14transform_implILb0ES3_SA_NS6_6detail15normal_iteratorINS6_10device_ptrIS9_EEEENSD_INSE_IbEEEEZNS1_13binary_searchIS3_SA_SG_SG_SI_NS1_16binary_search_opENSC_16wrapped_functionINS0_4lessIvEEbEEEE10hipError_tPvRmT1_T2_T3_mmT4_T5_P12ihipStream_tbEUlRKS9_E_EESP_ST_SU_mSV_SY_bEUlT_E_NS1_11comp_targetILNS1_3genE8ELNS1_11target_archE1030ELNS1_3gpuE2ELNS1_3repE0EEENS1_30default_config_static_selectorELNS0_4arch9wavefront6targetE1EEEvSS_, .Lfunc_end769-_ZN7rocprim17ROCPRIM_400000_NS6detail17trampoline_kernelINS0_14default_configENS1_29binary_search_config_selectorIN6thrust23THRUST_200600_302600_NS5tupleIiiNS6_9null_typeES8_S8_S8_S8_S8_S8_S8_EEbEEZNS1_14transform_implILb0ES3_SA_NS6_6detail15normal_iteratorINS6_10device_ptrIS9_EEEENSD_INSE_IbEEEEZNS1_13binary_searchIS3_SA_SG_SG_SI_NS1_16binary_search_opENSC_16wrapped_functionINS0_4lessIvEEbEEEE10hipError_tPvRmT1_T2_T3_mmT4_T5_P12ihipStream_tbEUlRKS9_E_EESP_ST_SU_mSV_SY_bEUlT_E_NS1_11comp_targetILNS1_3genE8ELNS1_11target_archE1030ELNS1_3gpuE2ELNS1_3repE0EEENS1_30default_config_static_selectorELNS0_4arch9wavefront6targetE1EEEvSS_
                                        ; -- End function
	.set _ZN7rocprim17ROCPRIM_400000_NS6detail17trampoline_kernelINS0_14default_configENS1_29binary_search_config_selectorIN6thrust23THRUST_200600_302600_NS5tupleIiiNS6_9null_typeES8_S8_S8_S8_S8_S8_S8_EEbEEZNS1_14transform_implILb0ES3_SA_NS6_6detail15normal_iteratorINS6_10device_ptrIS9_EEEENSD_INSE_IbEEEEZNS1_13binary_searchIS3_SA_SG_SG_SI_NS1_16binary_search_opENSC_16wrapped_functionINS0_4lessIvEEbEEEE10hipError_tPvRmT1_T2_T3_mmT4_T5_P12ihipStream_tbEUlRKS9_E_EESP_ST_SU_mSV_SY_bEUlT_E_NS1_11comp_targetILNS1_3genE8ELNS1_11target_archE1030ELNS1_3gpuE2ELNS1_3repE0EEENS1_30default_config_static_selectorELNS0_4arch9wavefront6targetE1EEEvSS_.num_vgpr, 0
	.set _ZN7rocprim17ROCPRIM_400000_NS6detail17trampoline_kernelINS0_14default_configENS1_29binary_search_config_selectorIN6thrust23THRUST_200600_302600_NS5tupleIiiNS6_9null_typeES8_S8_S8_S8_S8_S8_S8_EEbEEZNS1_14transform_implILb0ES3_SA_NS6_6detail15normal_iteratorINS6_10device_ptrIS9_EEEENSD_INSE_IbEEEEZNS1_13binary_searchIS3_SA_SG_SG_SI_NS1_16binary_search_opENSC_16wrapped_functionINS0_4lessIvEEbEEEE10hipError_tPvRmT1_T2_T3_mmT4_T5_P12ihipStream_tbEUlRKS9_E_EESP_ST_SU_mSV_SY_bEUlT_E_NS1_11comp_targetILNS1_3genE8ELNS1_11target_archE1030ELNS1_3gpuE2ELNS1_3repE0EEENS1_30default_config_static_selectorELNS0_4arch9wavefront6targetE1EEEvSS_.num_agpr, 0
	.set _ZN7rocprim17ROCPRIM_400000_NS6detail17trampoline_kernelINS0_14default_configENS1_29binary_search_config_selectorIN6thrust23THRUST_200600_302600_NS5tupleIiiNS6_9null_typeES8_S8_S8_S8_S8_S8_S8_EEbEEZNS1_14transform_implILb0ES3_SA_NS6_6detail15normal_iteratorINS6_10device_ptrIS9_EEEENSD_INSE_IbEEEEZNS1_13binary_searchIS3_SA_SG_SG_SI_NS1_16binary_search_opENSC_16wrapped_functionINS0_4lessIvEEbEEEE10hipError_tPvRmT1_T2_T3_mmT4_T5_P12ihipStream_tbEUlRKS9_E_EESP_ST_SU_mSV_SY_bEUlT_E_NS1_11comp_targetILNS1_3genE8ELNS1_11target_archE1030ELNS1_3gpuE2ELNS1_3repE0EEENS1_30default_config_static_selectorELNS0_4arch9wavefront6targetE1EEEvSS_.numbered_sgpr, 0
	.set _ZN7rocprim17ROCPRIM_400000_NS6detail17trampoline_kernelINS0_14default_configENS1_29binary_search_config_selectorIN6thrust23THRUST_200600_302600_NS5tupleIiiNS6_9null_typeES8_S8_S8_S8_S8_S8_S8_EEbEEZNS1_14transform_implILb0ES3_SA_NS6_6detail15normal_iteratorINS6_10device_ptrIS9_EEEENSD_INSE_IbEEEEZNS1_13binary_searchIS3_SA_SG_SG_SI_NS1_16binary_search_opENSC_16wrapped_functionINS0_4lessIvEEbEEEE10hipError_tPvRmT1_T2_T3_mmT4_T5_P12ihipStream_tbEUlRKS9_E_EESP_ST_SU_mSV_SY_bEUlT_E_NS1_11comp_targetILNS1_3genE8ELNS1_11target_archE1030ELNS1_3gpuE2ELNS1_3repE0EEENS1_30default_config_static_selectorELNS0_4arch9wavefront6targetE1EEEvSS_.num_named_barrier, 0
	.set _ZN7rocprim17ROCPRIM_400000_NS6detail17trampoline_kernelINS0_14default_configENS1_29binary_search_config_selectorIN6thrust23THRUST_200600_302600_NS5tupleIiiNS6_9null_typeES8_S8_S8_S8_S8_S8_S8_EEbEEZNS1_14transform_implILb0ES3_SA_NS6_6detail15normal_iteratorINS6_10device_ptrIS9_EEEENSD_INSE_IbEEEEZNS1_13binary_searchIS3_SA_SG_SG_SI_NS1_16binary_search_opENSC_16wrapped_functionINS0_4lessIvEEbEEEE10hipError_tPvRmT1_T2_T3_mmT4_T5_P12ihipStream_tbEUlRKS9_E_EESP_ST_SU_mSV_SY_bEUlT_E_NS1_11comp_targetILNS1_3genE8ELNS1_11target_archE1030ELNS1_3gpuE2ELNS1_3repE0EEENS1_30default_config_static_selectorELNS0_4arch9wavefront6targetE1EEEvSS_.private_seg_size, 0
	.set _ZN7rocprim17ROCPRIM_400000_NS6detail17trampoline_kernelINS0_14default_configENS1_29binary_search_config_selectorIN6thrust23THRUST_200600_302600_NS5tupleIiiNS6_9null_typeES8_S8_S8_S8_S8_S8_S8_EEbEEZNS1_14transform_implILb0ES3_SA_NS6_6detail15normal_iteratorINS6_10device_ptrIS9_EEEENSD_INSE_IbEEEEZNS1_13binary_searchIS3_SA_SG_SG_SI_NS1_16binary_search_opENSC_16wrapped_functionINS0_4lessIvEEbEEEE10hipError_tPvRmT1_T2_T3_mmT4_T5_P12ihipStream_tbEUlRKS9_E_EESP_ST_SU_mSV_SY_bEUlT_E_NS1_11comp_targetILNS1_3genE8ELNS1_11target_archE1030ELNS1_3gpuE2ELNS1_3repE0EEENS1_30default_config_static_selectorELNS0_4arch9wavefront6targetE1EEEvSS_.uses_vcc, 0
	.set _ZN7rocprim17ROCPRIM_400000_NS6detail17trampoline_kernelINS0_14default_configENS1_29binary_search_config_selectorIN6thrust23THRUST_200600_302600_NS5tupleIiiNS6_9null_typeES8_S8_S8_S8_S8_S8_S8_EEbEEZNS1_14transform_implILb0ES3_SA_NS6_6detail15normal_iteratorINS6_10device_ptrIS9_EEEENSD_INSE_IbEEEEZNS1_13binary_searchIS3_SA_SG_SG_SI_NS1_16binary_search_opENSC_16wrapped_functionINS0_4lessIvEEbEEEE10hipError_tPvRmT1_T2_T3_mmT4_T5_P12ihipStream_tbEUlRKS9_E_EESP_ST_SU_mSV_SY_bEUlT_E_NS1_11comp_targetILNS1_3genE8ELNS1_11target_archE1030ELNS1_3gpuE2ELNS1_3repE0EEENS1_30default_config_static_selectorELNS0_4arch9wavefront6targetE1EEEvSS_.uses_flat_scratch, 0
	.set _ZN7rocprim17ROCPRIM_400000_NS6detail17trampoline_kernelINS0_14default_configENS1_29binary_search_config_selectorIN6thrust23THRUST_200600_302600_NS5tupleIiiNS6_9null_typeES8_S8_S8_S8_S8_S8_S8_EEbEEZNS1_14transform_implILb0ES3_SA_NS6_6detail15normal_iteratorINS6_10device_ptrIS9_EEEENSD_INSE_IbEEEEZNS1_13binary_searchIS3_SA_SG_SG_SI_NS1_16binary_search_opENSC_16wrapped_functionINS0_4lessIvEEbEEEE10hipError_tPvRmT1_T2_T3_mmT4_T5_P12ihipStream_tbEUlRKS9_E_EESP_ST_SU_mSV_SY_bEUlT_E_NS1_11comp_targetILNS1_3genE8ELNS1_11target_archE1030ELNS1_3gpuE2ELNS1_3repE0EEENS1_30default_config_static_selectorELNS0_4arch9wavefront6targetE1EEEvSS_.has_dyn_sized_stack, 0
	.set _ZN7rocprim17ROCPRIM_400000_NS6detail17trampoline_kernelINS0_14default_configENS1_29binary_search_config_selectorIN6thrust23THRUST_200600_302600_NS5tupleIiiNS6_9null_typeES8_S8_S8_S8_S8_S8_S8_EEbEEZNS1_14transform_implILb0ES3_SA_NS6_6detail15normal_iteratorINS6_10device_ptrIS9_EEEENSD_INSE_IbEEEEZNS1_13binary_searchIS3_SA_SG_SG_SI_NS1_16binary_search_opENSC_16wrapped_functionINS0_4lessIvEEbEEEE10hipError_tPvRmT1_T2_T3_mmT4_T5_P12ihipStream_tbEUlRKS9_E_EESP_ST_SU_mSV_SY_bEUlT_E_NS1_11comp_targetILNS1_3genE8ELNS1_11target_archE1030ELNS1_3gpuE2ELNS1_3repE0EEENS1_30default_config_static_selectorELNS0_4arch9wavefront6targetE1EEEvSS_.has_recursion, 0
	.set _ZN7rocprim17ROCPRIM_400000_NS6detail17trampoline_kernelINS0_14default_configENS1_29binary_search_config_selectorIN6thrust23THRUST_200600_302600_NS5tupleIiiNS6_9null_typeES8_S8_S8_S8_S8_S8_S8_EEbEEZNS1_14transform_implILb0ES3_SA_NS6_6detail15normal_iteratorINS6_10device_ptrIS9_EEEENSD_INSE_IbEEEEZNS1_13binary_searchIS3_SA_SG_SG_SI_NS1_16binary_search_opENSC_16wrapped_functionINS0_4lessIvEEbEEEE10hipError_tPvRmT1_T2_T3_mmT4_T5_P12ihipStream_tbEUlRKS9_E_EESP_ST_SU_mSV_SY_bEUlT_E_NS1_11comp_targetILNS1_3genE8ELNS1_11target_archE1030ELNS1_3gpuE2ELNS1_3repE0EEENS1_30default_config_static_selectorELNS0_4arch9wavefront6targetE1EEEvSS_.has_indirect_call, 0
	.section	.AMDGPU.csdata,"",@progbits
; Kernel info:
; codeLenInByte = 0
; TotalNumSgprs: 4
; NumVgprs: 0
; ScratchSize: 0
; MemoryBound: 0
; FloatMode: 240
; IeeeMode: 1
; LDSByteSize: 0 bytes/workgroup (compile time only)
; SGPRBlocks: 0
; VGPRBlocks: 0
; NumSGPRsForWavesPerEU: 4
; NumVGPRsForWavesPerEU: 1
; Occupancy: 10
; WaveLimiterHint : 0
; COMPUTE_PGM_RSRC2:SCRATCH_EN: 0
; COMPUTE_PGM_RSRC2:USER_SGPR: 6
; COMPUTE_PGM_RSRC2:TRAP_HANDLER: 0
; COMPUTE_PGM_RSRC2:TGID_X_EN: 1
; COMPUTE_PGM_RSRC2:TGID_Y_EN: 0
; COMPUTE_PGM_RSRC2:TGID_Z_EN: 0
; COMPUTE_PGM_RSRC2:TIDIG_COMP_CNT: 0
	.section	.text._ZN7rocprim17ROCPRIM_400000_NS6detail17trampoline_kernelINS0_14default_configENS1_27lower_bound_config_selectorIilEEZNS1_14transform_implILb0ES3_S5_N6thrust23THRUST_200600_302600_NS6detail15normal_iteratorINS8_7pointerIiNS9_22execute_with_allocatorINS8_16device_allocatorIcEENS8_11hip_rocprim22execute_on_stream_baseEEENS8_11use_defaultESI_EEEENSA_INSB_IlSH_SI_SI_EEEEZNS1_13binary_searchIS3_S5_NSA_INS8_10device_ptrIiEEEESK_SM_NS1_21lower_bound_search_opENS9_16wrapped_functionINS8_6system6detail7generic6detail18binary_search_lessEbEEEE10hipError_tPvRmT1_T2_T3_mmT4_T5_P12ihipStream_tbEUlRKiE_EESZ_S13_S14_mS15_S18_bEUlT_E_NS1_11comp_targetILNS1_3genE0ELNS1_11target_archE4294967295ELNS1_3gpuE0ELNS1_3repE0EEENS1_30default_config_static_selectorELNS0_4arch9wavefront6targetE1EEEvS12_,"axG",@progbits,_ZN7rocprim17ROCPRIM_400000_NS6detail17trampoline_kernelINS0_14default_configENS1_27lower_bound_config_selectorIilEEZNS1_14transform_implILb0ES3_S5_N6thrust23THRUST_200600_302600_NS6detail15normal_iteratorINS8_7pointerIiNS9_22execute_with_allocatorINS8_16device_allocatorIcEENS8_11hip_rocprim22execute_on_stream_baseEEENS8_11use_defaultESI_EEEENSA_INSB_IlSH_SI_SI_EEEEZNS1_13binary_searchIS3_S5_NSA_INS8_10device_ptrIiEEEESK_SM_NS1_21lower_bound_search_opENS9_16wrapped_functionINS8_6system6detail7generic6detail18binary_search_lessEbEEEE10hipError_tPvRmT1_T2_T3_mmT4_T5_P12ihipStream_tbEUlRKiE_EESZ_S13_S14_mS15_S18_bEUlT_E_NS1_11comp_targetILNS1_3genE0ELNS1_11target_archE4294967295ELNS1_3gpuE0ELNS1_3repE0EEENS1_30default_config_static_selectorELNS0_4arch9wavefront6targetE1EEEvS12_,comdat
	.protected	_ZN7rocprim17ROCPRIM_400000_NS6detail17trampoline_kernelINS0_14default_configENS1_27lower_bound_config_selectorIilEEZNS1_14transform_implILb0ES3_S5_N6thrust23THRUST_200600_302600_NS6detail15normal_iteratorINS8_7pointerIiNS9_22execute_with_allocatorINS8_16device_allocatorIcEENS8_11hip_rocprim22execute_on_stream_baseEEENS8_11use_defaultESI_EEEENSA_INSB_IlSH_SI_SI_EEEEZNS1_13binary_searchIS3_S5_NSA_INS8_10device_ptrIiEEEESK_SM_NS1_21lower_bound_search_opENS9_16wrapped_functionINS8_6system6detail7generic6detail18binary_search_lessEbEEEE10hipError_tPvRmT1_T2_T3_mmT4_T5_P12ihipStream_tbEUlRKiE_EESZ_S13_S14_mS15_S18_bEUlT_E_NS1_11comp_targetILNS1_3genE0ELNS1_11target_archE4294967295ELNS1_3gpuE0ELNS1_3repE0EEENS1_30default_config_static_selectorELNS0_4arch9wavefront6targetE1EEEvS12_ ; -- Begin function _ZN7rocprim17ROCPRIM_400000_NS6detail17trampoline_kernelINS0_14default_configENS1_27lower_bound_config_selectorIilEEZNS1_14transform_implILb0ES3_S5_N6thrust23THRUST_200600_302600_NS6detail15normal_iteratorINS8_7pointerIiNS9_22execute_with_allocatorINS8_16device_allocatorIcEENS8_11hip_rocprim22execute_on_stream_baseEEENS8_11use_defaultESI_EEEENSA_INSB_IlSH_SI_SI_EEEEZNS1_13binary_searchIS3_S5_NSA_INS8_10device_ptrIiEEEESK_SM_NS1_21lower_bound_search_opENS9_16wrapped_functionINS8_6system6detail7generic6detail18binary_search_lessEbEEEE10hipError_tPvRmT1_T2_T3_mmT4_T5_P12ihipStream_tbEUlRKiE_EESZ_S13_S14_mS15_S18_bEUlT_E_NS1_11comp_targetILNS1_3genE0ELNS1_11target_archE4294967295ELNS1_3gpuE0ELNS1_3repE0EEENS1_30default_config_static_selectorELNS0_4arch9wavefront6targetE1EEEvS12_
	.globl	_ZN7rocprim17ROCPRIM_400000_NS6detail17trampoline_kernelINS0_14default_configENS1_27lower_bound_config_selectorIilEEZNS1_14transform_implILb0ES3_S5_N6thrust23THRUST_200600_302600_NS6detail15normal_iteratorINS8_7pointerIiNS9_22execute_with_allocatorINS8_16device_allocatorIcEENS8_11hip_rocprim22execute_on_stream_baseEEENS8_11use_defaultESI_EEEENSA_INSB_IlSH_SI_SI_EEEEZNS1_13binary_searchIS3_S5_NSA_INS8_10device_ptrIiEEEESK_SM_NS1_21lower_bound_search_opENS9_16wrapped_functionINS8_6system6detail7generic6detail18binary_search_lessEbEEEE10hipError_tPvRmT1_T2_T3_mmT4_T5_P12ihipStream_tbEUlRKiE_EESZ_S13_S14_mS15_S18_bEUlT_E_NS1_11comp_targetILNS1_3genE0ELNS1_11target_archE4294967295ELNS1_3gpuE0ELNS1_3repE0EEENS1_30default_config_static_selectorELNS0_4arch9wavefront6targetE1EEEvS12_
	.p2align	8
	.type	_ZN7rocprim17ROCPRIM_400000_NS6detail17trampoline_kernelINS0_14default_configENS1_27lower_bound_config_selectorIilEEZNS1_14transform_implILb0ES3_S5_N6thrust23THRUST_200600_302600_NS6detail15normal_iteratorINS8_7pointerIiNS9_22execute_with_allocatorINS8_16device_allocatorIcEENS8_11hip_rocprim22execute_on_stream_baseEEENS8_11use_defaultESI_EEEENSA_INSB_IlSH_SI_SI_EEEEZNS1_13binary_searchIS3_S5_NSA_INS8_10device_ptrIiEEEESK_SM_NS1_21lower_bound_search_opENS9_16wrapped_functionINS8_6system6detail7generic6detail18binary_search_lessEbEEEE10hipError_tPvRmT1_T2_T3_mmT4_T5_P12ihipStream_tbEUlRKiE_EESZ_S13_S14_mS15_S18_bEUlT_E_NS1_11comp_targetILNS1_3genE0ELNS1_11target_archE4294967295ELNS1_3gpuE0ELNS1_3repE0EEENS1_30default_config_static_selectorELNS0_4arch9wavefront6targetE1EEEvS12_,@function
_ZN7rocprim17ROCPRIM_400000_NS6detail17trampoline_kernelINS0_14default_configENS1_27lower_bound_config_selectorIilEEZNS1_14transform_implILb0ES3_S5_N6thrust23THRUST_200600_302600_NS6detail15normal_iteratorINS8_7pointerIiNS9_22execute_with_allocatorINS8_16device_allocatorIcEENS8_11hip_rocprim22execute_on_stream_baseEEENS8_11use_defaultESI_EEEENSA_INSB_IlSH_SI_SI_EEEEZNS1_13binary_searchIS3_S5_NSA_INS8_10device_ptrIiEEEESK_SM_NS1_21lower_bound_search_opENS9_16wrapped_functionINS8_6system6detail7generic6detail18binary_search_lessEbEEEE10hipError_tPvRmT1_T2_T3_mmT4_T5_P12ihipStream_tbEUlRKiE_EESZ_S13_S14_mS15_S18_bEUlT_E_NS1_11comp_targetILNS1_3genE0ELNS1_11target_archE4294967295ELNS1_3gpuE0ELNS1_3repE0EEENS1_30default_config_static_selectorELNS0_4arch9wavefront6targetE1EEEvS12_: ; @_ZN7rocprim17ROCPRIM_400000_NS6detail17trampoline_kernelINS0_14default_configENS1_27lower_bound_config_selectorIilEEZNS1_14transform_implILb0ES3_S5_N6thrust23THRUST_200600_302600_NS6detail15normal_iteratorINS8_7pointerIiNS9_22execute_with_allocatorINS8_16device_allocatorIcEENS8_11hip_rocprim22execute_on_stream_baseEEENS8_11use_defaultESI_EEEENSA_INSB_IlSH_SI_SI_EEEEZNS1_13binary_searchIS3_S5_NSA_INS8_10device_ptrIiEEEESK_SM_NS1_21lower_bound_search_opENS9_16wrapped_functionINS8_6system6detail7generic6detail18binary_search_lessEbEEEE10hipError_tPvRmT1_T2_T3_mmT4_T5_P12ihipStream_tbEUlRKiE_EESZ_S13_S14_mS15_S18_bEUlT_E_NS1_11comp_targetILNS1_3genE0ELNS1_11target_archE4294967295ELNS1_3gpuE0ELNS1_3repE0EEENS1_30default_config_static_selectorELNS0_4arch9wavefront6targetE1EEEvS12_
; %bb.0:
	.section	.rodata,"a",@progbits
	.p2align	6, 0x0
	.amdhsa_kernel _ZN7rocprim17ROCPRIM_400000_NS6detail17trampoline_kernelINS0_14default_configENS1_27lower_bound_config_selectorIilEEZNS1_14transform_implILb0ES3_S5_N6thrust23THRUST_200600_302600_NS6detail15normal_iteratorINS8_7pointerIiNS9_22execute_with_allocatorINS8_16device_allocatorIcEENS8_11hip_rocprim22execute_on_stream_baseEEENS8_11use_defaultESI_EEEENSA_INSB_IlSH_SI_SI_EEEEZNS1_13binary_searchIS3_S5_NSA_INS8_10device_ptrIiEEEESK_SM_NS1_21lower_bound_search_opENS9_16wrapped_functionINS8_6system6detail7generic6detail18binary_search_lessEbEEEE10hipError_tPvRmT1_T2_T3_mmT4_T5_P12ihipStream_tbEUlRKiE_EESZ_S13_S14_mS15_S18_bEUlT_E_NS1_11comp_targetILNS1_3genE0ELNS1_11target_archE4294967295ELNS1_3gpuE0ELNS1_3repE0EEENS1_30default_config_static_selectorELNS0_4arch9wavefront6targetE1EEEvS12_
		.amdhsa_group_segment_fixed_size 0
		.amdhsa_private_segment_fixed_size 0
		.amdhsa_kernarg_size 56
		.amdhsa_user_sgpr_count 6
		.amdhsa_user_sgpr_private_segment_buffer 1
		.amdhsa_user_sgpr_dispatch_ptr 0
		.amdhsa_user_sgpr_queue_ptr 0
		.amdhsa_user_sgpr_kernarg_segment_ptr 1
		.amdhsa_user_sgpr_dispatch_id 0
		.amdhsa_user_sgpr_flat_scratch_init 0
		.amdhsa_user_sgpr_private_segment_size 0
		.amdhsa_uses_dynamic_stack 0
		.amdhsa_system_sgpr_private_segment_wavefront_offset 0
		.amdhsa_system_sgpr_workgroup_id_x 1
		.amdhsa_system_sgpr_workgroup_id_y 0
		.amdhsa_system_sgpr_workgroup_id_z 0
		.amdhsa_system_sgpr_workgroup_info 0
		.amdhsa_system_vgpr_workitem_id 0
		.amdhsa_next_free_vgpr 1
		.amdhsa_next_free_sgpr 0
		.amdhsa_reserve_vcc 0
		.amdhsa_reserve_flat_scratch 0
		.amdhsa_float_round_mode_32 0
		.amdhsa_float_round_mode_16_64 0
		.amdhsa_float_denorm_mode_32 3
		.amdhsa_float_denorm_mode_16_64 3
		.amdhsa_dx10_clamp 1
		.amdhsa_ieee_mode 1
		.amdhsa_fp16_overflow 0
		.amdhsa_exception_fp_ieee_invalid_op 0
		.amdhsa_exception_fp_denorm_src 0
		.amdhsa_exception_fp_ieee_div_zero 0
		.amdhsa_exception_fp_ieee_overflow 0
		.amdhsa_exception_fp_ieee_underflow 0
		.amdhsa_exception_fp_ieee_inexact 0
		.amdhsa_exception_int_div_zero 0
	.end_amdhsa_kernel
	.section	.text._ZN7rocprim17ROCPRIM_400000_NS6detail17trampoline_kernelINS0_14default_configENS1_27lower_bound_config_selectorIilEEZNS1_14transform_implILb0ES3_S5_N6thrust23THRUST_200600_302600_NS6detail15normal_iteratorINS8_7pointerIiNS9_22execute_with_allocatorINS8_16device_allocatorIcEENS8_11hip_rocprim22execute_on_stream_baseEEENS8_11use_defaultESI_EEEENSA_INSB_IlSH_SI_SI_EEEEZNS1_13binary_searchIS3_S5_NSA_INS8_10device_ptrIiEEEESK_SM_NS1_21lower_bound_search_opENS9_16wrapped_functionINS8_6system6detail7generic6detail18binary_search_lessEbEEEE10hipError_tPvRmT1_T2_T3_mmT4_T5_P12ihipStream_tbEUlRKiE_EESZ_S13_S14_mS15_S18_bEUlT_E_NS1_11comp_targetILNS1_3genE0ELNS1_11target_archE4294967295ELNS1_3gpuE0ELNS1_3repE0EEENS1_30default_config_static_selectorELNS0_4arch9wavefront6targetE1EEEvS12_,"axG",@progbits,_ZN7rocprim17ROCPRIM_400000_NS6detail17trampoline_kernelINS0_14default_configENS1_27lower_bound_config_selectorIilEEZNS1_14transform_implILb0ES3_S5_N6thrust23THRUST_200600_302600_NS6detail15normal_iteratorINS8_7pointerIiNS9_22execute_with_allocatorINS8_16device_allocatorIcEENS8_11hip_rocprim22execute_on_stream_baseEEENS8_11use_defaultESI_EEEENSA_INSB_IlSH_SI_SI_EEEEZNS1_13binary_searchIS3_S5_NSA_INS8_10device_ptrIiEEEESK_SM_NS1_21lower_bound_search_opENS9_16wrapped_functionINS8_6system6detail7generic6detail18binary_search_lessEbEEEE10hipError_tPvRmT1_T2_T3_mmT4_T5_P12ihipStream_tbEUlRKiE_EESZ_S13_S14_mS15_S18_bEUlT_E_NS1_11comp_targetILNS1_3genE0ELNS1_11target_archE4294967295ELNS1_3gpuE0ELNS1_3repE0EEENS1_30default_config_static_selectorELNS0_4arch9wavefront6targetE1EEEvS12_,comdat
.Lfunc_end770:
	.size	_ZN7rocprim17ROCPRIM_400000_NS6detail17trampoline_kernelINS0_14default_configENS1_27lower_bound_config_selectorIilEEZNS1_14transform_implILb0ES3_S5_N6thrust23THRUST_200600_302600_NS6detail15normal_iteratorINS8_7pointerIiNS9_22execute_with_allocatorINS8_16device_allocatorIcEENS8_11hip_rocprim22execute_on_stream_baseEEENS8_11use_defaultESI_EEEENSA_INSB_IlSH_SI_SI_EEEEZNS1_13binary_searchIS3_S5_NSA_INS8_10device_ptrIiEEEESK_SM_NS1_21lower_bound_search_opENS9_16wrapped_functionINS8_6system6detail7generic6detail18binary_search_lessEbEEEE10hipError_tPvRmT1_T2_T3_mmT4_T5_P12ihipStream_tbEUlRKiE_EESZ_S13_S14_mS15_S18_bEUlT_E_NS1_11comp_targetILNS1_3genE0ELNS1_11target_archE4294967295ELNS1_3gpuE0ELNS1_3repE0EEENS1_30default_config_static_selectorELNS0_4arch9wavefront6targetE1EEEvS12_, .Lfunc_end770-_ZN7rocprim17ROCPRIM_400000_NS6detail17trampoline_kernelINS0_14default_configENS1_27lower_bound_config_selectorIilEEZNS1_14transform_implILb0ES3_S5_N6thrust23THRUST_200600_302600_NS6detail15normal_iteratorINS8_7pointerIiNS9_22execute_with_allocatorINS8_16device_allocatorIcEENS8_11hip_rocprim22execute_on_stream_baseEEENS8_11use_defaultESI_EEEENSA_INSB_IlSH_SI_SI_EEEEZNS1_13binary_searchIS3_S5_NSA_INS8_10device_ptrIiEEEESK_SM_NS1_21lower_bound_search_opENS9_16wrapped_functionINS8_6system6detail7generic6detail18binary_search_lessEbEEEE10hipError_tPvRmT1_T2_T3_mmT4_T5_P12ihipStream_tbEUlRKiE_EESZ_S13_S14_mS15_S18_bEUlT_E_NS1_11comp_targetILNS1_3genE0ELNS1_11target_archE4294967295ELNS1_3gpuE0ELNS1_3repE0EEENS1_30default_config_static_selectorELNS0_4arch9wavefront6targetE1EEEvS12_
                                        ; -- End function
	.set _ZN7rocprim17ROCPRIM_400000_NS6detail17trampoline_kernelINS0_14default_configENS1_27lower_bound_config_selectorIilEEZNS1_14transform_implILb0ES3_S5_N6thrust23THRUST_200600_302600_NS6detail15normal_iteratorINS8_7pointerIiNS9_22execute_with_allocatorINS8_16device_allocatorIcEENS8_11hip_rocprim22execute_on_stream_baseEEENS8_11use_defaultESI_EEEENSA_INSB_IlSH_SI_SI_EEEEZNS1_13binary_searchIS3_S5_NSA_INS8_10device_ptrIiEEEESK_SM_NS1_21lower_bound_search_opENS9_16wrapped_functionINS8_6system6detail7generic6detail18binary_search_lessEbEEEE10hipError_tPvRmT1_T2_T3_mmT4_T5_P12ihipStream_tbEUlRKiE_EESZ_S13_S14_mS15_S18_bEUlT_E_NS1_11comp_targetILNS1_3genE0ELNS1_11target_archE4294967295ELNS1_3gpuE0ELNS1_3repE0EEENS1_30default_config_static_selectorELNS0_4arch9wavefront6targetE1EEEvS12_.num_vgpr, 0
	.set _ZN7rocprim17ROCPRIM_400000_NS6detail17trampoline_kernelINS0_14default_configENS1_27lower_bound_config_selectorIilEEZNS1_14transform_implILb0ES3_S5_N6thrust23THRUST_200600_302600_NS6detail15normal_iteratorINS8_7pointerIiNS9_22execute_with_allocatorINS8_16device_allocatorIcEENS8_11hip_rocprim22execute_on_stream_baseEEENS8_11use_defaultESI_EEEENSA_INSB_IlSH_SI_SI_EEEEZNS1_13binary_searchIS3_S5_NSA_INS8_10device_ptrIiEEEESK_SM_NS1_21lower_bound_search_opENS9_16wrapped_functionINS8_6system6detail7generic6detail18binary_search_lessEbEEEE10hipError_tPvRmT1_T2_T3_mmT4_T5_P12ihipStream_tbEUlRKiE_EESZ_S13_S14_mS15_S18_bEUlT_E_NS1_11comp_targetILNS1_3genE0ELNS1_11target_archE4294967295ELNS1_3gpuE0ELNS1_3repE0EEENS1_30default_config_static_selectorELNS0_4arch9wavefront6targetE1EEEvS12_.num_agpr, 0
	.set _ZN7rocprim17ROCPRIM_400000_NS6detail17trampoline_kernelINS0_14default_configENS1_27lower_bound_config_selectorIilEEZNS1_14transform_implILb0ES3_S5_N6thrust23THRUST_200600_302600_NS6detail15normal_iteratorINS8_7pointerIiNS9_22execute_with_allocatorINS8_16device_allocatorIcEENS8_11hip_rocprim22execute_on_stream_baseEEENS8_11use_defaultESI_EEEENSA_INSB_IlSH_SI_SI_EEEEZNS1_13binary_searchIS3_S5_NSA_INS8_10device_ptrIiEEEESK_SM_NS1_21lower_bound_search_opENS9_16wrapped_functionINS8_6system6detail7generic6detail18binary_search_lessEbEEEE10hipError_tPvRmT1_T2_T3_mmT4_T5_P12ihipStream_tbEUlRKiE_EESZ_S13_S14_mS15_S18_bEUlT_E_NS1_11comp_targetILNS1_3genE0ELNS1_11target_archE4294967295ELNS1_3gpuE0ELNS1_3repE0EEENS1_30default_config_static_selectorELNS0_4arch9wavefront6targetE1EEEvS12_.numbered_sgpr, 0
	.set _ZN7rocprim17ROCPRIM_400000_NS6detail17trampoline_kernelINS0_14default_configENS1_27lower_bound_config_selectorIilEEZNS1_14transform_implILb0ES3_S5_N6thrust23THRUST_200600_302600_NS6detail15normal_iteratorINS8_7pointerIiNS9_22execute_with_allocatorINS8_16device_allocatorIcEENS8_11hip_rocprim22execute_on_stream_baseEEENS8_11use_defaultESI_EEEENSA_INSB_IlSH_SI_SI_EEEEZNS1_13binary_searchIS3_S5_NSA_INS8_10device_ptrIiEEEESK_SM_NS1_21lower_bound_search_opENS9_16wrapped_functionINS8_6system6detail7generic6detail18binary_search_lessEbEEEE10hipError_tPvRmT1_T2_T3_mmT4_T5_P12ihipStream_tbEUlRKiE_EESZ_S13_S14_mS15_S18_bEUlT_E_NS1_11comp_targetILNS1_3genE0ELNS1_11target_archE4294967295ELNS1_3gpuE0ELNS1_3repE0EEENS1_30default_config_static_selectorELNS0_4arch9wavefront6targetE1EEEvS12_.num_named_barrier, 0
	.set _ZN7rocprim17ROCPRIM_400000_NS6detail17trampoline_kernelINS0_14default_configENS1_27lower_bound_config_selectorIilEEZNS1_14transform_implILb0ES3_S5_N6thrust23THRUST_200600_302600_NS6detail15normal_iteratorINS8_7pointerIiNS9_22execute_with_allocatorINS8_16device_allocatorIcEENS8_11hip_rocprim22execute_on_stream_baseEEENS8_11use_defaultESI_EEEENSA_INSB_IlSH_SI_SI_EEEEZNS1_13binary_searchIS3_S5_NSA_INS8_10device_ptrIiEEEESK_SM_NS1_21lower_bound_search_opENS9_16wrapped_functionINS8_6system6detail7generic6detail18binary_search_lessEbEEEE10hipError_tPvRmT1_T2_T3_mmT4_T5_P12ihipStream_tbEUlRKiE_EESZ_S13_S14_mS15_S18_bEUlT_E_NS1_11comp_targetILNS1_3genE0ELNS1_11target_archE4294967295ELNS1_3gpuE0ELNS1_3repE0EEENS1_30default_config_static_selectorELNS0_4arch9wavefront6targetE1EEEvS12_.private_seg_size, 0
	.set _ZN7rocprim17ROCPRIM_400000_NS6detail17trampoline_kernelINS0_14default_configENS1_27lower_bound_config_selectorIilEEZNS1_14transform_implILb0ES3_S5_N6thrust23THRUST_200600_302600_NS6detail15normal_iteratorINS8_7pointerIiNS9_22execute_with_allocatorINS8_16device_allocatorIcEENS8_11hip_rocprim22execute_on_stream_baseEEENS8_11use_defaultESI_EEEENSA_INSB_IlSH_SI_SI_EEEEZNS1_13binary_searchIS3_S5_NSA_INS8_10device_ptrIiEEEESK_SM_NS1_21lower_bound_search_opENS9_16wrapped_functionINS8_6system6detail7generic6detail18binary_search_lessEbEEEE10hipError_tPvRmT1_T2_T3_mmT4_T5_P12ihipStream_tbEUlRKiE_EESZ_S13_S14_mS15_S18_bEUlT_E_NS1_11comp_targetILNS1_3genE0ELNS1_11target_archE4294967295ELNS1_3gpuE0ELNS1_3repE0EEENS1_30default_config_static_selectorELNS0_4arch9wavefront6targetE1EEEvS12_.uses_vcc, 0
	.set _ZN7rocprim17ROCPRIM_400000_NS6detail17trampoline_kernelINS0_14default_configENS1_27lower_bound_config_selectorIilEEZNS1_14transform_implILb0ES3_S5_N6thrust23THRUST_200600_302600_NS6detail15normal_iteratorINS8_7pointerIiNS9_22execute_with_allocatorINS8_16device_allocatorIcEENS8_11hip_rocprim22execute_on_stream_baseEEENS8_11use_defaultESI_EEEENSA_INSB_IlSH_SI_SI_EEEEZNS1_13binary_searchIS3_S5_NSA_INS8_10device_ptrIiEEEESK_SM_NS1_21lower_bound_search_opENS9_16wrapped_functionINS8_6system6detail7generic6detail18binary_search_lessEbEEEE10hipError_tPvRmT1_T2_T3_mmT4_T5_P12ihipStream_tbEUlRKiE_EESZ_S13_S14_mS15_S18_bEUlT_E_NS1_11comp_targetILNS1_3genE0ELNS1_11target_archE4294967295ELNS1_3gpuE0ELNS1_3repE0EEENS1_30default_config_static_selectorELNS0_4arch9wavefront6targetE1EEEvS12_.uses_flat_scratch, 0
	.set _ZN7rocprim17ROCPRIM_400000_NS6detail17trampoline_kernelINS0_14default_configENS1_27lower_bound_config_selectorIilEEZNS1_14transform_implILb0ES3_S5_N6thrust23THRUST_200600_302600_NS6detail15normal_iteratorINS8_7pointerIiNS9_22execute_with_allocatorINS8_16device_allocatorIcEENS8_11hip_rocprim22execute_on_stream_baseEEENS8_11use_defaultESI_EEEENSA_INSB_IlSH_SI_SI_EEEEZNS1_13binary_searchIS3_S5_NSA_INS8_10device_ptrIiEEEESK_SM_NS1_21lower_bound_search_opENS9_16wrapped_functionINS8_6system6detail7generic6detail18binary_search_lessEbEEEE10hipError_tPvRmT1_T2_T3_mmT4_T5_P12ihipStream_tbEUlRKiE_EESZ_S13_S14_mS15_S18_bEUlT_E_NS1_11comp_targetILNS1_3genE0ELNS1_11target_archE4294967295ELNS1_3gpuE0ELNS1_3repE0EEENS1_30default_config_static_selectorELNS0_4arch9wavefront6targetE1EEEvS12_.has_dyn_sized_stack, 0
	.set _ZN7rocprim17ROCPRIM_400000_NS6detail17trampoline_kernelINS0_14default_configENS1_27lower_bound_config_selectorIilEEZNS1_14transform_implILb0ES3_S5_N6thrust23THRUST_200600_302600_NS6detail15normal_iteratorINS8_7pointerIiNS9_22execute_with_allocatorINS8_16device_allocatorIcEENS8_11hip_rocprim22execute_on_stream_baseEEENS8_11use_defaultESI_EEEENSA_INSB_IlSH_SI_SI_EEEEZNS1_13binary_searchIS3_S5_NSA_INS8_10device_ptrIiEEEESK_SM_NS1_21lower_bound_search_opENS9_16wrapped_functionINS8_6system6detail7generic6detail18binary_search_lessEbEEEE10hipError_tPvRmT1_T2_T3_mmT4_T5_P12ihipStream_tbEUlRKiE_EESZ_S13_S14_mS15_S18_bEUlT_E_NS1_11comp_targetILNS1_3genE0ELNS1_11target_archE4294967295ELNS1_3gpuE0ELNS1_3repE0EEENS1_30default_config_static_selectorELNS0_4arch9wavefront6targetE1EEEvS12_.has_recursion, 0
	.set _ZN7rocprim17ROCPRIM_400000_NS6detail17trampoline_kernelINS0_14default_configENS1_27lower_bound_config_selectorIilEEZNS1_14transform_implILb0ES3_S5_N6thrust23THRUST_200600_302600_NS6detail15normal_iteratorINS8_7pointerIiNS9_22execute_with_allocatorINS8_16device_allocatorIcEENS8_11hip_rocprim22execute_on_stream_baseEEENS8_11use_defaultESI_EEEENSA_INSB_IlSH_SI_SI_EEEEZNS1_13binary_searchIS3_S5_NSA_INS8_10device_ptrIiEEEESK_SM_NS1_21lower_bound_search_opENS9_16wrapped_functionINS8_6system6detail7generic6detail18binary_search_lessEbEEEE10hipError_tPvRmT1_T2_T3_mmT4_T5_P12ihipStream_tbEUlRKiE_EESZ_S13_S14_mS15_S18_bEUlT_E_NS1_11comp_targetILNS1_3genE0ELNS1_11target_archE4294967295ELNS1_3gpuE0ELNS1_3repE0EEENS1_30default_config_static_selectorELNS0_4arch9wavefront6targetE1EEEvS12_.has_indirect_call, 0
	.section	.AMDGPU.csdata,"",@progbits
; Kernel info:
; codeLenInByte = 0
; TotalNumSgprs: 4
; NumVgprs: 0
; ScratchSize: 0
; MemoryBound: 0
; FloatMode: 240
; IeeeMode: 1
; LDSByteSize: 0 bytes/workgroup (compile time only)
; SGPRBlocks: 0
; VGPRBlocks: 0
; NumSGPRsForWavesPerEU: 4
; NumVGPRsForWavesPerEU: 1
; Occupancy: 10
; WaveLimiterHint : 0
; COMPUTE_PGM_RSRC2:SCRATCH_EN: 0
; COMPUTE_PGM_RSRC2:USER_SGPR: 6
; COMPUTE_PGM_RSRC2:TRAP_HANDLER: 0
; COMPUTE_PGM_RSRC2:TGID_X_EN: 1
; COMPUTE_PGM_RSRC2:TGID_Y_EN: 0
; COMPUTE_PGM_RSRC2:TGID_Z_EN: 0
; COMPUTE_PGM_RSRC2:TIDIG_COMP_CNT: 0
	.section	.text._ZN7rocprim17ROCPRIM_400000_NS6detail17trampoline_kernelINS0_14default_configENS1_27lower_bound_config_selectorIilEEZNS1_14transform_implILb0ES3_S5_N6thrust23THRUST_200600_302600_NS6detail15normal_iteratorINS8_7pointerIiNS9_22execute_with_allocatorINS8_16device_allocatorIcEENS8_11hip_rocprim22execute_on_stream_baseEEENS8_11use_defaultESI_EEEENSA_INSB_IlSH_SI_SI_EEEEZNS1_13binary_searchIS3_S5_NSA_INS8_10device_ptrIiEEEESK_SM_NS1_21lower_bound_search_opENS9_16wrapped_functionINS8_6system6detail7generic6detail18binary_search_lessEbEEEE10hipError_tPvRmT1_T2_T3_mmT4_T5_P12ihipStream_tbEUlRKiE_EESZ_S13_S14_mS15_S18_bEUlT_E_NS1_11comp_targetILNS1_3genE5ELNS1_11target_archE942ELNS1_3gpuE9ELNS1_3repE0EEENS1_30default_config_static_selectorELNS0_4arch9wavefront6targetE1EEEvS12_,"axG",@progbits,_ZN7rocprim17ROCPRIM_400000_NS6detail17trampoline_kernelINS0_14default_configENS1_27lower_bound_config_selectorIilEEZNS1_14transform_implILb0ES3_S5_N6thrust23THRUST_200600_302600_NS6detail15normal_iteratorINS8_7pointerIiNS9_22execute_with_allocatorINS8_16device_allocatorIcEENS8_11hip_rocprim22execute_on_stream_baseEEENS8_11use_defaultESI_EEEENSA_INSB_IlSH_SI_SI_EEEEZNS1_13binary_searchIS3_S5_NSA_INS8_10device_ptrIiEEEESK_SM_NS1_21lower_bound_search_opENS9_16wrapped_functionINS8_6system6detail7generic6detail18binary_search_lessEbEEEE10hipError_tPvRmT1_T2_T3_mmT4_T5_P12ihipStream_tbEUlRKiE_EESZ_S13_S14_mS15_S18_bEUlT_E_NS1_11comp_targetILNS1_3genE5ELNS1_11target_archE942ELNS1_3gpuE9ELNS1_3repE0EEENS1_30default_config_static_selectorELNS0_4arch9wavefront6targetE1EEEvS12_,comdat
	.protected	_ZN7rocprim17ROCPRIM_400000_NS6detail17trampoline_kernelINS0_14default_configENS1_27lower_bound_config_selectorIilEEZNS1_14transform_implILb0ES3_S5_N6thrust23THRUST_200600_302600_NS6detail15normal_iteratorINS8_7pointerIiNS9_22execute_with_allocatorINS8_16device_allocatorIcEENS8_11hip_rocprim22execute_on_stream_baseEEENS8_11use_defaultESI_EEEENSA_INSB_IlSH_SI_SI_EEEEZNS1_13binary_searchIS3_S5_NSA_INS8_10device_ptrIiEEEESK_SM_NS1_21lower_bound_search_opENS9_16wrapped_functionINS8_6system6detail7generic6detail18binary_search_lessEbEEEE10hipError_tPvRmT1_T2_T3_mmT4_T5_P12ihipStream_tbEUlRKiE_EESZ_S13_S14_mS15_S18_bEUlT_E_NS1_11comp_targetILNS1_3genE5ELNS1_11target_archE942ELNS1_3gpuE9ELNS1_3repE0EEENS1_30default_config_static_selectorELNS0_4arch9wavefront6targetE1EEEvS12_ ; -- Begin function _ZN7rocprim17ROCPRIM_400000_NS6detail17trampoline_kernelINS0_14default_configENS1_27lower_bound_config_selectorIilEEZNS1_14transform_implILb0ES3_S5_N6thrust23THRUST_200600_302600_NS6detail15normal_iteratorINS8_7pointerIiNS9_22execute_with_allocatorINS8_16device_allocatorIcEENS8_11hip_rocprim22execute_on_stream_baseEEENS8_11use_defaultESI_EEEENSA_INSB_IlSH_SI_SI_EEEEZNS1_13binary_searchIS3_S5_NSA_INS8_10device_ptrIiEEEESK_SM_NS1_21lower_bound_search_opENS9_16wrapped_functionINS8_6system6detail7generic6detail18binary_search_lessEbEEEE10hipError_tPvRmT1_T2_T3_mmT4_T5_P12ihipStream_tbEUlRKiE_EESZ_S13_S14_mS15_S18_bEUlT_E_NS1_11comp_targetILNS1_3genE5ELNS1_11target_archE942ELNS1_3gpuE9ELNS1_3repE0EEENS1_30default_config_static_selectorELNS0_4arch9wavefront6targetE1EEEvS12_
	.globl	_ZN7rocprim17ROCPRIM_400000_NS6detail17trampoline_kernelINS0_14default_configENS1_27lower_bound_config_selectorIilEEZNS1_14transform_implILb0ES3_S5_N6thrust23THRUST_200600_302600_NS6detail15normal_iteratorINS8_7pointerIiNS9_22execute_with_allocatorINS8_16device_allocatorIcEENS8_11hip_rocprim22execute_on_stream_baseEEENS8_11use_defaultESI_EEEENSA_INSB_IlSH_SI_SI_EEEEZNS1_13binary_searchIS3_S5_NSA_INS8_10device_ptrIiEEEESK_SM_NS1_21lower_bound_search_opENS9_16wrapped_functionINS8_6system6detail7generic6detail18binary_search_lessEbEEEE10hipError_tPvRmT1_T2_T3_mmT4_T5_P12ihipStream_tbEUlRKiE_EESZ_S13_S14_mS15_S18_bEUlT_E_NS1_11comp_targetILNS1_3genE5ELNS1_11target_archE942ELNS1_3gpuE9ELNS1_3repE0EEENS1_30default_config_static_selectorELNS0_4arch9wavefront6targetE1EEEvS12_
	.p2align	8
	.type	_ZN7rocprim17ROCPRIM_400000_NS6detail17trampoline_kernelINS0_14default_configENS1_27lower_bound_config_selectorIilEEZNS1_14transform_implILb0ES3_S5_N6thrust23THRUST_200600_302600_NS6detail15normal_iteratorINS8_7pointerIiNS9_22execute_with_allocatorINS8_16device_allocatorIcEENS8_11hip_rocprim22execute_on_stream_baseEEENS8_11use_defaultESI_EEEENSA_INSB_IlSH_SI_SI_EEEEZNS1_13binary_searchIS3_S5_NSA_INS8_10device_ptrIiEEEESK_SM_NS1_21lower_bound_search_opENS9_16wrapped_functionINS8_6system6detail7generic6detail18binary_search_lessEbEEEE10hipError_tPvRmT1_T2_T3_mmT4_T5_P12ihipStream_tbEUlRKiE_EESZ_S13_S14_mS15_S18_bEUlT_E_NS1_11comp_targetILNS1_3genE5ELNS1_11target_archE942ELNS1_3gpuE9ELNS1_3repE0EEENS1_30default_config_static_selectorELNS0_4arch9wavefront6targetE1EEEvS12_,@function
_ZN7rocprim17ROCPRIM_400000_NS6detail17trampoline_kernelINS0_14default_configENS1_27lower_bound_config_selectorIilEEZNS1_14transform_implILb0ES3_S5_N6thrust23THRUST_200600_302600_NS6detail15normal_iteratorINS8_7pointerIiNS9_22execute_with_allocatorINS8_16device_allocatorIcEENS8_11hip_rocprim22execute_on_stream_baseEEENS8_11use_defaultESI_EEEENSA_INSB_IlSH_SI_SI_EEEEZNS1_13binary_searchIS3_S5_NSA_INS8_10device_ptrIiEEEESK_SM_NS1_21lower_bound_search_opENS9_16wrapped_functionINS8_6system6detail7generic6detail18binary_search_lessEbEEEE10hipError_tPvRmT1_T2_T3_mmT4_T5_P12ihipStream_tbEUlRKiE_EESZ_S13_S14_mS15_S18_bEUlT_E_NS1_11comp_targetILNS1_3genE5ELNS1_11target_archE942ELNS1_3gpuE9ELNS1_3repE0EEENS1_30default_config_static_selectorELNS0_4arch9wavefront6targetE1EEEvS12_: ; @_ZN7rocprim17ROCPRIM_400000_NS6detail17trampoline_kernelINS0_14default_configENS1_27lower_bound_config_selectorIilEEZNS1_14transform_implILb0ES3_S5_N6thrust23THRUST_200600_302600_NS6detail15normal_iteratorINS8_7pointerIiNS9_22execute_with_allocatorINS8_16device_allocatorIcEENS8_11hip_rocprim22execute_on_stream_baseEEENS8_11use_defaultESI_EEEENSA_INSB_IlSH_SI_SI_EEEEZNS1_13binary_searchIS3_S5_NSA_INS8_10device_ptrIiEEEESK_SM_NS1_21lower_bound_search_opENS9_16wrapped_functionINS8_6system6detail7generic6detail18binary_search_lessEbEEEE10hipError_tPvRmT1_T2_T3_mmT4_T5_P12ihipStream_tbEUlRKiE_EESZ_S13_S14_mS15_S18_bEUlT_E_NS1_11comp_targetILNS1_3genE5ELNS1_11target_archE942ELNS1_3gpuE9ELNS1_3repE0EEENS1_30default_config_static_selectorELNS0_4arch9wavefront6targetE1EEEvS12_
; %bb.0:
	.section	.rodata,"a",@progbits
	.p2align	6, 0x0
	.amdhsa_kernel _ZN7rocprim17ROCPRIM_400000_NS6detail17trampoline_kernelINS0_14default_configENS1_27lower_bound_config_selectorIilEEZNS1_14transform_implILb0ES3_S5_N6thrust23THRUST_200600_302600_NS6detail15normal_iteratorINS8_7pointerIiNS9_22execute_with_allocatorINS8_16device_allocatorIcEENS8_11hip_rocprim22execute_on_stream_baseEEENS8_11use_defaultESI_EEEENSA_INSB_IlSH_SI_SI_EEEEZNS1_13binary_searchIS3_S5_NSA_INS8_10device_ptrIiEEEESK_SM_NS1_21lower_bound_search_opENS9_16wrapped_functionINS8_6system6detail7generic6detail18binary_search_lessEbEEEE10hipError_tPvRmT1_T2_T3_mmT4_T5_P12ihipStream_tbEUlRKiE_EESZ_S13_S14_mS15_S18_bEUlT_E_NS1_11comp_targetILNS1_3genE5ELNS1_11target_archE942ELNS1_3gpuE9ELNS1_3repE0EEENS1_30default_config_static_selectorELNS0_4arch9wavefront6targetE1EEEvS12_
		.amdhsa_group_segment_fixed_size 0
		.amdhsa_private_segment_fixed_size 0
		.amdhsa_kernarg_size 56
		.amdhsa_user_sgpr_count 6
		.amdhsa_user_sgpr_private_segment_buffer 1
		.amdhsa_user_sgpr_dispatch_ptr 0
		.amdhsa_user_sgpr_queue_ptr 0
		.amdhsa_user_sgpr_kernarg_segment_ptr 1
		.amdhsa_user_sgpr_dispatch_id 0
		.amdhsa_user_sgpr_flat_scratch_init 0
		.amdhsa_user_sgpr_private_segment_size 0
		.amdhsa_uses_dynamic_stack 0
		.amdhsa_system_sgpr_private_segment_wavefront_offset 0
		.amdhsa_system_sgpr_workgroup_id_x 1
		.amdhsa_system_sgpr_workgroup_id_y 0
		.amdhsa_system_sgpr_workgroup_id_z 0
		.amdhsa_system_sgpr_workgroup_info 0
		.amdhsa_system_vgpr_workitem_id 0
		.amdhsa_next_free_vgpr 1
		.amdhsa_next_free_sgpr 0
		.amdhsa_reserve_vcc 0
		.amdhsa_reserve_flat_scratch 0
		.amdhsa_float_round_mode_32 0
		.amdhsa_float_round_mode_16_64 0
		.amdhsa_float_denorm_mode_32 3
		.amdhsa_float_denorm_mode_16_64 3
		.amdhsa_dx10_clamp 1
		.amdhsa_ieee_mode 1
		.amdhsa_fp16_overflow 0
		.amdhsa_exception_fp_ieee_invalid_op 0
		.amdhsa_exception_fp_denorm_src 0
		.amdhsa_exception_fp_ieee_div_zero 0
		.amdhsa_exception_fp_ieee_overflow 0
		.amdhsa_exception_fp_ieee_underflow 0
		.amdhsa_exception_fp_ieee_inexact 0
		.amdhsa_exception_int_div_zero 0
	.end_amdhsa_kernel
	.section	.text._ZN7rocprim17ROCPRIM_400000_NS6detail17trampoline_kernelINS0_14default_configENS1_27lower_bound_config_selectorIilEEZNS1_14transform_implILb0ES3_S5_N6thrust23THRUST_200600_302600_NS6detail15normal_iteratorINS8_7pointerIiNS9_22execute_with_allocatorINS8_16device_allocatorIcEENS8_11hip_rocprim22execute_on_stream_baseEEENS8_11use_defaultESI_EEEENSA_INSB_IlSH_SI_SI_EEEEZNS1_13binary_searchIS3_S5_NSA_INS8_10device_ptrIiEEEESK_SM_NS1_21lower_bound_search_opENS9_16wrapped_functionINS8_6system6detail7generic6detail18binary_search_lessEbEEEE10hipError_tPvRmT1_T2_T3_mmT4_T5_P12ihipStream_tbEUlRKiE_EESZ_S13_S14_mS15_S18_bEUlT_E_NS1_11comp_targetILNS1_3genE5ELNS1_11target_archE942ELNS1_3gpuE9ELNS1_3repE0EEENS1_30default_config_static_selectorELNS0_4arch9wavefront6targetE1EEEvS12_,"axG",@progbits,_ZN7rocprim17ROCPRIM_400000_NS6detail17trampoline_kernelINS0_14default_configENS1_27lower_bound_config_selectorIilEEZNS1_14transform_implILb0ES3_S5_N6thrust23THRUST_200600_302600_NS6detail15normal_iteratorINS8_7pointerIiNS9_22execute_with_allocatorINS8_16device_allocatorIcEENS8_11hip_rocprim22execute_on_stream_baseEEENS8_11use_defaultESI_EEEENSA_INSB_IlSH_SI_SI_EEEEZNS1_13binary_searchIS3_S5_NSA_INS8_10device_ptrIiEEEESK_SM_NS1_21lower_bound_search_opENS9_16wrapped_functionINS8_6system6detail7generic6detail18binary_search_lessEbEEEE10hipError_tPvRmT1_T2_T3_mmT4_T5_P12ihipStream_tbEUlRKiE_EESZ_S13_S14_mS15_S18_bEUlT_E_NS1_11comp_targetILNS1_3genE5ELNS1_11target_archE942ELNS1_3gpuE9ELNS1_3repE0EEENS1_30default_config_static_selectorELNS0_4arch9wavefront6targetE1EEEvS12_,comdat
.Lfunc_end771:
	.size	_ZN7rocprim17ROCPRIM_400000_NS6detail17trampoline_kernelINS0_14default_configENS1_27lower_bound_config_selectorIilEEZNS1_14transform_implILb0ES3_S5_N6thrust23THRUST_200600_302600_NS6detail15normal_iteratorINS8_7pointerIiNS9_22execute_with_allocatorINS8_16device_allocatorIcEENS8_11hip_rocprim22execute_on_stream_baseEEENS8_11use_defaultESI_EEEENSA_INSB_IlSH_SI_SI_EEEEZNS1_13binary_searchIS3_S5_NSA_INS8_10device_ptrIiEEEESK_SM_NS1_21lower_bound_search_opENS9_16wrapped_functionINS8_6system6detail7generic6detail18binary_search_lessEbEEEE10hipError_tPvRmT1_T2_T3_mmT4_T5_P12ihipStream_tbEUlRKiE_EESZ_S13_S14_mS15_S18_bEUlT_E_NS1_11comp_targetILNS1_3genE5ELNS1_11target_archE942ELNS1_3gpuE9ELNS1_3repE0EEENS1_30default_config_static_selectorELNS0_4arch9wavefront6targetE1EEEvS12_, .Lfunc_end771-_ZN7rocprim17ROCPRIM_400000_NS6detail17trampoline_kernelINS0_14default_configENS1_27lower_bound_config_selectorIilEEZNS1_14transform_implILb0ES3_S5_N6thrust23THRUST_200600_302600_NS6detail15normal_iteratorINS8_7pointerIiNS9_22execute_with_allocatorINS8_16device_allocatorIcEENS8_11hip_rocprim22execute_on_stream_baseEEENS8_11use_defaultESI_EEEENSA_INSB_IlSH_SI_SI_EEEEZNS1_13binary_searchIS3_S5_NSA_INS8_10device_ptrIiEEEESK_SM_NS1_21lower_bound_search_opENS9_16wrapped_functionINS8_6system6detail7generic6detail18binary_search_lessEbEEEE10hipError_tPvRmT1_T2_T3_mmT4_T5_P12ihipStream_tbEUlRKiE_EESZ_S13_S14_mS15_S18_bEUlT_E_NS1_11comp_targetILNS1_3genE5ELNS1_11target_archE942ELNS1_3gpuE9ELNS1_3repE0EEENS1_30default_config_static_selectorELNS0_4arch9wavefront6targetE1EEEvS12_
                                        ; -- End function
	.set _ZN7rocprim17ROCPRIM_400000_NS6detail17trampoline_kernelINS0_14default_configENS1_27lower_bound_config_selectorIilEEZNS1_14transform_implILb0ES3_S5_N6thrust23THRUST_200600_302600_NS6detail15normal_iteratorINS8_7pointerIiNS9_22execute_with_allocatorINS8_16device_allocatorIcEENS8_11hip_rocprim22execute_on_stream_baseEEENS8_11use_defaultESI_EEEENSA_INSB_IlSH_SI_SI_EEEEZNS1_13binary_searchIS3_S5_NSA_INS8_10device_ptrIiEEEESK_SM_NS1_21lower_bound_search_opENS9_16wrapped_functionINS8_6system6detail7generic6detail18binary_search_lessEbEEEE10hipError_tPvRmT1_T2_T3_mmT4_T5_P12ihipStream_tbEUlRKiE_EESZ_S13_S14_mS15_S18_bEUlT_E_NS1_11comp_targetILNS1_3genE5ELNS1_11target_archE942ELNS1_3gpuE9ELNS1_3repE0EEENS1_30default_config_static_selectorELNS0_4arch9wavefront6targetE1EEEvS12_.num_vgpr, 0
	.set _ZN7rocprim17ROCPRIM_400000_NS6detail17trampoline_kernelINS0_14default_configENS1_27lower_bound_config_selectorIilEEZNS1_14transform_implILb0ES3_S5_N6thrust23THRUST_200600_302600_NS6detail15normal_iteratorINS8_7pointerIiNS9_22execute_with_allocatorINS8_16device_allocatorIcEENS8_11hip_rocprim22execute_on_stream_baseEEENS8_11use_defaultESI_EEEENSA_INSB_IlSH_SI_SI_EEEEZNS1_13binary_searchIS3_S5_NSA_INS8_10device_ptrIiEEEESK_SM_NS1_21lower_bound_search_opENS9_16wrapped_functionINS8_6system6detail7generic6detail18binary_search_lessEbEEEE10hipError_tPvRmT1_T2_T3_mmT4_T5_P12ihipStream_tbEUlRKiE_EESZ_S13_S14_mS15_S18_bEUlT_E_NS1_11comp_targetILNS1_3genE5ELNS1_11target_archE942ELNS1_3gpuE9ELNS1_3repE0EEENS1_30default_config_static_selectorELNS0_4arch9wavefront6targetE1EEEvS12_.num_agpr, 0
	.set _ZN7rocprim17ROCPRIM_400000_NS6detail17trampoline_kernelINS0_14default_configENS1_27lower_bound_config_selectorIilEEZNS1_14transform_implILb0ES3_S5_N6thrust23THRUST_200600_302600_NS6detail15normal_iteratorINS8_7pointerIiNS9_22execute_with_allocatorINS8_16device_allocatorIcEENS8_11hip_rocprim22execute_on_stream_baseEEENS8_11use_defaultESI_EEEENSA_INSB_IlSH_SI_SI_EEEEZNS1_13binary_searchIS3_S5_NSA_INS8_10device_ptrIiEEEESK_SM_NS1_21lower_bound_search_opENS9_16wrapped_functionINS8_6system6detail7generic6detail18binary_search_lessEbEEEE10hipError_tPvRmT1_T2_T3_mmT4_T5_P12ihipStream_tbEUlRKiE_EESZ_S13_S14_mS15_S18_bEUlT_E_NS1_11comp_targetILNS1_3genE5ELNS1_11target_archE942ELNS1_3gpuE9ELNS1_3repE0EEENS1_30default_config_static_selectorELNS0_4arch9wavefront6targetE1EEEvS12_.numbered_sgpr, 0
	.set _ZN7rocprim17ROCPRIM_400000_NS6detail17trampoline_kernelINS0_14default_configENS1_27lower_bound_config_selectorIilEEZNS1_14transform_implILb0ES3_S5_N6thrust23THRUST_200600_302600_NS6detail15normal_iteratorINS8_7pointerIiNS9_22execute_with_allocatorINS8_16device_allocatorIcEENS8_11hip_rocprim22execute_on_stream_baseEEENS8_11use_defaultESI_EEEENSA_INSB_IlSH_SI_SI_EEEEZNS1_13binary_searchIS3_S5_NSA_INS8_10device_ptrIiEEEESK_SM_NS1_21lower_bound_search_opENS9_16wrapped_functionINS8_6system6detail7generic6detail18binary_search_lessEbEEEE10hipError_tPvRmT1_T2_T3_mmT4_T5_P12ihipStream_tbEUlRKiE_EESZ_S13_S14_mS15_S18_bEUlT_E_NS1_11comp_targetILNS1_3genE5ELNS1_11target_archE942ELNS1_3gpuE9ELNS1_3repE0EEENS1_30default_config_static_selectorELNS0_4arch9wavefront6targetE1EEEvS12_.num_named_barrier, 0
	.set _ZN7rocprim17ROCPRIM_400000_NS6detail17trampoline_kernelINS0_14default_configENS1_27lower_bound_config_selectorIilEEZNS1_14transform_implILb0ES3_S5_N6thrust23THRUST_200600_302600_NS6detail15normal_iteratorINS8_7pointerIiNS9_22execute_with_allocatorINS8_16device_allocatorIcEENS8_11hip_rocprim22execute_on_stream_baseEEENS8_11use_defaultESI_EEEENSA_INSB_IlSH_SI_SI_EEEEZNS1_13binary_searchIS3_S5_NSA_INS8_10device_ptrIiEEEESK_SM_NS1_21lower_bound_search_opENS9_16wrapped_functionINS8_6system6detail7generic6detail18binary_search_lessEbEEEE10hipError_tPvRmT1_T2_T3_mmT4_T5_P12ihipStream_tbEUlRKiE_EESZ_S13_S14_mS15_S18_bEUlT_E_NS1_11comp_targetILNS1_3genE5ELNS1_11target_archE942ELNS1_3gpuE9ELNS1_3repE0EEENS1_30default_config_static_selectorELNS0_4arch9wavefront6targetE1EEEvS12_.private_seg_size, 0
	.set _ZN7rocprim17ROCPRIM_400000_NS6detail17trampoline_kernelINS0_14default_configENS1_27lower_bound_config_selectorIilEEZNS1_14transform_implILb0ES3_S5_N6thrust23THRUST_200600_302600_NS6detail15normal_iteratorINS8_7pointerIiNS9_22execute_with_allocatorINS8_16device_allocatorIcEENS8_11hip_rocprim22execute_on_stream_baseEEENS8_11use_defaultESI_EEEENSA_INSB_IlSH_SI_SI_EEEEZNS1_13binary_searchIS3_S5_NSA_INS8_10device_ptrIiEEEESK_SM_NS1_21lower_bound_search_opENS9_16wrapped_functionINS8_6system6detail7generic6detail18binary_search_lessEbEEEE10hipError_tPvRmT1_T2_T3_mmT4_T5_P12ihipStream_tbEUlRKiE_EESZ_S13_S14_mS15_S18_bEUlT_E_NS1_11comp_targetILNS1_3genE5ELNS1_11target_archE942ELNS1_3gpuE9ELNS1_3repE0EEENS1_30default_config_static_selectorELNS0_4arch9wavefront6targetE1EEEvS12_.uses_vcc, 0
	.set _ZN7rocprim17ROCPRIM_400000_NS6detail17trampoline_kernelINS0_14default_configENS1_27lower_bound_config_selectorIilEEZNS1_14transform_implILb0ES3_S5_N6thrust23THRUST_200600_302600_NS6detail15normal_iteratorINS8_7pointerIiNS9_22execute_with_allocatorINS8_16device_allocatorIcEENS8_11hip_rocprim22execute_on_stream_baseEEENS8_11use_defaultESI_EEEENSA_INSB_IlSH_SI_SI_EEEEZNS1_13binary_searchIS3_S5_NSA_INS8_10device_ptrIiEEEESK_SM_NS1_21lower_bound_search_opENS9_16wrapped_functionINS8_6system6detail7generic6detail18binary_search_lessEbEEEE10hipError_tPvRmT1_T2_T3_mmT4_T5_P12ihipStream_tbEUlRKiE_EESZ_S13_S14_mS15_S18_bEUlT_E_NS1_11comp_targetILNS1_3genE5ELNS1_11target_archE942ELNS1_3gpuE9ELNS1_3repE0EEENS1_30default_config_static_selectorELNS0_4arch9wavefront6targetE1EEEvS12_.uses_flat_scratch, 0
	.set _ZN7rocprim17ROCPRIM_400000_NS6detail17trampoline_kernelINS0_14default_configENS1_27lower_bound_config_selectorIilEEZNS1_14transform_implILb0ES3_S5_N6thrust23THRUST_200600_302600_NS6detail15normal_iteratorINS8_7pointerIiNS9_22execute_with_allocatorINS8_16device_allocatorIcEENS8_11hip_rocprim22execute_on_stream_baseEEENS8_11use_defaultESI_EEEENSA_INSB_IlSH_SI_SI_EEEEZNS1_13binary_searchIS3_S5_NSA_INS8_10device_ptrIiEEEESK_SM_NS1_21lower_bound_search_opENS9_16wrapped_functionINS8_6system6detail7generic6detail18binary_search_lessEbEEEE10hipError_tPvRmT1_T2_T3_mmT4_T5_P12ihipStream_tbEUlRKiE_EESZ_S13_S14_mS15_S18_bEUlT_E_NS1_11comp_targetILNS1_3genE5ELNS1_11target_archE942ELNS1_3gpuE9ELNS1_3repE0EEENS1_30default_config_static_selectorELNS0_4arch9wavefront6targetE1EEEvS12_.has_dyn_sized_stack, 0
	.set _ZN7rocprim17ROCPRIM_400000_NS6detail17trampoline_kernelINS0_14default_configENS1_27lower_bound_config_selectorIilEEZNS1_14transform_implILb0ES3_S5_N6thrust23THRUST_200600_302600_NS6detail15normal_iteratorINS8_7pointerIiNS9_22execute_with_allocatorINS8_16device_allocatorIcEENS8_11hip_rocprim22execute_on_stream_baseEEENS8_11use_defaultESI_EEEENSA_INSB_IlSH_SI_SI_EEEEZNS1_13binary_searchIS3_S5_NSA_INS8_10device_ptrIiEEEESK_SM_NS1_21lower_bound_search_opENS9_16wrapped_functionINS8_6system6detail7generic6detail18binary_search_lessEbEEEE10hipError_tPvRmT1_T2_T3_mmT4_T5_P12ihipStream_tbEUlRKiE_EESZ_S13_S14_mS15_S18_bEUlT_E_NS1_11comp_targetILNS1_3genE5ELNS1_11target_archE942ELNS1_3gpuE9ELNS1_3repE0EEENS1_30default_config_static_selectorELNS0_4arch9wavefront6targetE1EEEvS12_.has_recursion, 0
	.set _ZN7rocprim17ROCPRIM_400000_NS6detail17trampoline_kernelINS0_14default_configENS1_27lower_bound_config_selectorIilEEZNS1_14transform_implILb0ES3_S5_N6thrust23THRUST_200600_302600_NS6detail15normal_iteratorINS8_7pointerIiNS9_22execute_with_allocatorINS8_16device_allocatorIcEENS8_11hip_rocprim22execute_on_stream_baseEEENS8_11use_defaultESI_EEEENSA_INSB_IlSH_SI_SI_EEEEZNS1_13binary_searchIS3_S5_NSA_INS8_10device_ptrIiEEEESK_SM_NS1_21lower_bound_search_opENS9_16wrapped_functionINS8_6system6detail7generic6detail18binary_search_lessEbEEEE10hipError_tPvRmT1_T2_T3_mmT4_T5_P12ihipStream_tbEUlRKiE_EESZ_S13_S14_mS15_S18_bEUlT_E_NS1_11comp_targetILNS1_3genE5ELNS1_11target_archE942ELNS1_3gpuE9ELNS1_3repE0EEENS1_30default_config_static_selectorELNS0_4arch9wavefront6targetE1EEEvS12_.has_indirect_call, 0
	.section	.AMDGPU.csdata,"",@progbits
; Kernel info:
; codeLenInByte = 0
; TotalNumSgprs: 4
; NumVgprs: 0
; ScratchSize: 0
; MemoryBound: 0
; FloatMode: 240
; IeeeMode: 1
; LDSByteSize: 0 bytes/workgroup (compile time only)
; SGPRBlocks: 0
; VGPRBlocks: 0
; NumSGPRsForWavesPerEU: 4
; NumVGPRsForWavesPerEU: 1
; Occupancy: 10
; WaveLimiterHint : 0
; COMPUTE_PGM_RSRC2:SCRATCH_EN: 0
; COMPUTE_PGM_RSRC2:USER_SGPR: 6
; COMPUTE_PGM_RSRC2:TRAP_HANDLER: 0
; COMPUTE_PGM_RSRC2:TGID_X_EN: 1
; COMPUTE_PGM_RSRC2:TGID_Y_EN: 0
; COMPUTE_PGM_RSRC2:TGID_Z_EN: 0
; COMPUTE_PGM_RSRC2:TIDIG_COMP_CNT: 0
	.section	.text._ZN7rocprim17ROCPRIM_400000_NS6detail17trampoline_kernelINS0_14default_configENS1_27lower_bound_config_selectorIilEEZNS1_14transform_implILb0ES3_S5_N6thrust23THRUST_200600_302600_NS6detail15normal_iteratorINS8_7pointerIiNS9_22execute_with_allocatorINS8_16device_allocatorIcEENS8_11hip_rocprim22execute_on_stream_baseEEENS8_11use_defaultESI_EEEENSA_INSB_IlSH_SI_SI_EEEEZNS1_13binary_searchIS3_S5_NSA_INS8_10device_ptrIiEEEESK_SM_NS1_21lower_bound_search_opENS9_16wrapped_functionINS8_6system6detail7generic6detail18binary_search_lessEbEEEE10hipError_tPvRmT1_T2_T3_mmT4_T5_P12ihipStream_tbEUlRKiE_EESZ_S13_S14_mS15_S18_bEUlT_E_NS1_11comp_targetILNS1_3genE4ELNS1_11target_archE910ELNS1_3gpuE8ELNS1_3repE0EEENS1_30default_config_static_selectorELNS0_4arch9wavefront6targetE1EEEvS12_,"axG",@progbits,_ZN7rocprim17ROCPRIM_400000_NS6detail17trampoline_kernelINS0_14default_configENS1_27lower_bound_config_selectorIilEEZNS1_14transform_implILb0ES3_S5_N6thrust23THRUST_200600_302600_NS6detail15normal_iteratorINS8_7pointerIiNS9_22execute_with_allocatorINS8_16device_allocatorIcEENS8_11hip_rocprim22execute_on_stream_baseEEENS8_11use_defaultESI_EEEENSA_INSB_IlSH_SI_SI_EEEEZNS1_13binary_searchIS3_S5_NSA_INS8_10device_ptrIiEEEESK_SM_NS1_21lower_bound_search_opENS9_16wrapped_functionINS8_6system6detail7generic6detail18binary_search_lessEbEEEE10hipError_tPvRmT1_T2_T3_mmT4_T5_P12ihipStream_tbEUlRKiE_EESZ_S13_S14_mS15_S18_bEUlT_E_NS1_11comp_targetILNS1_3genE4ELNS1_11target_archE910ELNS1_3gpuE8ELNS1_3repE0EEENS1_30default_config_static_selectorELNS0_4arch9wavefront6targetE1EEEvS12_,comdat
	.protected	_ZN7rocprim17ROCPRIM_400000_NS6detail17trampoline_kernelINS0_14default_configENS1_27lower_bound_config_selectorIilEEZNS1_14transform_implILb0ES3_S5_N6thrust23THRUST_200600_302600_NS6detail15normal_iteratorINS8_7pointerIiNS9_22execute_with_allocatorINS8_16device_allocatorIcEENS8_11hip_rocprim22execute_on_stream_baseEEENS8_11use_defaultESI_EEEENSA_INSB_IlSH_SI_SI_EEEEZNS1_13binary_searchIS3_S5_NSA_INS8_10device_ptrIiEEEESK_SM_NS1_21lower_bound_search_opENS9_16wrapped_functionINS8_6system6detail7generic6detail18binary_search_lessEbEEEE10hipError_tPvRmT1_T2_T3_mmT4_T5_P12ihipStream_tbEUlRKiE_EESZ_S13_S14_mS15_S18_bEUlT_E_NS1_11comp_targetILNS1_3genE4ELNS1_11target_archE910ELNS1_3gpuE8ELNS1_3repE0EEENS1_30default_config_static_selectorELNS0_4arch9wavefront6targetE1EEEvS12_ ; -- Begin function _ZN7rocprim17ROCPRIM_400000_NS6detail17trampoline_kernelINS0_14default_configENS1_27lower_bound_config_selectorIilEEZNS1_14transform_implILb0ES3_S5_N6thrust23THRUST_200600_302600_NS6detail15normal_iteratorINS8_7pointerIiNS9_22execute_with_allocatorINS8_16device_allocatorIcEENS8_11hip_rocprim22execute_on_stream_baseEEENS8_11use_defaultESI_EEEENSA_INSB_IlSH_SI_SI_EEEEZNS1_13binary_searchIS3_S5_NSA_INS8_10device_ptrIiEEEESK_SM_NS1_21lower_bound_search_opENS9_16wrapped_functionINS8_6system6detail7generic6detail18binary_search_lessEbEEEE10hipError_tPvRmT1_T2_T3_mmT4_T5_P12ihipStream_tbEUlRKiE_EESZ_S13_S14_mS15_S18_bEUlT_E_NS1_11comp_targetILNS1_3genE4ELNS1_11target_archE910ELNS1_3gpuE8ELNS1_3repE0EEENS1_30default_config_static_selectorELNS0_4arch9wavefront6targetE1EEEvS12_
	.globl	_ZN7rocprim17ROCPRIM_400000_NS6detail17trampoline_kernelINS0_14default_configENS1_27lower_bound_config_selectorIilEEZNS1_14transform_implILb0ES3_S5_N6thrust23THRUST_200600_302600_NS6detail15normal_iteratorINS8_7pointerIiNS9_22execute_with_allocatorINS8_16device_allocatorIcEENS8_11hip_rocprim22execute_on_stream_baseEEENS8_11use_defaultESI_EEEENSA_INSB_IlSH_SI_SI_EEEEZNS1_13binary_searchIS3_S5_NSA_INS8_10device_ptrIiEEEESK_SM_NS1_21lower_bound_search_opENS9_16wrapped_functionINS8_6system6detail7generic6detail18binary_search_lessEbEEEE10hipError_tPvRmT1_T2_T3_mmT4_T5_P12ihipStream_tbEUlRKiE_EESZ_S13_S14_mS15_S18_bEUlT_E_NS1_11comp_targetILNS1_3genE4ELNS1_11target_archE910ELNS1_3gpuE8ELNS1_3repE0EEENS1_30default_config_static_selectorELNS0_4arch9wavefront6targetE1EEEvS12_
	.p2align	8
	.type	_ZN7rocprim17ROCPRIM_400000_NS6detail17trampoline_kernelINS0_14default_configENS1_27lower_bound_config_selectorIilEEZNS1_14transform_implILb0ES3_S5_N6thrust23THRUST_200600_302600_NS6detail15normal_iteratorINS8_7pointerIiNS9_22execute_with_allocatorINS8_16device_allocatorIcEENS8_11hip_rocprim22execute_on_stream_baseEEENS8_11use_defaultESI_EEEENSA_INSB_IlSH_SI_SI_EEEEZNS1_13binary_searchIS3_S5_NSA_INS8_10device_ptrIiEEEESK_SM_NS1_21lower_bound_search_opENS9_16wrapped_functionINS8_6system6detail7generic6detail18binary_search_lessEbEEEE10hipError_tPvRmT1_T2_T3_mmT4_T5_P12ihipStream_tbEUlRKiE_EESZ_S13_S14_mS15_S18_bEUlT_E_NS1_11comp_targetILNS1_3genE4ELNS1_11target_archE910ELNS1_3gpuE8ELNS1_3repE0EEENS1_30default_config_static_selectorELNS0_4arch9wavefront6targetE1EEEvS12_,@function
_ZN7rocprim17ROCPRIM_400000_NS6detail17trampoline_kernelINS0_14default_configENS1_27lower_bound_config_selectorIilEEZNS1_14transform_implILb0ES3_S5_N6thrust23THRUST_200600_302600_NS6detail15normal_iteratorINS8_7pointerIiNS9_22execute_with_allocatorINS8_16device_allocatorIcEENS8_11hip_rocprim22execute_on_stream_baseEEENS8_11use_defaultESI_EEEENSA_INSB_IlSH_SI_SI_EEEEZNS1_13binary_searchIS3_S5_NSA_INS8_10device_ptrIiEEEESK_SM_NS1_21lower_bound_search_opENS9_16wrapped_functionINS8_6system6detail7generic6detail18binary_search_lessEbEEEE10hipError_tPvRmT1_T2_T3_mmT4_T5_P12ihipStream_tbEUlRKiE_EESZ_S13_S14_mS15_S18_bEUlT_E_NS1_11comp_targetILNS1_3genE4ELNS1_11target_archE910ELNS1_3gpuE8ELNS1_3repE0EEENS1_30default_config_static_selectorELNS0_4arch9wavefront6targetE1EEEvS12_: ; @_ZN7rocprim17ROCPRIM_400000_NS6detail17trampoline_kernelINS0_14default_configENS1_27lower_bound_config_selectorIilEEZNS1_14transform_implILb0ES3_S5_N6thrust23THRUST_200600_302600_NS6detail15normal_iteratorINS8_7pointerIiNS9_22execute_with_allocatorINS8_16device_allocatorIcEENS8_11hip_rocprim22execute_on_stream_baseEEENS8_11use_defaultESI_EEEENSA_INSB_IlSH_SI_SI_EEEEZNS1_13binary_searchIS3_S5_NSA_INS8_10device_ptrIiEEEESK_SM_NS1_21lower_bound_search_opENS9_16wrapped_functionINS8_6system6detail7generic6detail18binary_search_lessEbEEEE10hipError_tPvRmT1_T2_T3_mmT4_T5_P12ihipStream_tbEUlRKiE_EESZ_S13_S14_mS15_S18_bEUlT_E_NS1_11comp_targetILNS1_3genE4ELNS1_11target_archE910ELNS1_3gpuE8ELNS1_3repE0EEENS1_30default_config_static_selectorELNS0_4arch9wavefront6targetE1EEEvS12_
; %bb.0:
	.section	.rodata,"a",@progbits
	.p2align	6, 0x0
	.amdhsa_kernel _ZN7rocprim17ROCPRIM_400000_NS6detail17trampoline_kernelINS0_14default_configENS1_27lower_bound_config_selectorIilEEZNS1_14transform_implILb0ES3_S5_N6thrust23THRUST_200600_302600_NS6detail15normal_iteratorINS8_7pointerIiNS9_22execute_with_allocatorINS8_16device_allocatorIcEENS8_11hip_rocprim22execute_on_stream_baseEEENS8_11use_defaultESI_EEEENSA_INSB_IlSH_SI_SI_EEEEZNS1_13binary_searchIS3_S5_NSA_INS8_10device_ptrIiEEEESK_SM_NS1_21lower_bound_search_opENS9_16wrapped_functionINS8_6system6detail7generic6detail18binary_search_lessEbEEEE10hipError_tPvRmT1_T2_T3_mmT4_T5_P12ihipStream_tbEUlRKiE_EESZ_S13_S14_mS15_S18_bEUlT_E_NS1_11comp_targetILNS1_3genE4ELNS1_11target_archE910ELNS1_3gpuE8ELNS1_3repE0EEENS1_30default_config_static_selectorELNS0_4arch9wavefront6targetE1EEEvS12_
		.amdhsa_group_segment_fixed_size 0
		.amdhsa_private_segment_fixed_size 0
		.amdhsa_kernarg_size 56
		.amdhsa_user_sgpr_count 6
		.amdhsa_user_sgpr_private_segment_buffer 1
		.amdhsa_user_sgpr_dispatch_ptr 0
		.amdhsa_user_sgpr_queue_ptr 0
		.amdhsa_user_sgpr_kernarg_segment_ptr 1
		.amdhsa_user_sgpr_dispatch_id 0
		.amdhsa_user_sgpr_flat_scratch_init 0
		.amdhsa_user_sgpr_private_segment_size 0
		.amdhsa_uses_dynamic_stack 0
		.amdhsa_system_sgpr_private_segment_wavefront_offset 0
		.amdhsa_system_sgpr_workgroup_id_x 1
		.amdhsa_system_sgpr_workgroup_id_y 0
		.amdhsa_system_sgpr_workgroup_id_z 0
		.amdhsa_system_sgpr_workgroup_info 0
		.amdhsa_system_vgpr_workitem_id 0
		.amdhsa_next_free_vgpr 1
		.amdhsa_next_free_sgpr 0
		.amdhsa_reserve_vcc 0
		.amdhsa_reserve_flat_scratch 0
		.amdhsa_float_round_mode_32 0
		.amdhsa_float_round_mode_16_64 0
		.amdhsa_float_denorm_mode_32 3
		.amdhsa_float_denorm_mode_16_64 3
		.amdhsa_dx10_clamp 1
		.amdhsa_ieee_mode 1
		.amdhsa_fp16_overflow 0
		.amdhsa_exception_fp_ieee_invalid_op 0
		.amdhsa_exception_fp_denorm_src 0
		.amdhsa_exception_fp_ieee_div_zero 0
		.amdhsa_exception_fp_ieee_overflow 0
		.amdhsa_exception_fp_ieee_underflow 0
		.amdhsa_exception_fp_ieee_inexact 0
		.amdhsa_exception_int_div_zero 0
	.end_amdhsa_kernel
	.section	.text._ZN7rocprim17ROCPRIM_400000_NS6detail17trampoline_kernelINS0_14default_configENS1_27lower_bound_config_selectorIilEEZNS1_14transform_implILb0ES3_S5_N6thrust23THRUST_200600_302600_NS6detail15normal_iteratorINS8_7pointerIiNS9_22execute_with_allocatorINS8_16device_allocatorIcEENS8_11hip_rocprim22execute_on_stream_baseEEENS8_11use_defaultESI_EEEENSA_INSB_IlSH_SI_SI_EEEEZNS1_13binary_searchIS3_S5_NSA_INS8_10device_ptrIiEEEESK_SM_NS1_21lower_bound_search_opENS9_16wrapped_functionINS8_6system6detail7generic6detail18binary_search_lessEbEEEE10hipError_tPvRmT1_T2_T3_mmT4_T5_P12ihipStream_tbEUlRKiE_EESZ_S13_S14_mS15_S18_bEUlT_E_NS1_11comp_targetILNS1_3genE4ELNS1_11target_archE910ELNS1_3gpuE8ELNS1_3repE0EEENS1_30default_config_static_selectorELNS0_4arch9wavefront6targetE1EEEvS12_,"axG",@progbits,_ZN7rocprim17ROCPRIM_400000_NS6detail17trampoline_kernelINS0_14default_configENS1_27lower_bound_config_selectorIilEEZNS1_14transform_implILb0ES3_S5_N6thrust23THRUST_200600_302600_NS6detail15normal_iteratorINS8_7pointerIiNS9_22execute_with_allocatorINS8_16device_allocatorIcEENS8_11hip_rocprim22execute_on_stream_baseEEENS8_11use_defaultESI_EEEENSA_INSB_IlSH_SI_SI_EEEEZNS1_13binary_searchIS3_S5_NSA_INS8_10device_ptrIiEEEESK_SM_NS1_21lower_bound_search_opENS9_16wrapped_functionINS8_6system6detail7generic6detail18binary_search_lessEbEEEE10hipError_tPvRmT1_T2_T3_mmT4_T5_P12ihipStream_tbEUlRKiE_EESZ_S13_S14_mS15_S18_bEUlT_E_NS1_11comp_targetILNS1_3genE4ELNS1_11target_archE910ELNS1_3gpuE8ELNS1_3repE0EEENS1_30default_config_static_selectorELNS0_4arch9wavefront6targetE1EEEvS12_,comdat
.Lfunc_end772:
	.size	_ZN7rocprim17ROCPRIM_400000_NS6detail17trampoline_kernelINS0_14default_configENS1_27lower_bound_config_selectorIilEEZNS1_14transform_implILb0ES3_S5_N6thrust23THRUST_200600_302600_NS6detail15normal_iteratorINS8_7pointerIiNS9_22execute_with_allocatorINS8_16device_allocatorIcEENS8_11hip_rocprim22execute_on_stream_baseEEENS8_11use_defaultESI_EEEENSA_INSB_IlSH_SI_SI_EEEEZNS1_13binary_searchIS3_S5_NSA_INS8_10device_ptrIiEEEESK_SM_NS1_21lower_bound_search_opENS9_16wrapped_functionINS8_6system6detail7generic6detail18binary_search_lessEbEEEE10hipError_tPvRmT1_T2_T3_mmT4_T5_P12ihipStream_tbEUlRKiE_EESZ_S13_S14_mS15_S18_bEUlT_E_NS1_11comp_targetILNS1_3genE4ELNS1_11target_archE910ELNS1_3gpuE8ELNS1_3repE0EEENS1_30default_config_static_selectorELNS0_4arch9wavefront6targetE1EEEvS12_, .Lfunc_end772-_ZN7rocprim17ROCPRIM_400000_NS6detail17trampoline_kernelINS0_14default_configENS1_27lower_bound_config_selectorIilEEZNS1_14transform_implILb0ES3_S5_N6thrust23THRUST_200600_302600_NS6detail15normal_iteratorINS8_7pointerIiNS9_22execute_with_allocatorINS8_16device_allocatorIcEENS8_11hip_rocprim22execute_on_stream_baseEEENS8_11use_defaultESI_EEEENSA_INSB_IlSH_SI_SI_EEEEZNS1_13binary_searchIS3_S5_NSA_INS8_10device_ptrIiEEEESK_SM_NS1_21lower_bound_search_opENS9_16wrapped_functionINS8_6system6detail7generic6detail18binary_search_lessEbEEEE10hipError_tPvRmT1_T2_T3_mmT4_T5_P12ihipStream_tbEUlRKiE_EESZ_S13_S14_mS15_S18_bEUlT_E_NS1_11comp_targetILNS1_3genE4ELNS1_11target_archE910ELNS1_3gpuE8ELNS1_3repE0EEENS1_30default_config_static_selectorELNS0_4arch9wavefront6targetE1EEEvS12_
                                        ; -- End function
	.set _ZN7rocprim17ROCPRIM_400000_NS6detail17trampoline_kernelINS0_14default_configENS1_27lower_bound_config_selectorIilEEZNS1_14transform_implILb0ES3_S5_N6thrust23THRUST_200600_302600_NS6detail15normal_iteratorINS8_7pointerIiNS9_22execute_with_allocatorINS8_16device_allocatorIcEENS8_11hip_rocprim22execute_on_stream_baseEEENS8_11use_defaultESI_EEEENSA_INSB_IlSH_SI_SI_EEEEZNS1_13binary_searchIS3_S5_NSA_INS8_10device_ptrIiEEEESK_SM_NS1_21lower_bound_search_opENS9_16wrapped_functionINS8_6system6detail7generic6detail18binary_search_lessEbEEEE10hipError_tPvRmT1_T2_T3_mmT4_T5_P12ihipStream_tbEUlRKiE_EESZ_S13_S14_mS15_S18_bEUlT_E_NS1_11comp_targetILNS1_3genE4ELNS1_11target_archE910ELNS1_3gpuE8ELNS1_3repE0EEENS1_30default_config_static_selectorELNS0_4arch9wavefront6targetE1EEEvS12_.num_vgpr, 0
	.set _ZN7rocprim17ROCPRIM_400000_NS6detail17trampoline_kernelINS0_14default_configENS1_27lower_bound_config_selectorIilEEZNS1_14transform_implILb0ES3_S5_N6thrust23THRUST_200600_302600_NS6detail15normal_iteratorINS8_7pointerIiNS9_22execute_with_allocatorINS8_16device_allocatorIcEENS8_11hip_rocprim22execute_on_stream_baseEEENS8_11use_defaultESI_EEEENSA_INSB_IlSH_SI_SI_EEEEZNS1_13binary_searchIS3_S5_NSA_INS8_10device_ptrIiEEEESK_SM_NS1_21lower_bound_search_opENS9_16wrapped_functionINS8_6system6detail7generic6detail18binary_search_lessEbEEEE10hipError_tPvRmT1_T2_T3_mmT4_T5_P12ihipStream_tbEUlRKiE_EESZ_S13_S14_mS15_S18_bEUlT_E_NS1_11comp_targetILNS1_3genE4ELNS1_11target_archE910ELNS1_3gpuE8ELNS1_3repE0EEENS1_30default_config_static_selectorELNS0_4arch9wavefront6targetE1EEEvS12_.num_agpr, 0
	.set _ZN7rocprim17ROCPRIM_400000_NS6detail17trampoline_kernelINS0_14default_configENS1_27lower_bound_config_selectorIilEEZNS1_14transform_implILb0ES3_S5_N6thrust23THRUST_200600_302600_NS6detail15normal_iteratorINS8_7pointerIiNS9_22execute_with_allocatorINS8_16device_allocatorIcEENS8_11hip_rocprim22execute_on_stream_baseEEENS8_11use_defaultESI_EEEENSA_INSB_IlSH_SI_SI_EEEEZNS1_13binary_searchIS3_S5_NSA_INS8_10device_ptrIiEEEESK_SM_NS1_21lower_bound_search_opENS9_16wrapped_functionINS8_6system6detail7generic6detail18binary_search_lessEbEEEE10hipError_tPvRmT1_T2_T3_mmT4_T5_P12ihipStream_tbEUlRKiE_EESZ_S13_S14_mS15_S18_bEUlT_E_NS1_11comp_targetILNS1_3genE4ELNS1_11target_archE910ELNS1_3gpuE8ELNS1_3repE0EEENS1_30default_config_static_selectorELNS0_4arch9wavefront6targetE1EEEvS12_.numbered_sgpr, 0
	.set _ZN7rocprim17ROCPRIM_400000_NS6detail17trampoline_kernelINS0_14default_configENS1_27lower_bound_config_selectorIilEEZNS1_14transform_implILb0ES3_S5_N6thrust23THRUST_200600_302600_NS6detail15normal_iteratorINS8_7pointerIiNS9_22execute_with_allocatorINS8_16device_allocatorIcEENS8_11hip_rocprim22execute_on_stream_baseEEENS8_11use_defaultESI_EEEENSA_INSB_IlSH_SI_SI_EEEEZNS1_13binary_searchIS3_S5_NSA_INS8_10device_ptrIiEEEESK_SM_NS1_21lower_bound_search_opENS9_16wrapped_functionINS8_6system6detail7generic6detail18binary_search_lessEbEEEE10hipError_tPvRmT1_T2_T3_mmT4_T5_P12ihipStream_tbEUlRKiE_EESZ_S13_S14_mS15_S18_bEUlT_E_NS1_11comp_targetILNS1_3genE4ELNS1_11target_archE910ELNS1_3gpuE8ELNS1_3repE0EEENS1_30default_config_static_selectorELNS0_4arch9wavefront6targetE1EEEvS12_.num_named_barrier, 0
	.set _ZN7rocprim17ROCPRIM_400000_NS6detail17trampoline_kernelINS0_14default_configENS1_27lower_bound_config_selectorIilEEZNS1_14transform_implILb0ES3_S5_N6thrust23THRUST_200600_302600_NS6detail15normal_iteratorINS8_7pointerIiNS9_22execute_with_allocatorINS8_16device_allocatorIcEENS8_11hip_rocprim22execute_on_stream_baseEEENS8_11use_defaultESI_EEEENSA_INSB_IlSH_SI_SI_EEEEZNS1_13binary_searchIS3_S5_NSA_INS8_10device_ptrIiEEEESK_SM_NS1_21lower_bound_search_opENS9_16wrapped_functionINS8_6system6detail7generic6detail18binary_search_lessEbEEEE10hipError_tPvRmT1_T2_T3_mmT4_T5_P12ihipStream_tbEUlRKiE_EESZ_S13_S14_mS15_S18_bEUlT_E_NS1_11comp_targetILNS1_3genE4ELNS1_11target_archE910ELNS1_3gpuE8ELNS1_3repE0EEENS1_30default_config_static_selectorELNS0_4arch9wavefront6targetE1EEEvS12_.private_seg_size, 0
	.set _ZN7rocprim17ROCPRIM_400000_NS6detail17trampoline_kernelINS0_14default_configENS1_27lower_bound_config_selectorIilEEZNS1_14transform_implILb0ES3_S5_N6thrust23THRUST_200600_302600_NS6detail15normal_iteratorINS8_7pointerIiNS9_22execute_with_allocatorINS8_16device_allocatorIcEENS8_11hip_rocprim22execute_on_stream_baseEEENS8_11use_defaultESI_EEEENSA_INSB_IlSH_SI_SI_EEEEZNS1_13binary_searchIS3_S5_NSA_INS8_10device_ptrIiEEEESK_SM_NS1_21lower_bound_search_opENS9_16wrapped_functionINS8_6system6detail7generic6detail18binary_search_lessEbEEEE10hipError_tPvRmT1_T2_T3_mmT4_T5_P12ihipStream_tbEUlRKiE_EESZ_S13_S14_mS15_S18_bEUlT_E_NS1_11comp_targetILNS1_3genE4ELNS1_11target_archE910ELNS1_3gpuE8ELNS1_3repE0EEENS1_30default_config_static_selectorELNS0_4arch9wavefront6targetE1EEEvS12_.uses_vcc, 0
	.set _ZN7rocprim17ROCPRIM_400000_NS6detail17trampoline_kernelINS0_14default_configENS1_27lower_bound_config_selectorIilEEZNS1_14transform_implILb0ES3_S5_N6thrust23THRUST_200600_302600_NS6detail15normal_iteratorINS8_7pointerIiNS9_22execute_with_allocatorINS8_16device_allocatorIcEENS8_11hip_rocprim22execute_on_stream_baseEEENS8_11use_defaultESI_EEEENSA_INSB_IlSH_SI_SI_EEEEZNS1_13binary_searchIS3_S5_NSA_INS8_10device_ptrIiEEEESK_SM_NS1_21lower_bound_search_opENS9_16wrapped_functionINS8_6system6detail7generic6detail18binary_search_lessEbEEEE10hipError_tPvRmT1_T2_T3_mmT4_T5_P12ihipStream_tbEUlRKiE_EESZ_S13_S14_mS15_S18_bEUlT_E_NS1_11comp_targetILNS1_3genE4ELNS1_11target_archE910ELNS1_3gpuE8ELNS1_3repE0EEENS1_30default_config_static_selectorELNS0_4arch9wavefront6targetE1EEEvS12_.uses_flat_scratch, 0
	.set _ZN7rocprim17ROCPRIM_400000_NS6detail17trampoline_kernelINS0_14default_configENS1_27lower_bound_config_selectorIilEEZNS1_14transform_implILb0ES3_S5_N6thrust23THRUST_200600_302600_NS6detail15normal_iteratorINS8_7pointerIiNS9_22execute_with_allocatorINS8_16device_allocatorIcEENS8_11hip_rocprim22execute_on_stream_baseEEENS8_11use_defaultESI_EEEENSA_INSB_IlSH_SI_SI_EEEEZNS1_13binary_searchIS3_S5_NSA_INS8_10device_ptrIiEEEESK_SM_NS1_21lower_bound_search_opENS9_16wrapped_functionINS8_6system6detail7generic6detail18binary_search_lessEbEEEE10hipError_tPvRmT1_T2_T3_mmT4_T5_P12ihipStream_tbEUlRKiE_EESZ_S13_S14_mS15_S18_bEUlT_E_NS1_11comp_targetILNS1_3genE4ELNS1_11target_archE910ELNS1_3gpuE8ELNS1_3repE0EEENS1_30default_config_static_selectorELNS0_4arch9wavefront6targetE1EEEvS12_.has_dyn_sized_stack, 0
	.set _ZN7rocprim17ROCPRIM_400000_NS6detail17trampoline_kernelINS0_14default_configENS1_27lower_bound_config_selectorIilEEZNS1_14transform_implILb0ES3_S5_N6thrust23THRUST_200600_302600_NS6detail15normal_iteratorINS8_7pointerIiNS9_22execute_with_allocatorINS8_16device_allocatorIcEENS8_11hip_rocprim22execute_on_stream_baseEEENS8_11use_defaultESI_EEEENSA_INSB_IlSH_SI_SI_EEEEZNS1_13binary_searchIS3_S5_NSA_INS8_10device_ptrIiEEEESK_SM_NS1_21lower_bound_search_opENS9_16wrapped_functionINS8_6system6detail7generic6detail18binary_search_lessEbEEEE10hipError_tPvRmT1_T2_T3_mmT4_T5_P12ihipStream_tbEUlRKiE_EESZ_S13_S14_mS15_S18_bEUlT_E_NS1_11comp_targetILNS1_3genE4ELNS1_11target_archE910ELNS1_3gpuE8ELNS1_3repE0EEENS1_30default_config_static_selectorELNS0_4arch9wavefront6targetE1EEEvS12_.has_recursion, 0
	.set _ZN7rocprim17ROCPRIM_400000_NS6detail17trampoline_kernelINS0_14default_configENS1_27lower_bound_config_selectorIilEEZNS1_14transform_implILb0ES3_S5_N6thrust23THRUST_200600_302600_NS6detail15normal_iteratorINS8_7pointerIiNS9_22execute_with_allocatorINS8_16device_allocatorIcEENS8_11hip_rocprim22execute_on_stream_baseEEENS8_11use_defaultESI_EEEENSA_INSB_IlSH_SI_SI_EEEEZNS1_13binary_searchIS3_S5_NSA_INS8_10device_ptrIiEEEESK_SM_NS1_21lower_bound_search_opENS9_16wrapped_functionINS8_6system6detail7generic6detail18binary_search_lessEbEEEE10hipError_tPvRmT1_T2_T3_mmT4_T5_P12ihipStream_tbEUlRKiE_EESZ_S13_S14_mS15_S18_bEUlT_E_NS1_11comp_targetILNS1_3genE4ELNS1_11target_archE910ELNS1_3gpuE8ELNS1_3repE0EEENS1_30default_config_static_selectorELNS0_4arch9wavefront6targetE1EEEvS12_.has_indirect_call, 0
	.section	.AMDGPU.csdata,"",@progbits
; Kernel info:
; codeLenInByte = 0
; TotalNumSgprs: 4
; NumVgprs: 0
; ScratchSize: 0
; MemoryBound: 0
; FloatMode: 240
; IeeeMode: 1
; LDSByteSize: 0 bytes/workgroup (compile time only)
; SGPRBlocks: 0
; VGPRBlocks: 0
; NumSGPRsForWavesPerEU: 4
; NumVGPRsForWavesPerEU: 1
; Occupancy: 10
; WaveLimiterHint : 0
; COMPUTE_PGM_RSRC2:SCRATCH_EN: 0
; COMPUTE_PGM_RSRC2:USER_SGPR: 6
; COMPUTE_PGM_RSRC2:TRAP_HANDLER: 0
; COMPUTE_PGM_RSRC2:TGID_X_EN: 1
; COMPUTE_PGM_RSRC2:TGID_Y_EN: 0
; COMPUTE_PGM_RSRC2:TGID_Z_EN: 0
; COMPUTE_PGM_RSRC2:TIDIG_COMP_CNT: 0
	.section	.text._ZN7rocprim17ROCPRIM_400000_NS6detail17trampoline_kernelINS0_14default_configENS1_27lower_bound_config_selectorIilEEZNS1_14transform_implILb0ES3_S5_N6thrust23THRUST_200600_302600_NS6detail15normal_iteratorINS8_7pointerIiNS9_22execute_with_allocatorINS8_16device_allocatorIcEENS8_11hip_rocprim22execute_on_stream_baseEEENS8_11use_defaultESI_EEEENSA_INSB_IlSH_SI_SI_EEEEZNS1_13binary_searchIS3_S5_NSA_INS8_10device_ptrIiEEEESK_SM_NS1_21lower_bound_search_opENS9_16wrapped_functionINS8_6system6detail7generic6detail18binary_search_lessEbEEEE10hipError_tPvRmT1_T2_T3_mmT4_T5_P12ihipStream_tbEUlRKiE_EESZ_S13_S14_mS15_S18_bEUlT_E_NS1_11comp_targetILNS1_3genE3ELNS1_11target_archE908ELNS1_3gpuE7ELNS1_3repE0EEENS1_30default_config_static_selectorELNS0_4arch9wavefront6targetE1EEEvS12_,"axG",@progbits,_ZN7rocprim17ROCPRIM_400000_NS6detail17trampoline_kernelINS0_14default_configENS1_27lower_bound_config_selectorIilEEZNS1_14transform_implILb0ES3_S5_N6thrust23THRUST_200600_302600_NS6detail15normal_iteratorINS8_7pointerIiNS9_22execute_with_allocatorINS8_16device_allocatorIcEENS8_11hip_rocprim22execute_on_stream_baseEEENS8_11use_defaultESI_EEEENSA_INSB_IlSH_SI_SI_EEEEZNS1_13binary_searchIS3_S5_NSA_INS8_10device_ptrIiEEEESK_SM_NS1_21lower_bound_search_opENS9_16wrapped_functionINS8_6system6detail7generic6detail18binary_search_lessEbEEEE10hipError_tPvRmT1_T2_T3_mmT4_T5_P12ihipStream_tbEUlRKiE_EESZ_S13_S14_mS15_S18_bEUlT_E_NS1_11comp_targetILNS1_3genE3ELNS1_11target_archE908ELNS1_3gpuE7ELNS1_3repE0EEENS1_30default_config_static_selectorELNS0_4arch9wavefront6targetE1EEEvS12_,comdat
	.protected	_ZN7rocprim17ROCPRIM_400000_NS6detail17trampoline_kernelINS0_14default_configENS1_27lower_bound_config_selectorIilEEZNS1_14transform_implILb0ES3_S5_N6thrust23THRUST_200600_302600_NS6detail15normal_iteratorINS8_7pointerIiNS9_22execute_with_allocatorINS8_16device_allocatorIcEENS8_11hip_rocprim22execute_on_stream_baseEEENS8_11use_defaultESI_EEEENSA_INSB_IlSH_SI_SI_EEEEZNS1_13binary_searchIS3_S5_NSA_INS8_10device_ptrIiEEEESK_SM_NS1_21lower_bound_search_opENS9_16wrapped_functionINS8_6system6detail7generic6detail18binary_search_lessEbEEEE10hipError_tPvRmT1_T2_T3_mmT4_T5_P12ihipStream_tbEUlRKiE_EESZ_S13_S14_mS15_S18_bEUlT_E_NS1_11comp_targetILNS1_3genE3ELNS1_11target_archE908ELNS1_3gpuE7ELNS1_3repE0EEENS1_30default_config_static_selectorELNS0_4arch9wavefront6targetE1EEEvS12_ ; -- Begin function _ZN7rocprim17ROCPRIM_400000_NS6detail17trampoline_kernelINS0_14default_configENS1_27lower_bound_config_selectorIilEEZNS1_14transform_implILb0ES3_S5_N6thrust23THRUST_200600_302600_NS6detail15normal_iteratorINS8_7pointerIiNS9_22execute_with_allocatorINS8_16device_allocatorIcEENS8_11hip_rocprim22execute_on_stream_baseEEENS8_11use_defaultESI_EEEENSA_INSB_IlSH_SI_SI_EEEEZNS1_13binary_searchIS3_S5_NSA_INS8_10device_ptrIiEEEESK_SM_NS1_21lower_bound_search_opENS9_16wrapped_functionINS8_6system6detail7generic6detail18binary_search_lessEbEEEE10hipError_tPvRmT1_T2_T3_mmT4_T5_P12ihipStream_tbEUlRKiE_EESZ_S13_S14_mS15_S18_bEUlT_E_NS1_11comp_targetILNS1_3genE3ELNS1_11target_archE908ELNS1_3gpuE7ELNS1_3repE0EEENS1_30default_config_static_selectorELNS0_4arch9wavefront6targetE1EEEvS12_
	.globl	_ZN7rocprim17ROCPRIM_400000_NS6detail17trampoline_kernelINS0_14default_configENS1_27lower_bound_config_selectorIilEEZNS1_14transform_implILb0ES3_S5_N6thrust23THRUST_200600_302600_NS6detail15normal_iteratorINS8_7pointerIiNS9_22execute_with_allocatorINS8_16device_allocatorIcEENS8_11hip_rocprim22execute_on_stream_baseEEENS8_11use_defaultESI_EEEENSA_INSB_IlSH_SI_SI_EEEEZNS1_13binary_searchIS3_S5_NSA_INS8_10device_ptrIiEEEESK_SM_NS1_21lower_bound_search_opENS9_16wrapped_functionINS8_6system6detail7generic6detail18binary_search_lessEbEEEE10hipError_tPvRmT1_T2_T3_mmT4_T5_P12ihipStream_tbEUlRKiE_EESZ_S13_S14_mS15_S18_bEUlT_E_NS1_11comp_targetILNS1_3genE3ELNS1_11target_archE908ELNS1_3gpuE7ELNS1_3repE0EEENS1_30default_config_static_selectorELNS0_4arch9wavefront6targetE1EEEvS12_
	.p2align	8
	.type	_ZN7rocprim17ROCPRIM_400000_NS6detail17trampoline_kernelINS0_14default_configENS1_27lower_bound_config_selectorIilEEZNS1_14transform_implILb0ES3_S5_N6thrust23THRUST_200600_302600_NS6detail15normal_iteratorINS8_7pointerIiNS9_22execute_with_allocatorINS8_16device_allocatorIcEENS8_11hip_rocprim22execute_on_stream_baseEEENS8_11use_defaultESI_EEEENSA_INSB_IlSH_SI_SI_EEEEZNS1_13binary_searchIS3_S5_NSA_INS8_10device_ptrIiEEEESK_SM_NS1_21lower_bound_search_opENS9_16wrapped_functionINS8_6system6detail7generic6detail18binary_search_lessEbEEEE10hipError_tPvRmT1_T2_T3_mmT4_T5_P12ihipStream_tbEUlRKiE_EESZ_S13_S14_mS15_S18_bEUlT_E_NS1_11comp_targetILNS1_3genE3ELNS1_11target_archE908ELNS1_3gpuE7ELNS1_3repE0EEENS1_30default_config_static_selectorELNS0_4arch9wavefront6targetE1EEEvS12_,@function
_ZN7rocprim17ROCPRIM_400000_NS6detail17trampoline_kernelINS0_14default_configENS1_27lower_bound_config_selectorIilEEZNS1_14transform_implILb0ES3_S5_N6thrust23THRUST_200600_302600_NS6detail15normal_iteratorINS8_7pointerIiNS9_22execute_with_allocatorINS8_16device_allocatorIcEENS8_11hip_rocprim22execute_on_stream_baseEEENS8_11use_defaultESI_EEEENSA_INSB_IlSH_SI_SI_EEEEZNS1_13binary_searchIS3_S5_NSA_INS8_10device_ptrIiEEEESK_SM_NS1_21lower_bound_search_opENS9_16wrapped_functionINS8_6system6detail7generic6detail18binary_search_lessEbEEEE10hipError_tPvRmT1_T2_T3_mmT4_T5_P12ihipStream_tbEUlRKiE_EESZ_S13_S14_mS15_S18_bEUlT_E_NS1_11comp_targetILNS1_3genE3ELNS1_11target_archE908ELNS1_3gpuE7ELNS1_3repE0EEENS1_30default_config_static_selectorELNS0_4arch9wavefront6targetE1EEEvS12_: ; @_ZN7rocprim17ROCPRIM_400000_NS6detail17trampoline_kernelINS0_14default_configENS1_27lower_bound_config_selectorIilEEZNS1_14transform_implILb0ES3_S5_N6thrust23THRUST_200600_302600_NS6detail15normal_iteratorINS8_7pointerIiNS9_22execute_with_allocatorINS8_16device_allocatorIcEENS8_11hip_rocprim22execute_on_stream_baseEEENS8_11use_defaultESI_EEEENSA_INSB_IlSH_SI_SI_EEEEZNS1_13binary_searchIS3_S5_NSA_INS8_10device_ptrIiEEEESK_SM_NS1_21lower_bound_search_opENS9_16wrapped_functionINS8_6system6detail7generic6detail18binary_search_lessEbEEEE10hipError_tPvRmT1_T2_T3_mmT4_T5_P12ihipStream_tbEUlRKiE_EESZ_S13_S14_mS15_S18_bEUlT_E_NS1_11comp_targetILNS1_3genE3ELNS1_11target_archE908ELNS1_3gpuE7ELNS1_3repE0EEENS1_30default_config_static_selectorELNS0_4arch9wavefront6targetE1EEEvS12_
; %bb.0:
	.section	.rodata,"a",@progbits
	.p2align	6, 0x0
	.amdhsa_kernel _ZN7rocprim17ROCPRIM_400000_NS6detail17trampoline_kernelINS0_14default_configENS1_27lower_bound_config_selectorIilEEZNS1_14transform_implILb0ES3_S5_N6thrust23THRUST_200600_302600_NS6detail15normal_iteratorINS8_7pointerIiNS9_22execute_with_allocatorINS8_16device_allocatorIcEENS8_11hip_rocprim22execute_on_stream_baseEEENS8_11use_defaultESI_EEEENSA_INSB_IlSH_SI_SI_EEEEZNS1_13binary_searchIS3_S5_NSA_INS8_10device_ptrIiEEEESK_SM_NS1_21lower_bound_search_opENS9_16wrapped_functionINS8_6system6detail7generic6detail18binary_search_lessEbEEEE10hipError_tPvRmT1_T2_T3_mmT4_T5_P12ihipStream_tbEUlRKiE_EESZ_S13_S14_mS15_S18_bEUlT_E_NS1_11comp_targetILNS1_3genE3ELNS1_11target_archE908ELNS1_3gpuE7ELNS1_3repE0EEENS1_30default_config_static_selectorELNS0_4arch9wavefront6targetE1EEEvS12_
		.amdhsa_group_segment_fixed_size 0
		.amdhsa_private_segment_fixed_size 0
		.amdhsa_kernarg_size 56
		.amdhsa_user_sgpr_count 6
		.amdhsa_user_sgpr_private_segment_buffer 1
		.amdhsa_user_sgpr_dispatch_ptr 0
		.amdhsa_user_sgpr_queue_ptr 0
		.amdhsa_user_sgpr_kernarg_segment_ptr 1
		.amdhsa_user_sgpr_dispatch_id 0
		.amdhsa_user_sgpr_flat_scratch_init 0
		.amdhsa_user_sgpr_private_segment_size 0
		.amdhsa_uses_dynamic_stack 0
		.amdhsa_system_sgpr_private_segment_wavefront_offset 0
		.amdhsa_system_sgpr_workgroup_id_x 1
		.amdhsa_system_sgpr_workgroup_id_y 0
		.amdhsa_system_sgpr_workgroup_id_z 0
		.amdhsa_system_sgpr_workgroup_info 0
		.amdhsa_system_vgpr_workitem_id 0
		.amdhsa_next_free_vgpr 1
		.amdhsa_next_free_sgpr 0
		.amdhsa_reserve_vcc 0
		.amdhsa_reserve_flat_scratch 0
		.amdhsa_float_round_mode_32 0
		.amdhsa_float_round_mode_16_64 0
		.amdhsa_float_denorm_mode_32 3
		.amdhsa_float_denorm_mode_16_64 3
		.amdhsa_dx10_clamp 1
		.amdhsa_ieee_mode 1
		.amdhsa_fp16_overflow 0
		.amdhsa_exception_fp_ieee_invalid_op 0
		.amdhsa_exception_fp_denorm_src 0
		.amdhsa_exception_fp_ieee_div_zero 0
		.amdhsa_exception_fp_ieee_overflow 0
		.amdhsa_exception_fp_ieee_underflow 0
		.amdhsa_exception_fp_ieee_inexact 0
		.amdhsa_exception_int_div_zero 0
	.end_amdhsa_kernel
	.section	.text._ZN7rocprim17ROCPRIM_400000_NS6detail17trampoline_kernelINS0_14default_configENS1_27lower_bound_config_selectorIilEEZNS1_14transform_implILb0ES3_S5_N6thrust23THRUST_200600_302600_NS6detail15normal_iteratorINS8_7pointerIiNS9_22execute_with_allocatorINS8_16device_allocatorIcEENS8_11hip_rocprim22execute_on_stream_baseEEENS8_11use_defaultESI_EEEENSA_INSB_IlSH_SI_SI_EEEEZNS1_13binary_searchIS3_S5_NSA_INS8_10device_ptrIiEEEESK_SM_NS1_21lower_bound_search_opENS9_16wrapped_functionINS8_6system6detail7generic6detail18binary_search_lessEbEEEE10hipError_tPvRmT1_T2_T3_mmT4_T5_P12ihipStream_tbEUlRKiE_EESZ_S13_S14_mS15_S18_bEUlT_E_NS1_11comp_targetILNS1_3genE3ELNS1_11target_archE908ELNS1_3gpuE7ELNS1_3repE0EEENS1_30default_config_static_selectorELNS0_4arch9wavefront6targetE1EEEvS12_,"axG",@progbits,_ZN7rocprim17ROCPRIM_400000_NS6detail17trampoline_kernelINS0_14default_configENS1_27lower_bound_config_selectorIilEEZNS1_14transform_implILb0ES3_S5_N6thrust23THRUST_200600_302600_NS6detail15normal_iteratorINS8_7pointerIiNS9_22execute_with_allocatorINS8_16device_allocatorIcEENS8_11hip_rocprim22execute_on_stream_baseEEENS8_11use_defaultESI_EEEENSA_INSB_IlSH_SI_SI_EEEEZNS1_13binary_searchIS3_S5_NSA_INS8_10device_ptrIiEEEESK_SM_NS1_21lower_bound_search_opENS9_16wrapped_functionINS8_6system6detail7generic6detail18binary_search_lessEbEEEE10hipError_tPvRmT1_T2_T3_mmT4_T5_P12ihipStream_tbEUlRKiE_EESZ_S13_S14_mS15_S18_bEUlT_E_NS1_11comp_targetILNS1_3genE3ELNS1_11target_archE908ELNS1_3gpuE7ELNS1_3repE0EEENS1_30default_config_static_selectorELNS0_4arch9wavefront6targetE1EEEvS12_,comdat
.Lfunc_end773:
	.size	_ZN7rocprim17ROCPRIM_400000_NS6detail17trampoline_kernelINS0_14default_configENS1_27lower_bound_config_selectorIilEEZNS1_14transform_implILb0ES3_S5_N6thrust23THRUST_200600_302600_NS6detail15normal_iteratorINS8_7pointerIiNS9_22execute_with_allocatorINS8_16device_allocatorIcEENS8_11hip_rocprim22execute_on_stream_baseEEENS8_11use_defaultESI_EEEENSA_INSB_IlSH_SI_SI_EEEEZNS1_13binary_searchIS3_S5_NSA_INS8_10device_ptrIiEEEESK_SM_NS1_21lower_bound_search_opENS9_16wrapped_functionINS8_6system6detail7generic6detail18binary_search_lessEbEEEE10hipError_tPvRmT1_T2_T3_mmT4_T5_P12ihipStream_tbEUlRKiE_EESZ_S13_S14_mS15_S18_bEUlT_E_NS1_11comp_targetILNS1_3genE3ELNS1_11target_archE908ELNS1_3gpuE7ELNS1_3repE0EEENS1_30default_config_static_selectorELNS0_4arch9wavefront6targetE1EEEvS12_, .Lfunc_end773-_ZN7rocprim17ROCPRIM_400000_NS6detail17trampoline_kernelINS0_14default_configENS1_27lower_bound_config_selectorIilEEZNS1_14transform_implILb0ES3_S5_N6thrust23THRUST_200600_302600_NS6detail15normal_iteratorINS8_7pointerIiNS9_22execute_with_allocatorINS8_16device_allocatorIcEENS8_11hip_rocprim22execute_on_stream_baseEEENS8_11use_defaultESI_EEEENSA_INSB_IlSH_SI_SI_EEEEZNS1_13binary_searchIS3_S5_NSA_INS8_10device_ptrIiEEEESK_SM_NS1_21lower_bound_search_opENS9_16wrapped_functionINS8_6system6detail7generic6detail18binary_search_lessEbEEEE10hipError_tPvRmT1_T2_T3_mmT4_T5_P12ihipStream_tbEUlRKiE_EESZ_S13_S14_mS15_S18_bEUlT_E_NS1_11comp_targetILNS1_3genE3ELNS1_11target_archE908ELNS1_3gpuE7ELNS1_3repE0EEENS1_30default_config_static_selectorELNS0_4arch9wavefront6targetE1EEEvS12_
                                        ; -- End function
	.set _ZN7rocprim17ROCPRIM_400000_NS6detail17trampoline_kernelINS0_14default_configENS1_27lower_bound_config_selectorIilEEZNS1_14transform_implILb0ES3_S5_N6thrust23THRUST_200600_302600_NS6detail15normal_iteratorINS8_7pointerIiNS9_22execute_with_allocatorINS8_16device_allocatorIcEENS8_11hip_rocprim22execute_on_stream_baseEEENS8_11use_defaultESI_EEEENSA_INSB_IlSH_SI_SI_EEEEZNS1_13binary_searchIS3_S5_NSA_INS8_10device_ptrIiEEEESK_SM_NS1_21lower_bound_search_opENS9_16wrapped_functionINS8_6system6detail7generic6detail18binary_search_lessEbEEEE10hipError_tPvRmT1_T2_T3_mmT4_T5_P12ihipStream_tbEUlRKiE_EESZ_S13_S14_mS15_S18_bEUlT_E_NS1_11comp_targetILNS1_3genE3ELNS1_11target_archE908ELNS1_3gpuE7ELNS1_3repE0EEENS1_30default_config_static_selectorELNS0_4arch9wavefront6targetE1EEEvS12_.num_vgpr, 0
	.set _ZN7rocprim17ROCPRIM_400000_NS6detail17trampoline_kernelINS0_14default_configENS1_27lower_bound_config_selectorIilEEZNS1_14transform_implILb0ES3_S5_N6thrust23THRUST_200600_302600_NS6detail15normal_iteratorINS8_7pointerIiNS9_22execute_with_allocatorINS8_16device_allocatorIcEENS8_11hip_rocprim22execute_on_stream_baseEEENS8_11use_defaultESI_EEEENSA_INSB_IlSH_SI_SI_EEEEZNS1_13binary_searchIS3_S5_NSA_INS8_10device_ptrIiEEEESK_SM_NS1_21lower_bound_search_opENS9_16wrapped_functionINS8_6system6detail7generic6detail18binary_search_lessEbEEEE10hipError_tPvRmT1_T2_T3_mmT4_T5_P12ihipStream_tbEUlRKiE_EESZ_S13_S14_mS15_S18_bEUlT_E_NS1_11comp_targetILNS1_3genE3ELNS1_11target_archE908ELNS1_3gpuE7ELNS1_3repE0EEENS1_30default_config_static_selectorELNS0_4arch9wavefront6targetE1EEEvS12_.num_agpr, 0
	.set _ZN7rocprim17ROCPRIM_400000_NS6detail17trampoline_kernelINS0_14default_configENS1_27lower_bound_config_selectorIilEEZNS1_14transform_implILb0ES3_S5_N6thrust23THRUST_200600_302600_NS6detail15normal_iteratorINS8_7pointerIiNS9_22execute_with_allocatorINS8_16device_allocatorIcEENS8_11hip_rocprim22execute_on_stream_baseEEENS8_11use_defaultESI_EEEENSA_INSB_IlSH_SI_SI_EEEEZNS1_13binary_searchIS3_S5_NSA_INS8_10device_ptrIiEEEESK_SM_NS1_21lower_bound_search_opENS9_16wrapped_functionINS8_6system6detail7generic6detail18binary_search_lessEbEEEE10hipError_tPvRmT1_T2_T3_mmT4_T5_P12ihipStream_tbEUlRKiE_EESZ_S13_S14_mS15_S18_bEUlT_E_NS1_11comp_targetILNS1_3genE3ELNS1_11target_archE908ELNS1_3gpuE7ELNS1_3repE0EEENS1_30default_config_static_selectorELNS0_4arch9wavefront6targetE1EEEvS12_.numbered_sgpr, 0
	.set _ZN7rocprim17ROCPRIM_400000_NS6detail17trampoline_kernelINS0_14default_configENS1_27lower_bound_config_selectorIilEEZNS1_14transform_implILb0ES3_S5_N6thrust23THRUST_200600_302600_NS6detail15normal_iteratorINS8_7pointerIiNS9_22execute_with_allocatorINS8_16device_allocatorIcEENS8_11hip_rocprim22execute_on_stream_baseEEENS8_11use_defaultESI_EEEENSA_INSB_IlSH_SI_SI_EEEEZNS1_13binary_searchIS3_S5_NSA_INS8_10device_ptrIiEEEESK_SM_NS1_21lower_bound_search_opENS9_16wrapped_functionINS8_6system6detail7generic6detail18binary_search_lessEbEEEE10hipError_tPvRmT1_T2_T3_mmT4_T5_P12ihipStream_tbEUlRKiE_EESZ_S13_S14_mS15_S18_bEUlT_E_NS1_11comp_targetILNS1_3genE3ELNS1_11target_archE908ELNS1_3gpuE7ELNS1_3repE0EEENS1_30default_config_static_selectorELNS0_4arch9wavefront6targetE1EEEvS12_.num_named_barrier, 0
	.set _ZN7rocprim17ROCPRIM_400000_NS6detail17trampoline_kernelINS0_14default_configENS1_27lower_bound_config_selectorIilEEZNS1_14transform_implILb0ES3_S5_N6thrust23THRUST_200600_302600_NS6detail15normal_iteratorINS8_7pointerIiNS9_22execute_with_allocatorINS8_16device_allocatorIcEENS8_11hip_rocprim22execute_on_stream_baseEEENS8_11use_defaultESI_EEEENSA_INSB_IlSH_SI_SI_EEEEZNS1_13binary_searchIS3_S5_NSA_INS8_10device_ptrIiEEEESK_SM_NS1_21lower_bound_search_opENS9_16wrapped_functionINS8_6system6detail7generic6detail18binary_search_lessEbEEEE10hipError_tPvRmT1_T2_T3_mmT4_T5_P12ihipStream_tbEUlRKiE_EESZ_S13_S14_mS15_S18_bEUlT_E_NS1_11comp_targetILNS1_3genE3ELNS1_11target_archE908ELNS1_3gpuE7ELNS1_3repE0EEENS1_30default_config_static_selectorELNS0_4arch9wavefront6targetE1EEEvS12_.private_seg_size, 0
	.set _ZN7rocprim17ROCPRIM_400000_NS6detail17trampoline_kernelINS0_14default_configENS1_27lower_bound_config_selectorIilEEZNS1_14transform_implILb0ES3_S5_N6thrust23THRUST_200600_302600_NS6detail15normal_iteratorINS8_7pointerIiNS9_22execute_with_allocatorINS8_16device_allocatorIcEENS8_11hip_rocprim22execute_on_stream_baseEEENS8_11use_defaultESI_EEEENSA_INSB_IlSH_SI_SI_EEEEZNS1_13binary_searchIS3_S5_NSA_INS8_10device_ptrIiEEEESK_SM_NS1_21lower_bound_search_opENS9_16wrapped_functionINS8_6system6detail7generic6detail18binary_search_lessEbEEEE10hipError_tPvRmT1_T2_T3_mmT4_T5_P12ihipStream_tbEUlRKiE_EESZ_S13_S14_mS15_S18_bEUlT_E_NS1_11comp_targetILNS1_3genE3ELNS1_11target_archE908ELNS1_3gpuE7ELNS1_3repE0EEENS1_30default_config_static_selectorELNS0_4arch9wavefront6targetE1EEEvS12_.uses_vcc, 0
	.set _ZN7rocprim17ROCPRIM_400000_NS6detail17trampoline_kernelINS0_14default_configENS1_27lower_bound_config_selectorIilEEZNS1_14transform_implILb0ES3_S5_N6thrust23THRUST_200600_302600_NS6detail15normal_iteratorINS8_7pointerIiNS9_22execute_with_allocatorINS8_16device_allocatorIcEENS8_11hip_rocprim22execute_on_stream_baseEEENS8_11use_defaultESI_EEEENSA_INSB_IlSH_SI_SI_EEEEZNS1_13binary_searchIS3_S5_NSA_INS8_10device_ptrIiEEEESK_SM_NS1_21lower_bound_search_opENS9_16wrapped_functionINS8_6system6detail7generic6detail18binary_search_lessEbEEEE10hipError_tPvRmT1_T2_T3_mmT4_T5_P12ihipStream_tbEUlRKiE_EESZ_S13_S14_mS15_S18_bEUlT_E_NS1_11comp_targetILNS1_3genE3ELNS1_11target_archE908ELNS1_3gpuE7ELNS1_3repE0EEENS1_30default_config_static_selectorELNS0_4arch9wavefront6targetE1EEEvS12_.uses_flat_scratch, 0
	.set _ZN7rocprim17ROCPRIM_400000_NS6detail17trampoline_kernelINS0_14default_configENS1_27lower_bound_config_selectorIilEEZNS1_14transform_implILb0ES3_S5_N6thrust23THRUST_200600_302600_NS6detail15normal_iteratorINS8_7pointerIiNS9_22execute_with_allocatorINS8_16device_allocatorIcEENS8_11hip_rocprim22execute_on_stream_baseEEENS8_11use_defaultESI_EEEENSA_INSB_IlSH_SI_SI_EEEEZNS1_13binary_searchIS3_S5_NSA_INS8_10device_ptrIiEEEESK_SM_NS1_21lower_bound_search_opENS9_16wrapped_functionINS8_6system6detail7generic6detail18binary_search_lessEbEEEE10hipError_tPvRmT1_T2_T3_mmT4_T5_P12ihipStream_tbEUlRKiE_EESZ_S13_S14_mS15_S18_bEUlT_E_NS1_11comp_targetILNS1_3genE3ELNS1_11target_archE908ELNS1_3gpuE7ELNS1_3repE0EEENS1_30default_config_static_selectorELNS0_4arch9wavefront6targetE1EEEvS12_.has_dyn_sized_stack, 0
	.set _ZN7rocprim17ROCPRIM_400000_NS6detail17trampoline_kernelINS0_14default_configENS1_27lower_bound_config_selectorIilEEZNS1_14transform_implILb0ES3_S5_N6thrust23THRUST_200600_302600_NS6detail15normal_iteratorINS8_7pointerIiNS9_22execute_with_allocatorINS8_16device_allocatorIcEENS8_11hip_rocprim22execute_on_stream_baseEEENS8_11use_defaultESI_EEEENSA_INSB_IlSH_SI_SI_EEEEZNS1_13binary_searchIS3_S5_NSA_INS8_10device_ptrIiEEEESK_SM_NS1_21lower_bound_search_opENS9_16wrapped_functionINS8_6system6detail7generic6detail18binary_search_lessEbEEEE10hipError_tPvRmT1_T2_T3_mmT4_T5_P12ihipStream_tbEUlRKiE_EESZ_S13_S14_mS15_S18_bEUlT_E_NS1_11comp_targetILNS1_3genE3ELNS1_11target_archE908ELNS1_3gpuE7ELNS1_3repE0EEENS1_30default_config_static_selectorELNS0_4arch9wavefront6targetE1EEEvS12_.has_recursion, 0
	.set _ZN7rocprim17ROCPRIM_400000_NS6detail17trampoline_kernelINS0_14default_configENS1_27lower_bound_config_selectorIilEEZNS1_14transform_implILb0ES3_S5_N6thrust23THRUST_200600_302600_NS6detail15normal_iteratorINS8_7pointerIiNS9_22execute_with_allocatorINS8_16device_allocatorIcEENS8_11hip_rocprim22execute_on_stream_baseEEENS8_11use_defaultESI_EEEENSA_INSB_IlSH_SI_SI_EEEEZNS1_13binary_searchIS3_S5_NSA_INS8_10device_ptrIiEEEESK_SM_NS1_21lower_bound_search_opENS9_16wrapped_functionINS8_6system6detail7generic6detail18binary_search_lessEbEEEE10hipError_tPvRmT1_T2_T3_mmT4_T5_P12ihipStream_tbEUlRKiE_EESZ_S13_S14_mS15_S18_bEUlT_E_NS1_11comp_targetILNS1_3genE3ELNS1_11target_archE908ELNS1_3gpuE7ELNS1_3repE0EEENS1_30default_config_static_selectorELNS0_4arch9wavefront6targetE1EEEvS12_.has_indirect_call, 0
	.section	.AMDGPU.csdata,"",@progbits
; Kernel info:
; codeLenInByte = 0
; TotalNumSgprs: 4
; NumVgprs: 0
; ScratchSize: 0
; MemoryBound: 0
; FloatMode: 240
; IeeeMode: 1
; LDSByteSize: 0 bytes/workgroup (compile time only)
; SGPRBlocks: 0
; VGPRBlocks: 0
; NumSGPRsForWavesPerEU: 4
; NumVGPRsForWavesPerEU: 1
; Occupancy: 10
; WaveLimiterHint : 0
; COMPUTE_PGM_RSRC2:SCRATCH_EN: 0
; COMPUTE_PGM_RSRC2:USER_SGPR: 6
; COMPUTE_PGM_RSRC2:TRAP_HANDLER: 0
; COMPUTE_PGM_RSRC2:TGID_X_EN: 1
; COMPUTE_PGM_RSRC2:TGID_Y_EN: 0
; COMPUTE_PGM_RSRC2:TGID_Z_EN: 0
; COMPUTE_PGM_RSRC2:TIDIG_COMP_CNT: 0
	.section	.text._ZN7rocprim17ROCPRIM_400000_NS6detail17trampoline_kernelINS0_14default_configENS1_27lower_bound_config_selectorIilEEZNS1_14transform_implILb0ES3_S5_N6thrust23THRUST_200600_302600_NS6detail15normal_iteratorINS8_7pointerIiNS9_22execute_with_allocatorINS8_16device_allocatorIcEENS8_11hip_rocprim22execute_on_stream_baseEEENS8_11use_defaultESI_EEEENSA_INSB_IlSH_SI_SI_EEEEZNS1_13binary_searchIS3_S5_NSA_INS8_10device_ptrIiEEEESK_SM_NS1_21lower_bound_search_opENS9_16wrapped_functionINS8_6system6detail7generic6detail18binary_search_lessEbEEEE10hipError_tPvRmT1_T2_T3_mmT4_T5_P12ihipStream_tbEUlRKiE_EESZ_S13_S14_mS15_S18_bEUlT_E_NS1_11comp_targetILNS1_3genE2ELNS1_11target_archE906ELNS1_3gpuE6ELNS1_3repE0EEENS1_30default_config_static_selectorELNS0_4arch9wavefront6targetE1EEEvS12_,"axG",@progbits,_ZN7rocprim17ROCPRIM_400000_NS6detail17trampoline_kernelINS0_14default_configENS1_27lower_bound_config_selectorIilEEZNS1_14transform_implILb0ES3_S5_N6thrust23THRUST_200600_302600_NS6detail15normal_iteratorINS8_7pointerIiNS9_22execute_with_allocatorINS8_16device_allocatorIcEENS8_11hip_rocprim22execute_on_stream_baseEEENS8_11use_defaultESI_EEEENSA_INSB_IlSH_SI_SI_EEEEZNS1_13binary_searchIS3_S5_NSA_INS8_10device_ptrIiEEEESK_SM_NS1_21lower_bound_search_opENS9_16wrapped_functionINS8_6system6detail7generic6detail18binary_search_lessEbEEEE10hipError_tPvRmT1_T2_T3_mmT4_T5_P12ihipStream_tbEUlRKiE_EESZ_S13_S14_mS15_S18_bEUlT_E_NS1_11comp_targetILNS1_3genE2ELNS1_11target_archE906ELNS1_3gpuE6ELNS1_3repE0EEENS1_30default_config_static_selectorELNS0_4arch9wavefront6targetE1EEEvS12_,comdat
	.protected	_ZN7rocprim17ROCPRIM_400000_NS6detail17trampoline_kernelINS0_14default_configENS1_27lower_bound_config_selectorIilEEZNS1_14transform_implILb0ES3_S5_N6thrust23THRUST_200600_302600_NS6detail15normal_iteratorINS8_7pointerIiNS9_22execute_with_allocatorINS8_16device_allocatorIcEENS8_11hip_rocprim22execute_on_stream_baseEEENS8_11use_defaultESI_EEEENSA_INSB_IlSH_SI_SI_EEEEZNS1_13binary_searchIS3_S5_NSA_INS8_10device_ptrIiEEEESK_SM_NS1_21lower_bound_search_opENS9_16wrapped_functionINS8_6system6detail7generic6detail18binary_search_lessEbEEEE10hipError_tPvRmT1_T2_T3_mmT4_T5_P12ihipStream_tbEUlRKiE_EESZ_S13_S14_mS15_S18_bEUlT_E_NS1_11comp_targetILNS1_3genE2ELNS1_11target_archE906ELNS1_3gpuE6ELNS1_3repE0EEENS1_30default_config_static_selectorELNS0_4arch9wavefront6targetE1EEEvS12_ ; -- Begin function _ZN7rocprim17ROCPRIM_400000_NS6detail17trampoline_kernelINS0_14default_configENS1_27lower_bound_config_selectorIilEEZNS1_14transform_implILb0ES3_S5_N6thrust23THRUST_200600_302600_NS6detail15normal_iteratorINS8_7pointerIiNS9_22execute_with_allocatorINS8_16device_allocatorIcEENS8_11hip_rocprim22execute_on_stream_baseEEENS8_11use_defaultESI_EEEENSA_INSB_IlSH_SI_SI_EEEEZNS1_13binary_searchIS3_S5_NSA_INS8_10device_ptrIiEEEESK_SM_NS1_21lower_bound_search_opENS9_16wrapped_functionINS8_6system6detail7generic6detail18binary_search_lessEbEEEE10hipError_tPvRmT1_T2_T3_mmT4_T5_P12ihipStream_tbEUlRKiE_EESZ_S13_S14_mS15_S18_bEUlT_E_NS1_11comp_targetILNS1_3genE2ELNS1_11target_archE906ELNS1_3gpuE6ELNS1_3repE0EEENS1_30default_config_static_selectorELNS0_4arch9wavefront6targetE1EEEvS12_
	.globl	_ZN7rocprim17ROCPRIM_400000_NS6detail17trampoline_kernelINS0_14default_configENS1_27lower_bound_config_selectorIilEEZNS1_14transform_implILb0ES3_S5_N6thrust23THRUST_200600_302600_NS6detail15normal_iteratorINS8_7pointerIiNS9_22execute_with_allocatorINS8_16device_allocatorIcEENS8_11hip_rocprim22execute_on_stream_baseEEENS8_11use_defaultESI_EEEENSA_INSB_IlSH_SI_SI_EEEEZNS1_13binary_searchIS3_S5_NSA_INS8_10device_ptrIiEEEESK_SM_NS1_21lower_bound_search_opENS9_16wrapped_functionINS8_6system6detail7generic6detail18binary_search_lessEbEEEE10hipError_tPvRmT1_T2_T3_mmT4_T5_P12ihipStream_tbEUlRKiE_EESZ_S13_S14_mS15_S18_bEUlT_E_NS1_11comp_targetILNS1_3genE2ELNS1_11target_archE906ELNS1_3gpuE6ELNS1_3repE0EEENS1_30default_config_static_selectorELNS0_4arch9wavefront6targetE1EEEvS12_
	.p2align	8
	.type	_ZN7rocprim17ROCPRIM_400000_NS6detail17trampoline_kernelINS0_14default_configENS1_27lower_bound_config_selectorIilEEZNS1_14transform_implILb0ES3_S5_N6thrust23THRUST_200600_302600_NS6detail15normal_iteratorINS8_7pointerIiNS9_22execute_with_allocatorINS8_16device_allocatorIcEENS8_11hip_rocprim22execute_on_stream_baseEEENS8_11use_defaultESI_EEEENSA_INSB_IlSH_SI_SI_EEEEZNS1_13binary_searchIS3_S5_NSA_INS8_10device_ptrIiEEEESK_SM_NS1_21lower_bound_search_opENS9_16wrapped_functionINS8_6system6detail7generic6detail18binary_search_lessEbEEEE10hipError_tPvRmT1_T2_T3_mmT4_T5_P12ihipStream_tbEUlRKiE_EESZ_S13_S14_mS15_S18_bEUlT_E_NS1_11comp_targetILNS1_3genE2ELNS1_11target_archE906ELNS1_3gpuE6ELNS1_3repE0EEENS1_30default_config_static_selectorELNS0_4arch9wavefront6targetE1EEEvS12_,@function
_ZN7rocprim17ROCPRIM_400000_NS6detail17trampoline_kernelINS0_14default_configENS1_27lower_bound_config_selectorIilEEZNS1_14transform_implILb0ES3_S5_N6thrust23THRUST_200600_302600_NS6detail15normal_iteratorINS8_7pointerIiNS9_22execute_with_allocatorINS8_16device_allocatorIcEENS8_11hip_rocprim22execute_on_stream_baseEEENS8_11use_defaultESI_EEEENSA_INSB_IlSH_SI_SI_EEEEZNS1_13binary_searchIS3_S5_NSA_INS8_10device_ptrIiEEEESK_SM_NS1_21lower_bound_search_opENS9_16wrapped_functionINS8_6system6detail7generic6detail18binary_search_lessEbEEEE10hipError_tPvRmT1_T2_T3_mmT4_T5_P12ihipStream_tbEUlRKiE_EESZ_S13_S14_mS15_S18_bEUlT_E_NS1_11comp_targetILNS1_3genE2ELNS1_11target_archE906ELNS1_3gpuE6ELNS1_3repE0EEENS1_30default_config_static_selectorELNS0_4arch9wavefront6targetE1EEEvS12_: ; @_ZN7rocprim17ROCPRIM_400000_NS6detail17trampoline_kernelINS0_14default_configENS1_27lower_bound_config_selectorIilEEZNS1_14transform_implILb0ES3_S5_N6thrust23THRUST_200600_302600_NS6detail15normal_iteratorINS8_7pointerIiNS9_22execute_with_allocatorINS8_16device_allocatorIcEENS8_11hip_rocprim22execute_on_stream_baseEEENS8_11use_defaultESI_EEEENSA_INSB_IlSH_SI_SI_EEEEZNS1_13binary_searchIS3_S5_NSA_INS8_10device_ptrIiEEEESK_SM_NS1_21lower_bound_search_opENS9_16wrapped_functionINS8_6system6detail7generic6detail18binary_search_lessEbEEEE10hipError_tPvRmT1_T2_T3_mmT4_T5_P12ihipStream_tbEUlRKiE_EESZ_S13_S14_mS15_S18_bEUlT_E_NS1_11comp_targetILNS1_3genE2ELNS1_11target_archE906ELNS1_3gpuE6ELNS1_3repE0EEENS1_30default_config_static_selectorELNS0_4arch9wavefront6targetE1EEEvS12_
; %bb.0:
	s_load_dwordx4 s[16:19], s[4:5], 0x0
	s_load_dwordx4 s[8:11], s[4:5], 0x18
	s_load_dwordx2 s[12:13], s[4:5], 0x28
	s_load_dword s15, s[4:5], 0x38
	s_waitcnt lgkmcnt(0)
	s_lshl_b64 s[0:1], s[18:19], 2
	s_add_u32 s2, s16, s0
	s_addc_u32 s3, s17, s1
	s_lshl_b64 s[0:1], s[18:19], 3
	s_add_u32 s7, s8, s0
	s_addc_u32 s14, s9, s1
	s_lshl_b32 s8, s6, 8
	s_add_i32 s15, s15, -1
	s_mov_b32 s9, 0
	s_cmp_lg_u32 s6, s15
	s_mov_b64 s[0:1], -1
	s_cbranch_scc0 .LBB774_7
; %bb.1:
	s_cmp_eq_u64 s[12:13], 0
	s_mov_b64 s[0:1], 0
	s_cbranch_scc1 .LBB774_5
; %bb.2:
	s_lshl_b64 s[16:17], s[8:9], 2
	s_add_u32 s6, s2, s16
	s_addc_u32 s15, s3, s17
	v_lshlrev_b32_e32 v1, 2, v0
	v_mov_b32_e32 v2, s15
	v_add_co_u32_e32 v1, vcc, s6, v1
	v_addc_co_u32_e32 v2, vcc, 0, v2, vcc
	flat_load_dword v5, v[1:2]
	v_mov_b32_e32 v1, 0
	v_mov_b32_e32 v3, s12
	;; [unrolled: 1-line block ×5, first 2 shown]
.LBB774_3:                              ; =>This Inner Loop Header: Depth=1
	v_sub_co_u32_e32 v7, vcc, v3, v1
	v_subb_co_u32_e32 v8, vcc, v4, v2, vcc
	v_lshrrev_b64 v[9:10], 1, v[7:8]
	v_lshrrev_b64 v[7:8], 6, v[7:8]
	v_add_co_u32_e32 v9, vcc, v9, v1
	v_addc_co_u32_e32 v10, vcc, v10, v2, vcc
	v_add_co_u32_e32 v7, vcc, v9, v7
	v_addc_co_u32_e32 v8, vcc, v10, v8, vcc
	v_lshlrev_b64 v[9:10], 2, v[7:8]
	v_add_co_u32_e32 v9, vcc, s10, v9
	v_addc_co_u32_e32 v10, vcc, v6, v10, vcc
	global_load_dword v9, v[9:10], off
	v_add_co_u32_e32 v10, vcc, 1, v7
	v_addc_co_u32_e32 v11, vcc, 0, v8, vcc
	s_waitcnt vmcnt(0) lgkmcnt(0)
	v_cmp_lt_i32_e32 vcc, v9, v5
	v_cndmask_b32_e32 v4, v8, v4, vcc
	v_cndmask_b32_e32 v3, v7, v3, vcc
	;; [unrolled: 1-line block ×4, first 2 shown]
	v_cmp_ge_u64_e32 vcc, v[1:2], v[3:4]
	s_or_b64 s[0:1], vcc, s[0:1]
	s_andn2_b64 exec, exec, s[0:1]
	s_cbranch_execnz .LBB774_3
; %bb.4:
	s_or_b64 exec, exec, s[0:1]
	s_branch .LBB774_6
.LBB774_5:
	v_mov_b32_e32 v1, 0
	v_mov_b32_e32 v2, 0
.LBB774_6:
	s_lshl_b64 s[0:1], s[8:9], 3
	s_add_u32 s0, s7, s0
	s_addc_u32 s1, s14, s1
	v_lshlrev_b32_e32 v3, 3, v0
	v_mov_b32_e32 v4, s1
	v_add_co_u32_e32 v3, vcc, s0, v3
	v_addc_co_u32_e32 v4, vcc, 0, v4, vcc
	s_mov_b64 s[0:1], 0
	flat_store_dwordx2 v[3:4], v[1:2]
.LBB774_7:
	s_and_b64 vcc, exec, s[0:1]
	s_cbranch_vccz .LBB774_16
; %bb.8:
	s_load_dword s0, s[4:5], 0x10
                                        ; implicit-def: $vgpr5
	s_waitcnt lgkmcnt(0)
	s_sub_i32 s4, s0, s8
	v_cmp_le_u32_e64 s[0:1], s4, v0
	v_cmp_gt_u32_e32 vcc, s4, v0
	s_and_saveexec_b64 s[4:5], vcc
	s_cbranch_execz .LBB774_10
; %bb.9:
	s_lshl_b64 s[16:17], s[8:9], 2
	s_add_u32 s2, s2, s16
	s_addc_u32 s3, s3, s17
	v_lshlrev_b32_e32 v1, 2, v0
	v_mov_b32_e32 v2, s3
	v_add_co_u32_e64 v1, s[2:3], s2, v1
	v_addc_co_u32_e64 v2, s[2:3], 0, v2, s[2:3]
	flat_load_dword v5, v[1:2]
.LBB774_10:
	s_or_b64 exec, exec, s[4:5]
	s_cmp_lg_u64 s[12:13], 0
	s_cselect_b64 s[4:5], -1, 0
	s_xor_b64 s[0:1], s[0:1], -1
	v_mov_b32_e32 v1, 0
	s_mov_b64 s[2:3], 0
	v_mov_b32_e32 v2, 0
	s_and_b64 s[0:1], s[0:1], s[4:5]
	s_and_saveexec_b64 s[4:5], s[0:1]
	s_cbranch_execz .LBB774_14
; %bb.11:
	v_mov_b32_e32 v1, 0
	v_mov_b32_e32 v3, s12
	;; [unrolled: 1-line block ×5, first 2 shown]
.LBB774_12:                             ; =>This Inner Loop Header: Depth=1
	v_sub_co_u32_e64 v7, s[0:1], v3, v1
	v_subb_co_u32_e64 v8, s[0:1], v4, v2, s[0:1]
	v_lshrrev_b64 v[9:10], 1, v[7:8]
	v_lshrrev_b64 v[7:8], 6, v[7:8]
	v_add_co_u32_e64 v9, s[0:1], v9, v1
	v_addc_co_u32_e64 v10, s[0:1], v10, v2, s[0:1]
	v_add_co_u32_e64 v7, s[0:1], v9, v7
	v_addc_co_u32_e64 v8, s[0:1], v10, v8, s[0:1]
	v_lshlrev_b64 v[9:10], 2, v[7:8]
	v_add_co_u32_e64 v9, s[0:1], s10, v9
	v_addc_co_u32_e64 v10, s[0:1], v6, v10, s[0:1]
	global_load_dword v9, v[9:10], off
	v_add_co_u32_e64 v10, s[0:1], 1, v7
	v_addc_co_u32_e64 v11, s[0:1], 0, v8, s[0:1]
	s_waitcnt vmcnt(0) lgkmcnt(0)
	v_cmp_lt_i32_e64 s[0:1], v9, v5
	v_cndmask_b32_e64 v4, v8, v4, s[0:1]
	v_cndmask_b32_e64 v3, v7, v3, s[0:1]
	;; [unrolled: 1-line block ×4, first 2 shown]
	v_cmp_ge_u64_e64 s[0:1], v[1:2], v[3:4]
	s_or_b64 s[2:3], s[0:1], s[2:3]
	s_andn2_b64 exec, exec, s[2:3]
	s_cbranch_execnz .LBB774_12
; %bb.13:
	s_or_b64 exec, exec, s[2:3]
.LBB774_14:
	s_or_b64 exec, exec, s[4:5]
	s_and_saveexec_b64 s[0:1], vcc
	s_cbranch_execz .LBB774_16
; %bb.15:
	s_lshl_b64 s[0:1], s[8:9], 3
	s_add_u32 s0, s7, s0
	s_addc_u32 s1, s14, s1
	v_lshlrev_b32_e32 v0, 3, v0
	v_mov_b32_e32 v4, s1
	v_add_co_u32_e32 v3, vcc, s0, v0
	v_addc_co_u32_e32 v4, vcc, 0, v4, vcc
	flat_store_dwordx2 v[3:4], v[1:2]
.LBB774_16:
	s_endpgm
	.section	.rodata,"a",@progbits
	.p2align	6, 0x0
	.amdhsa_kernel _ZN7rocprim17ROCPRIM_400000_NS6detail17trampoline_kernelINS0_14default_configENS1_27lower_bound_config_selectorIilEEZNS1_14transform_implILb0ES3_S5_N6thrust23THRUST_200600_302600_NS6detail15normal_iteratorINS8_7pointerIiNS9_22execute_with_allocatorINS8_16device_allocatorIcEENS8_11hip_rocprim22execute_on_stream_baseEEENS8_11use_defaultESI_EEEENSA_INSB_IlSH_SI_SI_EEEEZNS1_13binary_searchIS3_S5_NSA_INS8_10device_ptrIiEEEESK_SM_NS1_21lower_bound_search_opENS9_16wrapped_functionINS8_6system6detail7generic6detail18binary_search_lessEbEEEE10hipError_tPvRmT1_T2_T3_mmT4_T5_P12ihipStream_tbEUlRKiE_EESZ_S13_S14_mS15_S18_bEUlT_E_NS1_11comp_targetILNS1_3genE2ELNS1_11target_archE906ELNS1_3gpuE6ELNS1_3repE0EEENS1_30default_config_static_selectorELNS0_4arch9wavefront6targetE1EEEvS12_
		.amdhsa_group_segment_fixed_size 0
		.amdhsa_private_segment_fixed_size 0
		.amdhsa_kernarg_size 312
		.amdhsa_user_sgpr_count 6
		.amdhsa_user_sgpr_private_segment_buffer 1
		.amdhsa_user_sgpr_dispatch_ptr 0
		.amdhsa_user_sgpr_queue_ptr 0
		.amdhsa_user_sgpr_kernarg_segment_ptr 1
		.amdhsa_user_sgpr_dispatch_id 0
		.amdhsa_user_sgpr_flat_scratch_init 0
		.amdhsa_user_sgpr_private_segment_size 0
		.amdhsa_uses_dynamic_stack 0
		.amdhsa_system_sgpr_private_segment_wavefront_offset 0
		.amdhsa_system_sgpr_workgroup_id_x 1
		.amdhsa_system_sgpr_workgroup_id_y 0
		.amdhsa_system_sgpr_workgroup_id_z 0
		.amdhsa_system_sgpr_workgroup_info 0
		.amdhsa_system_vgpr_workitem_id 0
		.amdhsa_next_free_vgpr 12
		.amdhsa_next_free_sgpr 20
		.amdhsa_reserve_vcc 1
		.amdhsa_reserve_flat_scratch 0
		.amdhsa_float_round_mode_32 0
		.amdhsa_float_round_mode_16_64 0
		.amdhsa_float_denorm_mode_32 3
		.amdhsa_float_denorm_mode_16_64 3
		.amdhsa_dx10_clamp 1
		.amdhsa_ieee_mode 1
		.amdhsa_fp16_overflow 0
		.amdhsa_exception_fp_ieee_invalid_op 0
		.amdhsa_exception_fp_denorm_src 0
		.amdhsa_exception_fp_ieee_div_zero 0
		.amdhsa_exception_fp_ieee_overflow 0
		.amdhsa_exception_fp_ieee_underflow 0
		.amdhsa_exception_fp_ieee_inexact 0
		.amdhsa_exception_int_div_zero 0
	.end_amdhsa_kernel
	.section	.text._ZN7rocprim17ROCPRIM_400000_NS6detail17trampoline_kernelINS0_14default_configENS1_27lower_bound_config_selectorIilEEZNS1_14transform_implILb0ES3_S5_N6thrust23THRUST_200600_302600_NS6detail15normal_iteratorINS8_7pointerIiNS9_22execute_with_allocatorINS8_16device_allocatorIcEENS8_11hip_rocprim22execute_on_stream_baseEEENS8_11use_defaultESI_EEEENSA_INSB_IlSH_SI_SI_EEEEZNS1_13binary_searchIS3_S5_NSA_INS8_10device_ptrIiEEEESK_SM_NS1_21lower_bound_search_opENS9_16wrapped_functionINS8_6system6detail7generic6detail18binary_search_lessEbEEEE10hipError_tPvRmT1_T2_T3_mmT4_T5_P12ihipStream_tbEUlRKiE_EESZ_S13_S14_mS15_S18_bEUlT_E_NS1_11comp_targetILNS1_3genE2ELNS1_11target_archE906ELNS1_3gpuE6ELNS1_3repE0EEENS1_30default_config_static_selectorELNS0_4arch9wavefront6targetE1EEEvS12_,"axG",@progbits,_ZN7rocprim17ROCPRIM_400000_NS6detail17trampoline_kernelINS0_14default_configENS1_27lower_bound_config_selectorIilEEZNS1_14transform_implILb0ES3_S5_N6thrust23THRUST_200600_302600_NS6detail15normal_iteratorINS8_7pointerIiNS9_22execute_with_allocatorINS8_16device_allocatorIcEENS8_11hip_rocprim22execute_on_stream_baseEEENS8_11use_defaultESI_EEEENSA_INSB_IlSH_SI_SI_EEEEZNS1_13binary_searchIS3_S5_NSA_INS8_10device_ptrIiEEEESK_SM_NS1_21lower_bound_search_opENS9_16wrapped_functionINS8_6system6detail7generic6detail18binary_search_lessEbEEEE10hipError_tPvRmT1_T2_T3_mmT4_T5_P12ihipStream_tbEUlRKiE_EESZ_S13_S14_mS15_S18_bEUlT_E_NS1_11comp_targetILNS1_3genE2ELNS1_11target_archE906ELNS1_3gpuE6ELNS1_3repE0EEENS1_30default_config_static_selectorELNS0_4arch9wavefront6targetE1EEEvS12_,comdat
.Lfunc_end774:
	.size	_ZN7rocprim17ROCPRIM_400000_NS6detail17trampoline_kernelINS0_14default_configENS1_27lower_bound_config_selectorIilEEZNS1_14transform_implILb0ES3_S5_N6thrust23THRUST_200600_302600_NS6detail15normal_iteratorINS8_7pointerIiNS9_22execute_with_allocatorINS8_16device_allocatorIcEENS8_11hip_rocprim22execute_on_stream_baseEEENS8_11use_defaultESI_EEEENSA_INSB_IlSH_SI_SI_EEEEZNS1_13binary_searchIS3_S5_NSA_INS8_10device_ptrIiEEEESK_SM_NS1_21lower_bound_search_opENS9_16wrapped_functionINS8_6system6detail7generic6detail18binary_search_lessEbEEEE10hipError_tPvRmT1_T2_T3_mmT4_T5_P12ihipStream_tbEUlRKiE_EESZ_S13_S14_mS15_S18_bEUlT_E_NS1_11comp_targetILNS1_3genE2ELNS1_11target_archE906ELNS1_3gpuE6ELNS1_3repE0EEENS1_30default_config_static_selectorELNS0_4arch9wavefront6targetE1EEEvS12_, .Lfunc_end774-_ZN7rocprim17ROCPRIM_400000_NS6detail17trampoline_kernelINS0_14default_configENS1_27lower_bound_config_selectorIilEEZNS1_14transform_implILb0ES3_S5_N6thrust23THRUST_200600_302600_NS6detail15normal_iteratorINS8_7pointerIiNS9_22execute_with_allocatorINS8_16device_allocatorIcEENS8_11hip_rocprim22execute_on_stream_baseEEENS8_11use_defaultESI_EEEENSA_INSB_IlSH_SI_SI_EEEEZNS1_13binary_searchIS3_S5_NSA_INS8_10device_ptrIiEEEESK_SM_NS1_21lower_bound_search_opENS9_16wrapped_functionINS8_6system6detail7generic6detail18binary_search_lessEbEEEE10hipError_tPvRmT1_T2_T3_mmT4_T5_P12ihipStream_tbEUlRKiE_EESZ_S13_S14_mS15_S18_bEUlT_E_NS1_11comp_targetILNS1_3genE2ELNS1_11target_archE906ELNS1_3gpuE6ELNS1_3repE0EEENS1_30default_config_static_selectorELNS0_4arch9wavefront6targetE1EEEvS12_
                                        ; -- End function
	.set _ZN7rocprim17ROCPRIM_400000_NS6detail17trampoline_kernelINS0_14default_configENS1_27lower_bound_config_selectorIilEEZNS1_14transform_implILb0ES3_S5_N6thrust23THRUST_200600_302600_NS6detail15normal_iteratorINS8_7pointerIiNS9_22execute_with_allocatorINS8_16device_allocatorIcEENS8_11hip_rocprim22execute_on_stream_baseEEENS8_11use_defaultESI_EEEENSA_INSB_IlSH_SI_SI_EEEEZNS1_13binary_searchIS3_S5_NSA_INS8_10device_ptrIiEEEESK_SM_NS1_21lower_bound_search_opENS9_16wrapped_functionINS8_6system6detail7generic6detail18binary_search_lessEbEEEE10hipError_tPvRmT1_T2_T3_mmT4_T5_P12ihipStream_tbEUlRKiE_EESZ_S13_S14_mS15_S18_bEUlT_E_NS1_11comp_targetILNS1_3genE2ELNS1_11target_archE906ELNS1_3gpuE6ELNS1_3repE0EEENS1_30default_config_static_selectorELNS0_4arch9wavefront6targetE1EEEvS12_.num_vgpr, 12
	.set _ZN7rocprim17ROCPRIM_400000_NS6detail17trampoline_kernelINS0_14default_configENS1_27lower_bound_config_selectorIilEEZNS1_14transform_implILb0ES3_S5_N6thrust23THRUST_200600_302600_NS6detail15normal_iteratorINS8_7pointerIiNS9_22execute_with_allocatorINS8_16device_allocatorIcEENS8_11hip_rocprim22execute_on_stream_baseEEENS8_11use_defaultESI_EEEENSA_INSB_IlSH_SI_SI_EEEEZNS1_13binary_searchIS3_S5_NSA_INS8_10device_ptrIiEEEESK_SM_NS1_21lower_bound_search_opENS9_16wrapped_functionINS8_6system6detail7generic6detail18binary_search_lessEbEEEE10hipError_tPvRmT1_T2_T3_mmT4_T5_P12ihipStream_tbEUlRKiE_EESZ_S13_S14_mS15_S18_bEUlT_E_NS1_11comp_targetILNS1_3genE2ELNS1_11target_archE906ELNS1_3gpuE6ELNS1_3repE0EEENS1_30default_config_static_selectorELNS0_4arch9wavefront6targetE1EEEvS12_.num_agpr, 0
	.set _ZN7rocprim17ROCPRIM_400000_NS6detail17trampoline_kernelINS0_14default_configENS1_27lower_bound_config_selectorIilEEZNS1_14transform_implILb0ES3_S5_N6thrust23THRUST_200600_302600_NS6detail15normal_iteratorINS8_7pointerIiNS9_22execute_with_allocatorINS8_16device_allocatorIcEENS8_11hip_rocprim22execute_on_stream_baseEEENS8_11use_defaultESI_EEEENSA_INSB_IlSH_SI_SI_EEEEZNS1_13binary_searchIS3_S5_NSA_INS8_10device_ptrIiEEEESK_SM_NS1_21lower_bound_search_opENS9_16wrapped_functionINS8_6system6detail7generic6detail18binary_search_lessEbEEEE10hipError_tPvRmT1_T2_T3_mmT4_T5_P12ihipStream_tbEUlRKiE_EESZ_S13_S14_mS15_S18_bEUlT_E_NS1_11comp_targetILNS1_3genE2ELNS1_11target_archE906ELNS1_3gpuE6ELNS1_3repE0EEENS1_30default_config_static_selectorELNS0_4arch9wavefront6targetE1EEEvS12_.numbered_sgpr, 20
	.set _ZN7rocprim17ROCPRIM_400000_NS6detail17trampoline_kernelINS0_14default_configENS1_27lower_bound_config_selectorIilEEZNS1_14transform_implILb0ES3_S5_N6thrust23THRUST_200600_302600_NS6detail15normal_iteratorINS8_7pointerIiNS9_22execute_with_allocatorINS8_16device_allocatorIcEENS8_11hip_rocprim22execute_on_stream_baseEEENS8_11use_defaultESI_EEEENSA_INSB_IlSH_SI_SI_EEEEZNS1_13binary_searchIS3_S5_NSA_INS8_10device_ptrIiEEEESK_SM_NS1_21lower_bound_search_opENS9_16wrapped_functionINS8_6system6detail7generic6detail18binary_search_lessEbEEEE10hipError_tPvRmT1_T2_T3_mmT4_T5_P12ihipStream_tbEUlRKiE_EESZ_S13_S14_mS15_S18_bEUlT_E_NS1_11comp_targetILNS1_3genE2ELNS1_11target_archE906ELNS1_3gpuE6ELNS1_3repE0EEENS1_30default_config_static_selectorELNS0_4arch9wavefront6targetE1EEEvS12_.num_named_barrier, 0
	.set _ZN7rocprim17ROCPRIM_400000_NS6detail17trampoline_kernelINS0_14default_configENS1_27lower_bound_config_selectorIilEEZNS1_14transform_implILb0ES3_S5_N6thrust23THRUST_200600_302600_NS6detail15normal_iteratorINS8_7pointerIiNS9_22execute_with_allocatorINS8_16device_allocatorIcEENS8_11hip_rocprim22execute_on_stream_baseEEENS8_11use_defaultESI_EEEENSA_INSB_IlSH_SI_SI_EEEEZNS1_13binary_searchIS3_S5_NSA_INS8_10device_ptrIiEEEESK_SM_NS1_21lower_bound_search_opENS9_16wrapped_functionINS8_6system6detail7generic6detail18binary_search_lessEbEEEE10hipError_tPvRmT1_T2_T3_mmT4_T5_P12ihipStream_tbEUlRKiE_EESZ_S13_S14_mS15_S18_bEUlT_E_NS1_11comp_targetILNS1_3genE2ELNS1_11target_archE906ELNS1_3gpuE6ELNS1_3repE0EEENS1_30default_config_static_selectorELNS0_4arch9wavefront6targetE1EEEvS12_.private_seg_size, 0
	.set _ZN7rocprim17ROCPRIM_400000_NS6detail17trampoline_kernelINS0_14default_configENS1_27lower_bound_config_selectorIilEEZNS1_14transform_implILb0ES3_S5_N6thrust23THRUST_200600_302600_NS6detail15normal_iteratorINS8_7pointerIiNS9_22execute_with_allocatorINS8_16device_allocatorIcEENS8_11hip_rocprim22execute_on_stream_baseEEENS8_11use_defaultESI_EEEENSA_INSB_IlSH_SI_SI_EEEEZNS1_13binary_searchIS3_S5_NSA_INS8_10device_ptrIiEEEESK_SM_NS1_21lower_bound_search_opENS9_16wrapped_functionINS8_6system6detail7generic6detail18binary_search_lessEbEEEE10hipError_tPvRmT1_T2_T3_mmT4_T5_P12ihipStream_tbEUlRKiE_EESZ_S13_S14_mS15_S18_bEUlT_E_NS1_11comp_targetILNS1_3genE2ELNS1_11target_archE906ELNS1_3gpuE6ELNS1_3repE0EEENS1_30default_config_static_selectorELNS0_4arch9wavefront6targetE1EEEvS12_.uses_vcc, 1
	.set _ZN7rocprim17ROCPRIM_400000_NS6detail17trampoline_kernelINS0_14default_configENS1_27lower_bound_config_selectorIilEEZNS1_14transform_implILb0ES3_S5_N6thrust23THRUST_200600_302600_NS6detail15normal_iteratorINS8_7pointerIiNS9_22execute_with_allocatorINS8_16device_allocatorIcEENS8_11hip_rocprim22execute_on_stream_baseEEENS8_11use_defaultESI_EEEENSA_INSB_IlSH_SI_SI_EEEEZNS1_13binary_searchIS3_S5_NSA_INS8_10device_ptrIiEEEESK_SM_NS1_21lower_bound_search_opENS9_16wrapped_functionINS8_6system6detail7generic6detail18binary_search_lessEbEEEE10hipError_tPvRmT1_T2_T3_mmT4_T5_P12ihipStream_tbEUlRKiE_EESZ_S13_S14_mS15_S18_bEUlT_E_NS1_11comp_targetILNS1_3genE2ELNS1_11target_archE906ELNS1_3gpuE6ELNS1_3repE0EEENS1_30default_config_static_selectorELNS0_4arch9wavefront6targetE1EEEvS12_.uses_flat_scratch, 0
	.set _ZN7rocprim17ROCPRIM_400000_NS6detail17trampoline_kernelINS0_14default_configENS1_27lower_bound_config_selectorIilEEZNS1_14transform_implILb0ES3_S5_N6thrust23THRUST_200600_302600_NS6detail15normal_iteratorINS8_7pointerIiNS9_22execute_with_allocatorINS8_16device_allocatorIcEENS8_11hip_rocprim22execute_on_stream_baseEEENS8_11use_defaultESI_EEEENSA_INSB_IlSH_SI_SI_EEEEZNS1_13binary_searchIS3_S5_NSA_INS8_10device_ptrIiEEEESK_SM_NS1_21lower_bound_search_opENS9_16wrapped_functionINS8_6system6detail7generic6detail18binary_search_lessEbEEEE10hipError_tPvRmT1_T2_T3_mmT4_T5_P12ihipStream_tbEUlRKiE_EESZ_S13_S14_mS15_S18_bEUlT_E_NS1_11comp_targetILNS1_3genE2ELNS1_11target_archE906ELNS1_3gpuE6ELNS1_3repE0EEENS1_30default_config_static_selectorELNS0_4arch9wavefront6targetE1EEEvS12_.has_dyn_sized_stack, 0
	.set _ZN7rocprim17ROCPRIM_400000_NS6detail17trampoline_kernelINS0_14default_configENS1_27lower_bound_config_selectorIilEEZNS1_14transform_implILb0ES3_S5_N6thrust23THRUST_200600_302600_NS6detail15normal_iteratorINS8_7pointerIiNS9_22execute_with_allocatorINS8_16device_allocatorIcEENS8_11hip_rocprim22execute_on_stream_baseEEENS8_11use_defaultESI_EEEENSA_INSB_IlSH_SI_SI_EEEEZNS1_13binary_searchIS3_S5_NSA_INS8_10device_ptrIiEEEESK_SM_NS1_21lower_bound_search_opENS9_16wrapped_functionINS8_6system6detail7generic6detail18binary_search_lessEbEEEE10hipError_tPvRmT1_T2_T3_mmT4_T5_P12ihipStream_tbEUlRKiE_EESZ_S13_S14_mS15_S18_bEUlT_E_NS1_11comp_targetILNS1_3genE2ELNS1_11target_archE906ELNS1_3gpuE6ELNS1_3repE0EEENS1_30default_config_static_selectorELNS0_4arch9wavefront6targetE1EEEvS12_.has_recursion, 0
	.set _ZN7rocprim17ROCPRIM_400000_NS6detail17trampoline_kernelINS0_14default_configENS1_27lower_bound_config_selectorIilEEZNS1_14transform_implILb0ES3_S5_N6thrust23THRUST_200600_302600_NS6detail15normal_iteratorINS8_7pointerIiNS9_22execute_with_allocatorINS8_16device_allocatorIcEENS8_11hip_rocprim22execute_on_stream_baseEEENS8_11use_defaultESI_EEEENSA_INSB_IlSH_SI_SI_EEEEZNS1_13binary_searchIS3_S5_NSA_INS8_10device_ptrIiEEEESK_SM_NS1_21lower_bound_search_opENS9_16wrapped_functionINS8_6system6detail7generic6detail18binary_search_lessEbEEEE10hipError_tPvRmT1_T2_T3_mmT4_T5_P12ihipStream_tbEUlRKiE_EESZ_S13_S14_mS15_S18_bEUlT_E_NS1_11comp_targetILNS1_3genE2ELNS1_11target_archE906ELNS1_3gpuE6ELNS1_3repE0EEENS1_30default_config_static_selectorELNS0_4arch9wavefront6targetE1EEEvS12_.has_indirect_call, 0
	.section	.AMDGPU.csdata,"",@progbits
; Kernel info:
; codeLenInByte = 700
; TotalNumSgprs: 24
; NumVgprs: 12
; ScratchSize: 0
; MemoryBound: 0
; FloatMode: 240
; IeeeMode: 1
; LDSByteSize: 0 bytes/workgroup (compile time only)
; SGPRBlocks: 2
; VGPRBlocks: 2
; NumSGPRsForWavesPerEU: 24
; NumVGPRsForWavesPerEU: 12
; Occupancy: 10
; WaveLimiterHint : 0
; COMPUTE_PGM_RSRC2:SCRATCH_EN: 0
; COMPUTE_PGM_RSRC2:USER_SGPR: 6
; COMPUTE_PGM_RSRC2:TRAP_HANDLER: 0
; COMPUTE_PGM_RSRC2:TGID_X_EN: 1
; COMPUTE_PGM_RSRC2:TGID_Y_EN: 0
; COMPUTE_PGM_RSRC2:TGID_Z_EN: 0
; COMPUTE_PGM_RSRC2:TIDIG_COMP_CNT: 0
	.section	.text._ZN7rocprim17ROCPRIM_400000_NS6detail17trampoline_kernelINS0_14default_configENS1_27lower_bound_config_selectorIilEEZNS1_14transform_implILb0ES3_S5_N6thrust23THRUST_200600_302600_NS6detail15normal_iteratorINS8_7pointerIiNS9_22execute_with_allocatorINS8_16device_allocatorIcEENS8_11hip_rocprim22execute_on_stream_baseEEENS8_11use_defaultESI_EEEENSA_INSB_IlSH_SI_SI_EEEEZNS1_13binary_searchIS3_S5_NSA_INS8_10device_ptrIiEEEESK_SM_NS1_21lower_bound_search_opENS9_16wrapped_functionINS8_6system6detail7generic6detail18binary_search_lessEbEEEE10hipError_tPvRmT1_T2_T3_mmT4_T5_P12ihipStream_tbEUlRKiE_EESZ_S13_S14_mS15_S18_bEUlT_E_NS1_11comp_targetILNS1_3genE10ELNS1_11target_archE1201ELNS1_3gpuE5ELNS1_3repE0EEENS1_30default_config_static_selectorELNS0_4arch9wavefront6targetE1EEEvS12_,"axG",@progbits,_ZN7rocprim17ROCPRIM_400000_NS6detail17trampoline_kernelINS0_14default_configENS1_27lower_bound_config_selectorIilEEZNS1_14transform_implILb0ES3_S5_N6thrust23THRUST_200600_302600_NS6detail15normal_iteratorINS8_7pointerIiNS9_22execute_with_allocatorINS8_16device_allocatorIcEENS8_11hip_rocprim22execute_on_stream_baseEEENS8_11use_defaultESI_EEEENSA_INSB_IlSH_SI_SI_EEEEZNS1_13binary_searchIS3_S5_NSA_INS8_10device_ptrIiEEEESK_SM_NS1_21lower_bound_search_opENS9_16wrapped_functionINS8_6system6detail7generic6detail18binary_search_lessEbEEEE10hipError_tPvRmT1_T2_T3_mmT4_T5_P12ihipStream_tbEUlRKiE_EESZ_S13_S14_mS15_S18_bEUlT_E_NS1_11comp_targetILNS1_3genE10ELNS1_11target_archE1201ELNS1_3gpuE5ELNS1_3repE0EEENS1_30default_config_static_selectorELNS0_4arch9wavefront6targetE1EEEvS12_,comdat
	.protected	_ZN7rocprim17ROCPRIM_400000_NS6detail17trampoline_kernelINS0_14default_configENS1_27lower_bound_config_selectorIilEEZNS1_14transform_implILb0ES3_S5_N6thrust23THRUST_200600_302600_NS6detail15normal_iteratorINS8_7pointerIiNS9_22execute_with_allocatorINS8_16device_allocatorIcEENS8_11hip_rocprim22execute_on_stream_baseEEENS8_11use_defaultESI_EEEENSA_INSB_IlSH_SI_SI_EEEEZNS1_13binary_searchIS3_S5_NSA_INS8_10device_ptrIiEEEESK_SM_NS1_21lower_bound_search_opENS9_16wrapped_functionINS8_6system6detail7generic6detail18binary_search_lessEbEEEE10hipError_tPvRmT1_T2_T3_mmT4_T5_P12ihipStream_tbEUlRKiE_EESZ_S13_S14_mS15_S18_bEUlT_E_NS1_11comp_targetILNS1_3genE10ELNS1_11target_archE1201ELNS1_3gpuE5ELNS1_3repE0EEENS1_30default_config_static_selectorELNS0_4arch9wavefront6targetE1EEEvS12_ ; -- Begin function _ZN7rocprim17ROCPRIM_400000_NS6detail17trampoline_kernelINS0_14default_configENS1_27lower_bound_config_selectorIilEEZNS1_14transform_implILb0ES3_S5_N6thrust23THRUST_200600_302600_NS6detail15normal_iteratorINS8_7pointerIiNS9_22execute_with_allocatorINS8_16device_allocatorIcEENS8_11hip_rocprim22execute_on_stream_baseEEENS8_11use_defaultESI_EEEENSA_INSB_IlSH_SI_SI_EEEEZNS1_13binary_searchIS3_S5_NSA_INS8_10device_ptrIiEEEESK_SM_NS1_21lower_bound_search_opENS9_16wrapped_functionINS8_6system6detail7generic6detail18binary_search_lessEbEEEE10hipError_tPvRmT1_T2_T3_mmT4_T5_P12ihipStream_tbEUlRKiE_EESZ_S13_S14_mS15_S18_bEUlT_E_NS1_11comp_targetILNS1_3genE10ELNS1_11target_archE1201ELNS1_3gpuE5ELNS1_3repE0EEENS1_30default_config_static_selectorELNS0_4arch9wavefront6targetE1EEEvS12_
	.globl	_ZN7rocprim17ROCPRIM_400000_NS6detail17trampoline_kernelINS0_14default_configENS1_27lower_bound_config_selectorIilEEZNS1_14transform_implILb0ES3_S5_N6thrust23THRUST_200600_302600_NS6detail15normal_iteratorINS8_7pointerIiNS9_22execute_with_allocatorINS8_16device_allocatorIcEENS8_11hip_rocprim22execute_on_stream_baseEEENS8_11use_defaultESI_EEEENSA_INSB_IlSH_SI_SI_EEEEZNS1_13binary_searchIS3_S5_NSA_INS8_10device_ptrIiEEEESK_SM_NS1_21lower_bound_search_opENS9_16wrapped_functionINS8_6system6detail7generic6detail18binary_search_lessEbEEEE10hipError_tPvRmT1_T2_T3_mmT4_T5_P12ihipStream_tbEUlRKiE_EESZ_S13_S14_mS15_S18_bEUlT_E_NS1_11comp_targetILNS1_3genE10ELNS1_11target_archE1201ELNS1_3gpuE5ELNS1_3repE0EEENS1_30default_config_static_selectorELNS0_4arch9wavefront6targetE1EEEvS12_
	.p2align	8
	.type	_ZN7rocprim17ROCPRIM_400000_NS6detail17trampoline_kernelINS0_14default_configENS1_27lower_bound_config_selectorIilEEZNS1_14transform_implILb0ES3_S5_N6thrust23THRUST_200600_302600_NS6detail15normal_iteratorINS8_7pointerIiNS9_22execute_with_allocatorINS8_16device_allocatorIcEENS8_11hip_rocprim22execute_on_stream_baseEEENS8_11use_defaultESI_EEEENSA_INSB_IlSH_SI_SI_EEEEZNS1_13binary_searchIS3_S5_NSA_INS8_10device_ptrIiEEEESK_SM_NS1_21lower_bound_search_opENS9_16wrapped_functionINS8_6system6detail7generic6detail18binary_search_lessEbEEEE10hipError_tPvRmT1_T2_T3_mmT4_T5_P12ihipStream_tbEUlRKiE_EESZ_S13_S14_mS15_S18_bEUlT_E_NS1_11comp_targetILNS1_3genE10ELNS1_11target_archE1201ELNS1_3gpuE5ELNS1_3repE0EEENS1_30default_config_static_selectorELNS0_4arch9wavefront6targetE1EEEvS12_,@function
_ZN7rocprim17ROCPRIM_400000_NS6detail17trampoline_kernelINS0_14default_configENS1_27lower_bound_config_selectorIilEEZNS1_14transform_implILb0ES3_S5_N6thrust23THRUST_200600_302600_NS6detail15normal_iteratorINS8_7pointerIiNS9_22execute_with_allocatorINS8_16device_allocatorIcEENS8_11hip_rocprim22execute_on_stream_baseEEENS8_11use_defaultESI_EEEENSA_INSB_IlSH_SI_SI_EEEEZNS1_13binary_searchIS3_S5_NSA_INS8_10device_ptrIiEEEESK_SM_NS1_21lower_bound_search_opENS9_16wrapped_functionINS8_6system6detail7generic6detail18binary_search_lessEbEEEE10hipError_tPvRmT1_T2_T3_mmT4_T5_P12ihipStream_tbEUlRKiE_EESZ_S13_S14_mS15_S18_bEUlT_E_NS1_11comp_targetILNS1_3genE10ELNS1_11target_archE1201ELNS1_3gpuE5ELNS1_3repE0EEENS1_30default_config_static_selectorELNS0_4arch9wavefront6targetE1EEEvS12_: ; @_ZN7rocprim17ROCPRIM_400000_NS6detail17trampoline_kernelINS0_14default_configENS1_27lower_bound_config_selectorIilEEZNS1_14transform_implILb0ES3_S5_N6thrust23THRUST_200600_302600_NS6detail15normal_iteratorINS8_7pointerIiNS9_22execute_with_allocatorINS8_16device_allocatorIcEENS8_11hip_rocprim22execute_on_stream_baseEEENS8_11use_defaultESI_EEEENSA_INSB_IlSH_SI_SI_EEEEZNS1_13binary_searchIS3_S5_NSA_INS8_10device_ptrIiEEEESK_SM_NS1_21lower_bound_search_opENS9_16wrapped_functionINS8_6system6detail7generic6detail18binary_search_lessEbEEEE10hipError_tPvRmT1_T2_T3_mmT4_T5_P12ihipStream_tbEUlRKiE_EESZ_S13_S14_mS15_S18_bEUlT_E_NS1_11comp_targetILNS1_3genE10ELNS1_11target_archE1201ELNS1_3gpuE5ELNS1_3repE0EEENS1_30default_config_static_selectorELNS0_4arch9wavefront6targetE1EEEvS12_
; %bb.0:
	.section	.rodata,"a",@progbits
	.p2align	6, 0x0
	.amdhsa_kernel _ZN7rocprim17ROCPRIM_400000_NS6detail17trampoline_kernelINS0_14default_configENS1_27lower_bound_config_selectorIilEEZNS1_14transform_implILb0ES3_S5_N6thrust23THRUST_200600_302600_NS6detail15normal_iteratorINS8_7pointerIiNS9_22execute_with_allocatorINS8_16device_allocatorIcEENS8_11hip_rocprim22execute_on_stream_baseEEENS8_11use_defaultESI_EEEENSA_INSB_IlSH_SI_SI_EEEEZNS1_13binary_searchIS3_S5_NSA_INS8_10device_ptrIiEEEESK_SM_NS1_21lower_bound_search_opENS9_16wrapped_functionINS8_6system6detail7generic6detail18binary_search_lessEbEEEE10hipError_tPvRmT1_T2_T3_mmT4_T5_P12ihipStream_tbEUlRKiE_EESZ_S13_S14_mS15_S18_bEUlT_E_NS1_11comp_targetILNS1_3genE10ELNS1_11target_archE1201ELNS1_3gpuE5ELNS1_3repE0EEENS1_30default_config_static_selectorELNS0_4arch9wavefront6targetE1EEEvS12_
		.amdhsa_group_segment_fixed_size 0
		.amdhsa_private_segment_fixed_size 0
		.amdhsa_kernarg_size 56
		.amdhsa_user_sgpr_count 6
		.amdhsa_user_sgpr_private_segment_buffer 1
		.amdhsa_user_sgpr_dispatch_ptr 0
		.amdhsa_user_sgpr_queue_ptr 0
		.amdhsa_user_sgpr_kernarg_segment_ptr 1
		.amdhsa_user_sgpr_dispatch_id 0
		.amdhsa_user_sgpr_flat_scratch_init 0
		.amdhsa_user_sgpr_private_segment_size 0
		.amdhsa_uses_dynamic_stack 0
		.amdhsa_system_sgpr_private_segment_wavefront_offset 0
		.amdhsa_system_sgpr_workgroup_id_x 1
		.amdhsa_system_sgpr_workgroup_id_y 0
		.amdhsa_system_sgpr_workgroup_id_z 0
		.amdhsa_system_sgpr_workgroup_info 0
		.amdhsa_system_vgpr_workitem_id 0
		.amdhsa_next_free_vgpr 1
		.amdhsa_next_free_sgpr 0
		.amdhsa_reserve_vcc 0
		.amdhsa_reserve_flat_scratch 0
		.amdhsa_float_round_mode_32 0
		.amdhsa_float_round_mode_16_64 0
		.amdhsa_float_denorm_mode_32 3
		.amdhsa_float_denorm_mode_16_64 3
		.amdhsa_dx10_clamp 1
		.amdhsa_ieee_mode 1
		.amdhsa_fp16_overflow 0
		.amdhsa_exception_fp_ieee_invalid_op 0
		.amdhsa_exception_fp_denorm_src 0
		.amdhsa_exception_fp_ieee_div_zero 0
		.amdhsa_exception_fp_ieee_overflow 0
		.amdhsa_exception_fp_ieee_underflow 0
		.amdhsa_exception_fp_ieee_inexact 0
		.amdhsa_exception_int_div_zero 0
	.end_amdhsa_kernel
	.section	.text._ZN7rocprim17ROCPRIM_400000_NS6detail17trampoline_kernelINS0_14default_configENS1_27lower_bound_config_selectorIilEEZNS1_14transform_implILb0ES3_S5_N6thrust23THRUST_200600_302600_NS6detail15normal_iteratorINS8_7pointerIiNS9_22execute_with_allocatorINS8_16device_allocatorIcEENS8_11hip_rocprim22execute_on_stream_baseEEENS8_11use_defaultESI_EEEENSA_INSB_IlSH_SI_SI_EEEEZNS1_13binary_searchIS3_S5_NSA_INS8_10device_ptrIiEEEESK_SM_NS1_21lower_bound_search_opENS9_16wrapped_functionINS8_6system6detail7generic6detail18binary_search_lessEbEEEE10hipError_tPvRmT1_T2_T3_mmT4_T5_P12ihipStream_tbEUlRKiE_EESZ_S13_S14_mS15_S18_bEUlT_E_NS1_11comp_targetILNS1_3genE10ELNS1_11target_archE1201ELNS1_3gpuE5ELNS1_3repE0EEENS1_30default_config_static_selectorELNS0_4arch9wavefront6targetE1EEEvS12_,"axG",@progbits,_ZN7rocprim17ROCPRIM_400000_NS6detail17trampoline_kernelINS0_14default_configENS1_27lower_bound_config_selectorIilEEZNS1_14transform_implILb0ES3_S5_N6thrust23THRUST_200600_302600_NS6detail15normal_iteratorINS8_7pointerIiNS9_22execute_with_allocatorINS8_16device_allocatorIcEENS8_11hip_rocprim22execute_on_stream_baseEEENS8_11use_defaultESI_EEEENSA_INSB_IlSH_SI_SI_EEEEZNS1_13binary_searchIS3_S5_NSA_INS8_10device_ptrIiEEEESK_SM_NS1_21lower_bound_search_opENS9_16wrapped_functionINS8_6system6detail7generic6detail18binary_search_lessEbEEEE10hipError_tPvRmT1_T2_T3_mmT4_T5_P12ihipStream_tbEUlRKiE_EESZ_S13_S14_mS15_S18_bEUlT_E_NS1_11comp_targetILNS1_3genE10ELNS1_11target_archE1201ELNS1_3gpuE5ELNS1_3repE0EEENS1_30default_config_static_selectorELNS0_4arch9wavefront6targetE1EEEvS12_,comdat
.Lfunc_end775:
	.size	_ZN7rocprim17ROCPRIM_400000_NS6detail17trampoline_kernelINS0_14default_configENS1_27lower_bound_config_selectorIilEEZNS1_14transform_implILb0ES3_S5_N6thrust23THRUST_200600_302600_NS6detail15normal_iteratorINS8_7pointerIiNS9_22execute_with_allocatorINS8_16device_allocatorIcEENS8_11hip_rocprim22execute_on_stream_baseEEENS8_11use_defaultESI_EEEENSA_INSB_IlSH_SI_SI_EEEEZNS1_13binary_searchIS3_S5_NSA_INS8_10device_ptrIiEEEESK_SM_NS1_21lower_bound_search_opENS9_16wrapped_functionINS8_6system6detail7generic6detail18binary_search_lessEbEEEE10hipError_tPvRmT1_T2_T3_mmT4_T5_P12ihipStream_tbEUlRKiE_EESZ_S13_S14_mS15_S18_bEUlT_E_NS1_11comp_targetILNS1_3genE10ELNS1_11target_archE1201ELNS1_3gpuE5ELNS1_3repE0EEENS1_30default_config_static_selectorELNS0_4arch9wavefront6targetE1EEEvS12_, .Lfunc_end775-_ZN7rocprim17ROCPRIM_400000_NS6detail17trampoline_kernelINS0_14default_configENS1_27lower_bound_config_selectorIilEEZNS1_14transform_implILb0ES3_S5_N6thrust23THRUST_200600_302600_NS6detail15normal_iteratorINS8_7pointerIiNS9_22execute_with_allocatorINS8_16device_allocatorIcEENS8_11hip_rocprim22execute_on_stream_baseEEENS8_11use_defaultESI_EEEENSA_INSB_IlSH_SI_SI_EEEEZNS1_13binary_searchIS3_S5_NSA_INS8_10device_ptrIiEEEESK_SM_NS1_21lower_bound_search_opENS9_16wrapped_functionINS8_6system6detail7generic6detail18binary_search_lessEbEEEE10hipError_tPvRmT1_T2_T3_mmT4_T5_P12ihipStream_tbEUlRKiE_EESZ_S13_S14_mS15_S18_bEUlT_E_NS1_11comp_targetILNS1_3genE10ELNS1_11target_archE1201ELNS1_3gpuE5ELNS1_3repE0EEENS1_30default_config_static_selectorELNS0_4arch9wavefront6targetE1EEEvS12_
                                        ; -- End function
	.set _ZN7rocprim17ROCPRIM_400000_NS6detail17trampoline_kernelINS0_14default_configENS1_27lower_bound_config_selectorIilEEZNS1_14transform_implILb0ES3_S5_N6thrust23THRUST_200600_302600_NS6detail15normal_iteratorINS8_7pointerIiNS9_22execute_with_allocatorINS8_16device_allocatorIcEENS8_11hip_rocprim22execute_on_stream_baseEEENS8_11use_defaultESI_EEEENSA_INSB_IlSH_SI_SI_EEEEZNS1_13binary_searchIS3_S5_NSA_INS8_10device_ptrIiEEEESK_SM_NS1_21lower_bound_search_opENS9_16wrapped_functionINS8_6system6detail7generic6detail18binary_search_lessEbEEEE10hipError_tPvRmT1_T2_T3_mmT4_T5_P12ihipStream_tbEUlRKiE_EESZ_S13_S14_mS15_S18_bEUlT_E_NS1_11comp_targetILNS1_3genE10ELNS1_11target_archE1201ELNS1_3gpuE5ELNS1_3repE0EEENS1_30default_config_static_selectorELNS0_4arch9wavefront6targetE1EEEvS12_.num_vgpr, 0
	.set _ZN7rocprim17ROCPRIM_400000_NS6detail17trampoline_kernelINS0_14default_configENS1_27lower_bound_config_selectorIilEEZNS1_14transform_implILb0ES3_S5_N6thrust23THRUST_200600_302600_NS6detail15normal_iteratorINS8_7pointerIiNS9_22execute_with_allocatorINS8_16device_allocatorIcEENS8_11hip_rocprim22execute_on_stream_baseEEENS8_11use_defaultESI_EEEENSA_INSB_IlSH_SI_SI_EEEEZNS1_13binary_searchIS3_S5_NSA_INS8_10device_ptrIiEEEESK_SM_NS1_21lower_bound_search_opENS9_16wrapped_functionINS8_6system6detail7generic6detail18binary_search_lessEbEEEE10hipError_tPvRmT1_T2_T3_mmT4_T5_P12ihipStream_tbEUlRKiE_EESZ_S13_S14_mS15_S18_bEUlT_E_NS1_11comp_targetILNS1_3genE10ELNS1_11target_archE1201ELNS1_3gpuE5ELNS1_3repE0EEENS1_30default_config_static_selectorELNS0_4arch9wavefront6targetE1EEEvS12_.num_agpr, 0
	.set _ZN7rocprim17ROCPRIM_400000_NS6detail17trampoline_kernelINS0_14default_configENS1_27lower_bound_config_selectorIilEEZNS1_14transform_implILb0ES3_S5_N6thrust23THRUST_200600_302600_NS6detail15normal_iteratorINS8_7pointerIiNS9_22execute_with_allocatorINS8_16device_allocatorIcEENS8_11hip_rocprim22execute_on_stream_baseEEENS8_11use_defaultESI_EEEENSA_INSB_IlSH_SI_SI_EEEEZNS1_13binary_searchIS3_S5_NSA_INS8_10device_ptrIiEEEESK_SM_NS1_21lower_bound_search_opENS9_16wrapped_functionINS8_6system6detail7generic6detail18binary_search_lessEbEEEE10hipError_tPvRmT1_T2_T3_mmT4_T5_P12ihipStream_tbEUlRKiE_EESZ_S13_S14_mS15_S18_bEUlT_E_NS1_11comp_targetILNS1_3genE10ELNS1_11target_archE1201ELNS1_3gpuE5ELNS1_3repE0EEENS1_30default_config_static_selectorELNS0_4arch9wavefront6targetE1EEEvS12_.numbered_sgpr, 0
	.set _ZN7rocprim17ROCPRIM_400000_NS6detail17trampoline_kernelINS0_14default_configENS1_27lower_bound_config_selectorIilEEZNS1_14transform_implILb0ES3_S5_N6thrust23THRUST_200600_302600_NS6detail15normal_iteratorINS8_7pointerIiNS9_22execute_with_allocatorINS8_16device_allocatorIcEENS8_11hip_rocprim22execute_on_stream_baseEEENS8_11use_defaultESI_EEEENSA_INSB_IlSH_SI_SI_EEEEZNS1_13binary_searchIS3_S5_NSA_INS8_10device_ptrIiEEEESK_SM_NS1_21lower_bound_search_opENS9_16wrapped_functionINS8_6system6detail7generic6detail18binary_search_lessEbEEEE10hipError_tPvRmT1_T2_T3_mmT4_T5_P12ihipStream_tbEUlRKiE_EESZ_S13_S14_mS15_S18_bEUlT_E_NS1_11comp_targetILNS1_3genE10ELNS1_11target_archE1201ELNS1_3gpuE5ELNS1_3repE0EEENS1_30default_config_static_selectorELNS0_4arch9wavefront6targetE1EEEvS12_.num_named_barrier, 0
	.set _ZN7rocprim17ROCPRIM_400000_NS6detail17trampoline_kernelINS0_14default_configENS1_27lower_bound_config_selectorIilEEZNS1_14transform_implILb0ES3_S5_N6thrust23THRUST_200600_302600_NS6detail15normal_iteratorINS8_7pointerIiNS9_22execute_with_allocatorINS8_16device_allocatorIcEENS8_11hip_rocprim22execute_on_stream_baseEEENS8_11use_defaultESI_EEEENSA_INSB_IlSH_SI_SI_EEEEZNS1_13binary_searchIS3_S5_NSA_INS8_10device_ptrIiEEEESK_SM_NS1_21lower_bound_search_opENS9_16wrapped_functionINS8_6system6detail7generic6detail18binary_search_lessEbEEEE10hipError_tPvRmT1_T2_T3_mmT4_T5_P12ihipStream_tbEUlRKiE_EESZ_S13_S14_mS15_S18_bEUlT_E_NS1_11comp_targetILNS1_3genE10ELNS1_11target_archE1201ELNS1_3gpuE5ELNS1_3repE0EEENS1_30default_config_static_selectorELNS0_4arch9wavefront6targetE1EEEvS12_.private_seg_size, 0
	.set _ZN7rocprim17ROCPRIM_400000_NS6detail17trampoline_kernelINS0_14default_configENS1_27lower_bound_config_selectorIilEEZNS1_14transform_implILb0ES3_S5_N6thrust23THRUST_200600_302600_NS6detail15normal_iteratorINS8_7pointerIiNS9_22execute_with_allocatorINS8_16device_allocatorIcEENS8_11hip_rocprim22execute_on_stream_baseEEENS8_11use_defaultESI_EEEENSA_INSB_IlSH_SI_SI_EEEEZNS1_13binary_searchIS3_S5_NSA_INS8_10device_ptrIiEEEESK_SM_NS1_21lower_bound_search_opENS9_16wrapped_functionINS8_6system6detail7generic6detail18binary_search_lessEbEEEE10hipError_tPvRmT1_T2_T3_mmT4_T5_P12ihipStream_tbEUlRKiE_EESZ_S13_S14_mS15_S18_bEUlT_E_NS1_11comp_targetILNS1_3genE10ELNS1_11target_archE1201ELNS1_3gpuE5ELNS1_3repE0EEENS1_30default_config_static_selectorELNS0_4arch9wavefront6targetE1EEEvS12_.uses_vcc, 0
	.set _ZN7rocprim17ROCPRIM_400000_NS6detail17trampoline_kernelINS0_14default_configENS1_27lower_bound_config_selectorIilEEZNS1_14transform_implILb0ES3_S5_N6thrust23THRUST_200600_302600_NS6detail15normal_iteratorINS8_7pointerIiNS9_22execute_with_allocatorINS8_16device_allocatorIcEENS8_11hip_rocprim22execute_on_stream_baseEEENS8_11use_defaultESI_EEEENSA_INSB_IlSH_SI_SI_EEEEZNS1_13binary_searchIS3_S5_NSA_INS8_10device_ptrIiEEEESK_SM_NS1_21lower_bound_search_opENS9_16wrapped_functionINS8_6system6detail7generic6detail18binary_search_lessEbEEEE10hipError_tPvRmT1_T2_T3_mmT4_T5_P12ihipStream_tbEUlRKiE_EESZ_S13_S14_mS15_S18_bEUlT_E_NS1_11comp_targetILNS1_3genE10ELNS1_11target_archE1201ELNS1_3gpuE5ELNS1_3repE0EEENS1_30default_config_static_selectorELNS0_4arch9wavefront6targetE1EEEvS12_.uses_flat_scratch, 0
	.set _ZN7rocprim17ROCPRIM_400000_NS6detail17trampoline_kernelINS0_14default_configENS1_27lower_bound_config_selectorIilEEZNS1_14transform_implILb0ES3_S5_N6thrust23THRUST_200600_302600_NS6detail15normal_iteratorINS8_7pointerIiNS9_22execute_with_allocatorINS8_16device_allocatorIcEENS8_11hip_rocprim22execute_on_stream_baseEEENS8_11use_defaultESI_EEEENSA_INSB_IlSH_SI_SI_EEEEZNS1_13binary_searchIS3_S5_NSA_INS8_10device_ptrIiEEEESK_SM_NS1_21lower_bound_search_opENS9_16wrapped_functionINS8_6system6detail7generic6detail18binary_search_lessEbEEEE10hipError_tPvRmT1_T2_T3_mmT4_T5_P12ihipStream_tbEUlRKiE_EESZ_S13_S14_mS15_S18_bEUlT_E_NS1_11comp_targetILNS1_3genE10ELNS1_11target_archE1201ELNS1_3gpuE5ELNS1_3repE0EEENS1_30default_config_static_selectorELNS0_4arch9wavefront6targetE1EEEvS12_.has_dyn_sized_stack, 0
	.set _ZN7rocprim17ROCPRIM_400000_NS6detail17trampoline_kernelINS0_14default_configENS1_27lower_bound_config_selectorIilEEZNS1_14transform_implILb0ES3_S5_N6thrust23THRUST_200600_302600_NS6detail15normal_iteratorINS8_7pointerIiNS9_22execute_with_allocatorINS8_16device_allocatorIcEENS8_11hip_rocprim22execute_on_stream_baseEEENS8_11use_defaultESI_EEEENSA_INSB_IlSH_SI_SI_EEEEZNS1_13binary_searchIS3_S5_NSA_INS8_10device_ptrIiEEEESK_SM_NS1_21lower_bound_search_opENS9_16wrapped_functionINS8_6system6detail7generic6detail18binary_search_lessEbEEEE10hipError_tPvRmT1_T2_T3_mmT4_T5_P12ihipStream_tbEUlRKiE_EESZ_S13_S14_mS15_S18_bEUlT_E_NS1_11comp_targetILNS1_3genE10ELNS1_11target_archE1201ELNS1_3gpuE5ELNS1_3repE0EEENS1_30default_config_static_selectorELNS0_4arch9wavefront6targetE1EEEvS12_.has_recursion, 0
	.set _ZN7rocprim17ROCPRIM_400000_NS6detail17trampoline_kernelINS0_14default_configENS1_27lower_bound_config_selectorIilEEZNS1_14transform_implILb0ES3_S5_N6thrust23THRUST_200600_302600_NS6detail15normal_iteratorINS8_7pointerIiNS9_22execute_with_allocatorINS8_16device_allocatorIcEENS8_11hip_rocprim22execute_on_stream_baseEEENS8_11use_defaultESI_EEEENSA_INSB_IlSH_SI_SI_EEEEZNS1_13binary_searchIS3_S5_NSA_INS8_10device_ptrIiEEEESK_SM_NS1_21lower_bound_search_opENS9_16wrapped_functionINS8_6system6detail7generic6detail18binary_search_lessEbEEEE10hipError_tPvRmT1_T2_T3_mmT4_T5_P12ihipStream_tbEUlRKiE_EESZ_S13_S14_mS15_S18_bEUlT_E_NS1_11comp_targetILNS1_3genE10ELNS1_11target_archE1201ELNS1_3gpuE5ELNS1_3repE0EEENS1_30default_config_static_selectorELNS0_4arch9wavefront6targetE1EEEvS12_.has_indirect_call, 0
	.section	.AMDGPU.csdata,"",@progbits
; Kernel info:
; codeLenInByte = 0
; TotalNumSgprs: 4
; NumVgprs: 0
; ScratchSize: 0
; MemoryBound: 0
; FloatMode: 240
; IeeeMode: 1
; LDSByteSize: 0 bytes/workgroup (compile time only)
; SGPRBlocks: 0
; VGPRBlocks: 0
; NumSGPRsForWavesPerEU: 4
; NumVGPRsForWavesPerEU: 1
; Occupancy: 10
; WaveLimiterHint : 0
; COMPUTE_PGM_RSRC2:SCRATCH_EN: 0
; COMPUTE_PGM_RSRC2:USER_SGPR: 6
; COMPUTE_PGM_RSRC2:TRAP_HANDLER: 0
; COMPUTE_PGM_RSRC2:TGID_X_EN: 1
; COMPUTE_PGM_RSRC2:TGID_Y_EN: 0
; COMPUTE_PGM_RSRC2:TGID_Z_EN: 0
; COMPUTE_PGM_RSRC2:TIDIG_COMP_CNT: 0
	.section	.text._ZN7rocprim17ROCPRIM_400000_NS6detail17trampoline_kernelINS0_14default_configENS1_27lower_bound_config_selectorIilEEZNS1_14transform_implILb0ES3_S5_N6thrust23THRUST_200600_302600_NS6detail15normal_iteratorINS8_7pointerIiNS9_22execute_with_allocatorINS8_16device_allocatorIcEENS8_11hip_rocprim22execute_on_stream_baseEEENS8_11use_defaultESI_EEEENSA_INSB_IlSH_SI_SI_EEEEZNS1_13binary_searchIS3_S5_NSA_INS8_10device_ptrIiEEEESK_SM_NS1_21lower_bound_search_opENS9_16wrapped_functionINS8_6system6detail7generic6detail18binary_search_lessEbEEEE10hipError_tPvRmT1_T2_T3_mmT4_T5_P12ihipStream_tbEUlRKiE_EESZ_S13_S14_mS15_S18_bEUlT_E_NS1_11comp_targetILNS1_3genE10ELNS1_11target_archE1200ELNS1_3gpuE4ELNS1_3repE0EEENS1_30default_config_static_selectorELNS0_4arch9wavefront6targetE1EEEvS12_,"axG",@progbits,_ZN7rocprim17ROCPRIM_400000_NS6detail17trampoline_kernelINS0_14default_configENS1_27lower_bound_config_selectorIilEEZNS1_14transform_implILb0ES3_S5_N6thrust23THRUST_200600_302600_NS6detail15normal_iteratorINS8_7pointerIiNS9_22execute_with_allocatorINS8_16device_allocatorIcEENS8_11hip_rocprim22execute_on_stream_baseEEENS8_11use_defaultESI_EEEENSA_INSB_IlSH_SI_SI_EEEEZNS1_13binary_searchIS3_S5_NSA_INS8_10device_ptrIiEEEESK_SM_NS1_21lower_bound_search_opENS9_16wrapped_functionINS8_6system6detail7generic6detail18binary_search_lessEbEEEE10hipError_tPvRmT1_T2_T3_mmT4_T5_P12ihipStream_tbEUlRKiE_EESZ_S13_S14_mS15_S18_bEUlT_E_NS1_11comp_targetILNS1_3genE10ELNS1_11target_archE1200ELNS1_3gpuE4ELNS1_3repE0EEENS1_30default_config_static_selectorELNS0_4arch9wavefront6targetE1EEEvS12_,comdat
	.protected	_ZN7rocprim17ROCPRIM_400000_NS6detail17trampoline_kernelINS0_14default_configENS1_27lower_bound_config_selectorIilEEZNS1_14transform_implILb0ES3_S5_N6thrust23THRUST_200600_302600_NS6detail15normal_iteratorINS8_7pointerIiNS9_22execute_with_allocatorINS8_16device_allocatorIcEENS8_11hip_rocprim22execute_on_stream_baseEEENS8_11use_defaultESI_EEEENSA_INSB_IlSH_SI_SI_EEEEZNS1_13binary_searchIS3_S5_NSA_INS8_10device_ptrIiEEEESK_SM_NS1_21lower_bound_search_opENS9_16wrapped_functionINS8_6system6detail7generic6detail18binary_search_lessEbEEEE10hipError_tPvRmT1_T2_T3_mmT4_T5_P12ihipStream_tbEUlRKiE_EESZ_S13_S14_mS15_S18_bEUlT_E_NS1_11comp_targetILNS1_3genE10ELNS1_11target_archE1200ELNS1_3gpuE4ELNS1_3repE0EEENS1_30default_config_static_selectorELNS0_4arch9wavefront6targetE1EEEvS12_ ; -- Begin function _ZN7rocprim17ROCPRIM_400000_NS6detail17trampoline_kernelINS0_14default_configENS1_27lower_bound_config_selectorIilEEZNS1_14transform_implILb0ES3_S5_N6thrust23THRUST_200600_302600_NS6detail15normal_iteratorINS8_7pointerIiNS9_22execute_with_allocatorINS8_16device_allocatorIcEENS8_11hip_rocprim22execute_on_stream_baseEEENS8_11use_defaultESI_EEEENSA_INSB_IlSH_SI_SI_EEEEZNS1_13binary_searchIS3_S5_NSA_INS8_10device_ptrIiEEEESK_SM_NS1_21lower_bound_search_opENS9_16wrapped_functionINS8_6system6detail7generic6detail18binary_search_lessEbEEEE10hipError_tPvRmT1_T2_T3_mmT4_T5_P12ihipStream_tbEUlRKiE_EESZ_S13_S14_mS15_S18_bEUlT_E_NS1_11comp_targetILNS1_3genE10ELNS1_11target_archE1200ELNS1_3gpuE4ELNS1_3repE0EEENS1_30default_config_static_selectorELNS0_4arch9wavefront6targetE1EEEvS12_
	.globl	_ZN7rocprim17ROCPRIM_400000_NS6detail17trampoline_kernelINS0_14default_configENS1_27lower_bound_config_selectorIilEEZNS1_14transform_implILb0ES3_S5_N6thrust23THRUST_200600_302600_NS6detail15normal_iteratorINS8_7pointerIiNS9_22execute_with_allocatorINS8_16device_allocatorIcEENS8_11hip_rocprim22execute_on_stream_baseEEENS8_11use_defaultESI_EEEENSA_INSB_IlSH_SI_SI_EEEEZNS1_13binary_searchIS3_S5_NSA_INS8_10device_ptrIiEEEESK_SM_NS1_21lower_bound_search_opENS9_16wrapped_functionINS8_6system6detail7generic6detail18binary_search_lessEbEEEE10hipError_tPvRmT1_T2_T3_mmT4_T5_P12ihipStream_tbEUlRKiE_EESZ_S13_S14_mS15_S18_bEUlT_E_NS1_11comp_targetILNS1_3genE10ELNS1_11target_archE1200ELNS1_3gpuE4ELNS1_3repE0EEENS1_30default_config_static_selectorELNS0_4arch9wavefront6targetE1EEEvS12_
	.p2align	8
	.type	_ZN7rocprim17ROCPRIM_400000_NS6detail17trampoline_kernelINS0_14default_configENS1_27lower_bound_config_selectorIilEEZNS1_14transform_implILb0ES3_S5_N6thrust23THRUST_200600_302600_NS6detail15normal_iteratorINS8_7pointerIiNS9_22execute_with_allocatorINS8_16device_allocatorIcEENS8_11hip_rocprim22execute_on_stream_baseEEENS8_11use_defaultESI_EEEENSA_INSB_IlSH_SI_SI_EEEEZNS1_13binary_searchIS3_S5_NSA_INS8_10device_ptrIiEEEESK_SM_NS1_21lower_bound_search_opENS9_16wrapped_functionINS8_6system6detail7generic6detail18binary_search_lessEbEEEE10hipError_tPvRmT1_T2_T3_mmT4_T5_P12ihipStream_tbEUlRKiE_EESZ_S13_S14_mS15_S18_bEUlT_E_NS1_11comp_targetILNS1_3genE10ELNS1_11target_archE1200ELNS1_3gpuE4ELNS1_3repE0EEENS1_30default_config_static_selectorELNS0_4arch9wavefront6targetE1EEEvS12_,@function
_ZN7rocprim17ROCPRIM_400000_NS6detail17trampoline_kernelINS0_14default_configENS1_27lower_bound_config_selectorIilEEZNS1_14transform_implILb0ES3_S5_N6thrust23THRUST_200600_302600_NS6detail15normal_iteratorINS8_7pointerIiNS9_22execute_with_allocatorINS8_16device_allocatorIcEENS8_11hip_rocprim22execute_on_stream_baseEEENS8_11use_defaultESI_EEEENSA_INSB_IlSH_SI_SI_EEEEZNS1_13binary_searchIS3_S5_NSA_INS8_10device_ptrIiEEEESK_SM_NS1_21lower_bound_search_opENS9_16wrapped_functionINS8_6system6detail7generic6detail18binary_search_lessEbEEEE10hipError_tPvRmT1_T2_T3_mmT4_T5_P12ihipStream_tbEUlRKiE_EESZ_S13_S14_mS15_S18_bEUlT_E_NS1_11comp_targetILNS1_3genE10ELNS1_11target_archE1200ELNS1_3gpuE4ELNS1_3repE0EEENS1_30default_config_static_selectorELNS0_4arch9wavefront6targetE1EEEvS12_: ; @_ZN7rocprim17ROCPRIM_400000_NS6detail17trampoline_kernelINS0_14default_configENS1_27lower_bound_config_selectorIilEEZNS1_14transform_implILb0ES3_S5_N6thrust23THRUST_200600_302600_NS6detail15normal_iteratorINS8_7pointerIiNS9_22execute_with_allocatorINS8_16device_allocatorIcEENS8_11hip_rocprim22execute_on_stream_baseEEENS8_11use_defaultESI_EEEENSA_INSB_IlSH_SI_SI_EEEEZNS1_13binary_searchIS3_S5_NSA_INS8_10device_ptrIiEEEESK_SM_NS1_21lower_bound_search_opENS9_16wrapped_functionINS8_6system6detail7generic6detail18binary_search_lessEbEEEE10hipError_tPvRmT1_T2_T3_mmT4_T5_P12ihipStream_tbEUlRKiE_EESZ_S13_S14_mS15_S18_bEUlT_E_NS1_11comp_targetILNS1_3genE10ELNS1_11target_archE1200ELNS1_3gpuE4ELNS1_3repE0EEENS1_30default_config_static_selectorELNS0_4arch9wavefront6targetE1EEEvS12_
; %bb.0:
	.section	.rodata,"a",@progbits
	.p2align	6, 0x0
	.amdhsa_kernel _ZN7rocprim17ROCPRIM_400000_NS6detail17trampoline_kernelINS0_14default_configENS1_27lower_bound_config_selectorIilEEZNS1_14transform_implILb0ES3_S5_N6thrust23THRUST_200600_302600_NS6detail15normal_iteratorINS8_7pointerIiNS9_22execute_with_allocatorINS8_16device_allocatorIcEENS8_11hip_rocprim22execute_on_stream_baseEEENS8_11use_defaultESI_EEEENSA_INSB_IlSH_SI_SI_EEEEZNS1_13binary_searchIS3_S5_NSA_INS8_10device_ptrIiEEEESK_SM_NS1_21lower_bound_search_opENS9_16wrapped_functionINS8_6system6detail7generic6detail18binary_search_lessEbEEEE10hipError_tPvRmT1_T2_T3_mmT4_T5_P12ihipStream_tbEUlRKiE_EESZ_S13_S14_mS15_S18_bEUlT_E_NS1_11comp_targetILNS1_3genE10ELNS1_11target_archE1200ELNS1_3gpuE4ELNS1_3repE0EEENS1_30default_config_static_selectorELNS0_4arch9wavefront6targetE1EEEvS12_
		.amdhsa_group_segment_fixed_size 0
		.amdhsa_private_segment_fixed_size 0
		.amdhsa_kernarg_size 56
		.amdhsa_user_sgpr_count 6
		.amdhsa_user_sgpr_private_segment_buffer 1
		.amdhsa_user_sgpr_dispatch_ptr 0
		.amdhsa_user_sgpr_queue_ptr 0
		.amdhsa_user_sgpr_kernarg_segment_ptr 1
		.amdhsa_user_sgpr_dispatch_id 0
		.amdhsa_user_sgpr_flat_scratch_init 0
		.amdhsa_user_sgpr_private_segment_size 0
		.amdhsa_uses_dynamic_stack 0
		.amdhsa_system_sgpr_private_segment_wavefront_offset 0
		.amdhsa_system_sgpr_workgroup_id_x 1
		.amdhsa_system_sgpr_workgroup_id_y 0
		.amdhsa_system_sgpr_workgroup_id_z 0
		.amdhsa_system_sgpr_workgroup_info 0
		.amdhsa_system_vgpr_workitem_id 0
		.amdhsa_next_free_vgpr 1
		.amdhsa_next_free_sgpr 0
		.amdhsa_reserve_vcc 0
		.amdhsa_reserve_flat_scratch 0
		.amdhsa_float_round_mode_32 0
		.amdhsa_float_round_mode_16_64 0
		.amdhsa_float_denorm_mode_32 3
		.amdhsa_float_denorm_mode_16_64 3
		.amdhsa_dx10_clamp 1
		.amdhsa_ieee_mode 1
		.amdhsa_fp16_overflow 0
		.amdhsa_exception_fp_ieee_invalid_op 0
		.amdhsa_exception_fp_denorm_src 0
		.amdhsa_exception_fp_ieee_div_zero 0
		.amdhsa_exception_fp_ieee_overflow 0
		.amdhsa_exception_fp_ieee_underflow 0
		.amdhsa_exception_fp_ieee_inexact 0
		.amdhsa_exception_int_div_zero 0
	.end_amdhsa_kernel
	.section	.text._ZN7rocprim17ROCPRIM_400000_NS6detail17trampoline_kernelINS0_14default_configENS1_27lower_bound_config_selectorIilEEZNS1_14transform_implILb0ES3_S5_N6thrust23THRUST_200600_302600_NS6detail15normal_iteratorINS8_7pointerIiNS9_22execute_with_allocatorINS8_16device_allocatorIcEENS8_11hip_rocprim22execute_on_stream_baseEEENS8_11use_defaultESI_EEEENSA_INSB_IlSH_SI_SI_EEEEZNS1_13binary_searchIS3_S5_NSA_INS8_10device_ptrIiEEEESK_SM_NS1_21lower_bound_search_opENS9_16wrapped_functionINS8_6system6detail7generic6detail18binary_search_lessEbEEEE10hipError_tPvRmT1_T2_T3_mmT4_T5_P12ihipStream_tbEUlRKiE_EESZ_S13_S14_mS15_S18_bEUlT_E_NS1_11comp_targetILNS1_3genE10ELNS1_11target_archE1200ELNS1_3gpuE4ELNS1_3repE0EEENS1_30default_config_static_selectorELNS0_4arch9wavefront6targetE1EEEvS12_,"axG",@progbits,_ZN7rocprim17ROCPRIM_400000_NS6detail17trampoline_kernelINS0_14default_configENS1_27lower_bound_config_selectorIilEEZNS1_14transform_implILb0ES3_S5_N6thrust23THRUST_200600_302600_NS6detail15normal_iteratorINS8_7pointerIiNS9_22execute_with_allocatorINS8_16device_allocatorIcEENS8_11hip_rocprim22execute_on_stream_baseEEENS8_11use_defaultESI_EEEENSA_INSB_IlSH_SI_SI_EEEEZNS1_13binary_searchIS3_S5_NSA_INS8_10device_ptrIiEEEESK_SM_NS1_21lower_bound_search_opENS9_16wrapped_functionINS8_6system6detail7generic6detail18binary_search_lessEbEEEE10hipError_tPvRmT1_T2_T3_mmT4_T5_P12ihipStream_tbEUlRKiE_EESZ_S13_S14_mS15_S18_bEUlT_E_NS1_11comp_targetILNS1_3genE10ELNS1_11target_archE1200ELNS1_3gpuE4ELNS1_3repE0EEENS1_30default_config_static_selectorELNS0_4arch9wavefront6targetE1EEEvS12_,comdat
.Lfunc_end776:
	.size	_ZN7rocprim17ROCPRIM_400000_NS6detail17trampoline_kernelINS0_14default_configENS1_27lower_bound_config_selectorIilEEZNS1_14transform_implILb0ES3_S5_N6thrust23THRUST_200600_302600_NS6detail15normal_iteratorINS8_7pointerIiNS9_22execute_with_allocatorINS8_16device_allocatorIcEENS8_11hip_rocprim22execute_on_stream_baseEEENS8_11use_defaultESI_EEEENSA_INSB_IlSH_SI_SI_EEEEZNS1_13binary_searchIS3_S5_NSA_INS8_10device_ptrIiEEEESK_SM_NS1_21lower_bound_search_opENS9_16wrapped_functionINS8_6system6detail7generic6detail18binary_search_lessEbEEEE10hipError_tPvRmT1_T2_T3_mmT4_T5_P12ihipStream_tbEUlRKiE_EESZ_S13_S14_mS15_S18_bEUlT_E_NS1_11comp_targetILNS1_3genE10ELNS1_11target_archE1200ELNS1_3gpuE4ELNS1_3repE0EEENS1_30default_config_static_selectorELNS0_4arch9wavefront6targetE1EEEvS12_, .Lfunc_end776-_ZN7rocprim17ROCPRIM_400000_NS6detail17trampoline_kernelINS0_14default_configENS1_27lower_bound_config_selectorIilEEZNS1_14transform_implILb0ES3_S5_N6thrust23THRUST_200600_302600_NS6detail15normal_iteratorINS8_7pointerIiNS9_22execute_with_allocatorINS8_16device_allocatorIcEENS8_11hip_rocprim22execute_on_stream_baseEEENS8_11use_defaultESI_EEEENSA_INSB_IlSH_SI_SI_EEEEZNS1_13binary_searchIS3_S5_NSA_INS8_10device_ptrIiEEEESK_SM_NS1_21lower_bound_search_opENS9_16wrapped_functionINS8_6system6detail7generic6detail18binary_search_lessEbEEEE10hipError_tPvRmT1_T2_T3_mmT4_T5_P12ihipStream_tbEUlRKiE_EESZ_S13_S14_mS15_S18_bEUlT_E_NS1_11comp_targetILNS1_3genE10ELNS1_11target_archE1200ELNS1_3gpuE4ELNS1_3repE0EEENS1_30default_config_static_selectorELNS0_4arch9wavefront6targetE1EEEvS12_
                                        ; -- End function
	.set _ZN7rocprim17ROCPRIM_400000_NS6detail17trampoline_kernelINS0_14default_configENS1_27lower_bound_config_selectorIilEEZNS1_14transform_implILb0ES3_S5_N6thrust23THRUST_200600_302600_NS6detail15normal_iteratorINS8_7pointerIiNS9_22execute_with_allocatorINS8_16device_allocatorIcEENS8_11hip_rocprim22execute_on_stream_baseEEENS8_11use_defaultESI_EEEENSA_INSB_IlSH_SI_SI_EEEEZNS1_13binary_searchIS3_S5_NSA_INS8_10device_ptrIiEEEESK_SM_NS1_21lower_bound_search_opENS9_16wrapped_functionINS8_6system6detail7generic6detail18binary_search_lessEbEEEE10hipError_tPvRmT1_T2_T3_mmT4_T5_P12ihipStream_tbEUlRKiE_EESZ_S13_S14_mS15_S18_bEUlT_E_NS1_11comp_targetILNS1_3genE10ELNS1_11target_archE1200ELNS1_3gpuE4ELNS1_3repE0EEENS1_30default_config_static_selectorELNS0_4arch9wavefront6targetE1EEEvS12_.num_vgpr, 0
	.set _ZN7rocprim17ROCPRIM_400000_NS6detail17trampoline_kernelINS0_14default_configENS1_27lower_bound_config_selectorIilEEZNS1_14transform_implILb0ES3_S5_N6thrust23THRUST_200600_302600_NS6detail15normal_iteratorINS8_7pointerIiNS9_22execute_with_allocatorINS8_16device_allocatorIcEENS8_11hip_rocprim22execute_on_stream_baseEEENS8_11use_defaultESI_EEEENSA_INSB_IlSH_SI_SI_EEEEZNS1_13binary_searchIS3_S5_NSA_INS8_10device_ptrIiEEEESK_SM_NS1_21lower_bound_search_opENS9_16wrapped_functionINS8_6system6detail7generic6detail18binary_search_lessEbEEEE10hipError_tPvRmT1_T2_T3_mmT4_T5_P12ihipStream_tbEUlRKiE_EESZ_S13_S14_mS15_S18_bEUlT_E_NS1_11comp_targetILNS1_3genE10ELNS1_11target_archE1200ELNS1_3gpuE4ELNS1_3repE0EEENS1_30default_config_static_selectorELNS0_4arch9wavefront6targetE1EEEvS12_.num_agpr, 0
	.set _ZN7rocprim17ROCPRIM_400000_NS6detail17trampoline_kernelINS0_14default_configENS1_27lower_bound_config_selectorIilEEZNS1_14transform_implILb0ES3_S5_N6thrust23THRUST_200600_302600_NS6detail15normal_iteratorINS8_7pointerIiNS9_22execute_with_allocatorINS8_16device_allocatorIcEENS8_11hip_rocprim22execute_on_stream_baseEEENS8_11use_defaultESI_EEEENSA_INSB_IlSH_SI_SI_EEEEZNS1_13binary_searchIS3_S5_NSA_INS8_10device_ptrIiEEEESK_SM_NS1_21lower_bound_search_opENS9_16wrapped_functionINS8_6system6detail7generic6detail18binary_search_lessEbEEEE10hipError_tPvRmT1_T2_T3_mmT4_T5_P12ihipStream_tbEUlRKiE_EESZ_S13_S14_mS15_S18_bEUlT_E_NS1_11comp_targetILNS1_3genE10ELNS1_11target_archE1200ELNS1_3gpuE4ELNS1_3repE0EEENS1_30default_config_static_selectorELNS0_4arch9wavefront6targetE1EEEvS12_.numbered_sgpr, 0
	.set _ZN7rocprim17ROCPRIM_400000_NS6detail17trampoline_kernelINS0_14default_configENS1_27lower_bound_config_selectorIilEEZNS1_14transform_implILb0ES3_S5_N6thrust23THRUST_200600_302600_NS6detail15normal_iteratorINS8_7pointerIiNS9_22execute_with_allocatorINS8_16device_allocatorIcEENS8_11hip_rocprim22execute_on_stream_baseEEENS8_11use_defaultESI_EEEENSA_INSB_IlSH_SI_SI_EEEEZNS1_13binary_searchIS3_S5_NSA_INS8_10device_ptrIiEEEESK_SM_NS1_21lower_bound_search_opENS9_16wrapped_functionINS8_6system6detail7generic6detail18binary_search_lessEbEEEE10hipError_tPvRmT1_T2_T3_mmT4_T5_P12ihipStream_tbEUlRKiE_EESZ_S13_S14_mS15_S18_bEUlT_E_NS1_11comp_targetILNS1_3genE10ELNS1_11target_archE1200ELNS1_3gpuE4ELNS1_3repE0EEENS1_30default_config_static_selectorELNS0_4arch9wavefront6targetE1EEEvS12_.num_named_barrier, 0
	.set _ZN7rocprim17ROCPRIM_400000_NS6detail17trampoline_kernelINS0_14default_configENS1_27lower_bound_config_selectorIilEEZNS1_14transform_implILb0ES3_S5_N6thrust23THRUST_200600_302600_NS6detail15normal_iteratorINS8_7pointerIiNS9_22execute_with_allocatorINS8_16device_allocatorIcEENS8_11hip_rocprim22execute_on_stream_baseEEENS8_11use_defaultESI_EEEENSA_INSB_IlSH_SI_SI_EEEEZNS1_13binary_searchIS3_S5_NSA_INS8_10device_ptrIiEEEESK_SM_NS1_21lower_bound_search_opENS9_16wrapped_functionINS8_6system6detail7generic6detail18binary_search_lessEbEEEE10hipError_tPvRmT1_T2_T3_mmT4_T5_P12ihipStream_tbEUlRKiE_EESZ_S13_S14_mS15_S18_bEUlT_E_NS1_11comp_targetILNS1_3genE10ELNS1_11target_archE1200ELNS1_3gpuE4ELNS1_3repE0EEENS1_30default_config_static_selectorELNS0_4arch9wavefront6targetE1EEEvS12_.private_seg_size, 0
	.set _ZN7rocprim17ROCPRIM_400000_NS6detail17trampoline_kernelINS0_14default_configENS1_27lower_bound_config_selectorIilEEZNS1_14transform_implILb0ES3_S5_N6thrust23THRUST_200600_302600_NS6detail15normal_iteratorINS8_7pointerIiNS9_22execute_with_allocatorINS8_16device_allocatorIcEENS8_11hip_rocprim22execute_on_stream_baseEEENS8_11use_defaultESI_EEEENSA_INSB_IlSH_SI_SI_EEEEZNS1_13binary_searchIS3_S5_NSA_INS8_10device_ptrIiEEEESK_SM_NS1_21lower_bound_search_opENS9_16wrapped_functionINS8_6system6detail7generic6detail18binary_search_lessEbEEEE10hipError_tPvRmT1_T2_T3_mmT4_T5_P12ihipStream_tbEUlRKiE_EESZ_S13_S14_mS15_S18_bEUlT_E_NS1_11comp_targetILNS1_3genE10ELNS1_11target_archE1200ELNS1_3gpuE4ELNS1_3repE0EEENS1_30default_config_static_selectorELNS0_4arch9wavefront6targetE1EEEvS12_.uses_vcc, 0
	.set _ZN7rocprim17ROCPRIM_400000_NS6detail17trampoline_kernelINS0_14default_configENS1_27lower_bound_config_selectorIilEEZNS1_14transform_implILb0ES3_S5_N6thrust23THRUST_200600_302600_NS6detail15normal_iteratorINS8_7pointerIiNS9_22execute_with_allocatorINS8_16device_allocatorIcEENS8_11hip_rocprim22execute_on_stream_baseEEENS8_11use_defaultESI_EEEENSA_INSB_IlSH_SI_SI_EEEEZNS1_13binary_searchIS3_S5_NSA_INS8_10device_ptrIiEEEESK_SM_NS1_21lower_bound_search_opENS9_16wrapped_functionINS8_6system6detail7generic6detail18binary_search_lessEbEEEE10hipError_tPvRmT1_T2_T3_mmT4_T5_P12ihipStream_tbEUlRKiE_EESZ_S13_S14_mS15_S18_bEUlT_E_NS1_11comp_targetILNS1_3genE10ELNS1_11target_archE1200ELNS1_3gpuE4ELNS1_3repE0EEENS1_30default_config_static_selectorELNS0_4arch9wavefront6targetE1EEEvS12_.uses_flat_scratch, 0
	.set _ZN7rocprim17ROCPRIM_400000_NS6detail17trampoline_kernelINS0_14default_configENS1_27lower_bound_config_selectorIilEEZNS1_14transform_implILb0ES3_S5_N6thrust23THRUST_200600_302600_NS6detail15normal_iteratorINS8_7pointerIiNS9_22execute_with_allocatorINS8_16device_allocatorIcEENS8_11hip_rocprim22execute_on_stream_baseEEENS8_11use_defaultESI_EEEENSA_INSB_IlSH_SI_SI_EEEEZNS1_13binary_searchIS3_S5_NSA_INS8_10device_ptrIiEEEESK_SM_NS1_21lower_bound_search_opENS9_16wrapped_functionINS8_6system6detail7generic6detail18binary_search_lessEbEEEE10hipError_tPvRmT1_T2_T3_mmT4_T5_P12ihipStream_tbEUlRKiE_EESZ_S13_S14_mS15_S18_bEUlT_E_NS1_11comp_targetILNS1_3genE10ELNS1_11target_archE1200ELNS1_3gpuE4ELNS1_3repE0EEENS1_30default_config_static_selectorELNS0_4arch9wavefront6targetE1EEEvS12_.has_dyn_sized_stack, 0
	.set _ZN7rocprim17ROCPRIM_400000_NS6detail17trampoline_kernelINS0_14default_configENS1_27lower_bound_config_selectorIilEEZNS1_14transform_implILb0ES3_S5_N6thrust23THRUST_200600_302600_NS6detail15normal_iteratorINS8_7pointerIiNS9_22execute_with_allocatorINS8_16device_allocatorIcEENS8_11hip_rocprim22execute_on_stream_baseEEENS8_11use_defaultESI_EEEENSA_INSB_IlSH_SI_SI_EEEEZNS1_13binary_searchIS3_S5_NSA_INS8_10device_ptrIiEEEESK_SM_NS1_21lower_bound_search_opENS9_16wrapped_functionINS8_6system6detail7generic6detail18binary_search_lessEbEEEE10hipError_tPvRmT1_T2_T3_mmT4_T5_P12ihipStream_tbEUlRKiE_EESZ_S13_S14_mS15_S18_bEUlT_E_NS1_11comp_targetILNS1_3genE10ELNS1_11target_archE1200ELNS1_3gpuE4ELNS1_3repE0EEENS1_30default_config_static_selectorELNS0_4arch9wavefront6targetE1EEEvS12_.has_recursion, 0
	.set _ZN7rocprim17ROCPRIM_400000_NS6detail17trampoline_kernelINS0_14default_configENS1_27lower_bound_config_selectorIilEEZNS1_14transform_implILb0ES3_S5_N6thrust23THRUST_200600_302600_NS6detail15normal_iteratorINS8_7pointerIiNS9_22execute_with_allocatorINS8_16device_allocatorIcEENS8_11hip_rocprim22execute_on_stream_baseEEENS8_11use_defaultESI_EEEENSA_INSB_IlSH_SI_SI_EEEEZNS1_13binary_searchIS3_S5_NSA_INS8_10device_ptrIiEEEESK_SM_NS1_21lower_bound_search_opENS9_16wrapped_functionINS8_6system6detail7generic6detail18binary_search_lessEbEEEE10hipError_tPvRmT1_T2_T3_mmT4_T5_P12ihipStream_tbEUlRKiE_EESZ_S13_S14_mS15_S18_bEUlT_E_NS1_11comp_targetILNS1_3genE10ELNS1_11target_archE1200ELNS1_3gpuE4ELNS1_3repE0EEENS1_30default_config_static_selectorELNS0_4arch9wavefront6targetE1EEEvS12_.has_indirect_call, 0
	.section	.AMDGPU.csdata,"",@progbits
; Kernel info:
; codeLenInByte = 0
; TotalNumSgprs: 4
; NumVgprs: 0
; ScratchSize: 0
; MemoryBound: 0
; FloatMode: 240
; IeeeMode: 1
; LDSByteSize: 0 bytes/workgroup (compile time only)
; SGPRBlocks: 0
; VGPRBlocks: 0
; NumSGPRsForWavesPerEU: 4
; NumVGPRsForWavesPerEU: 1
; Occupancy: 10
; WaveLimiterHint : 0
; COMPUTE_PGM_RSRC2:SCRATCH_EN: 0
; COMPUTE_PGM_RSRC2:USER_SGPR: 6
; COMPUTE_PGM_RSRC2:TRAP_HANDLER: 0
; COMPUTE_PGM_RSRC2:TGID_X_EN: 1
; COMPUTE_PGM_RSRC2:TGID_Y_EN: 0
; COMPUTE_PGM_RSRC2:TGID_Z_EN: 0
; COMPUTE_PGM_RSRC2:TIDIG_COMP_CNT: 0
	.section	.text._ZN7rocprim17ROCPRIM_400000_NS6detail17trampoline_kernelINS0_14default_configENS1_27lower_bound_config_selectorIilEEZNS1_14transform_implILb0ES3_S5_N6thrust23THRUST_200600_302600_NS6detail15normal_iteratorINS8_7pointerIiNS9_22execute_with_allocatorINS8_16device_allocatorIcEENS8_11hip_rocprim22execute_on_stream_baseEEENS8_11use_defaultESI_EEEENSA_INSB_IlSH_SI_SI_EEEEZNS1_13binary_searchIS3_S5_NSA_INS8_10device_ptrIiEEEESK_SM_NS1_21lower_bound_search_opENS9_16wrapped_functionINS8_6system6detail7generic6detail18binary_search_lessEbEEEE10hipError_tPvRmT1_T2_T3_mmT4_T5_P12ihipStream_tbEUlRKiE_EESZ_S13_S14_mS15_S18_bEUlT_E_NS1_11comp_targetILNS1_3genE9ELNS1_11target_archE1100ELNS1_3gpuE3ELNS1_3repE0EEENS1_30default_config_static_selectorELNS0_4arch9wavefront6targetE1EEEvS12_,"axG",@progbits,_ZN7rocprim17ROCPRIM_400000_NS6detail17trampoline_kernelINS0_14default_configENS1_27lower_bound_config_selectorIilEEZNS1_14transform_implILb0ES3_S5_N6thrust23THRUST_200600_302600_NS6detail15normal_iteratorINS8_7pointerIiNS9_22execute_with_allocatorINS8_16device_allocatorIcEENS8_11hip_rocprim22execute_on_stream_baseEEENS8_11use_defaultESI_EEEENSA_INSB_IlSH_SI_SI_EEEEZNS1_13binary_searchIS3_S5_NSA_INS8_10device_ptrIiEEEESK_SM_NS1_21lower_bound_search_opENS9_16wrapped_functionINS8_6system6detail7generic6detail18binary_search_lessEbEEEE10hipError_tPvRmT1_T2_T3_mmT4_T5_P12ihipStream_tbEUlRKiE_EESZ_S13_S14_mS15_S18_bEUlT_E_NS1_11comp_targetILNS1_3genE9ELNS1_11target_archE1100ELNS1_3gpuE3ELNS1_3repE0EEENS1_30default_config_static_selectorELNS0_4arch9wavefront6targetE1EEEvS12_,comdat
	.protected	_ZN7rocprim17ROCPRIM_400000_NS6detail17trampoline_kernelINS0_14default_configENS1_27lower_bound_config_selectorIilEEZNS1_14transform_implILb0ES3_S5_N6thrust23THRUST_200600_302600_NS6detail15normal_iteratorINS8_7pointerIiNS9_22execute_with_allocatorINS8_16device_allocatorIcEENS8_11hip_rocprim22execute_on_stream_baseEEENS8_11use_defaultESI_EEEENSA_INSB_IlSH_SI_SI_EEEEZNS1_13binary_searchIS3_S5_NSA_INS8_10device_ptrIiEEEESK_SM_NS1_21lower_bound_search_opENS9_16wrapped_functionINS8_6system6detail7generic6detail18binary_search_lessEbEEEE10hipError_tPvRmT1_T2_T3_mmT4_T5_P12ihipStream_tbEUlRKiE_EESZ_S13_S14_mS15_S18_bEUlT_E_NS1_11comp_targetILNS1_3genE9ELNS1_11target_archE1100ELNS1_3gpuE3ELNS1_3repE0EEENS1_30default_config_static_selectorELNS0_4arch9wavefront6targetE1EEEvS12_ ; -- Begin function _ZN7rocprim17ROCPRIM_400000_NS6detail17trampoline_kernelINS0_14default_configENS1_27lower_bound_config_selectorIilEEZNS1_14transform_implILb0ES3_S5_N6thrust23THRUST_200600_302600_NS6detail15normal_iteratorINS8_7pointerIiNS9_22execute_with_allocatorINS8_16device_allocatorIcEENS8_11hip_rocprim22execute_on_stream_baseEEENS8_11use_defaultESI_EEEENSA_INSB_IlSH_SI_SI_EEEEZNS1_13binary_searchIS3_S5_NSA_INS8_10device_ptrIiEEEESK_SM_NS1_21lower_bound_search_opENS9_16wrapped_functionINS8_6system6detail7generic6detail18binary_search_lessEbEEEE10hipError_tPvRmT1_T2_T3_mmT4_T5_P12ihipStream_tbEUlRKiE_EESZ_S13_S14_mS15_S18_bEUlT_E_NS1_11comp_targetILNS1_3genE9ELNS1_11target_archE1100ELNS1_3gpuE3ELNS1_3repE0EEENS1_30default_config_static_selectorELNS0_4arch9wavefront6targetE1EEEvS12_
	.globl	_ZN7rocprim17ROCPRIM_400000_NS6detail17trampoline_kernelINS0_14default_configENS1_27lower_bound_config_selectorIilEEZNS1_14transform_implILb0ES3_S5_N6thrust23THRUST_200600_302600_NS6detail15normal_iteratorINS8_7pointerIiNS9_22execute_with_allocatorINS8_16device_allocatorIcEENS8_11hip_rocprim22execute_on_stream_baseEEENS8_11use_defaultESI_EEEENSA_INSB_IlSH_SI_SI_EEEEZNS1_13binary_searchIS3_S5_NSA_INS8_10device_ptrIiEEEESK_SM_NS1_21lower_bound_search_opENS9_16wrapped_functionINS8_6system6detail7generic6detail18binary_search_lessEbEEEE10hipError_tPvRmT1_T2_T3_mmT4_T5_P12ihipStream_tbEUlRKiE_EESZ_S13_S14_mS15_S18_bEUlT_E_NS1_11comp_targetILNS1_3genE9ELNS1_11target_archE1100ELNS1_3gpuE3ELNS1_3repE0EEENS1_30default_config_static_selectorELNS0_4arch9wavefront6targetE1EEEvS12_
	.p2align	8
	.type	_ZN7rocprim17ROCPRIM_400000_NS6detail17trampoline_kernelINS0_14default_configENS1_27lower_bound_config_selectorIilEEZNS1_14transform_implILb0ES3_S5_N6thrust23THRUST_200600_302600_NS6detail15normal_iteratorINS8_7pointerIiNS9_22execute_with_allocatorINS8_16device_allocatorIcEENS8_11hip_rocprim22execute_on_stream_baseEEENS8_11use_defaultESI_EEEENSA_INSB_IlSH_SI_SI_EEEEZNS1_13binary_searchIS3_S5_NSA_INS8_10device_ptrIiEEEESK_SM_NS1_21lower_bound_search_opENS9_16wrapped_functionINS8_6system6detail7generic6detail18binary_search_lessEbEEEE10hipError_tPvRmT1_T2_T3_mmT4_T5_P12ihipStream_tbEUlRKiE_EESZ_S13_S14_mS15_S18_bEUlT_E_NS1_11comp_targetILNS1_3genE9ELNS1_11target_archE1100ELNS1_3gpuE3ELNS1_3repE0EEENS1_30default_config_static_selectorELNS0_4arch9wavefront6targetE1EEEvS12_,@function
_ZN7rocprim17ROCPRIM_400000_NS6detail17trampoline_kernelINS0_14default_configENS1_27lower_bound_config_selectorIilEEZNS1_14transform_implILb0ES3_S5_N6thrust23THRUST_200600_302600_NS6detail15normal_iteratorINS8_7pointerIiNS9_22execute_with_allocatorINS8_16device_allocatorIcEENS8_11hip_rocprim22execute_on_stream_baseEEENS8_11use_defaultESI_EEEENSA_INSB_IlSH_SI_SI_EEEEZNS1_13binary_searchIS3_S5_NSA_INS8_10device_ptrIiEEEESK_SM_NS1_21lower_bound_search_opENS9_16wrapped_functionINS8_6system6detail7generic6detail18binary_search_lessEbEEEE10hipError_tPvRmT1_T2_T3_mmT4_T5_P12ihipStream_tbEUlRKiE_EESZ_S13_S14_mS15_S18_bEUlT_E_NS1_11comp_targetILNS1_3genE9ELNS1_11target_archE1100ELNS1_3gpuE3ELNS1_3repE0EEENS1_30default_config_static_selectorELNS0_4arch9wavefront6targetE1EEEvS12_: ; @_ZN7rocprim17ROCPRIM_400000_NS6detail17trampoline_kernelINS0_14default_configENS1_27lower_bound_config_selectorIilEEZNS1_14transform_implILb0ES3_S5_N6thrust23THRUST_200600_302600_NS6detail15normal_iteratorINS8_7pointerIiNS9_22execute_with_allocatorINS8_16device_allocatorIcEENS8_11hip_rocprim22execute_on_stream_baseEEENS8_11use_defaultESI_EEEENSA_INSB_IlSH_SI_SI_EEEEZNS1_13binary_searchIS3_S5_NSA_INS8_10device_ptrIiEEEESK_SM_NS1_21lower_bound_search_opENS9_16wrapped_functionINS8_6system6detail7generic6detail18binary_search_lessEbEEEE10hipError_tPvRmT1_T2_T3_mmT4_T5_P12ihipStream_tbEUlRKiE_EESZ_S13_S14_mS15_S18_bEUlT_E_NS1_11comp_targetILNS1_3genE9ELNS1_11target_archE1100ELNS1_3gpuE3ELNS1_3repE0EEENS1_30default_config_static_selectorELNS0_4arch9wavefront6targetE1EEEvS12_
; %bb.0:
	.section	.rodata,"a",@progbits
	.p2align	6, 0x0
	.amdhsa_kernel _ZN7rocprim17ROCPRIM_400000_NS6detail17trampoline_kernelINS0_14default_configENS1_27lower_bound_config_selectorIilEEZNS1_14transform_implILb0ES3_S5_N6thrust23THRUST_200600_302600_NS6detail15normal_iteratorINS8_7pointerIiNS9_22execute_with_allocatorINS8_16device_allocatorIcEENS8_11hip_rocprim22execute_on_stream_baseEEENS8_11use_defaultESI_EEEENSA_INSB_IlSH_SI_SI_EEEEZNS1_13binary_searchIS3_S5_NSA_INS8_10device_ptrIiEEEESK_SM_NS1_21lower_bound_search_opENS9_16wrapped_functionINS8_6system6detail7generic6detail18binary_search_lessEbEEEE10hipError_tPvRmT1_T2_T3_mmT4_T5_P12ihipStream_tbEUlRKiE_EESZ_S13_S14_mS15_S18_bEUlT_E_NS1_11comp_targetILNS1_3genE9ELNS1_11target_archE1100ELNS1_3gpuE3ELNS1_3repE0EEENS1_30default_config_static_selectorELNS0_4arch9wavefront6targetE1EEEvS12_
		.amdhsa_group_segment_fixed_size 0
		.amdhsa_private_segment_fixed_size 0
		.amdhsa_kernarg_size 56
		.amdhsa_user_sgpr_count 6
		.amdhsa_user_sgpr_private_segment_buffer 1
		.amdhsa_user_sgpr_dispatch_ptr 0
		.amdhsa_user_sgpr_queue_ptr 0
		.amdhsa_user_sgpr_kernarg_segment_ptr 1
		.amdhsa_user_sgpr_dispatch_id 0
		.amdhsa_user_sgpr_flat_scratch_init 0
		.amdhsa_user_sgpr_private_segment_size 0
		.amdhsa_uses_dynamic_stack 0
		.amdhsa_system_sgpr_private_segment_wavefront_offset 0
		.amdhsa_system_sgpr_workgroup_id_x 1
		.amdhsa_system_sgpr_workgroup_id_y 0
		.amdhsa_system_sgpr_workgroup_id_z 0
		.amdhsa_system_sgpr_workgroup_info 0
		.amdhsa_system_vgpr_workitem_id 0
		.amdhsa_next_free_vgpr 1
		.amdhsa_next_free_sgpr 0
		.amdhsa_reserve_vcc 0
		.amdhsa_reserve_flat_scratch 0
		.amdhsa_float_round_mode_32 0
		.amdhsa_float_round_mode_16_64 0
		.amdhsa_float_denorm_mode_32 3
		.amdhsa_float_denorm_mode_16_64 3
		.amdhsa_dx10_clamp 1
		.amdhsa_ieee_mode 1
		.amdhsa_fp16_overflow 0
		.amdhsa_exception_fp_ieee_invalid_op 0
		.amdhsa_exception_fp_denorm_src 0
		.amdhsa_exception_fp_ieee_div_zero 0
		.amdhsa_exception_fp_ieee_overflow 0
		.amdhsa_exception_fp_ieee_underflow 0
		.amdhsa_exception_fp_ieee_inexact 0
		.amdhsa_exception_int_div_zero 0
	.end_amdhsa_kernel
	.section	.text._ZN7rocprim17ROCPRIM_400000_NS6detail17trampoline_kernelINS0_14default_configENS1_27lower_bound_config_selectorIilEEZNS1_14transform_implILb0ES3_S5_N6thrust23THRUST_200600_302600_NS6detail15normal_iteratorINS8_7pointerIiNS9_22execute_with_allocatorINS8_16device_allocatorIcEENS8_11hip_rocprim22execute_on_stream_baseEEENS8_11use_defaultESI_EEEENSA_INSB_IlSH_SI_SI_EEEEZNS1_13binary_searchIS3_S5_NSA_INS8_10device_ptrIiEEEESK_SM_NS1_21lower_bound_search_opENS9_16wrapped_functionINS8_6system6detail7generic6detail18binary_search_lessEbEEEE10hipError_tPvRmT1_T2_T3_mmT4_T5_P12ihipStream_tbEUlRKiE_EESZ_S13_S14_mS15_S18_bEUlT_E_NS1_11comp_targetILNS1_3genE9ELNS1_11target_archE1100ELNS1_3gpuE3ELNS1_3repE0EEENS1_30default_config_static_selectorELNS0_4arch9wavefront6targetE1EEEvS12_,"axG",@progbits,_ZN7rocprim17ROCPRIM_400000_NS6detail17trampoline_kernelINS0_14default_configENS1_27lower_bound_config_selectorIilEEZNS1_14transform_implILb0ES3_S5_N6thrust23THRUST_200600_302600_NS6detail15normal_iteratorINS8_7pointerIiNS9_22execute_with_allocatorINS8_16device_allocatorIcEENS8_11hip_rocprim22execute_on_stream_baseEEENS8_11use_defaultESI_EEEENSA_INSB_IlSH_SI_SI_EEEEZNS1_13binary_searchIS3_S5_NSA_INS8_10device_ptrIiEEEESK_SM_NS1_21lower_bound_search_opENS9_16wrapped_functionINS8_6system6detail7generic6detail18binary_search_lessEbEEEE10hipError_tPvRmT1_T2_T3_mmT4_T5_P12ihipStream_tbEUlRKiE_EESZ_S13_S14_mS15_S18_bEUlT_E_NS1_11comp_targetILNS1_3genE9ELNS1_11target_archE1100ELNS1_3gpuE3ELNS1_3repE0EEENS1_30default_config_static_selectorELNS0_4arch9wavefront6targetE1EEEvS12_,comdat
.Lfunc_end777:
	.size	_ZN7rocprim17ROCPRIM_400000_NS6detail17trampoline_kernelINS0_14default_configENS1_27lower_bound_config_selectorIilEEZNS1_14transform_implILb0ES3_S5_N6thrust23THRUST_200600_302600_NS6detail15normal_iteratorINS8_7pointerIiNS9_22execute_with_allocatorINS8_16device_allocatorIcEENS8_11hip_rocprim22execute_on_stream_baseEEENS8_11use_defaultESI_EEEENSA_INSB_IlSH_SI_SI_EEEEZNS1_13binary_searchIS3_S5_NSA_INS8_10device_ptrIiEEEESK_SM_NS1_21lower_bound_search_opENS9_16wrapped_functionINS8_6system6detail7generic6detail18binary_search_lessEbEEEE10hipError_tPvRmT1_T2_T3_mmT4_T5_P12ihipStream_tbEUlRKiE_EESZ_S13_S14_mS15_S18_bEUlT_E_NS1_11comp_targetILNS1_3genE9ELNS1_11target_archE1100ELNS1_3gpuE3ELNS1_3repE0EEENS1_30default_config_static_selectorELNS0_4arch9wavefront6targetE1EEEvS12_, .Lfunc_end777-_ZN7rocprim17ROCPRIM_400000_NS6detail17trampoline_kernelINS0_14default_configENS1_27lower_bound_config_selectorIilEEZNS1_14transform_implILb0ES3_S5_N6thrust23THRUST_200600_302600_NS6detail15normal_iteratorINS8_7pointerIiNS9_22execute_with_allocatorINS8_16device_allocatorIcEENS8_11hip_rocprim22execute_on_stream_baseEEENS8_11use_defaultESI_EEEENSA_INSB_IlSH_SI_SI_EEEEZNS1_13binary_searchIS3_S5_NSA_INS8_10device_ptrIiEEEESK_SM_NS1_21lower_bound_search_opENS9_16wrapped_functionINS8_6system6detail7generic6detail18binary_search_lessEbEEEE10hipError_tPvRmT1_T2_T3_mmT4_T5_P12ihipStream_tbEUlRKiE_EESZ_S13_S14_mS15_S18_bEUlT_E_NS1_11comp_targetILNS1_3genE9ELNS1_11target_archE1100ELNS1_3gpuE3ELNS1_3repE0EEENS1_30default_config_static_selectorELNS0_4arch9wavefront6targetE1EEEvS12_
                                        ; -- End function
	.set _ZN7rocprim17ROCPRIM_400000_NS6detail17trampoline_kernelINS0_14default_configENS1_27lower_bound_config_selectorIilEEZNS1_14transform_implILb0ES3_S5_N6thrust23THRUST_200600_302600_NS6detail15normal_iteratorINS8_7pointerIiNS9_22execute_with_allocatorINS8_16device_allocatorIcEENS8_11hip_rocprim22execute_on_stream_baseEEENS8_11use_defaultESI_EEEENSA_INSB_IlSH_SI_SI_EEEEZNS1_13binary_searchIS3_S5_NSA_INS8_10device_ptrIiEEEESK_SM_NS1_21lower_bound_search_opENS9_16wrapped_functionINS8_6system6detail7generic6detail18binary_search_lessEbEEEE10hipError_tPvRmT1_T2_T3_mmT4_T5_P12ihipStream_tbEUlRKiE_EESZ_S13_S14_mS15_S18_bEUlT_E_NS1_11comp_targetILNS1_3genE9ELNS1_11target_archE1100ELNS1_3gpuE3ELNS1_3repE0EEENS1_30default_config_static_selectorELNS0_4arch9wavefront6targetE1EEEvS12_.num_vgpr, 0
	.set _ZN7rocprim17ROCPRIM_400000_NS6detail17trampoline_kernelINS0_14default_configENS1_27lower_bound_config_selectorIilEEZNS1_14transform_implILb0ES3_S5_N6thrust23THRUST_200600_302600_NS6detail15normal_iteratorINS8_7pointerIiNS9_22execute_with_allocatorINS8_16device_allocatorIcEENS8_11hip_rocprim22execute_on_stream_baseEEENS8_11use_defaultESI_EEEENSA_INSB_IlSH_SI_SI_EEEEZNS1_13binary_searchIS3_S5_NSA_INS8_10device_ptrIiEEEESK_SM_NS1_21lower_bound_search_opENS9_16wrapped_functionINS8_6system6detail7generic6detail18binary_search_lessEbEEEE10hipError_tPvRmT1_T2_T3_mmT4_T5_P12ihipStream_tbEUlRKiE_EESZ_S13_S14_mS15_S18_bEUlT_E_NS1_11comp_targetILNS1_3genE9ELNS1_11target_archE1100ELNS1_3gpuE3ELNS1_3repE0EEENS1_30default_config_static_selectorELNS0_4arch9wavefront6targetE1EEEvS12_.num_agpr, 0
	.set _ZN7rocprim17ROCPRIM_400000_NS6detail17trampoline_kernelINS0_14default_configENS1_27lower_bound_config_selectorIilEEZNS1_14transform_implILb0ES3_S5_N6thrust23THRUST_200600_302600_NS6detail15normal_iteratorINS8_7pointerIiNS9_22execute_with_allocatorINS8_16device_allocatorIcEENS8_11hip_rocprim22execute_on_stream_baseEEENS8_11use_defaultESI_EEEENSA_INSB_IlSH_SI_SI_EEEEZNS1_13binary_searchIS3_S5_NSA_INS8_10device_ptrIiEEEESK_SM_NS1_21lower_bound_search_opENS9_16wrapped_functionINS8_6system6detail7generic6detail18binary_search_lessEbEEEE10hipError_tPvRmT1_T2_T3_mmT4_T5_P12ihipStream_tbEUlRKiE_EESZ_S13_S14_mS15_S18_bEUlT_E_NS1_11comp_targetILNS1_3genE9ELNS1_11target_archE1100ELNS1_3gpuE3ELNS1_3repE0EEENS1_30default_config_static_selectorELNS0_4arch9wavefront6targetE1EEEvS12_.numbered_sgpr, 0
	.set _ZN7rocprim17ROCPRIM_400000_NS6detail17trampoline_kernelINS0_14default_configENS1_27lower_bound_config_selectorIilEEZNS1_14transform_implILb0ES3_S5_N6thrust23THRUST_200600_302600_NS6detail15normal_iteratorINS8_7pointerIiNS9_22execute_with_allocatorINS8_16device_allocatorIcEENS8_11hip_rocprim22execute_on_stream_baseEEENS8_11use_defaultESI_EEEENSA_INSB_IlSH_SI_SI_EEEEZNS1_13binary_searchIS3_S5_NSA_INS8_10device_ptrIiEEEESK_SM_NS1_21lower_bound_search_opENS9_16wrapped_functionINS8_6system6detail7generic6detail18binary_search_lessEbEEEE10hipError_tPvRmT1_T2_T3_mmT4_T5_P12ihipStream_tbEUlRKiE_EESZ_S13_S14_mS15_S18_bEUlT_E_NS1_11comp_targetILNS1_3genE9ELNS1_11target_archE1100ELNS1_3gpuE3ELNS1_3repE0EEENS1_30default_config_static_selectorELNS0_4arch9wavefront6targetE1EEEvS12_.num_named_barrier, 0
	.set _ZN7rocprim17ROCPRIM_400000_NS6detail17trampoline_kernelINS0_14default_configENS1_27lower_bound_config_selectorIilEEZNS1_14transform_implILb0ES3_S5_N6thrust23THRUST_200600_302600_NS6detail15normal_iteratorINS8_7pointerIiNS9_22execute_with_allocatorINS8_16device_allocatorIcEENS8_11hip_rocprim22execute_on_stream_baseEEENS8_11use_defaultESI_EEEENSA_INSB_IlSH_SI_SI_EEEEZNS1_13binary_searchIS3_S5_NSA_INS8_10device_ptrIiEEEESK_SM_NS1_21lower_bound_search_opENS9_16wrapped_functionINS8_6system6detail7generic6detail18binary_search_lessEbEEEE10hipError_tPvRmT1_T2_T3_mmT4_T5_P12ihipStream_tbEUlRKiE_EESZ_S13_S14_mS15_S18_bEUlT_E_NS1_11comp_targetILNS1_3genE9ELNS1_11target_archE1100ELNS1_3gpuE3ELNS1_3repE0EEENS1_30default_config_static_selectorELNS0_4arch9wavefront6targetE1EEEvS12_.private_seg_size, 0
	.set _ZN7rocprim17ROCPRIM_400000_NS6detail17trampoline_kernelINS0_14default_configENS1_27lower_bound_config_selectorIilEEZNS1_14transform_implILb0ES3_S5_N6thrust23THRUST_200600_302600_NS6detail15normal_iteratorINS8_7pointerIiNS9_22execute_with_allocatorINS8_16device_allocatorIcEENS8_11hip_rocprim22execute_on_stream_baseEEENS8_11use_defaultESI_EEEENSA_INSB_IlSH_SI_SI_EEEEZNS1_13binary_searchIS3_S5_NSA_INS8_10device_ptrIiEEEESK_SM_NS1_21lower_bound_search_opENS9_16wrapped_functionINS8_6system6detail7generic6detail18binary_search_lessEbEEEE10hipError_tPvRmT1_T2_T3_mmT4_T5_P12ihipStream_tbEUlRKiE_EESZ_S13_S14_mS15_S18_bEUlT_E_NS1_11comp_targetILNS1_3genE9ELNS1_11target_archE1100ELNS1_3gpuE3ELNS1_3repE0EEENS1_30default_config_static_selectorELNS0_4arch9wavefront6targetE1EEEvS12_.uses_vcc, 0
	.set _ZN7rocprim17ROCPRIM_400000_NS6detail17trampoline_kernelINS0_14default_configENS1_27lower_bound_config_selectorIilEEZNS1_14transform_implILb0ES3_S5_N6thrust23THRUST_200600_302600_NS6detail15normal_iteratorINS8_7pointerIiNS9_22execute_with_allocatorINS8_16device_allocatorIcEENS8_11hip_rocprim22execute_on_stream_baseEEENS8_11use_defaultESI_EEEENSA_INSB_IlSH_SI_SI_EEEEZNS1_13binary_searchIS3_S5_NSA_INS8_10device_ptrIiEEEESK_SM_NS1_21lower_bound_search_opENS9_16wrapped_functionINS8_6system6detail7generic6detail18binary_search_lessEbEEEE10hipError_tPvRmT1_T2_T3_mmT4_T5_P12ihipStream_tbEUlRKiE_EESZ_S13_S14_mS15_S18_bEUlT_E_NS1_11comp_targetILNS1_3genE9ELNS1_11target_archE1100ELNS1_3gpuE3ELNS1_3repE0EEENS1_30default_config_static_selectorELNS0_4arch9wavefront6targetE1EEEvS12_.uses_flat_scratch, 0
	.set _ZN7rocprim17ROCPRIM_400000_NS6detail17trampoline_kernelINS0_14default_configENS1_27lower_bound_config_selectorIilEEZNS1_14transform_implILb0ES3_S5_N6thrust23THRUST_200600_302600_NS6detail15normal_iteratorINS8_7pointerIiNS9_22execute_with_allocatorINS8_16device_allocatorIcEENS8_11hip_rocprim22execute_on_stream_baseEEENS8_11use_defaultESI_EEEENSA_INSB_IlSH_SI_SI_EEEEZNS1_13binary_searchIS3_S5_NSA_INS8_10device_ptrIiEEEESK_SM_NS1_21lower_bound_search_opENS9_16wrapped_functionINS8_6system6detail7generic6detail18binary_search_lessEbEEEE10hipError_tPvRmT1_T2_T3_mmT4_T5_P12ihipStream_tbEUlRKiE_EESZ_S13_S14_mS15_S18_bEUlT_E_NS1_11comp_targetILNS1_3genE9ELNS1_11target_archE1100ELNS1_3gpuE3ELNS1_3repE0EEENS1_30default_config_static_selectorELNS0_4arch9wavefront6targetE1EEEvS12_.has_dyn_sized_stack, 0
	.set _ZN7rocprim17ROCPRIM_400000_NS6detail17trampoline_kernelINS0_14default_configENS1_27lower_bound_config_selectorIilEEZNS1_14transform_implILb0ES3_S5_N6thrust23THRUST_200600_302600_NS6detail15normal_iteratorINS8_7pointerIiNS9_22execute_with_allocatorINS8_16device_allocatorIcEENS8_11hip_rocprim22execute_on_stream_baseEEENS8_11use_defaultESI_EEEENSA_INSB_IlSH_SI_SI_EEEEZNS1_13binary_searchIS3_S5_NSA_INS8_10device_ptrIiEEEESK_SM_NS1_21lower_bound_search_opENS9_16wrapped_functionINS8_6system6detail7generic6detail18binary_search_lessEbEEEE10hipError_tPvRmT1_T2_T3_mmT4_T5_P12ihipStream_tbEUlRKiE_EESZ_S13_S14_mS15_S18_bEUlT_E_NS1_11comp_targetILNS1_3genE9ELNS1_11target_archE1100ELNS1_3gpuE3ELNS1_3repE0EEENS1_30default_config_static_selectorELNS0_4arch9wavefront6targetE1EEEvS12_.has_recursion, 0
	.set _ZN7rocprim17ROCPRIM_400000_NS6detail17trampoline_kernelINS0_14default_configENS1_27lower_bound_config_selectorIilEEZNS1_14transform_implILb0ES3_S5_N6thrust23THRUST_200600_302600_NS6detail15normal_iteratorINS8_7pointerIiNS9_22execute_with_allocatorINS8_16device_allocatorIcEENS8_11hip_rocprim22execute_on_stream_baseEEENS8_11use_defaultESI_EEEENSA_INSB_IlSH_SI_SI_EEEEZNS1_13binary_searchIS3_S5_NSA_INS8_10device_ptrIiEEEESK_SM_NS1_21lower_bound_search_opENS9_16wrapped_functionINS8_6system6detail7generic6detail18binary_search_lessEbEEEE10hipError_tPvRmT1_T2_T3_mmT4_T5_P12ihipStream_tbEUlRKiE_EESZ_S13_S14_mS15_S18_bEUlT_E_NS1_11comp_targetILNS1_3genE9ELNS1_11target_archE1100ELNS1_3gpuE3ELNS1_3repE0EEENS1_30default_config_static_selectorELNS0_4arch9wavefront6targetE1EEEvS12_.has_indirect_call, 0
	.section	.AMDGPU.csdata,"",@progbits
; Kernel info:
; codeLenInByte = 0
; TotalNumSgprs: 4
; NumVgprs: 0
; ScratchSize: 0
; MemoryBound: 0
; FloatMode: 240
; IeeeMode: 1
; LDSByteSize: 0 bytes/workgroup (compile time only)
; SGPRBlocks: 0
; VGPRBlocks: 0
; NumSGPRsForWavesPerEU: 4
; NumVGPRsForWavesPerEU: 1
; Occupancy: 10
; WaveLimiterHint : 0
; COMPUTE_PGM_RSRC2:SCRATCH_EN: 0
; COMPUTE_PGM_RSRC2:USER_SGPR: 6
; COMPUTE_PGM_RSRC2:TRAP_HANDLER: 0
; COMPUTE_PGM_RSRC2:TGID_X_EN: 1
; COMPUTE_PGM_RSRC2:TGID_Y_EN: 0
; COMPUTE_PGM_RSRC2:TGID_Z_EN: 0
; COMPUTE_PGM_RSRC2:TIDIG_COMP_CNT: 0
	.section	.text._ZN7rocprim17ROCPRIM_400000_NS6detail17trampoline_kernelINS0_14default_configENS1_27lower_bound_config_selectorIilEEZNS1_14transform_implILb0ES3_S5_N6thrust23THRUST_200600_302600_NS6detail15normal_iteratorINS8_7pointerIiNS9_22execute_with_allocatorINS8_16device_allocatorIcEENS8_11hip_rocprim22execute_on_stream_baseEEENS8_11use_defaultESI_EEEENSA_INSB_IlSH_SI_SI_EEEEZNS1_13binary_searchIS3_S5_NSA_INS8_10device_ptrIiEEEESK_SM_NS1_21lower_bound_search_opENS9_16wrapped_functionINS8_6system6detail7generic6detail18binary_search_lessEbEEEE10hipError_tPvRmT1_T2_T3_mmT4_T5_P12ihipStream_tbEUlRKiE_EESZ_S13_S14_mS15_S18_bEUlT_E_NS1_11comp_targetILNS1_3genE8ELNS1_11target_archE1030ELNS1_3gpuE2ELNS1_3repE0EEENS1_30default_config_static_selectorELNS0_4arch9wavefront6targetE1EEEvS12_,"axG",@progbits,_ZN7rocprim17ROCPRIM_400000_NS6detail17trampoline_kernelINS0_14default_configENS1_27lower_bound_config_selectorIilEEZNS1_14transform_implILb0ES3_S5_N6thrust23THRUST_200600_302600_NS6detail15normal_iteratorINS8_7pointerIiNS9_22execute_with_allocatorINS8_16device_allocatorIcEENS8_11hip_rocprim22execute_on_stream_baseEEENS8_11use_defaultESI_EEEENSA_INSB_IlSH_SI_SI_EEEEZNS1_13binary_searchIS3_S5_NSA_INS8_10device_ptrIiEEEESK_SM_NS1_21lower_bound_search_opENS9_16wrapped_functionINS8_6system6detail7generic6detail18binary_search_lessEbEEEE10hipError_tPvRmT1_T2_T3_mmT4_T5_P12ihipStream_tbEUlRKiE_EESZ_S13_S14_mS15_S18_bEUlT_E_NS1_11comp_targetILNS1_3genE8ELNS1_11target_archE1030ELNS1_3gpuE2ELNS1_3repE0EEENS1_30default_config_static_selectorELNS0_4arch9wavefront6targetE1EEEvS12_,comdat
	.protected	_ZN7rocprim17ROCPRIM_400000_NS6detail17trampoline_kernelINS0_14default_configENS1_27lower_bound_config_selectorIilEEZNS1_14transform_implILb0ES3_S5_N6thrust23THRUST_200600_302600_NS6detail15normal_iteratorINS8_7pointerIiNS9_22execute_with_allocatorINS8_16device_allocatorIcEENS8_11hip_rocprim22execute_on_stream_baseEEENS8_11use_defaultESI_EEEENSA_INSB_IlSH_SI_SI_EEEEZNS1_13binary_searchIS3_S5_NSA_INS8_10device_ptrIiEEEESK_SM_NS1_21lower_bound_search_opENS9_16wrapped_functionINS8_6system6detail7generic6detail18binary_search_lessEbEEEE10hipError_tPvRmT1_T2_T3_mmT4_T5_P12ihipStream_tbEUlRKiE_EESZ_S13_S14_mS15_S18_bEUlT_E_NS1_11comp_targetILNS1_3genE8ELNS1_11target_archE1030ELNS1_3gpuE2ELNS1_3repE0EEENS1_30default_config_static_selectorELNS0_4arch9wavefront6targetE1EEEvS12_ ; -- Begin function _ZN7rocprim17ROCPRIM_400000_NS6detail17trampoline_kernelINS0_14default_configENS1_27lower_bound_config_selectorIilEEZNS1_14transform_implILb0ES3_S5_N6thrust23THRUST_200600_302600_NS6detail15normal_iteratorINS8_7pointerIiNS9_22execute_with_allocatorINS8_16device_allocatorIcEENS8_11hip_rocprim22execute_on_stream_baseEEENS8_11use_defaultESI_EEEENSA_INSB_IlSH_SI_SI_EEEEZNS1_13binary_searchIS3_S5_NSA_INS8_10device_ptrIiEEEESK_SM_NS1_21lower_bound_search_opENS9_16wrapped_functionINS8_6system6detail7generic6detail18binary_search_lessEbEEEE10hipError_tPvRmT1_T2_T3_mmT4_T5_P12ihipStream_tbEUlRKiE_EESZ_S13_S14_mS15_S18_bEUlT_E_NS1_11comp_targetILNS1_3genE8ELNS1_11target_archE1030ELNS1_3gpuE2ELNS1_3repE0EEENS1_30default_config_static_selectorELNS0_4arch9wavefront6targetE1EEEvS12_
	.globl	_ZN7rocprim17ROCPRIM_400000_NS6detail17trampoline_kernelINS0_14default_configENS1_27lower_bound_config_selectorIilEEZNS1_14transform_implILb0ES3_S5_N6thrust23THRUST_200600_302600_NS6detail15normal_iteratorINS8_7pointerIiNS9_22execute_with_allocatorINS8_16device_allocatorIcEENS8_11hip_rocprim22execute_on_stream_baseEEENS8_11use_defaultESI_EEEENSA_INSB_IlSH_SI_SI_EEEEZNS1_13binary_searchIS3_S5_NSA_INS8_10device_ptrIiEEEESK_SM_NS1_21lower_bound_search_opENS9_16wrapped_functionINS8_6system6detail7generic6detail18binary_search_lessEbEEEE10hipError_tPvRmT1_T2_T3_mmT4_T5_P12ihipStream_tbEUlRKiE_EESZ_S13_S14_mS15_S18_bEUlT_E_NS1_11comp_targetILNS1_3genE8ELNS1_11target_archE1030ELNS1_3gpuE2ELNS1_3repE0EEENS1_30default_config_static_selectorELNS0_4arch9wavefront6targetE1EEEvS12_
	.p2align	8
	.type	_ZN7rocprim17ROCPRIM_400000_NS6detail17trampoline_kernelINS0_14default_configENS1_27lower_bound_config_selectorIilEEZNS1_14transform_implILb0ES3_S5_N6thrust23THRUST_200600_302600_NS6detail15normal_iteratorINS8_7pointerIiNS9_22execute_with_allocatorINS8_16device_allocatorIcEENS8_11hip_rocprim22execute_on_stream_baseEEENS8_11use_defaultESI_EEEENSA_INSB_IlSH_SI_SI_EEEEZNS1_13binary_searchIS3_S5_NSA_INS8_10device_ptrIiEEEESK_SM_NS1_21lower_bound_search_opENS9_16wrapped_functionINS8_6system6detail7generic6detail18binary_search_lessEbEEEE10hipError_tPvRmT1_T2_T3_mmT4_T5_P12ihipStream_tbEUlRKiE_EESZ_S13_S14_mS15_S18_bEUlT_E_NS1_11comp_targetILNS1_3genE8ELNS1_11target_archE1030ELNS1_3gpuE2ELNS1_3repE0EEENS1_30default_config_static_selectorELNS0_4arch9wavefront6targetE1EEEvS12_,@function
_ZN7rocprim17ROCPRIM_400000_NS6detail17trampoline_kernelINS0_14default_configENS1_27lower_bound_config_selectorIilEEZNS1_14transform_implILb0ES3_S5_N6thrust23THRUST_200600_302600_NS6detail15normal_iteratorINS8_7pointerIiNS9_22execute_with_allocatorINS8_16device_allocatorIcEENS8_11hip_rocprim22execute_on_stream_baseEEENS8_11use_defaultESI_EEEENSA_INSB_IlSH_SI_SI_EEEEZNS1_13binary_searchIS3_S5_NSA_INS8_10device_ptrIiEEEESK_SM_NS1_21lower_bound_search_opENS9_16wrapped_functionINS8_6system6detail7generic6detail18binary_search_lessEbEEEE10hipError_tPvRmT1_T2_T3_mmT4_T5_P12ihipStream_tbEUlRKiE_EESZ_S13_S14_mS15_S18_bEUlT_E_NS1_11comp_targetILNS1_3genE8ELNS1_11target_archE1030ELNS1_3gpuE2ELNS1_3repE0EEENS1_30default_config_static_selectorELNS0_4arch9wavefront6targetE1EEEvS12_: ; @_ZN7rocprim17ROCPRIM_400000_NS6detail17trampoline_kernelINS0_14default_configENS1_27lower_bound_config_selectorIilEEZNS1_14transform_implILb0ES3_S5_N6thrust23THRUST_200600_302600_NS6detail15normal_iteratorINS8_7pointerIiNS9_22execute_with_allocatorINS8_16device_allocatorIcEENS8_11hip_rocprim22execute_on_stream_baseEEENS8_11use_defaultESI_EEEENSA_INSB_IlSH_SI_SI_EEEEZNS1_13binary_searchIS3_S5_NSA_INS8_10device_ptrIiEEEESK_SM_NS1_21lower_bound_search_opENS9_16wrapped_functionINS8_6system6detail7generic6detail18binary_search_lessEbEEEE10hipError_tPvRmT1_T2_T3_mmT4_T5_P12ihipStream_tbEUlRKiE_EESZ_S13_S14_mS15_S18_bEUlT_E_NS1_11comp_targetILNS1_3genE8ELNS1_11target_archE1030ELNS1_3gpuE2ELNS1_3repE0EEENS1_30default_config_static_selectorELNS0_4arch9wavefront6targetE1EEEvS12_
; %bb.0:
	.section	.rodata,"a",@progbits
	.p2align	6, 0x0
	.amdhsa_kernel _ZN7rocprim17ROCPRIM_400000_NS6detail17trampoline_kernelINS0_14default_configENS1_27lower_bound_config_selectorIilEEZNS1_14transform_implILb0ES3_S5_N6thrust23THRUST_200600_302600_NS6detail15normal_iteratorINS8_7pointerIiNS9_22execute_with_allocatorINS8_16device_allocatorIcEENS8_11hip_rocprim22execute_on_stream_baseEEENS8_11use_defaultESI_EEEENSA_INSB_IlSH_SI_SI_EEEEZNS1_13binary_searchIS3_S5_NSA_INS8_10device_ptrIiEEEESK_SM_NS1_21lower_bound_search_opENS9_16wrapped_functionINS8_6system6detail7generic6detail18binary_search_lessEbEEEE10hipError_tPvRmT1_T2_T3_mmT4_T5_P12ihipStream_tbEUlRKiE_EESZ_S13_S14_mS15_S18_bEUlT_E_NS1_11comp_targetILNS1_3genE8ELNS1_11target_archE1030ELNS1_3gpuE2ELNS1_3repE0EEENS1_30default_config_static_selectorELNS0_4arch9wavefront6targetE1EEEvS12_
		.amdhsa_group_segment_fixed_size 0
		.amdhsa_private_segment_fixed_size 0
		.amdhsa_kernarg_size 56
		.amdhsa_user_sgpr_count 6
		.amdhsa_user_sgpr_private_segment_buffer 1
		.amdhsa_user_sgpr_dispatch_ptr 0
		.amdhsa_user_sgpr_queue_ptr 0
		.amdhsa_user_sgpr_kernarg_segment_ptr 1
		.amdhsa_user_sgpr_dispatch_id 0
		.amdhsa_user_sgpr_flat_scratch_init 0
		.amdhsa_user_sgpr_private_segment_size 0
		.amdhsa_uses_dynamic_stack 0
		.amdhsa_system_sgpr_private_segment_wavefront_offset 0
		.amdhsa_system_sgpr_workgroup_id_x 1
		.amdhsa_system_sgpr_workgroup_id_y 0
		.amdhsa_system_sgpr_workgroup_id_z 0
		.amdhsa_system_sgpr_workgroup_info 0
		.amdhsa_system_vgpr_workitem_id 0
		.amdhsa_next_free_vgpr 1
		.amdhsa_next_free_sgpr 0
		.amdhsa_reserve_vcc 0
		.amdhsa_reserve_flat_scratch 0
		.amdhsa_float_round_mode_32 0
		.amdhsa_float_round_mode_16_64 0
		.amdhsa_float_denorm_mode_32 3
		.amdhsa_float_denorm_mode_16_64 3
		.amdhsa_dx10_clamp 1
		.amdhsa_ieee_mode 1
		.amdhsa_fp16_overflow 0
		.amdhsa_exception_fp_ieee_invalid_op 0
		.amdhsa_exception_fp_denorm_src 0
		.amdhsa_exception_fp_ieee_div_zero 0
		.amdhsa_exception_fp_ieee_overflow 0
		.amdhsa_exception_fp_ieee_underflow 0
		.amdhsa_exception_fp_ieee_inexact 0
		.amdhsa_exception_int_div_zero 0
	.end_amdhsa_kernel
	.section	.text._ZN7rocprim17ROCPRIM_400000_NS6detail17trampoline_kernelINS0_14default_configENS1_27lower_bound_config_selectorIilEEZNS1_14transform_implILb0ES3_S5_N6thrust23THRUST_200600_302600_NS6detail15normal_iteratorINS8_7pointerIiNS9_22execute_with_allocatorINS8_16device_allocatorIcEENS8_11hip_rocprim22execute_on_stream_baseEEENS8_11use_defaultESI_EEEENSA_INSB_IlSH_SI_SI_EEEEZNS1_13binary_searchIS3_S5_NSA_INS8_10device_ptrIiEEEESK_SM_NS1_21lower_bound_search_opENS9_16wrapped_functionINS8_6system6detail7generic6detail18binary_search_lessEbEEEE10hipError_tPvRmT1_T2_T3_mmT4_T5_P12ihipStream_tbEUlRKiE_EESZ_S13_S14_mS15_S18_bEUlT_E_NS1_11comp_targetILNS1_3genE8ELNS1_11target_archE1030ELNS1_3gpuE2ELNS1_3repE0EEENS1_30default_config_static_selectorELNS0_4arch9wavefront6targetE1EEEvS12_,"axG",@progbits,_ZN7rocprim17ROCPRIM_400000_NS6detail17trampoline_kernelINS0_14default_configENS1_27lower_bound_config_selectorIilEEZNS1_14transform_implILb0ES3_S5_N6thrust23THRUST_200600_302600_NS6detail15normal_iteratorINS8_7pointerIiNS9_22execute_with_allocatorINS8_16device_allocatorIcEENS8_11hip_rocprim22execute_on_stream_baseEEENS8_11use_defaultESI_EEEENSA_INSB_IlSH_SI_SI_EEEEZNS1_13binary_searchIS3_S5_NSA_INS8_10device_ptrIiEEEESK_SM_NS1_21lower_bound_search_opENS9_16wrapped_functionINS8_6system6detail7generic6detail18binary_search_lessEbEEEE10hipError_tPvRmT1_T2_T3_mmT4_T5_P12ihipStream_tbEUlRKiE_EESZ_S13_S14_mS15_S18_bEUlT_E_NS1_11comp_targetILNS1_3genE8ELNS1_11target_archE1030ELNS1_3gpuE2ELNS1_3repE0EEENS1_30default_config_static_selectorELNS0_4arch9wavefront6targetE1EEEvS12_,comdat
.Lfunc_end778:
	.size	_ZN7rocprim17ROCPRIM_400000_NS6detail17trampoline_kernelINS0_14default_configENS1_27lower_bound_config_selectorIilEEZNS1_14transform_implILb0ES3_S5_N6thrust23THRUST_200600_302600_NS6detail15normal_iteratorINS8_7pointerIiNS9_22execute_with_allocatorINS8_16device_allocatorIcEENS8_11hip_rocprim22execute_on_stream_baseEEENS8_11use_defaultESI_EEEENSA_INSB_IlSH_SI_SI_EEEEZNS1_13binary_searchIS3_S5_NSA_INS8_10device_ptrIiEEEESK_SM_NS1_21lower_bound_search_opENS9_16wrapped_functionINS8_6system6detail7generic6detail18binary_search_lessEbEEEE10hipError_tPvRmT1_T2_T3_mmT4_T5_P12ihipStream_tbEUlRKiE_EESZ_S13_S14_mS15_S18_bEUlT_E_NS1_11comp_targetILNS1_3genE8ELNS1_11target_archE1030ELNS1_3gpuE2ELNS1_3repE0EEENS1_30default_config_static_selectorELNS0_4arch9wavefront6targetE1EEEvS12_, .Lfunc_end778-_ZN7rocprim17ROCPRIM_400000_NS6detail17trampoline_kernelINS0_14default_configENS1_27lower_bound_config_selectorIilEEZNS1_14transform_implILb0ES3_S5_N6thrust23THRUST_200600_302600_NS6detail15normal_iteratorINS8_7pointerIiNS9_22execute_with_allocatorINS8_16device_allocatorIcEENS8_11hip_rocprim22execute_on_stream_baseEEENS8_11use_defaultESI_EEEENSA_INSB_IlSH_SI_SI_EEEEZNS1_13binary_searchIS3_S5_NSA_INS8_10device_ptrIiEEEESK_SM_NS1_21lower_bound_search_opENS9_16wrapped_functionINS8_6system6detail7generic6detail18binary_search_lessEbEEEE10hipError_tPvRmT1_T2_T3_mmT4_T5_P12ihipStream_tbEUlRKiE_EESZ_S13_S14_mS15_S18_bEUlT_E_NS1_11comp_targetILNS1_3genE8ELNS1_11target_archE1030ELNS1_3gpuE2ELNS1_3repE0EEENS1_30default_config_static_selectorELNS0_4arch9wavefront6targetE1EEEvS12_
                                        ; -- End function
	.set _ZN7rocprim17ROCPRIM_400000_NS6detail17trampoline_kernelINS0_14default_configENS1_27lower_bound_config_selectorIilEEZNS1_14transform_implILb0ES3_S5_N6thrust23THRUST_200600_302600_NS6detail15normal_iteratorINS8_7pointerIiNS9_22execute_with_allocatorINS8_16device_allocatorIcEENS8_11hip_rocprim22execute_on_stream_baseEEENS8_11use_defaultESI_EEEENSA_INSB_IlSH_SI_SI_EEEEZNS1_13binary_searchIS3_S5_NSA_INS8_10device_ptrIiEEEESK_SM_NS1_21lower_bound_search_opENS9_16wrapped_functionINS8_6system6detail7generic6detail18binary_search_lessEbEEEE10hipError_tPvRmT1_T2_T3_mmT4_T5_P12ihipStream_tbEUlRKiE_EESZ_S13_S14_mS15_S18_bEUlT_E_NS1_11comp_targetILNS1_3genE8ELNS1_11target_archE1030ELNS1_3gpuE2ELNS1_3repE0EEENS1_30default_config_static_selectorELNS0_4arch9wavefront6targetE1EEEvS12_.num_vgpr, 0
	.set _ZN7rocprim17ROCPRIM_400000_NS6detail17trampoline_kernelINS0_14default_configENS1_27lower_bound_config_selectorIilEEZNS1_14transform_implILb0ES3_S5_N6thrust23THRUST_200600_302600_NS6detail15normal_iteratorINS8_7pointerIiNS9_22execute_with_allocatorINS8_16device_allocatorIcEENS8_11hip_rocprim22execute_on_stream_baseEEENS8_11use_defaultESI_EEEENSA_INSB_IlSH_SI_SI_EEEEZNS1_13binary_searchIS3_S5_NSA_INS8_10device_ptrIiEEEESK_SM_NS1_21lower_bound_search_opENS9_16wrapped_functionINS8_6system6detail7generic6detail18binary_search_lessEbEEEE10hipError_tPvRmT1_T2_T3_mmT4_T5_P12ihipStream_tbEUlRKiE_EESZ_S13_S14_mS15_S18_bEUlT_E_NS1_11comp_targetILNS1_3genE8ELNS1_11target_archE1030ELNS1_3gpuE2ELNS1_3repE0EEENS1_30default_config_static_selectorELNS0_4arch9wavefront6targetE1EEEvS12_.num_agpr, 0
	.set _ZN7rocprim17ROCPRIM_400000_NS6detail17trampoline_kernelINS0_14default_configENS1_27lower_bound_config_selectorIilEEZNS1_14transform_implILb0ES3_S5_N6thrust23THRUST_200600_302600_NS6detail15normal_iteratorINS8_7pointerIiNS9_22execute_with_allocatorINS8_16device_allocatorIcEENS8_11hip_rocprim22execute_on_stream_baseEEENS8_11use_defaultESI_EEEENSA_INSB_IlSH_SI_SI_EEEEZNS1_13binary_searchIS3_S5_NSA_INS8_10device_ptrIiEEEESK_SM_NS1_21lower_bound_search_opENS9_16wrapped_functionINS8_6system6detail7generic6detail18binary_search_lessEbEEEE10hipError_tPvRmT1_T2_T3_mmT4_T5_P12ihipStream_tbEUlRKiE_EESZ_S13_S14_mS15_S18_bEUlT_E_NS1_11comp_targetILNS1_3genE8ELNS1_11target_archE1030ELNS1_3gpuE2ELNS1_3repE0EEENS1_30default_config_static_selectorELNS0_4arch9wavefront6targetE1EEEvS12_.numbered_sgpr, 0
	.set _ZN7rocprim17ROCPRIM_400000_NS6detail17trampoline_kernelINS0_14default_configENS1_27lower_bound_config_selectorIilEEZNS1_14transform_implILb0ES3_S5_N6thrust23THRUST_200600_302600_NS6detail15normal_iteratorINS8_7pointerIiNS9_22execute_with_allocatorINS8_16device_allocatorIcEENS8_11hip_rocprim22execute_on_stream_baseEEENS8_11use_defaultESI_EEEENSA_INSB_IlSH_SI_SI_EEEEZNS1_13binary_searchIS3_S5_NSA_INS8_10device_ptrIiEEEESK_SM_NS1_21lower_bound_search_opENS9_16wrapped_functionINS8_6system6detail7generic6detail18binary_search_lessEbEEEE10hipError_tPvRmT1_T2_T3_mmT4_T5_P12ihipStream_tbEUlRKiE_EESZ_S13_S14_mS15_S18_bEUlT_E_NS1_11comp_targetILNS1_3genE8ELNS1_11target_archE1030ELNS1_3gpuE2ELNS1_3repE0EEENS1_30default_config_static_selectorELNS0_4arch9wavefront6targetE1EEEvS12_.num_named_barrier, 0
	.set _ZN7rocprim17ROCPRIM_400000_NS6detail17trampoline_kernelINS0_14default_configENS1_27lower_bound_config_selectorIilEEZNS1_14transform_implILb0ES3_S5_N6thrust23THRUST_200600_302600_NS6detail15normal_iteratorINS8_7pointerIiNS9_22execute_with_allocatorINS8_16device_allocatorIcEENS8_11hip_rocprim22execute_on_stream_baseEEENS8_11use_defaultESI_EEEENSA_INSB_IlSH_SI_SI_EEEEZNS1_13binary_searchIS3_S5_NSA_INS8_10device_ptrIiEEEESK_SM_NS1_21lower_bound_search_opENS9_16wrapped_functionINS8_6system6detail7generic6detail18binary_search_lessEbEEEE10hipError_tPvRmT1_T2_T3_mmT4_T5_P12ihipStream_tbEUlRKiE_EESZ_S13_S14_mS15_S18_bEUlT_E_NS1_11comp_targetILNS1_3genE8ELNS1_11target_archE1030ELNS1_3gpuE2ELNS1_3repE0EEENS1_30default_config_static_selectorELNS0_4arch9wavefront6targetE1EEEvS12_.private_seg_size, 0
	.set _ZN7rocprim17ROCPRIM_400000_NS6detail17trampoline_kernelINS0_14default_configENS1_27lower_bound_config_selectorIilEEZNS1_14transform_implILb0ES3_S5_N6thrust23THRUST_200600_302600_NS6detail15normal_iteratorINS8_7pointerIiNS9_22execute_with_allocatorINS8_16device_allocatorIcEENS8_11hip_rocprim22execute_on_stream_baseEEENS8_11use_defaultESI_EEEENSA_INSB_IlSH_SI_SI_EEEEZNS1_13binary_searchIS3_S5_NSA_INS8_10device_ptrIiEEEESK_SM_NS1_21lower_bound_search_opENS9_16wrapped_functionINS8_6system6detail7generic6detail18binary_search_lessEbEEEE10hipError_tPvRmT1_T2_T3_mmT4_T5_P12ihipStream_tbEUlRKiE_EESZ_S13_S14_mS15_S18_bEUlT_E_NS1_11comp_targetILNS1_3genE8ELNS1_11target_archE1030ELNS1_3gpuE2ELNS1_3repE0EEENS1_30default_config_static_selectorELNS0_4arch9wavefront6targetE1EEEvS12_.uses_vcc, 0
	.set _ZN7rocprim17ROCPRIM_400000_NS6detail17trampoline_kernelINS0_14default_configENS1_27lower_bound_config_selectorIilEEZNS1_14transform_implILb0ES3_S5_N6thrust23THRUST_200600_302600_NS6detail15normal_iteratorINS8_7pointerIiNS9_22execute_with_allocatorINS8_16device_allocatorIcEENS8_11hip_rocprim22execute_on_stream_baseEEENS8_11use_defaultESI_EEEENSA_INSB_IlSH_SI_SI_EEEEZNS1_13binary_searchIS3_S5_NSA_INS8_10device_ptrIiEEEESK_SM_NS1_21lower_bound_search_opENS9_16wrapped_functionINS8_6system6detail7generic6detail18binary_search_lessEbEEEE10hipError_tPvRmT1_T2_T3_mmT4_T5_P12ihipStream_tbEUlRKiE_EESZ_S13_S14_mS15_S18_bEUlT_E_NS1_11comp_targetILNS1_3genE8ELNS1_11target_archE1030ELNS1_3gpuE2ELNS1_3repE0EEENS1_30default_config_static_selectorELNS0_4arch9wavefront6targetE1EEEvS12_.uses_flat_scratch, 0
	.set _ZN7rocprim17ROCPRIM_400000_NS6detail17trampoline_kernelINS0_14default_configENS1_27lower_bound_config_selectorIilEEZNS1_14transform_implILb0ES3_S5_N6thrust23THRUST_200600_302600_NS6detail15normal_iteratorINS8_7pointerIiNS9_22execute_with_allocatorINS8_16device_allocatorIcEENS8_11hip_rocprim22execute_on_stream_baseEEENS8_11use_defaultESI_EEEENSA_INSB_IlSH_SI_SI_EEEEZNS1_13binary_searchIS3_S5_NSA_INS8_10device_ptrIiEEEESK_SM_NS1_21lower_bound_search_opENS9_16wrapped_functionINS8_6system6detail7generic6detail18binary_search_lessEbEEEE10hipError_tPvRmT1_T2_T3_mmT4_T5_P12ihipStream_tbEUlRKiE_EESZ_S13_S14_mS15_S18_bEUlT_E_NS1_11comp_targetILNS1_3genE8ELNS1_11target_archE1030ELNS1_3gpuE2ELNS1_3repE0EEENS1_30default_config_static_selectorELNS0_4arch9wavefront6targetE1EEEvS12_.has_dyn_sized_stack, 0
	.set _ZN7rocprim17ROCPRIM_400000_NS6detail17trampoline_kernelINS0_14default_configENS1_27lower_bound_config_selectorIilEEZNS1_14transform_implILb0ES3_S5_N6thrust23THRUST_200600_302600_NS6detail15normal_iteratorINS8_7pointerIiNS9_22execute_with_allocatorINS8_16device_allocatorIcEENS8_11hip_rocprim22execute_on_stream_baseEEENS8_11use_defaultESI_EEEENSA_INSB_IlSH_SI_SI_EEEEZNS1_13binary_searchIS3_S5_NSA_INS8_10device_ptrIiEEEESK_SM_NS1_21lower_bound_search_opENS9_16wrapped_functionINS8_6system6detail7generic6detail18binary_search_lessEbEEEE10hipError_tPvRmT1_T2_T3_mmT4_T5_P12ihipStream_tbEUlRKiE_EESZ_S13_S14_mS15_S18_bEUlT_E_NS1_11comp_targetILNS1_3genE8ELNS1_11target_archE1030ELNS1_3gpuE2ELNS1_3repE0EEENS1_30default_config_static_selectorELNS0_4arch9wavefront6targetE1EEEvS12_.has_recursion, 0
	.set _ZN7rocprim17ROCPRIM_400000_NS6detail17trampoline_kernelINS0_14default_configENS1_27lower_bound_config_selectorIilEEZNS1_14transform_implILb0ES3_S5_N6thrust23THRUST_200600_302600_NS6detail15normal_iteratorINS8_7pointerIiNS9_22execute_with_allocatorINS8_16device_allocatorIcEENS8_11hip_rocprim22execute_on_stream_baseEEENS8_11use_defaultESI_EEEENSA_INSB_IlSH_SI_SI_EEEEZNS1_13binary_searchIS3_S5_NSA_INS8_10device_ptrIiEEEESK_SM_NS1_21lower_bound_search_opENS9_16wrapped_functionINS8_6system6detail7generic6detail18binary_search_lessEbEEEE10hipError_tPvRmT1_T2_T3_mmT4_T5_P12ihipStream_tbEUlRKiE_EESZ_S13_S14_mS15_S18_bEUlT_E_NS1_11comp_targetILNS1_3genE8ELNS1_11target_archE1030ELNS1_3gpuE2ELNS1_3repE0EEENS1_30default_config_static_selectorELNS0_4arch9wavefront6targetE1EEEvS12_.has_indirect_call, 0
	.section	.AMDGPU.csdata,"",@progbits
; Kernel info:
; codeLenInByte = 0
; TotalNumSgprs: 4
; NumVgprs: 0
; ScratchSize: 0
; MemoryBound: 0
; FloatMode: 240
; IeeeMode: 1
; LDSByteSize: 0 bytes/workgroup (compile time only)
; SGPRBlocks: 0
; VGPRBlocks: 0
; NumSGPRsForWavesPerEU: 4
; NumVGPRsForWavesPerEU: 1
; Occupancy: 10
; WaveLimiterHint : 0
; COMPUTE_PGM_RSRC2:SCRATCH_EN: 0
; COMPUTE_PGM_RSRC2:USER_SGPR: 6
; COMPUTE_PGM_RSRC2:TRAP_HANDLER: 0
; COMPUTE_PGM_RSRC2:TGID_X_EN: 1
; COMPUTE_PGM_RSRC2:TGID_Y_EN: 0
; COMPUTE_PGM_RSRC2:TGID_Z_EN: 0
; COMPUTE_PGM_RSRC2:TIDIG_COMP_CNT: 0
	.section	.text._ZN7rocprim17ROCPRIM_400000_NS6detail17trampoline_kernelINS0_14default_configENS1_27upper_bound_config_selectorIilEEZNS1_14transform_implILb0ES3_S5_N6thrust23THRUST_200600_302600_NS6detail15normal_iteratorINS8_7pointerIiNS9_22execute_with_allocatorINS8_16device_allocatorIcEENS8_11hip_rocprim22execute_on_stream_baseEEENS8_11use_defaultESI_EEEENSA_INSB_IlSH_SI_SI_EEEEZNS1_13binary_searchIS3_S5_NSA_INS8_10device_ptrIiEEEESK_SM_NS1_21upper_bound_search_opENS9_16wrapped_functionINS8_6system6detail7generic6detail18binary_search_lessEbEEEE10hipError_tPvRmT1_T2_T3_mmT4_T5_P12ihipStream_tbEUlRKiE_EESZ_S13_S14_mS15_S18_bEUlT_E_NS1_11comp_targetILNS1_3genE0ELNS1_11target_archE4294967295ELNS1_3gpuE0ELNS1_3repE0EEENS1_30default_config_static_selectorELNS0_4arch9wavefront6targetE1EEEvS12_,"axG",@progbits,_ZN7rocprim17ROCPRIM_400000_NS6detail17trampoline_kernelINS0_14default_configENS1_27upper_bound_config_selectorIilEEZNS1_14transform_implILb0ES3_S5_N6thrust23THRUST_200600_302600_NS6detail15normal_iteratorINS8_7pointerIiNS9_22execute_with_allocatorINS8_16device_allocatorIcEENS8_11hip_rocprim22execute_on_stream_baseEEENS8_11use_defaultESI_EEEENSA_INSB_IlSH_SI_SI_EEEEZNS1_13binary_searchIS3_S5_NSA_INS8_10device_ptrIiEEEESK_SM_NS1_21upper_bound_search_opENS9_16wrapped_functionINS8_6system6detail7generic6detail18binary_search_lessEbEEEE10hipError_tPvRmT1_T2_T3_mmT4_T5_P12ihipStream_tbEUlRKiE_EESZ_S13_S14_mS15_S18_bEUlT_E_NS1_11comp_targetILNS1_3genE0ELNS1_11target_archE4294967295ELNS1_3gpuE0ELNS1_3repE0EEENS1_30default_config_static_selectorELNS0_4arch9wavefront6targetE1EEEvS12_,comdat
	.protected	_ZN7rocprim17ROCPRIM_400000_NS6detail17trampoline_kernelINS0_14default_configENS1_27upper_bound_config_selectorIilEEZNS1_14transform_implILb0ES3_S5_N6thrust23THRUST_200600_302600_NS6detail15normal_iteratorINS8_7pointerIiNS9_22execute_with_allocatorINS8_16device_allocatorIcEENS8_11hip_rocprim22execute_on_stream_baseEEENS8_11use_defaultESI_EEEENSA_INSB_IlSH_SI_SI_EEEEZNS1_13binary_searchIS3_S5_NSA_INS8_10device_ptrIiEEEESK_SM_NS1_21upper_bound_search_opENS9_16wrapped_functionINS8_6system6detail7generic6detail18binary_search_lessEbEEEE10hipError_tPvRmT1_T2_T3_mmT4_T5_P12ihipStream_tbEUlRKiE_EESZ_S13_S14_mS15_S18_bEUlT_E_NS1_11comp_targetILNS1_3genE0ELNS1_11target_archE4294967295ELNS1_3gpuE0ELNS1_3repE0EEENS1_30default_config_static_selectorELNS0_4arch9wavefront6targetE1EEEvS12_ ; -- Begin function _ZN7rocprim17ROCPRIM_400000_NS6detail17trampoline_kernelINS0_14default_configENS1_27upper_bound_config_selectorIilEEZNS1_14transform_implILb0ES3_S5_N6thrust23THRUST_200600_302600_NS6detail15normal_iteratorINS8_7pointerIiNS9_22execute_with_allocatorINS8_16device_allocatorIcEENS8_11hip_rocprim22execute_on_stream_baseEEENS8_11use_defaultESI_EEEENSA_INSB_IlSH_SI_SI_EEEEZNS1_13binary_searchIS3_S5_NSA_INS8_10device_ptrIiEEEESK_SM_NS1_21upper_bound_search_opENS9_16wrapped_functionINS8_6system6detail7generic6detail18binary_search_lessEbEEEE10hipError_tPvRmT1_T2_T3_mmT4_T5_P12ihipStream_tbEUlRKiE_EESZ_S13_S14_mS15_S18_bEUlT_E_NS1_11comp_targetILNS1_3genE0ELNS1_11target_archE4294967295ELNS1_3gpuE0ELNS1_3repE0EEENS1_30default_config_static_selectorELNS0_4arch9wavefront6targetE1EEEvS12_
	.globl	_ZN7rocprim17ROCPRIM_400000_NS6detail17trampoline_kernelINS0_14default_configENS1_27upper_bound_config_selectorIilEEZNS1_14transform_implILb0ES3_S5_N6thrust23THRUST_200600_302600_NS6detail15normal_iteratorINS8_7pointerIiNS9_22execute_with_allocatorINS8_16device_allocatorIcEENS8_11hip_rocprim22execute_on_stream_baseEEENS8_11use_defaultESI_EEEENSA_INSB_IlSH_SI_SI_EEEEZNS1_13binary_searchIS3_S5_NSA_INS8_10device_ptrIiEEEESK_SM_NS1_21upper_bound_search_opENS9_16wrapped_functionINS8_6system6detail7generic6detail18binary_search_lessEbEEEE10hipError_tPvRmT1_T2_T3_mmT4_T5_P12ihipStream_tbEUlRKiE_EESZ_S13_S14_mS15_S18_bEUlT_E_NS1_11comp_targetILNS1_3genE0ELNS1_11target_archE4294967295ELNS1_3gpuE0ELNS1_3repE0EEENS1_30default_config_static_selectorELNS0_4arch9wavefront6targetE1EEEvS12_
	.p2align	8
	.type	_ZN7rocprim17ROCPRIM_400000_NS6detail17trampoline_kernelINS0_14default_configENS1_27upper_bound_config_selectorIilEEZNS1_14transform_implILb0ES3_S5_N6thrust23THRUST_200600_302600_NS6detail15normal_iteratorINS8_7pointerIiNS9_22execute_with_allocatorINS8_16device_allocatorIcEENS8_11hip_rocprim22execute_on_stream_baseEEENS8_11use_defaultESI_EEEENSA_INSB_IlSH_SI_SI_EEEEZNS1_13binary_searchIS3_S5_NSA_INS8_10device_ptrIiEEEESK_SM_NS1_21upper_bound_search_opENS9_16wrapped_functionINS8_6system6detail7generic6detail18binary_search_lessEbEEEE10hipError_tPvRmT1_T2_T3_mmT4_T5_P12ihipStream_tbEUlRKiE_EESZ_S13_S14_mS15_S18_bEUlT_E_NS1_11comp_targetILNS1_3genE0ELNS1_11target_archE4294967295ELNS1_3gpuE0ELNS1_3repE0EEENS1_30default_config_static_selectorELNS0_4arch9wavefront6targetE1EEEvS12_,@function
_ZN7rocprim17ROCPRIM_400000_NS6detail17trampoline_kernelINS0_14default_configENS1_27upper_bound_config_selectorIilEEZNS1_14transform_implILb0ES3_S5_N6thrust23THRUST_200600_302600_NS6detail15normal_iteratorINS8_7pointerIiNS9_22execute_with_allocatorINS8_16device_allocatorIcEENS8_11hip_rocprim22execute_on_stream_baseEEENS8_11use_defaultESI_EEEENSA_INSB_IlSH_SI_SI_EEEEZNS1_13binary_searchIS3_S5_NSA_INS8_10device_ptrIiEEEESK_SM_NS1_21upper_bound_search_opENS9_16wrapped_functionINS8_6system6detail7generic6detail18binary_search_lessEbEEEE10hipError_tPvRmT1_T2_T3_mmT4_T5_P12ihipStream_tbEUlRKiE_EESZ_S13_S14_mS15_S18_bEUlT_E_NS1_11comp_targetILNS1_3genE0ELNS1_11target_archE4294967295ELNS1_3gpuE0ELNS1_3repE0EEENS1_30default_config_static_selectorELNS0_4arch9wavefront6targetE1EEEvS12_: ; @_ZN7rocprim17ROCPRIM_400000_NS6detail17trampoline_kernelINS0_14default_configENS1_27upper_bound_config_selectorIilEEZNS1_14transform_implILb0ES3_S5_N6thrust23THRUST_200600_302600_NS6detail15normal_iteratorINS8_7pointerIiNS9_22execute_with_allocatorINS8_16device_allocatorIcEENS8_11hip_rocprim22execute_on_stream_baseEEENS8_11use_defaultESI_EEEENSA_INSB_IlSH_SI_SI_EEEEZNS1_13binary_searchIS3_S5_NSA_INS8_10device_ptrIiEEEESK_SM_NS1_21upper_bound_search_opENS9_16wrapped_functionINS8_6system6detail7generic6detail18binary_search_lessEbEEEE10hipError_tPvRmT1_T2_T3_mmT4_T5_P12ihipStream_tbEUlRKiE_EESZ_S13_S14_mS15_S18_bEUlT_E_NS1_11comp_targetILNS1_3genE0ELNS1_11target_archE4294967295ELNS1_3gpuE0ELNS1_3repE0EEENS1_30default_config_static_selectorELNS0_4arch9wavefront6targetE1EEEvS12_
; %bb.0:
	.section	.rodata,"a",@progbits
	.p2align	6, 0x0
	.amdhsa_kernel _ZN7rocprim17ROCPRIM_400000_NS6detail17trampoline_kernelINS0_14default_configENS1_27upper_bound_config_selectorIilEEZNS1_14transform_implILb0ES3_S5_N6thrust23THRUST_200600_302600_NS6detail15normal_iteratorINS8_7pointerIiNS9_22execute_with_allocatorINS8_16device_allocatorIcEENS8_11hip_rocprim22execute_on_stream_baseEEENS8_11use_defaultESI_EEEENSA_INSB_IlSH_SI_SI_EEEEZNS1_13binary_searchIS3_S5_NSA_INS8_10device_ptrIiEEEESK_SM_NS1_21upper_bound_search_opENS9_16wrapped_functionINS8_6system6detail7generic6detail18binary_search_lessEbEEEE10hipError_tPvRmT1_T2_T3_mmT4_T5_P12ihipStream_tbEUlRKiE_EESZ_S13_S14_mS15_S18_bEUlT_E_NS1_11comp_targetILNS1_3genE0ELNS1_11target_archE4294967295ELNS1_3gpuE0ELNS1_3repE0EEENS1_30default_config_static_selectorELNS0_4arch9wavefront6targetE1EEEvS12_
		.amdhsa_group_segment_fixed_size 0
		.amdhsa_private_segment_fixed_size 0
		.amdhsa_kernarg_size 56
		.amdhsa_user_sgpr_count 6
		.amdhsa_user_sgpr_private_segment_buffer 1
		.amdhsa_user_sgpr_dispatch_ptr 0
		.amdhsa_user_sgpr_queue_ptr 0
		.amdhsa_user_sgpr_kernarg_segment_ptr 1
		.amdhsa_user_sgpr_dispatch_id 0
		.amdhsa_user_sgpr_flat_scratch_init 0
		.amdhsa_user_sgpr_private_segment_size 0
		.amdhsa_uses_dynamic_stack 0
		.amdhsa_system_sgpr_private_segment_wavefront_offset 0
		.amdhsa_system_sgpr_workgroup_id_x 1
		.amdhsa_system_sgpr_workgroup_id_y 0
		.amdhsa_system_sgpr_workgroup_id_z 0
		.amdhsa_system_sgpr_workgroup_info 0
		.amdhsa_system_vgpr_workitem_id 0
		.amdhsa_next_free_vgpr 1
		.amdhsa_next_free_sgpr 0
		.amdhsa_reserve_vcc 0
		.amdhsa_reserve_flat_scratch 0
		.amdhsa_float_round_mode_32 0
		.amdhsa_float_round_mode_16_64 0
		.amdhsa_float_denorm_mode_32 3
		.amdhsa_float_denorm_mode_16_64 3
		.amdhsa_dx10_clamp 1
		.amdhsa_ieee_mode 1
		.amdhsa_fp16_overflow 0
		.amdhsa_exception_fp_ieee_invalid_op 0
		.amdhsa_exception_fp_denorm_src 0
		.amdhsa_exception_fp_ieee_div_zero 0
		.amdhsa_exception_fp_ieee_overflow 0
		.amdhsa_exception_fp_ieee_underflow 0
		.amdhsa_exception_fp_ieee_inexact 0
		.amdhsa_exception_int_div_zero 0
	.end_amdhsa_kernel
	.section	.text._ZN7rocprim17ROCPRIM_400000_NS6detail17trampoline_kernelINS0_14default_configENS1_27upper_bound_config_selectorIilEEZNS1_14transform_implILb0ES3_S5_N6thrust23THRUST_200600_302600_NS6detail15normal_iteratorINS8_7pointerIiNS9_22execute_with_allocatorINS8_16device_allocatorIcEENS8_11hip_rocprim22execute_on_stream_baseEEENS8_11use_defaultESI_EEEENSA_INSB_IlSH_SI_SI_EEEEZNS1_13binary_searchIS3_S5_NSA_INS8_10device_ptrIiEEEESK_SM_NS1_21upper_bound_search_opENS9_16wrapped_functionINS8_6system6detail7generic6detail18binary_search_lessEbEEEE10hipError_tPvRmT1_T2_T3_mmT4_T5_P12ihipStream_tbEUlRKiE_EESZ_S13_S14_mS15_S18_bEUlT_E_NS1_11comp_targetILNS1_3genE0ELNS1_11target_archE4294967295ELNS1_3gpuE0ELNS1_3repE0EEENS1_30default_config_static_selectorELNS0_4arch9wavefront6targetE1EEEvS12_,"axG",@progbits,_ZN7rocprim17ROCPRIM_400000_NS6detail17trampoline_kernelINS0_14default_configENS1_27upper_bound_config_selectorIilEEZNS1_14transform_implILb0ES3_S5_N6thrust23THRUST_200600_302600_NS6detail15normal_iteratorINS8_7pointerIiNS9_22execute_with_allocatorINS8_16device_allocatorIcEENS8_11hip_rocprim22execute_on_stream_baseEEENS8_11use_defaultESI_EEEENSA_INSB_IlSH_SI_SI_EEEEZNS1_13binary_searchIS3_S5_NSA_INS8_10device_ptrIiEEEESK_SM_NS1_21upper_bound_search_opENS9_16wrapped_functionINS8_6system6detail7generic6detail18binary_search_lessEbEEEE10hipError_tPvRmT1_T2_T3_mmT4_T5_P12ihipStream_tbEUlRKiE_EESZ_S13_S14_mS15_S18_bEUlT_E_NS1_11comp_targetILNS1_3genE0ELNS1_11target_archE4294967295ELNS1_3gpuE0ELNS1_3repE0EEENS1_30default_config_static_selectorELNS0_4arch9wavefront6targetE1EEEvS12_,comdat
.Lfunc_end779:
	.size	_ZN7rocprim17ROCPRIM_400000_NS6detail17trampoline_kernelINS0_14default_configENS1_27upper_bound_config_selectorIilEEZNS1_14transform_implILb0ES3_S5_N6thrust23THRUST_200600_302600_NS6detail15normal_iteratorINS8_7pointerIiNS9_22execute_with_allocatorINS8_16device_allocatorIcEENS8_11hip_rocprim22execute_on_stream_baseEEENS8_11use_defaultESI_EEEENSA_INSB_IlSH_SI_SI_EEEEZNS1_13binary_searchIS3_S5_NSA_INS8_10device_ptrIiEEEESK_SM_NS1_21upper_bound_search_opENS9_16wrapped_functionINS8_6system6detail7generic6detail18binary_search_lessEbEEEE10hipError_tPvRmT1_T2_T3_mmT4_T5_P12ihipStream_tbEUlRKiE_EESZ_S13_S14_mS15_S18_bEUlT_E_NS1_11comp_targetILNS1_3genE0ELNS1_11target_archE4294967295ELNS1_3gpuE0ELNS1_3repE0EEENS1_30default_config_static_selectorELNS0_4arch9wavefront6targetE1EEEvS12_, .Lfunc_end779-_ZN7rocprim17ROCPRIM_400000_NS6detail17trampoline_kernelINS0_14default_configENS1_27upper_bound_config_selectorIilEEZNS1_14transform_implILb0ES3_S5_N6thrust23THRUST_200600_302600_NS6detail15normal_iteratorINS8_7pointerIiNS9_22execute_with_allocatorINS8_16device_allocatorIcEENS8_11hip_rocprim22execute_on_stream_baseEEENS8_11use_defaultESI_EEEENSA_INSB_IlSH_SI_SI_EEEEZNS1_13binary_searchIS3_S5_NSA_INS8_10device_ptrIiEEEESK_SM_NS1_21upper_bound_search_opENS9_16wrapped_functionINS8_6system6detail7generic6detail18binary_search_lessEbEEEE10hipError_tPvRmT1_T2_T3_mmT4_T5_P12ihipStream_tbEUlRKiE_EESZ_S13_S14_mS15_S18_bEUlT_E_NS1_11comp_targetILNS1_3genE0ELNS1_11target_archE4294967295ELNS1_3gpuE0ELNS1_3repE0EEENS1_30default_config_static_selectorELNS0_4arch9wavefront6targetE1EEEvS12_
                                        ; -- End function
	.set _ZN7rocprim17ROCPRIM_400000_NS6detail17trampoline_kernelINS0_14default_configENS1_27upper_bound_config_selectorIilEEZNS1_14transform_implILb0ES3_S5_N6thrust23THRUST_200600_302600_NS6detail15normal_iteratorINS8_7pointerIiNS9_22execute_with_allocatorINS8_16device_allocatorIcEENS8_11hip_rocprim22execute_on_stream_baseEEENS8_11use_defaultESI_EEEENSA_INSB_IlSH_SI_SI_EEEEZNS1_13binary_searchIS3_S5_NSA_INS8_10device_ptrIiEEEESK_SM_NS1_21upper_bound_search_opENS9_16wrapped_functionINS8_6system6detail7generic6detail18binary_search_lessEbEEEE10hipError_tPvRmT1_T2_T3_mmT4_T5_P12ihipStream_tbEUlRKiE_EESZ_S13_S14_mS15_S18_bEUlT_E_NS1_11comp_targetILNS1_3genE0ELNS1_11target_archE4294967295ELNS1_3gpuE0ELNS1_3repE0EEENS1_30default_config_static_selectorELNS0_4arch9wavefront6targetE1EEEvS12_.num_vgpr, 0
	.set _ZN7rocprim17ROCPRIM_400000_NS6detail17trampoline_kernelINS0_14default_configENS1_27upper_bound_config_selectorIilEEZNS1_14transform_implILb0ES3_S5_N6thrust23THRUST_200600_302600_NS6detail15normal_iteratorINS8_7pointerIiNS9_22execute_with_allocatorINS8_16device_allocatorIcEENS8_11hip_rocprim22execute_on_stream_baseEEENS8_11use_defaultESI_EEEENSA_INSB_IlSH_SI_SI_EEEEZNS1_13binary_searchIS3_S5_NSA_INS8_10device_ptrIiEEEESK_SM_NS1_21upper_bound_search_opENS9_16wrapped_functionINS8_6system6detail7generic6detail18binary_search_lessEbEEEE10hipError_tPvRmT1_T2_T3_mmT4_T5_P12ihipStream_tbEUlRKiE_EESZ_S13_S14_mS15_S18_bEUlT_E_NS1_11comp_targetILNS1_3genE0ELNS1_11target_archE4294967295ELNS1_3gpuE0ELNS1_3repE0EEENS1_30default_config_static_selectorELNS0_4arch9wavefront6targetE1EEEvS12_.num_agpr, 0
	.set _ZN7rocprim17ROCPRIM_400000_NS6detail17trampoline_kernelINS0_14default_configENS1_27upper_bound_config_selectorIilEEZNS1_14transform_implILb0ES3_S5_N6thrust23THRUST_200600_302600_NS6detail15normal_iteratorINS8_7pointerIiNS9_22execute_with_allocatorINS8_16device_allocatorIcEENS8_11hip_rocprim22execute_on_stream_baseEEENS8_11use_defaultESI_EEEENSA_INSB_IlSH_SI_SI_EEEEZNS1_13binary_searchIS3_S5_NSA_INS8_10device_ptrIiEEEESK_SM_NS1_21upper_bound_search_opENS9_16wrapped_functionINS8_6system6detail7generic6detail18binary_search_lessEbEEEE10hipError_tPvRmT1_T2_T3_mmT4_T5_P12ihipStream_tbEUlRKiE_EESZ_S13_S14_mS15_S18_bEUlT_E_NS1_11comp_targetILNS1_3genE0ELNS1_11target_archE4294967295ELNS1_3gpuE0ELNS1_3repE0EEENS1_30default_config_static_selectorELNS0_4arch9wavefront6targetE1EEEvS12_.numbered_sgpr, 0
	.set _ZN7rocprim17ROCPRIM_400000_NS6detail17trampoline_kernelINS0_14default_configENS1_27upper_bound_config_selectorIilEEZNS1_14transform_implILb0ES3_S5_N6thrust23THRUST_200600_302600_NS6detail15normal_iteratorINS8_7pointerIiNS9_22execute_with_allocatorINS8_16device_allocatorIcEENS8_11hip_rocprim22execute_on_stream_baseEEENS8_11use_defaultESI_EEEENSA_INSB_IlSH_SI_SI_EEEEZNS1_13binary_searchIS3_S5_NSA_INS8_10device_ptrIiEEEESK_SM_NS1_21upper_bound_search_opENS9_16wrapped_functionINS8_6system6detail7generic6detail18binary_search_lessEbEEEE10hipError_tPvRmT1_T2_T3_mmT4_T5_P12ihipStream_tbEUlRKiE_EESZ_S13_S14_mS15_S18_bEUlT_E_NS1_11comp_targetILNS1_3genE0ELNS1_11target_archE4294967295ELNS1_3gpuE0ELNS1_3repE0EEENS1_30default_config_static_selectorELNS0_4arch9wavefront6targetE1EEEvS12_.num_named_barrier, 0
	.set _ZN7rocprim17ROCPRIM_400000_NS6detail17trampoline_kernelINS0_14default_configENS1_27upper_bound_config_selectorIilEEZNS1_14transform_implILb0ES3_S5_N6thrust23THRUST_200600_302600_NS6detail15normal_iteratorINS8_7pointerIiNS9_22execute_with_allocatorINS8_16device_allocatorIcEENS8_11hip_rocprim22execute_on_stream_baseEEENS8_11use_defaultESI_EEEENSA_INSB_IlSH_SI_SI_EEEEZNS1_13binary_searchIS3_S5_NSA_INS8_10device_ptrIiEEEESK_SM_NS1_21upper_bound_search_opENS9_16wrapped_functionINS8_6system6detail7generic6detail18binary_search_lessEbEEEE10hipError_tPvRmT1_T2_T3_mmT4_T5_P12ihipStream_tbEUlRKiE_EESZ_S13_S14_mS15_S18_bEUlT_E_NS1_11comp_targetILNS1_3genE0ELNS1_11target_archE4294967295ELNS1_3gpuE0ELNS1_3repE0EEENS1_30default_config_static_selectorELNS0_4arch9wavefront6targetE1EEEvS12_.private_seg_size, 0
	.set _ZN7rocprim17ROCPRIM_400000_NS6detail17trampoline_kernelINS0_14default_configENS1_27upper_bound_config_selectorIilEEZNS1_14transform_implILb0ES3_S5_N6thrust23THRUST_200600_302600_NS6detail15normal_iteratorINS8_7pointerIiNS9_22execute_with_allocatorINS8_16device_allocatorIcEENS8_11hip_rocprim22execute_on_stream_baseEEENS8_11use_defaultESI_EEEENSA_INSB_IlSH_SI_SI_EEEEZNS1_13binary_searchIS3_S5_NSA_INS8_10device_ptrIiEEEESK_SM_NS1_21upper_bound_search_opENS9_16wrapped_functionINS8_6system6detail7generic6detail18binary_search_lessEbEEEE10hipError_tPvRmT1_T2_T3_mmT4_T5_P12ihipStream_tbEUlRKiE_EESZ_S13_S14_mS15_S18_bEUlT_E_NS1_11comp_targetILNS1_3genE0ELNS1_11target_archE4294967295ELNS1_3gpuE0ELNS1_3repE0EEENS1_30default_config_static_selectorELNS0_4arch9wavefront6targetE1EEEvS12_.uses_vcc, 0
	.set _ZN7rocprim17ROCPRIM_400000_NS6detail17trampoline_kernelINS0_14default_configENS1_27upper_bound_config_selectorIilEEZNS1_14transform_implILb0ES3_S5_N6thrust23THRUST_200600_302600_NS6detail15normal_iteratorINS8_7pointerIiNS9_22execute_with_allocatorINS8_16device_allocatorIcEENS8_11hip_rocprim22execute_on_stream_baseEEENS8_11use_defaultESI_EEEENSA_INSB_IlSH_SI_SI_EEEEZNS1_13binary_searchIS3_S5_NSA_INS8_10device_ptrIiEEEESK_SM_NS1_21upper_bound_search_opENS9_16wrapped_functionINS8_6system6detail7generic6detail18binary_search_lessEbEEEE10hipError_tPvRmT1_T2_T3_mmT4_T5_P12ihipStream_tbEUlRKiE_EESZ_S13_S14_mS15_S18_bEUlT_E_NS1_11comp_targetILNS1_3genE0ELNS1_11target_archE4294967295ELNS1_3gpuE0ELNS1_3repE0EEENS1_30default_config_static_selectorELNS0_4arch9wavefront6targetE1EEEvS12_.uses_flat_scratch, 0
	.set _ZN7rocprim17ROCPRIM_400000_NS6detail17trampoline_kernelINS0_14default_configENS1_27upper_bound_config_selectorIilEEZNS1_14transform_implILb0ES3_S5_N6thrust23THRUST_200600_302600_NS6detail15normal_iteratorINS8_7pointerIiNS9_22execute_with_allocatorINS8_16device_allocatorIcEENS8_11hip_rocprim22execute_on_stream_baseEEENS8_11use_defaultESI_EEEENSA_INSB_IlSH_SI_SI_EEEEZNS1_13binary_searchIS3_S5_NSA_INS8_10device_ptrIiEEEESK_SM_NS1_21upper_bound_search_opENS9_16wrapped_functionINS8_6system6detail7generic6detail18binary_search_lessEbEEEE10hipError_tPvRmT1_T2_T3_mmT4_T5_P12ihipStream_tbEUlRKiE_EESZ_S13_S14_mS15_S18_bEUlT_E_NS1_11comp_targetILNS1_3genE0ELNS1_11target_archE4294967295ELNS1_3gpuE0ELNS1_3repE0EEENS1_30default_config_static_selectorELNS0_4arch9wavefront6targetE1EEEvS12_.has_dyn_sized_stack, 0
	.set _ZN7rocprim17ROCPRIM_400000_NS6detail17trampoline_kernelINS0_14default_configENS1_27upper_bound_config_selectorIilEEZNS1_14transform_implILb0ES3_S5_N6thrust23THRUST_200600_302600_NS6detail15normal_iteratorINS8_7pointerIiNS9_22execute_with_allocatorINS8_16device_allocatorIcEENS8_11hip_rocprim22execute_on_stream_baseEEENS8_11use_defaultESI_EEEENSA_INSB_IlSH_SI_SI_EEEEZNS1_13binary_searchIS3_S5_NSA_INS8_10device_ptrIiEEEESK_SM_NS1_21upper_bound_search_opENS9_16wrapped_functionINS8_6system6detail7generic6detail18binary_search_lessEbEEEE10hipError_tPvRmT1_T2_T3_mmT4_T5_P12ihipStream_tbEUlRKiE_EESZ_S13_S14_mS15_S18_bEUlT_E_NS1_11comp_targetILNS1_3genE0ELNS1_11target_archE4294967295ELNS1_3gpuE0ELNS1_3repE0EEENS1_30default_config_static_selectorELNS0_4arch9wavefront6targetE1EEEvS12_.has_recursion, 0
	.set _ZN7rocprim17ROCPRIM_400000_NS6detail17trampoline_kernelINS0_14default_configENS1_27upper_bound_config_selectorIilEEZNS1_14transform_implILb0ES3_S5_N6thrust23THRUST_200600_302600_NS6detail15normal_iteratorINS8_7pointerIiNS9_22execute_with_allocatorINS8_16device_allocatorIcEENS8_11hip_rocprim22execute_on_stream_baseEEENS8_11use_defaultESI_EEEENSA_INSB_IlSH_SI_SI_EEEEZNS1_13binary_searchIS3_S5_NSA_INS8_10device_ptrIiEEEESK_SM_NS1_21upper_bound_search_opENS9_16wrapped_functionINS8_6system6detail7generic6detail18binary_search_lessEbEEEE10hipError_tPvRmT1_T2_T3_mmT4_T5_P12ihipStream_tbEUlRKiE_EESZ_S13_S14_mS15_S18_bEUlT_E_NS1_11comp_targetILNS1_3genE0ELNS1_11target_archE4294967295ELNS1_3gpuE0ELNS1_3repE0EEENS1_30default_config_static_selectorELNS0_4arch9wavefront6targetE1EEEvS12_.has_indirect_call, 0
	.section	.AMDGPU.csdata,"",@progbits
; Kernel info:
; codeLenInByte = 0
; TotalNumSgprs: 4
; NumVgprs: 0
; ScratchSize: 0
; MemoryBound: 0
; FloatMode: 240
; IeeeMode: 1
; LDSByteSize: 0 bytes/workgroup (compile time only)
; SGPRBlocks: 0
; VGPRBlocks: 0
; NumSGPRsForWavesPerEU: 4
; NumVGPRsForWavesPerEU: 1
; Occupancy: 10
; WaveLimiterHint : 0
; COMPUTE_PGM_RSRC2:SCRATCH_EN: 0
; COMPUTE_PGM_RSRC2:USER_SGPR: 6
; COMPUTE_PGM_RSRC2:TRAP_HANDLER: 0
; COMPUTE_PGM_RSRC2:TGID_X_EN: 1
; COMPUTE_PGM_RSRC2:TGID_Y_EN: 0
; COMPUTE_PGM_RSRC2:TGID_Z_EN: 0
; COMPUTE_PGM_RSRC2:TIDIG_COMP_CNT: 0
	.section	.text._ZN7rocprim17ROCPRIM_400000_NS6detail17trampoline_kernelINS0_14default_configENS1_27upper_bound_config_selectorIilEEZNS1_14transform_implILb0ES3_S5_N6thrust23THRUST_200600_302600_NS6detail15normal_iteratorINS8_7pointerIiNS9_22execute_with_allocatorINS8_16device_allocatorIcEENS8_11hip_rocprim22execute_on_stream_baseEEENS8_11use_defaultESI_EEEENSA_INSB_IlSH_SI_SI_EEEEZNS1_13binary_searchIS3_S5_NSA_INS8_10device_ptrIiEEEESK_SM_NS1_21upper_bound_search_opENS9_16wrapped_functionINS8_6system6detail7generic6detail18binary_search_lessEbEEEE10hipError_tPvRmT1_T2_T3_mmT4_T5_P12ihipStream_tbEUlRKiE_EESZ_S13_S14_mS15_S18_bEUlT_E_NS1_11comp_targetILNS1_3genE5ELNS1_11target_archE942ELNS1_3gpuE9ELNS1_3repE0EEENS1_30default_config_static_selectorELNS0_4arch9wavefront6targetE1EEEvS12_,"axG",@progbits,_ZN7rocprim17ROCPRIM_400000_NS6detail17trampoline_kernelINS0_14default_configENS1_27upper_bound_config_selectorIilEEZNS1_14transform_implILb0ES3_S5_N6thrust23THRUST_200600_302600_NS6detail15normal_iteratorINS8_7pointerIiNS9_22execute_with_allocatorINS8_16device_allocatorIcEENS8_11hip_rocprim22execute_on_stream_baseEEENS8_11use_defaultESI_EEEENSA_INSB_IlSH_SI_SI_EEEEZNS1_13binary_searchIS3_S5_NSA_INS8_10device_ptrIiEEEESK_SM_NS1_21upper_bound_search_opENS9_16wrapped_functionINS8_6system6detail7generic6detail18binary_search_lessEbEEEE10hipError_tPvRmT1_T2_T3_mmT4_T5_P12ihipStream_tbEUlRKiE_EESZ_S13_S14_mS15_S18_bEUlT_E_NS1_11comp_targetILNS1_3genE5ELNS1_11target_archE942ELNS1_3gpuE9ELNS1_3repE0EEENS1_30default_config_static_selectorELNS0_4arch9wavefront6targetE1EEEvS12_,comdat
	.protected	_ZN7rocprim17ROCPRIM_400000_NS6detail17trampoline_kernelINS0_14default_configENS1_27upper_bound_config_selectorIilEEZNS1_14transform_implILb0ES3_S5_N6thrust23THRUST_200600_302600_NS6detail15normal_iteratorINS8_7pointerIiNS9_22execute_with_allocatorINS8_16device_allocatorIcEENS8_11hip_rocprim22execute_on_stream_baseEEENS8_11use_defaultESI_EEEENSA_INSB_IlSH_SI_SI_EEEEZNS1_13binary_searchIS3_S5_NSA_INS8_10device_ptrIiEEEESK_SM_NS1_21upper_bound_search_opENS9_16wrapped_functionINS8_6system6detail7generic6detail18binary_search_lessEbEEEE10hipError_tPvRmT1_T2_T3_mmT4_T5_P12ihipStream_tbEUlRKiE_EESZ_S13_S14_mS15_S18_bEUlT_E_NS1_11comp_targetILNS1_3genE5ELNS1_11target_archE942ELNS1_3gpuE9ELNS1_3repE0EEENS1_30default_config_static_selectorELNS0_4arch9wavefront6targetE1EEEvS12_ ; -- Begin function _ZN7rocprim17ROCPRIM_400000_NS6detail17trampoline_kernelINS0_14default_configENS1_27upper_bound_config_selectorIilEEZNS1_14transform_implILb0ES3_S5_N6thrust23THRUST_200600_302600_NS6detail15normal_iteratorINS8_7pointerIiNS9_22execute_with_allocatorINS8_16device_allocatorIcEENS8_11hip_rocprim22execute_on_stream_baseEEENS8_11use_defaultESI_EEEENSA_INSB_IlSH_SI_SI_EEEEZNS1_13binary_searchIS3_S5_NSA_INS8_10device_ptrIiEEEESK_SM_NS1_21upper_bound_search_opENS9_16wrapped_functionINS8_6system6detail7generic6detail18binary_search_lessEbEEEE10hipError_tPvRmT1_T2_T3_mmT4_T5_P12ihipStream_tbEUlRKiE_EESZ_S13_S14_mS15_S18_bEUlT_E_NS1_11comp_targetILNS1_3genE5ELNS1_11target_archE942ELNS1_3gpuE9ELNS1_3repE0EEENS1_30default_config_static_selectorELNS0_4arch9wavefront6targetE1EEEvS12_
	.globl	_ZN7rocprim17ROCPRIM_400000_NS6detail17trampoline_kernelINS0_14default_configENS1_27upper_bound_config_selectorIilEEZNS1_14transform_implILb0ES3_S5_N6thrust23THRUST_200600_302600_NS6detail15normal_iteratorINS8_7pointerIiNS9_22execute_with_allocatorINS8_16device_allocatorIcEENS8_11hip_rocprim22execute_on_stream_baseEEENS8_11use_defaultESI_EEEENSA_INSB_IlSH_SI_SI_EEEEZNS1_13binary_searchIS3_S5_NSA_INS8_10device_ptrIiEEEESK_SM_NS1_21upper_bound_search_opENS9_16wrapped_functionINS8_6system6detail7generic6detail18binary_search_lessEbEEEE10hipError_tPvRmT1_T2_T3_mmT4_T5_P12ihipStream_tbEUlRKiE_EESZ_S13_S14_mS15_S18_bEUlT_E_NS1_11comp_targetILNS1_3genE5ELNS1_11target_archE942ELNS1_3gpuE9ELNS1_3repE0EEENS1_30default_config_static_selectorELNS0_4arch9wavefront6targetE1EEEvS12_
	.p2align	8
	.type	_ZN7rocprim17ROCPRIM_400000_NS6detail17trampoline_kernelINS0_14default_configENS1_27upper_bound_config_selectorIilEEZNS1_14transform_implILb0ES3_S5_N6thrust23THRUST_200600_302600_NS6detail15normal_iteratorINS8_7pointerIiNS9_22execute_with_allocatorINS8_16device_allocatorIcEENS8_11hip_rocprim22execute_on_stream_baseEEENS8_11use_defaultESI_EEEENSA_INSB_IlSH_SI_SI_EEEEZNS1_13binary_searchIS3_S5_NSA_INS8_10device_ptrIiEEEESK_SM_NS1_21upper_bound_search_opENS9_16wrapped_functionINS8_6system6detail7generic6detail18binary_search_lessEbEEEE10hipError_tPvRmT1_T2_T3_mmT4_T5_P12ihipStream_tbEUlRKiE_EESZ_S13_S14_mS15_S18_bEUlT_E_NS1_11comp_targetILNS1_3genE5ELNS1_11target_archE942ELNS1_3gpuE9ELNS1_3repE0EEENS1_30default_config_static_selectorELNS0_4arch9wavefront6targetE1EEEvS12_,@function
_ZN7rocprim17ROCPRIM_400000_NS6detail17trampoline_kernelINS0_14default_configENS1_27upper_bound_config_selectorIilEEZNS1_14transform_implILb0ES3_S5_N6thrust23THRUST_200600_302600_NS6detail15normal_iteratorINS8_7pointerIiNS9_22execute_with_allocatorINS8_16device_allocatorIcEENS8_11hip_rocprim22execute_on_stream_baseEEENS8_11use_defaultESI_EEEENSA_INSB_IlSH_SI_SI_EEEEZNS1_13binary_searchIS3_S5_NSA_INS8_10device_ptrIiEEEESK_SM_NS1_21upper_bound_search_opENS9_16wrapped_functionINS8_6system6detail7generic6detail18binary_search_lessEbEEEE10hipError_tPvRmT1_T2_T3_mmT4_T5_P12ihipStream_tbEUlRKiE_EESZ_S13_S14_mS15_S18_bEUlT_E_NS1_11comp_targetILNS1_3genE5ELNS1_11target_archE942ELNS1_3gpuE9ELNS1_3repE0EEENS1_30default_config_static_selectorELNS0_4arch9wavefront6targetE1EEEvS12_: ; @_ZN7rocprim17ROCPRIM_400000_NS6detail17trampoline_kernelINS0_14default_configENS1_27upper_bound_config_selectorIilEEZNS1_14transform_implILb0ES3_S5_N6thrust23THRUST_200600_302600_NS6detail15normal_iteratorINS8_7pointerIiNS9_22execute_with_allocatorINS8_16device_allocatorIcEENS8_11hip_rocprim22execute_on_stream_baseEEENS8_11use_defaultESI_EEEENSA_INSB_IlSH_SI_SI_EEEEZNS1_13binary_searchIS3_S5_NSA_INS8_10device_ptrIiEEEESK_SM_NS1_21upper_bound_search_opENS9_16wrapped_functionINS8_6system6detail7generic6detail18binary_search_lessEbEEEE10hipError_tPvRmT1_T2_T3_mmT4_T5_P12ihipStream_tbEUlRKiE_EESZ_S13_S14_mS15_S18_bEUlT_E_NS1_11comp_targetILNS1_3genE5ELNS1_11target_archE942ELNS1_3gpuE9ELNS1_3repE0EEENS1_30default_config_static_selectorELNS0_4arch9wavefront6targetE1EEEvS12_
; %bb.0:
	.section	.rodata,"a",@progbits
	.p2align	6, 0x0
	.amdhsa_kernel _ZN7rocprim17ROCPRIM_400000_NS6detail17trampoline_kernelINS0_14default_configENS1_27upper_bound_config_selectorIilEEZNS1_14transform_implILb0ES3_S5_N6thrust23THRUST_200600_302600_NS6detail15normal_iteratorINS8_7pointerIiNS9_22execute_with_allocatorINS8_16device_allocatorIcEENS8_11hip_rocprim22execute_on_stream_baseEEENS8_11use_defaultESI_EEEENSA_INSB_IlSH_SI_SI_EEEEZNS1_13binary_searchIS3_S5_NSA_INS8_10device_ptrIiEEEESK_SM_NS1_21upper_bound_search_opENS9_16wrapped_functionINS8_6system6detail7generic6detail18binary_search_lessEbEEEE10hipError_tPvRmT1_T2_T3_mmT4_T5_P12ihipStream_tbEUlRKiE_EESZ_S13_S14_mS15_S18_bEUlT_E_NS1_11comp_targetILNS1_3genE5ELNS1_11target_archE942ELNS1_3gpuE9ELNS1_3repE0EEENS1_30default_config_static_selectorELNS0_4arch9wavefront6targetE1EEEvS12_
		.amdhsa_group_segment_fixed_size 0
		.amdhsa_private_segment_fixed_size 0
		.amdhsa_kernarg_size 56
		.amdhsa_user_sgpr_count 6
		.amdhsa_user_sgpr_private_segment_buffer 1
		.amdhsa_user_sgpr_dispatch_ptr 0
		.amdhsa_user_sgpr_queue_ptr 0
		.amdhsa_user_sgpr_kernarg_segment_ptr 1
		.amdhsa_user_sgpr_dispatch_id 0
		.amdhsa_user_sgpr_flat_scratch_init 0
		.amdhsa_user_sgpr_private_segment_size 0
		.amdhsa_uses_dynamic_stack 0
		.amdhsa_system_sgpr_private_segment_wavefront_offset 0
		.amdhsa_system_sgpr_workgroup_id_x 1
		.amdhsa_system_sgpr_workgroup_id_y 0
		.amdhsa_system_sgpr_workgroup_id_z 0
		.amdhsa_system_sgpr_workgroup_info 0
		.amdhsa_system_vgpr_workitem_id 0
		.amdhsa_next_free_vgpr 1
		.amdhsa_next_free_sgpr 0
		.amdhsa_reserve_vcc 0
		.amdhsa_reserve_flat_scratch 0
		.amdhsa_float_round_mode_32 0
		.amdhsa_float_round_mode_16_64 0
		.amdhsa_float_denorm_mode_32 3
		.amdhsa_float_denorm_mode_16_64 3
		.amdhsa_dx10_clamp 1
		.amdhsa_ieee_mode 1
		.amdhsa_fp16_overflow 0
		.amdhsa_exception_fp_ieee_invalid_op 0
		.amdhsa_exception_fp_denorm_src 0
		.amdhsa_exception_fp_ieee_div_zero 0
		.amdhsa_exception_fp_ieee_overflow 0
		.amdhsa_exception_fp_ieee_underflow 0
		.amdhsa_exception_fp_ieee_inexact 0
		.amdhsa_exception_int_div_zero 0
	.end_amdhsa_kernel
	.section	.text._ZN7rocprim17ROCPRIM_400000_NS6detail17trampoline_kernelINS0_14default_configENS1_27upper_bound_config_selectorIilEEZNS1_14transform_implILb0ES3_S5_N6thrust23THRUST_200600_302600_NS6detail15normal_iteratorINS8_7pointerIiNS9_22execute_with_allocatorINS8_16device_allocatorIcEENS8_11hip_rocprim22execute_on_stream_baseEEENS8_11use_defaultESI_EEEENSA_INSB_IlSH_SI_SI_EEEEZNS1_13binary_searchIS3_S5_NSA_INS8_10device_ptrIiEEEESK_SM_NS1_21upper_bound_search_opENS9_16wrapped_functionINS8_6system6detail7generic6detail18binary_search_lessEbEEEE10hipError_tPvRmT1_T2_T3_mmT4_T5_P12ihipStream_tbEUlRKiE_EESZ_S13_S14_mS15_S18_bEUlT_E_NS1_11comp_targetILNS1_3genE5ELNS1_11target_archE942ELNS1_3gpuE9ELNS1_3repE0EEENS1_30default_config_static_selectorELNS0_4arch9wavefront6targetE1EEEvS12_,"axG",@progbits,_ZN7rocprim17ROCPRIM_400000_NS6detail17trampoline_kernelINS0_14default_configENS1_27upper_bound_config_selectorIilEEZNS1_14transform_implILb0ES3_S5_N6thrust23THRUST_200600_302600_NS6detail15normal_iteratorINS8_7pointerIiNS9_22execute_with_allocatorINS8_16device_allocatorIcEENS8_11hip_rocprim22execute_on_stream_baseEEENS8_11use_defaultESI_EEEENSA_INSB_IlSH_SI_SI_EEEEZNS1_13binary_searchIS3_S5_NSA_INS8_10device_ptrIiEEEESK_SM_NS1_21upper_bound_search_opENS9_16wrapped_functionINS8_6system6detail7generic6detail18binary_search_lessEbEEEE10hipError_tPvRmT1_T2_T3_mmT4_T5_P12ihipStream_tbEUlRKiE_EESZ_S13_S14_mS15_S18_bEUlT_E_NS1_11comp_targetILNS1_3genE5ELNS1_11target_archE942ELNS1_3gpuE9ELNS1_3repE0EEENS1_30default_config_static_selectorELNS0_4arch9wavefront6targetE1EEEvS12_,comdat
.Lfunc_end780:
	.size	_ZN7rocprim17ROCPRIM_400000_NS6detail17trampoline_kernelINS0_14default_configENS1_27upper_bound_config_selectorIilEEZNS1_14transform_implILb0ES3_S5_N6thrust23THRUST_200600_302600_NS6detail15normal_iteratorINS8_7pointerIiNS9_22execute_with_allocatorINS8_16device_allocatorIcEENS8_11hip_rocprim22execute_on_stream_baseEEENS8_11use_defaultESI_EEEENSA_INSB_IlSH_SI_SI_EEEEZNS1_13binary_searchIS3_S5_NSA_INS8_10device_ptrIiEEEESK_SM_NS1_21upper_bound_search_opENS9_16wrapped_functionINS8_6system6detail7generic6detail18binary_search_lessEbEEEE10hipError_tPvRmT1_T2_T3_mmT4_T5_P12ihipStream_tbEUlRKiE_EESZ_S13_S14_mS15_S18_bEUlT_E_NS1_11comp_targetILNS1_3genE5ELNS1_11target_archE942ELNS1_3gpuE9ELNS1_3repE0EEENS1_30default_config_static_selectorELNS0_4arch9wavefront6targetE1EEEvS12_, .Lfunc_end780-_ZN7rocprim17ROCPRIM_400000_NS6detail17trampoline_kernelINS0_14default_configENS1_27upper_bound_config_selectorIilEEZNS1_14transform_implILb0ES3_S5_N6thrust23THRUST_200600_302600_NS6detail15normal_iteratorINS8_7pointerIiNS9_22execute_with_allocatorINS8_16device_allocatorIcEENS8_11hip_rocprim22execute_on_stream_baseEEENS8_11use_defaultESI_EEEENSA_INSB_IlSH_SI_SI_EEEEZNS1_13binary_searchIS3_S5_NSA_INS8_10device_ptrIiEEEESK_SM_NS1_21upper_bound_search_opENS9_16wrapped_functionINS8_6system6detail7generic6detail18binary_search_lessEbEEEE10hipError_tPvRmT1_T2_T3_mmT4_T5_P12ihipStream_tbEUlRKiE_EESZ_S13_S14_mS15_S18_bEUlT_E_NS1_11comp_targetILNS1_3genE5ELNS1_11target_archE942ELNS1_3gpuE9ELNS1_3repE0EEENS1_30default_config_static_selectorELNS0_4arch9wavefront6targetE1EEEvS12_
                                        ; -- End function
	.set _ZN7rocprim17ROCPRIM_400000_NS6detail17trampoline_kernelINS0_14default_configENS1_27upper_bound_config_selectorIilEEZNS1_14transform_implILb0ES3_S5_N6thrust23THRUST_200600_302600_NS6detail15normal_iteratorINS8_7pointerIiNS9_22execute_with_allocatorINS8_16device_allocatorIcEENS8_11hip_rocprim22execute_on_stream_baseEEENS8_11use_defaultESI_EEEENSA_INSB_IlSH_SI_SI_EEEEZNS1_13binary_searchIS3_S5_NSA_INS8_10device_ptrIiEEEESK_SM_NS1_21upper_bound_search_opENS9_16wrapped_functionINS8_6system6detail7generic6detail18binary_search_lessEbEEEE10hipError_tPvRmT1_T2_T3_mmT4_T5_P12ihipStream_tbEUlRKiE_EESZ_S13_S14_mS15_S18_bEUlT_E_NS1_11comp_targetILNS1_3genE5ELNS1_11target_archE942ELNS1_3gpuE9ELNS1_3repE0EEENS1_30default_config_static_selectorELNS0_4arch9wavefront6targetE1EEEvS12_.num_vgpr, 0
	.set _ZN7rocprim17ROCPRIM_400000_NS6detail17trampoline_kernelINS0_14default_configENS1_27upper_bound_config_selectorIilEEZNS1_14transform_implILb0ES3_S5_N6thrust23THRUST_200600_302600_NS6detail15normal_iteratorINS8_7pointerIiNS9_22execute_with_allocatorINS8_16device_allocatorIcEENS8_11hip_rocprim22execute_on_stream_baseEEENS8_11use_defaultESI_EEEENSA_INSB_IlSH_SI_SI_EEEEZNS1_13binary_searchIS3_S5_NSA_INS8_10device_ptrIiEEEESK_SM_NS1_21upper_bound_search_opENS9_16wrapped_functionINS8_6system6detail7generic6detail18binary_search_lessEbEEEE10hipError_tPvRmT1_T2_T3_mmT4_T5_P12ihipStream_tbEUlRKiE_EESZ_S13_S14_mS15_S18_bEUlT_E_NS1_11comp_targetILNS1_3genE5ELNS1_11target_archE942ELNS1_3gpuE9ELNS1_3repE0EEENS1_30default_config_static_selectorELNS0_4arch9wavefront6targetE1EEEvS12_.num_agpr, 0
	.set _ZN7rocprim17ROCPRIM_400000_NS6detail17trampoline_kernelINS0_14default_configENS1_27upper_bound_config_selectorIilEEZNS1_14transform_implILb0ES3_S5_N6thrust23THRUST_200600_302600_NS6detail15normal_iteratorINS8_7pointerIiNS9_22execute_with_allocatorINS8_16device_allocatorIcEENS8_11hip_rocprim22execute_on_stream_baseEEENS8_11use_defaultESI_EEEENSA_INSB_IlSH_SI_SI_EEEEZNS1_13binary_searchIS3_S5_NSA_INS8_10device_ptrIiEEEESK_SM_NS1_21upper_bound_search_opENS9_16wrapped_functionINS8_6system6detail7generic6detail18binary_search_lessEbEEEE10hipError_tPvRmT1_T2_T3_mmT4_T5_P12ihipStream_tbEUlRKiE_EESZ_S13_S14_mS15_S18_bEUlT_E_NS1_11comp_targetILNS1_3genE5ELNS1_11target_archE942ELNS1_3gpuE9ELNS1_3repE0EEENS1_30default_config_static_selectorELNS0_4arch9wavefront6targetE1EEEvS12_.numbered_sgpr, 0
	.set _ZN7rocprim17ROCPRIM_400000_NS6detail17trampoline_kernelINS0_14default_configENS1_27upper_bound_config_selectorIilEEZNS1_14transform_implILb0ES3_S5_N6thrust23THRUST_200600_302600_NS6detail15normal_iteratorINS8_7pointerIiNS9_22execute_with_allocatorINS8_16device_allocatorIcEENS8_11hip_rocprim22execute_on_stream_baseEEENS8_11use_defaultESI_EEEENSA_INSB_IlSH_SI_SI_EEEEZNS1_13binary_searchIS3_S5_NSA_INS8_10device_ptrIiEEEESK_SM_NS1_21upper_bound_search_opENS9_16wrapped_functionINS8_6system6detail7generic6detail18binary_search_lessEbEEEE10hipError_tPvRmT1_T2_T3_mmT4_T5_P12ihipStream_tbEUlRKiE_EESZ_S13_S14_mS15_S18_bEUlT_E_NS1_11comp_targetILNS1_3genE5ELNS1_11target_archE942ELNS1_3gpuE9ELNS1_3repE0EEENS1_30default_config_static_selectorELNS0_4arch9wavefront6targetE1EEEvS12_.num_named_barrier, 0
	.set _ZN7rocprim17ROCPRIM_400000_NS6detail17trampoline_kernelINS0_14default_configENS1_27upper_bound_config_selectorIilEEZNS1_14transform_implILb0ES3_S5_N6thrust23THRUST_200600_302600_NS6detail15normal_iteratorINS8_7pointerIiNS9_22execute_with_allocatorINS8_16device_allocatorIcEENS8_11hip_rocprim22execute_on_stream_baseEEENS8_11use_defaultESI_EEEENSA_INSB_IlSH_SI_SI_EEEEZNS1_13binary_searchIS3_S5_NSA_INS8_10device_ptrIiEEEESK_SM_NS1_21upper_bound_search_opENS9_16wrapped_functionINS8_6system6detail7generic6detail18binary_search_lessEbEEEE10hipError_tPvRmT1_T2_T3_mmT4_T5_P12ihipStream_tbEUlRKiE_EESZ_S13_S14_mS15_S18_bEUlT_E_NS1_11comp_targetILNS1_3genE5ELNS1_11target_archE942ELNS1_3gpuE9ELNS1_3repE0EEENS1_30default_config_static_selectorELNS0_4arch9wavefront6targetE1EEEvS12_.private_seg_size, 0
	.set _ZN7rocprim17ROCPRIM_400000_NS6detail17trampoline_kernelINS0_14default_configENS1_27upper_bound_config_selectorIilEEZNS1_14transform_implILb0ES3_S5_N6thrust23THRUST_200600_302600_NS6detail15normal_iteratorINS8_7pointerIiNS9_22execute_with_allocatorINS8_16device_allocatorIcEENS8_11hip_rocprim22execute_on_stream_baseEEENS8_11use_defaultESI_EEEENSA_INSB_IlSH_SI_SI_EEEEZNS1_13binary_searchIS3_S5_NSA_INS8_10device_ptrIiEEEESK_SM_NS1_21upper_bound_search_opENS9_16wrapped_functionINS8_6system6detail7generic6detail18binary_search_lessEbEEEE10hipError_tPvRmT1_T2_T3_mmT4_T5_P12ihipStream_tbEUlRKiE_EESZ_S13_S14_mS15_S18_bEUlT_E_NS1_11comp_targetILNS1_3genE5ELNS1_11target_archE942ELNS1_3gpuE9ELNS1_3repE0EEENS1_30default_config_static_selectorELNS0_4arch9wavefront6targetE1EEEvS12_.uses_vcc, 0
	.set _ZN7rocprim17ROCPRIM_400000_NS6detail17trampoline_kernelINS0_14default_configENS1_27upper_bound_config_selectorIilEEZNS1_14transform_implILb0ES3_S5_N6thrust23THRUST_200600_302600_NS6detail15normal_iteratorINS8_7pointerIiNS9_22execute_with_allocatorINS8_16device_allocatorIcEENS8_11hip_rocprim22execute_on_stream_baseEEENS8_11use_defaultESI_EEEENSA_INSB_IlSH_SI_SI_EEEEZNS1_13binary_searchIS3_S5_NSA_INS8_10device_ptrIiEEEESK_SM_NS1_21upper_bound_search_opENS9_16wrapped_functionINS8_6system6detail7generic6detail18binary_search_lessEbEEEE10hipError_tPvRmT1_T2_T3_mmT4_T5_P12ihipStream_tbEUlRKiE_EESZ_S13_S14_mS15_S18_bEUlT_E_NS1_11comp_targetILNS1_3genE5ELNS1_11target_archE942ELNS1_3gpuE9ELNS1_3repE0EEENS1_30default_config_static_selectorELNS0_4arch9wavefront6targetE1EEEvS12_.uses_flat_scratch, 0
	.set _ZN7rocprim17ROCPRIM_400000_NS6detail17trampoline_kernelINS0_14default_configENS1_27upper_bound_config_selectorIilEEZNS1_14transform_implILb0ES3_S5_N6thrust23THRUST_200600_302600_NS6detail15normal_iteratorINS8_7pointerIiNS9_22execute_with_allocatorINS8_16device_allocatorIcEENS8_11hip_rocprim22execute_on_stream_baseEEENS8_11use_defaultESI_EEEENSA_INSB_IlSH_SI_SI_EEEEZNS1_13binary_searchIS3_S5_NSA_INS8_10device_ptrIiEEEESK_SM_NS1_21upper_bound_search_opENS9_16wrapped_functionINS8_6system6detail7generic6detail18binary_search_lessEbEEEE10hipError_tPvRmT1_T2_T3_mmT4_T5_P12ihipStream_tbEUlRKiE_EESZ_S13_S14_mS15_S18_bEUlT_E_NS1_11comp_targetILNS1_3genE5ELNS1_11target_archE942ELNS1_3gpuE9ELNS1_3repE0EEENS1_30default_config_static_selectorELNS0_4arch9wavefront6targetE1EEEvS12_.has_dyn_sized_stack, 0
	.set _ZN7rocprim17ROCPRIM_400000_NS6detail17trampoline_kernelINS0_14default_configENS1_27upper_bound_config_selectorIilEEZNS1_14transform_implILb0ES3_S5_N6thrust23THRUST_200600_302600_NS6detail15normal_iteratorINS8_7pointerIiNS9_22execute_with_allocatorINS8_16device_allocatorIcEENS8_11hip_rocprim22execute_on_stream_baseEEENS8_11use_defaultESI_EEEENSA_INSB_IlSH_SI_SI_EEEEZNS1_13binary_searchIS3_S5_NSA_INS8_10device_ptrIiEEEESK_SM_NS1_21upper_bound_search_opENS9_16wrapped_functionINS8_6system6detail7generic6detail18binary_search_lessEbEEEE10hipError_tPvRmT1_T2_T3_mmT4_T5_P12ihipStream_tbEUlRKiE_EESZ_S13_S14_mS15_S18_bEUlT_E_NS1_11comp_targetILNS1_3genE5ELNS1_11target_archE942ELNS1_3gpuE9ELNS1_3repE0EEENS1_30default_config_static_selectorELNS0_4arch9wavefront6targetE1EEEvS12_.has_recursion, 0
	.set _ZN7rocprim17ROCPRIM_400000_NS6detail17trampoline_kernelINS0_14default_configENS1_27upper_bound_config_selectorIilEEZNS1_14transform_implILb0ES3_S5_N6thrust23THRUST_200600_302600_NS6detail15normal_iteratorINS8_7pointerIiNS9_22execute_with_allocatorINS8_16device_allocatorIcEENS8_11hip_rocprim22execute_on_stream_baseEEENS8_11use_defaultESI_EEEENSA_INSB_IlSH_SI_SI_EEEEZNS1_13binary_searchIS3_S5_NSA_INS8_10device_ptrIiEEEESK_SM_NS1_21upper_bound_search_opENS9_16wrapped_functionINS8_6system6detail7generic6detail18binary_search_lessEbEEEE10hipError_tPvRmT1_T2_T3_mmT4_T5_P12ihipStream_tbEUlRKiE_EESZ_S13_S14_mS15_S18_bEUlT_E_NS1_11comp_targetILNS1_3genE5ELNS1_11target_archE942ELNS1_3gpuE9ELNS1_3repE0EEENS1_30default_config_static_selectorELNS0_4arch9wavefront6targetE1EEEvS12_.has_indirect_call, 0
	.section	.AMDGPU.csdata,"",@progbits
; Kernel info:
; codeLenInByte = 0
; TotalNumSgprs: 4
; NumVgprs: 0
; ScratchSize: 0
; MemoryBound: 0
; FloatMode: 240
; IeeeMode: 1
; LDSByteSize: 0 bytes/workgroup (compile time only)
; SGPRBlocks: 0
; VGPRBlocks: 0
; NumSGPRsForWavesPerEU: 4
; NumVGPRsForWavesPerEU: 1
; Occupancy: 10
; WaveLimiterHint : 0
; COMPUTE_PGM_RSRC2:SCRATCH_EN: 0
; COMPUTE_PGM_RSRC2:USER_SGPR: 6
; COMPUTE_PGM_RSRC2:TRAP_HANDLER: 0
; COMPUTE_PGM_RSRC2:TGID_X_EN: 1
; COMPUTE_PGM_RSRC2:TGID_Y_EN: 0
; COMPUTE_PGM_RSRC2:TGID_Z_EN: 0
; COMPUTE_PGM_RSRC2:TIDIG_COMP_CNT: 0
	.section	.text._ZN7rocprim17ROCPRIM_400000_NS6detail17trampoline_kernelINS0_14default_configENS1_27upper_bound_config_selectorIilEEZNS1_14transform_implILb0ES3_S5_N6thrust23THRUST_200600_302600_NS6detail15normal_iteratorINS8_7pointerIiNS9_22execute_with_allocatorINS8_16device_allocatorIcEENS8_11hip_rocprim22execute_on_stream_baseEEENS8_11use_defaultESI_EEEENSA_INSB_IlSH_SI_SI_EEEEZNS1_13binary_searchIS3_S5_NSA_INS8_10device_ptrIiEEEESK_SM_NS1_21upper_bound_search_opENS9_16wrapped_functionINS8_6system6detail7generic6detail18binary_search_lessEbEEEE10hipError_tPvRmT1_T2_T3_mmT4_T5_P12ihipStream_tbEUlRKiE_EESZ_S13_S14_mS15_S18_bEUlT_E_NS1_11comp_targetILNS1_3genE4ELNS1_11target_archE910ELNS1_3gpuE8ELNS1_3repE0EEENS1_30default_config_static_selectorELNS0_4arch9wavefront6targetE1EEEvS12_,"axG",@progbits,_ZN7rocprim17ROCPRIM_400000_NS6detail17trampoline_kernelINS0_14default_configENS1_27upper_bound_config_selectorIilEEZNS1_14transform_implILb0ES3_S5_N6thrust23THRUST_200600_302600_NS6detail15normal_iteratorINS8_7pointerIiNS9_22execute_with_allocatorINS8_16device_allocatorIcEENS8_11hip_rocprim22execute_on_stream_baseEEENS8_11use_defaultESI_EEEENSA_INSB_IlSH_SI_SI_EEEEZNS1_13binary_searchIS3_S5_NSA_INS8_10device_ptrIiEEEESK_SM_NS1_21upper_bound_search_opENS9_16wrapped_functionINS8_6system6detail7generic6detail18binary_search_lessEbEEEE10hipError_tPvRmT1_T2_T3_mmT4_T5_P12ihipStream_tbEUlRKiE_EESZ_S13_S14_mS15_S18_bEUlT_E_NS1_11comp_targetILNS1_3genE4ELNS1_11target_archE910ELNS1_3gpuE8ELNS1_3repE0EEENS1_30default_config_static_selectorELNS0_4arch9wavefront6targetE1EEEvS12_,comdat
	.protected	_ZN7rocprim17ROCPRIM_400000_NS6detail17trampoline_kernelINS0_14default_configENS1_27upper_bound_config_selectorIilEEZNS1_14transform_implILb0ES3_S5_N6thrust23THRUST_200600_302600_NS6detail15normal_iteratorINS8_7pointerIiNS9_22execute_with_allocatorINS8_16device_allocatorIcEENS8_11hip_rocprim22execute_on_stream_baseEEENS8_11use_defaultESI_EEEENSA_INSB_IlSH_SI_SI_EEEEZNS1_13binary_searchIS3_S5_NSA_INS8_10device_ptrIiEEEESK_SM_NS1_21upper_bound_search_opENS9_16wrapped_functionINS8_6system6detail7generic6detail18binary_search_lessEbEEEE10hipError_tPvRmT1_T2_T3_mmT4_T5_P12ihipStream_tbEUlRKiE_EESZ_S13_S14_mS15_S18_bEUlT_E_NS1_11comp_targetILNS1_3genE4ELNS1_11target_archE910ELNS1_3gpuE8ELNS1_3repE0EEENS1_30default_config_static_selectorELNS0_4arch9wavefront6targetE1EEEvS12_ ; -- Begin function _ZN7rocprim17ROCPRIM_400000_NS6detail17trampoline_kernelINS0_14default_configENS1_27upper_bound_config_selectorIilEEZNS1_14transform_implILb0ES3_S5_N6thrust23THRUST_200600_302600_NS6detail15normal_iteratorINS8_7pointerIiNS9_22execute_with_allocatorINS8_16device_allocatorIcEENS8_11hip_rocprim22execute_on_stream_baseEEENS8_11use_defaultESI_EEEENSA_INSB_IlSH_SI_SI_EEEEZNS1_13binary_searchIS3_S5_NSA_INS8_10device_ptrIiEEEESK_SM_NS1_21upper_bound_search_opENS9_16wrapped_functionINS8_6system6detail7generic6detail18binary_search_lessEbEEEE10hipError_tPvRmT1_T2_T3_mmT4_T5_P12ihipStream_tbEUlRKiE_EESZ_S13_S14_mS15_S18_bEUlT_E_NS1_11comp_targetILNS1_3genE4ELNS1_11target_archE910ELNS1_3gpuE8ELNS1_3repE0EEENS1_30default_config_static_selectorELNS0_4arch9wavefront6targetE1EEEvS12_
	.globl	_ZN7rocprim17ROCPRIM_400000_NS6detail17trampoline_kernelINS0_14default_configENS1_27upper_bound_config_selectorIilEEZNS1_14transform_implILb0ES3_S5_N6thrust23THRUST_200600_302600_NS6detail15normal_iteratorINS8_7pointerIiNS9_22execute_with_allocatorINS8_16device_allocatorIcEENS8_11hip_rocprim22execute_on_stream_baseEEENS8_11use_defaultESI_EEEENSA_INSB_IlSH_SI_SI_EEEEZNS1_13binary_searchIS3_S5_NSA_INS8_10device_ptrIiEEEESK_SM_NS1_21upper_bound_search_opENS9_16wrapped_functionINS8_6system6detail7generic6detail18binary_search_lessEbEEEE10hipError_tPvRmT1_T2_T3_mmT4_T5_P12ihipStream_tbEUlRKiE_EESZ_S13_S14_mS15_S18_bEUlT_E_NS1_11comp_targetILNS1_3genE4ELNS1_11target_archE910ELNS1_3gpuE8ELNS1_3repE0EEENS1_30default_config_static_selectorELNS0_4arch9wavefront6targetE1EEEvS12_
	.p2align	8
	.type	_ZN7rocprim17ROCPRIM_400000_NS6detail17trampoline_kernelINS0_14default_configENS1_27upper_bound_config_selectorIilEEZNS1_14transform_implILb0ES3_S5_N6thrust23THRUST_200600_302600_NS6detail15normal_iteratorINS8_7pointerIiNS9_22execute_with_allocatorINS8_16device_allocatorIcEENS8_11hip_rocprim22execute_on_stream_baseEEENS8_11use_defaultESI_EEEENSA_INSB_IlSH_SI_SI_EEEEZNS1_13binary_searchIS3_S5_NSA_INS8_10device_ptrIiEEEESK_SM_NS1_21upper_bound_search_opENS9_16wrapped_functionINS8_6system6detail7generic6detail18binary_search_lessEbEEEE10hipError_tPvRmT1_T2_T3_mmT4_T5_P12ihipStream_tbEUlRKiE_EESZ_S13_S14_mS15_S18_bEUlT_E_NS1_11comp_targetILNS1_3genE4ELNS1_11target_archE910ELNS1_3gpuE8ELNS1_3repE0EEENS1_30default_config_static_selectorELNS0_4arch9wavefront6targetE1EEEvS12_,@function
_ZN7rocprim17ROCPRIM_400000_NS6detail17trampoline_kernelINS0_14default_configENS1_27upper_bound_config_selectorIilEEZNS1_14transform_implILb0ES3_S5_N6thrust23THRUST_200600_302600_NS6detail15normal_iteratorINS8_7pointerIiNS9_22execute_with_allocatorINS8_16device_allocatorIcEENS8_11hip_rocprim22execute_on_stream_baseEEENS8_11use_defaultESI_EEEENSA_INSB_IlSH_SI_SI_EEEEZNS1_13binary_searchIS3_S5_NSA_INS8_10device_ptrIiEEEESK_SM_NS1_21upper_bound_search_opENS9_16wrapped_functionINS8_6system6detail7generic6detail18binary_search_lessEbEEEE10hipError_tPvRmT1_T2_T3_mmT4_T5_P12ihipStream_tbEUlRKiE_EESZ_S13_S14_mS15_S18_bEUlT_E_NS1_11comp_targetILNS1_3genE4ELNS1_11target_archE910ELNS1_3gpuE8ELNS1_3repE0EEENS1_30default_config_static_selectorELNS0_4arch9wavefront6targetE1EEEvS12_: ; @_ZN7rocprim17ROCPRIM_400000_NS6detail17trampoline_kernelINS0_14default_configENS1_27upper_bound_config_selectorIilEEZNS1_14transform_implILb0ES3_S5_N6thrust23THRUST_200600_302600_NS6detail15normal_iteratorINS8_7pointerIiNS9_22execute_with_allocatorINS8_16device_allocatorIcEENS8_11hip_rocprim22execute_on_stream_baseEEENS8_11use_defaultESI_EEEENSA_INSB_IlSH_SI_SI_EEEEZNS1_13binary_searchIS3_S5_NSA_INS8_10device_ptrIiEEEESK_SM_NS1_21upper_bound_search_opENS9_16wrapped_functionINS8_6system6detail7generic6detail18binary_search_lessEbEEEE10hipError_tPvRmT1_T2_T3_mmT4_T5_P12ihipStream_tbEUlRKiE_EESZ_S13_S14_mS15_S18_bEUlT_E_NS1_11comp_targetILNS1_3genE4ELNS1_11target_archE910ELNS1_3gpuE8ELNS1_3repE0EEENS1_30default_config_static_selectorELNS0_4arch9wavefront6targetE1EEEvS12_
; %bb.0:
	.section	.rodata,"a",@progbits
	.p2align	6, 0x0
	.amdhsa_kernel _ZN7rocprim17ROCPRIM_400000_NS6detail17trampoline_kernelINS0_14default_configENS1_27upper_bound_config_selectorIilEEZNS1_14transform_implILb0ES3_S5_N6thrust23THRUST_200600_302600_NS6detail15normal_iteratorINS8_7pointerIiNS9_22execute_with_allocatorINS8_16device_allocatorIcEENS8_11hip_rocprim22execute_on_stream_baseEEENS8_11use_defaultESI_EEEENSA_INSB_IlSH_SI_SI_EEEEZNS1_13binary_searchIS3_S5_NSA_INS8_10device_ptrIiEEEESK_SM_NS1_21upper_bound_search_opENS9_16wrapped_functionINS8_6system6detail7generic6detail18binary_search_lessEbEEEE10hipError_tPvRmT1_T2_T3_mmT4_T5_P12ihipStream_tbEUlRKiE_EESZ_S13_S14_mS15_S18_bEUlT_E_NS1_11comp_targetILNS1_3genE4ELNS1_11target_archE910ELNS1_3gpuE8ELNS1_3repE0EEENS1_30default_config_static_selectorELNS0_4arch9wavefront6targetE1EEEvS12_
		.amdhsa_group_segment_fixed_size 0
		.amdhsa_private_segment_fixed_size 0
		.amdhsa_kernarg_size 56
		.amdhsa_user_sgpr_count 6
		.amdhsa_user_sgpr_private_segment_buffer 1
		.amdhsa_user_sgpr_dispatch_ptr 0
		.amdhsa_user_sgpr_queue_ptr 0
		.amdhsa_user_sgpr_kernarg_segment_ptr 1
		.amdhsa_user_sgpr_dispatch_id 0
		.amdhsa_user_sgpr_flat_scratch_init 0
		.amdhsa_user_sgpr_private_segment_size 0
		.amdhsa_uses_dynamic_stack 0
		.amdhsa_system_sgpr_private_segment_wavefront_offset 0
		.amdhsa_system_sgpr_workgroup_id_x 1
		.amdhsa_system_sgpr_workgroup_id_y 0
		.amdhsa_system_sgpr_workgroup_id_z 0
		.amdhsa_system_sgpr_workgroup_info 0
		.amdhsa_system_vgpr_workitem_id 0
		.amdhsa_next_free_vgpr 1
		.amdhsa_next_free_sgpr 0
		.amdhsa_reserve_vcc 0
		.amdhsa_reserve_flat_scratch 0
		.amdhsa_float_round_mode_32 0
		.amdhsa_float_round_mode_16_64 0
		.amdhsa_float_denorm_mode_32 3
		.amdhsa_float_denorm_mode_16_64 3
		.amdhsa_dx10_clamp 1
		.amdhsa_ieee_mode 1
		.amdhsa_fp16_overflow 0
		.amdhsa_exception_fp_ieee_invalid_op 0
		.amdhsa_exception_fp_denorm_src 0
		.amdhsa_exception_fp_ieee_div_zero 0
		.amdhsa_exception_fp_ieee_overflow 0
		.amdhsa_exception_fp_ieee_underflow 0
		.amdhsa_exception_fp_ieee_inexact 0
		.amdhsa_exception_int_div_zero 0
	.end_amdhsa_kernel
	.section	.text._ZN7rocprim17ROCPRIM_400000_NS6detail17trampoline_kernelINS0_14default_configENS1_27upper_bound_config_selectorIilEEZNS1_14transform_implILb0ES3_S5_N6thrust23THRUST_200600_302600_NS6detail15normal_iteratorINS8_7pointerIiNS9_22execute_with_allocatorINS8_16device_allocatorIcEENS8_11hip_rocprim22execute_on_stream_baseEEENS8_11use_defaultESI_EEEENSA_INSB_IlSH_SI_SI_EEEEZNS1_13binary_searchIS3_S5_NSA_INS8_10device_ptrIiEEEESK_SM_NS1_21upper_bound_search_opENS9_16wrapped_functionINS8_6system6detail7generic6detail18binary_search_lessEbEEEE10hipError_tPvRmT1_T2_T3_mmT4_T5_P12ihipStream_tbEUlRKiE_EESZ_S13_S14_mS15_S18_bEUlT_E_NS1_11comp_targetILNS1_3genE4ELNS1_11target_archE910ELNS1_3gpuE8ELNS1_3repE0EEENS1_30default_config_static_selectorELNS0_4arch9wavefront6targetE1EEEvS12_,"axG",@progbits,_ZN7rocprim17ROCPRIM_400000_NS6detail17trampoline_kernelINS0_14default_configENS1_27upper_bound_config_selectorIilEEZNS1_14transform_implILb0ES3_S5_N6thrust23THRUST_200600_302600_NS6detail15normal_iteratorINS8_7pointerIiNS9_22execute_with_allocatorINS8_16device_allocatorIcEENS8_11hip_rocprim22execute_on_stream_baseEEENS8_11use_defaultESI_EEEENSA_INSB_IlSH_SI_SI_EEEEZNS1_13binary_searchIS3_S5_NSA_INS8_10device_ptrIiEEEESK_SM_NS1_21upper_bound_search_opENS9_16wrapped_functionINS8_6system6detail7generic6detail18binary_search_lessEbEEEE10hipError_tPvRmT1_T2_T3_mmT4_T5_P12ihipStream_tbEUlRKiE_EESZ_S13_S14_mS15_S18_bEUlT_E_NS1_11comp_targetILNS1_3genE4ELNS1_11target_archE910ELNS1_3gpuE8ELNS1_3repE0EEENS1_30default_config_static_selectorELNS0_4arch9wavefront6targetE1EEEvS12_,comdat
.Lfunc_end781:
	.size	_ZN7rocprim17ROCPRIM_400000_NS6detail17trampoline_kernelINS0_14default_configENS1_27upper_bound_config_selectorIilEEZNS1_14transform_implILb0ES3_S5_N6thrust23THRUST_200600_302600_NS6detail15normal_iteratorINS8_7pointerIiNS9_22execute_with_allocatorINS8_16device_allocatorIcEENS8_11hip_rocprim22execute_on_stream_baseEEENS8_11use_defaultESI_EEEENSA_INSB_IlSH_SI_SI_EEEEZNS1_13binary_searchIS3_S5_NSA_INS8_10device_ptrIiEEEESK_SM_NS1_21upper_bound_search_opENS9_16wrapped_functionINS8_6system6detail7generic6detail18binary_search_lessEbEEEE10hipError_tPvRmT1_T2_T3_mmT4_T5_P12ihipStream_tbEUlRKiE_EESZ_S13_S14_mS15_S18_bEUlT_E_NS1_11comp_targetILNS1_3genE4ELNS1_11target_archE910ELNS1_3gpuE8ELNS1_3repE0EEENS1_30default_config_static_selectorELNS0_4arch9wavefront6targetE1EEEvS12_, .Lfunc_end781-_ZN7rocprim17ROCPRIM_400000_NS6detail17trampoline_kernelINS0_14default_configENS1_27upper_bound_config_selectorIilEEZNS1_14transform_implILb0ES3_S5_N6thrust23THRUST_200600_302600_NS6detail15normal_iteratorINS8_7pointerIiNS9_22execute_with_allocatorINS8_16device_allocatorIcEENS8_11hip_rocprim22execute_on_stream_baseEEENS8_11use_defaultESI_EEEENSA_INSB_IlSH_SI_SI_EEEEZNS1_13binary_searchIS3_S5_NSA_INS8_10device_ptrIiEEEESK_SM_NS1_21upper_bound_search_opENS9_16wrapped_functionINS8_6system6detail7generic6detail18binary_search_lessEbEEEE10hipError_tPvRmT1_T2_T3_mmT4_T5_P12ihipStream_tbEUlRKiE_EESZ_S13_S14_mS15_S18_bEUlT_E_NS1_11comp_targetILNS1_3genE4ELNS1_11target_archE910ELNS1_3gpuE8ELNS1_3repE0EEENS1_30default_config_static_selectorELNS0_4arch9wavefront6targetE1EEEvS12_
                                        ; -- End function
	.set _ZN7rocprim17ROCPRIM_400000_NS6detail17trampoline_kernelINS0_14default_configENS1_27upper_bound_config_selectorIilEEZNS1_14transform_implILb0ES3_S5_N6thrust23THRUST_200600_302600_NS6detail15normal_iteratorINS8_7pointerIiNS9_22execute_with_allocatorINS8_16device_allocatorIcEENS8_11hip_rocprim22execute_on_stream_baseEEENS8_11use_defaultESI_EEEENSA_INSB_IlSH_SI_SI_EEEEZNS1_13binary_searchIS3_S5_NSA_INS8_10device_ptrIiEEEESK_SM_NS1_21upper_bound_search_opENS9_16wrapped_functionINS8_6system6detail7generic6detail18binary_search_lessEbEEEE10hipError_tPvRmT1_T2_T3_mmT4_T5_P12ihipStream_tbEUlRKiE_EESZ_S13_S14_mS15_S18_bEUlT_E_NS1_11comp_targetILNS1_3genE4ELNS1_11target_archE910ELNS1_3gpuE8ELNS1_3repE0EEENS1_30default_config_static_selectorELNS0_4arch9wavefront6targetE1EEEvS12_.num_vgpr, 0
	.set _ZN7rocprim17ROCPRIM_400000_NS6detail17trampoline_kernelINS0_14default_configENS1_27upper_bound_config_selectorIilEEZNS1_14transform_implILb0ES3_S5_N6thrust23THRUST_200600_302600_NS6detail15normal_iteratorINS8_7pointerIiNS9_22execute_with_allocatorINS8_16device_allocatorIcEENS8_11hip_rocprim22execute_on_stream_baseEEENS8_11use_defaultESI_EEEENSA_INSB_IlSH_SI_SI_EEEEZNS1_13binary_searchIS3_S5_NSA_INS8_10device_ptrIiEEEESK_SM_NS1_21upper_bound_search_opENS9_16wrapped_functionINS8_6system6detail7generic6detail18binary_search_lessEbEEEE10hipError_tPvRmT1_T2_T3_mmT4_T5_P12ihipStream_tbEUlRKiE_EESZ_S13_S14_mS15_S18_bEUlT_E_NS1_11comp_targetILNS1_3genE4ELNS1_11target_archE910ELNS1_3gpuE8ELNS1_3repE0EEENS1_30default_config_static_selectorELNS0_4arch9wavefront6targetE1EEEvS12_.num_agpr, 0
	.set _ZN7rocprim17ROCPRIM_400000_NS6detail17trampoline_kernelINS0_14default_configENS1_27upper_bound_config_selectorIilEEZNS1_14transform_implILb0ES3_S5_N6thrust23THRUST_200600_302600_NS6detail15normal_iteratorINS8_7pointerIiNS9_22execute_with_allocatorINS8_16device_allocatorIcEENS8_11hip_rocprim22execute_on_stream_baseEEENS8_11use_defaultESI_EEEENSA_INSB_IlSH_SI_SI_EEEEZNS1_13binary_searchIS3_S5_NSA_INS8_10device_ptrIiEEEESK_SM_NS1_21upper_bound_search_opENS9_16wrapped_functionINS8_6system6detail7generic6detail18binary_search_lessEbEEEE10hipError_tPvRmT1_T2_T3_mmT4_T5_P12ihipStream_tbEUlRKiE_EESZ_S13_S14_mS15_S18_bEUlT_E_NS1_11comp_targetILNS1_3genE4ELNS1_11target_archE910ELNS1_3gpuE8ELNS1_3repE0EEENS1_30default_config_static_selectorELNS0_4arch9wavefront6targetE1EEEvS12_.numbered_sgpr, 0
	.set _ZN7rocprim17ROCPRIM_400000_NS6detail17trampoline_kernelINS0_14default_configENS1_27upper_bound_config_selectorIilEEZNS1_14transform_implILb0ES3_S5_N6thrust23THRUST_200600_302600_NS6detail15normal_iteratorINS8_7pointerIiNS9_22execute_with_allocatorINS8_16device_allocatorIcEENS8_11hip_rocprim22execute_on_stream_baseEEENS8_11use_defaultESI_EEEENSA_INSB_IlSH_SI_SI_EEEEZNS1_13binary_searchIS3_S5_NSA_INS8_10device_ptrIiEEEESK_SM_NS1_21upper_bound_search_opENS9_16wrapped_functionINS8_6system6detail7generic6detail18binary_search_lessEbEEEE10hipError_tPvRmT1_T2_T3_mmT4_T5_P12ihipStream_tbEUlRKiE_EESZ_S13_S14_mS15_S18_bEUlT_E_NS1_11comp_targetILNS1_3genE4ELNS1_11target_archE910ELNS1_3gpuE8ELNS1_3repE0EEENS1_30default_config_static_selectorELNS0_4arch9wavefront6targetE1EEEvS12_.num_named_barrier, 0
	.set _ZN7rocprim17ROCPRIM_400000_NS6detail17trampoline_kernelINS0_14default_configENS1_27upper_bound_config_selectorIilEEZNS1_14transform_implILb0ES3_S5_N6thrust23THRUST_200600_302600_NS6detail15normal_iteratorINS8_7pointerIiNS9_22execute_with_allocatorINS8_16device_allocatorIcEENS8_11hip_rocprim22execute_on_stream_baseEEENS8_11use_defaultESI_EEEENSA_INSB_IlSH_SI_SI_EEEEZNS1_13binary_searchIS3_S5_NSA_INS8_10device_ptrIiEEEESK_SM_NS1_21upper_bound_search_opENS9_16wrapped_functionINS8_6system6detail7generic6detail18binary_search_lessEbEEEE10hipError_tPvRmT1_T2_T3_mmT4_T5_P12ihipStream_tbEUlRKiE_EESZ_S13_S14_mS15_S18_bEUlT_E_NS1_11comp_targetILNS1_3genE4ELNS1_11target_archE910ELNS1_3gpuE8ELNS1_3repE0EEENS1_30default_config_static_selectorELNS0_4arch9wavefront6targetE1EEEvS12_.private_seg_size, 0
	.set _ZN7rocprim17ROCPRIM_400000_NS6detail17trampoline_kernelINS0_14default_configENS1_27upper_bound_config_selectorIilEEZNS1_14transform_implILb0ES3_S5_N6thrust23THRUST_200600_302600_NS6detail15normal_iteratorINS8_7pointerIiNS9_22execute_with_allocatorINS8_16device_allocatorIcEENS8_11hip_rocprim22execute_on_stream_baseEEENS8_11use_defaultESI_EEEENSA_INSB_IlSH_SI_SI_EEEEZNS1_13binary_searchIS3_S5_NSA_INS8_10device_ptrIiEEEESK_SM_NS1_21upper_bound_search_opENS9_16wrapped_functionINS8_6system6detail7generic6detail18binary_search_lessEbEEEE10hipError_tPvRmT1_T2_T3_mmT4_T5_P12ihipStream_tbEUlRKiE_EESZ_S13_S14_mS15_S18_bEUlT_E_NS1_11comp_targetILNS1_3genE4ELNS1_11target_archE910ELNS1_3gpuE8ELNS1_3repE0EEENS1_30default_config_static_selectorELNS0_4arch9wavefront6targetE1EEEvS12_.uses_vcc, 0
	.set _ZN7rocprim17ROCPRIM_400000_NS6detail17trampoline_kernelINS0_14default_configENS1_27upper_bound_config_selectorIilEEZNS1_14transform_implILb0ES3_S5_N6thrust23THRUST_200600_302600_NS6detail15normal_iteratorINS8_7pointerIiNS9_22execute_with_allocatorINS8_16device_allocatorIcEENS8_11hip_rocprim22execute_on_stream_baseEEENS8_11use_defaultESI_EEEENSA_INSB_IlSH_SI_SI_EEEEZNS1_13binary_searchIS3_S5_NSA_INS8_10device_ptrIiEEEESK_SM_NS1_21upper_bound_search_opENS9_16wrapped_functionINS8_6system6detail7generic6detail18binary_search_lessEbEEEE10hipError_tPvRmT1_T2_T3_mmT4_T5_P12ihipStream_tbEUlRKiE_EESZ_S13_S14_mS15_S18_bEUlT_E_NS1_11comp_targetILNS1_3genE4ELNS1_11target_archE910ELNS1_3gpuE8ELNS1_3repE0EEENS1_30default_config_static_selectorELNS0_4arch9wavefront6targetE1EEEvS12_.uses_flat_scratch, 0
	.set _ZN7rocprim17ROCPRIM_400000_NS6detail17trampoline_kernelINS0_14default_configENS1_27upper_bound_config_selectorIilEEZNS1_14transform_implILb0ES3_S5_N6thrust23THRUST_200600_302600_NS6detail15normal_iteratorINS8_7pointerIiNS9_22execute_with_allocatorINS8_16device_allocatorIcEENS8_11hip_rocprim22execute_on_stream_baseEEENS8_11use_defaultESI_EEEENSA_INSB_IlSH_SI_SI_EEEEZNS1_13binary_searchIS3_S5_NSA_INS8_10device_ptrIiEEEESK_SM_NS1_21upper_bound_search_opENS9_16wrapped_functionINS8_6system6detail7generic6detail18binary_search_lessEbEEEE10hipError_tPvRmT1_T2_T3_mmT4_T5_P12ihipStream_tbEUlRKiE_EESZ_S13_S14_mS15_S18_bEUlT_E_NS1_11comp_targetILNS1_3genE4ELNS1_11target_archE910ELNS1_3gpuE8ELNS1_3repE0EEENS1_30default_config_static_selectorELNS0_4arch9wavefront6targetE1EEEvS12_.has_dyn_sized_stack, 0
	.set _ZN7rocprim17ROCPRIM_400000_NS6detail17trampoline_kernelINS0_14default_configENS1_27upper_bound_config_selectorIilEEZNS1_14transform_implILb0ES3_S5_N6thrust23THRUST_200600_302600_NS6detail15normal_iteratorINS8_7pointerIiNS9_22execute_with_allocatorINS8_16device_allocatorIcEENS8_11hip_rocprim22execute_on_stream_baseEEENS8_11use_defaultESI_EEEENSA_INSB_IlSH_SI_SI_EEEEZNS1_13binary_searchIS3_S5_NSA_INS8_10device_ptrIiEEEESK_SM_NS1_21upper_bound_search_opENS9_16wrapped_functionINS8_6system6detail7generic6detail18binary_search_lessEbEEEE10hipError_tPvRmT1_T2_T3_mmT4_T5_P12ihipStream_tbEUlRKiE_EESZ_S13_S14_mS15_S18_bEUlT_E_NS1_11comp_targetILNS1_3genE4ELNS1_11target_archE910ELNS1_3gpuE8ELNS1_3repE0EEENS1_30default_config_static_selectorELNS0_4arch9wavefront6targetE1EEEvS12_.has_recursion, 0
	.set _ZN7rocprim17ROCPRIM_400000_NS6detail17trampoline_kernelINS0_14default_configENS1_27upper_bound_config_selectorIilEEZNS1_14transform_implILb0ES3_S5_N6thrust23THRUST_200600_302600_NS6detail15normal_iteratorINS8_7pointerIiNS9_22execute_with_allocatorINS8_16device_allocatorIcEENS8_11hip_rocprim22execute_on_stream_baseEEENS8_11use_defaultESI_EEEENSA_INSB_IlSH_SI_SI_EEEEZNS1_13binary_searchIS3_S5_NSA_INS8_10device_ptrIiEEEESK_SM_NS1_21upper_bound_search_opENS9_16wrapped_functionINS8_6system6detail7generic6detail18binary_search_lessEbEEEE10hipError_tPvRmT1_T2_T3_mmT4_T5_P12ihipStream_tbEUlRKiE_EESZ_S13_S14_mS15_S18_bEUlT_E_NS1_11comp_targetILNS1_3genE4ELNS1_11target_archE910ELNS1_3gpuE8ELNS1_3repE0EEENS1_30default_config_static_selectorELNS0_4arch9wavefront6targetE1EEEvS12_.has_indirect_call, 0
	.section	.AMDGPU.csdata,"",@progbits
; Kernel info:
; codeLenInByte = 0
; TotalNumSgprs: 4
; NumVgprs: 0
; ScratchSize: 0
; MemoryBound: 0
; FloatMode: 240
; IeeeMode: 1
; LDSByteSize: 0 bytes/workgroup (compile time only)
; SGPRBlocks: 0
; VGPRBlocks: 0
; NumSGPRsForWavesPerEU: 4
; NumVGPRsForWavesPerEU: 1
; Occupancy: 10
; WaveLimiterHint : 0
; COMPUTE_PGM_RSRC2:SCRATCH_EN: 0
; COMPUTE_PGM_RSRC2:USER_SGPR: 6
; COMPUTE_PGM_RSRC2:TRAP_HANDLER: 0
; COMPUTE_PGM_RSRC2:TGID_X_EN: 1
; COMPUTE_PGM_RSRC2:TGID_Y_EN: 0
; COMPUTE_PGM_RSRC2:TGID_Z_EN: 0
; COMPUTE_PGM_RSRC2:TIDIG_COMP_CNT: 0
	.section	.text._ZN7rocprim17ROCPRIM_400000_NS6detail17trampoline_kernelINS0_14default_configENS1_27upper_bound_config_selectorIilEEZNS1_14transform_implILb0ES3_S5_N6thrust23THRUST_200600_302600_NS6detail15normal_iteratorINS8_7pointerIiNS9_22execute_with_allocatorINS8_16device_allocatorIcEENS8_11hip_rocprim22execute_on_stream_baseEEENS8_11use_defaultESI_EEEENSA_INSB_IlSH_SI_SI_EEEEZNS1_13binary_searchIS3_S5_NSA_INS8_10device_ptrIiEEEESK_SM_NS1_21upper_bound_search_opENS9_16wrapped_functionINS8_6system6detail7generic6detail18binary_search_lessEbEEEE10hipError_tPvRmT1_T2_T3_mmT4_T5_P12ihipStream_tbEUlRKiE_EESZ_S13_S14_mS15_S18_bEUlT_E_NS1_11comp_targetILNS1_3genE3ELNS1_11target_archE908ELNS1_3gpuE7ELNS1_3repE0EEENS1_30default_config_static_selectorELNS0_4arch9wavefront6targetE1EEEvS12_,"axG",@progbits,_ZN7rocprim17ROCPRIM_400000_NS6detail17trampoline_kernelINS0_14default_configENS1_27upper_bound_config_selectorIilEEZNS1_14transform_implILb0ES3_S5_N6thrust23THRUST_200600_302600_NS6detail15normal_iteratorINS8_7pointerIiNS9_22execute_with_allocatorINS8_16device_allocatorIcEENS8_11hip_rocprim22execute_on_stream_baseEEENS8_11use_defaultESI_EEEENSA_INSB_IlSH_SI_SI_EEEEZNS1_13binary_searchIS3_S5_NSA_INS8_10device_ptrIiEEEESK_SM_NS1_21upper_bound_search_opENS9_16wrapped_functionINS8_6system6detail7generic6detail18binary_search_lessEbEEEE10hipError_tPvRmT1_T2_T3_mmT4_T5_P12ihipStream_tbEUlRKiE_EESZ_S13_S14_mS15_S18_bEUlT_E_NS1_11comp_targetILNS1_3genE3ELNS1_11target_archE908ELNS1_3gpuE7ELNS1_3repE0EEENS1_30default_config_static_selectorELNS0_4arch9wavefront6targetE1EEEvS12_,comdat
	.protected	_ZN7rocprim17ROCPRIM_400000_NS6detail17trampoline_kernelINS0_14default_configENS1_27upper_bound_config_selectorIilEEZNS1_14transform_implILb0ES3_S5_N6thrust23THRUST_200600_302600_NS6detail15normal_iteratorINS8_7pointerIiNS9_22execute_with_allocatorINS8_16device_allocatorIcEENS8_11hip_rocprim22execute_on_stream_baseEEENS8_11use_defaultESI_EEEENSA_INSB_IlSH_SI_SI_EEEEZNS1_13binary_searchIS3_S5_NSA_INS8_10device_ptrIiEEEESK_SM_NS1_21upper_bound_search_opENS9_16wrapped_functionINS8_6system6detail7generic6detail18binary_search_lessEbEEEE10hipError_tPvRmT1_T2_T3_mmT4_T5_P12ihipStream_tbEUlRKiE_EESZ_S13_S14_mS15_S18_bEUlT_E_NS1_11comp_targetILNS1_3genE3ELNS1_11target_archE908ELNS1_3gpuE7ELNS1_3repE0EEENS1_30default_config_static_selectorELNS0_4arch9wavefront6targetE1EEEvS12_ ; -- Begin function _ZN7rocprim17ROCPRIM_400000_NS6detail17trampoline_kernelINS0_14default_configENS1_27upper_bound_config_selectorIilEEZNS1_14transform_implILb0ES3_S5_N6thrust23THRUST_200600_302600_NS6detail15normal_iteratorINS8_7pointerIiNS9_22execute_with_allocatorINS8_16device_allocatorIcEENS8_11hip_rocprim22execute_on_stream_baseEEENS8_11use_defaultESI_EEEENSA_INSB_IlSH_SI_SI_EEEEZNS1_13binary_searchIS3_S5_NSA_INS8_10device_ptrIiEEEESK_SM_NS1_21upper_bound_search_opENS9_16wrapped_functionINS8_6system6detail7generic6detail18binary_search_lessEbEEEE10hipError_tPvRmT1_T2_T3_mmT4_T5_P12ihipStream_tbEUlRKiE_EESZ_S13_S14_mS15_S18_bEUlT_E_NS1_11comp_targetILNS1_3genE3ELNS1_11target_archE908ELNS1_3gpuE7ELNS1_3repE0EEENS1_30default_config_static_selectorELNS0_4arch9wavefront6targetE1EEEvS12_
	.globl	_ZN7rocprim17ROCPRIM_400000_NS6detail17trampoline_kernelINS0_14default_configENS1_27upper_bound_config_selectorIilEEZNS1_14transform_implILb0ES3_S5_N6thrust23THRUST_200600_302600_NS6detail15normal_iteratorINS8_7pointerIiNS9_22execute_with_allocatorINS8_16device_allocatorIcEENS8_11hip_rocprim22execute_on_stream_baseEEENS8_11use_defaultESI_EEEENSA_INSB_IlSH_SI_SI_EEEEZNS1_13binary_searchIS3_S5_NSA_INS8_10device_ptrIiEEEESK_SM_NS1_21upper_bound_search_opENS9_16wrapped_functionINS8_6system6detail7generic6detail18binary_search_lessEbEEEE10hipError_tPvRmT1_T2_T3_mmT4_T5_P12ihipStream_tbEUlRKiE_EESZ_S13_S14_mS15_S18_bEUlT_E_NS1_11comp_targetILNS1_3genE3ELNS1_11target_archE908ELNS1_3gpuE7ELNS1_3repE0EEENS1_30default_config_static_selectorELNS0_4arch9wavefront6targetE1EEEvS12_
	.p2align	8
	.type	_ZN7rocprim17ROCPRIM_400000_NS6detail17trampoline_kernelINS0_14default_configENS1_27upper_bound_config_selectorIilEEZNS1_14transform_implILb0ES3_S5_N6thrust23THRUST_200600_302600_NS6detail15normal_iteratorINS8_7pointerIiNS9_22execute_with_allocatorINS8_16device_allocatorIcEENS8_11hip_rocprim22execute_on_stream_baseEEENS8_11use_defaultESI_EEEENSA_INSB_IlSH_SI_SI_EEEEZNS1_13binary_searchIS3_S5_NSA_INS8_10device_ptrIiEEEESK_SM_NS1_21upper_bound_search_opENS9_16wrapped_functionINS8_6system6detail7generic6detail18binary_search_lessEbEEEE10hipError_tPvRmT1_T2_T3_mmT4_T5_P12ihipStream_tbEUlRKiE_EESZ_S13_S14_mS15_S18_bEUlT_E_NS1_11comp_targetILNS1_3genE3ELNS1_11target_archE908ELNS1_3gpuE7ELNS1_3repE0EEENS1_30default_config_static_selectorELNS0_4arch9wavefront6targetE1EEEvS12_,@function
_ZN7rocprim17ROCPRIM_400000_NS6detail17trampoline_kernelINS0_14default_configENS1_27upper_bound_config_selectorIilEEZNS1_14transform_implILb0ES3_S5_N6thrust23THRUST_200600_302600_NS6detail15normal_iteratorINS8_7pointerIiNS9_22execute_with_allocatorINS8_16device_allocatorIcEENS8_11hip_rocprim22execute_on_stream_baseEEENS8_11use_defaultESI_EEEENSA_INSB_IlSH_SI_SI_EEEEZNS1_13binary_searchIS3_S5_NSA_INS8_10device_ptrIiEEEESK_SM_NS1_21upper_bound_search_opENS9_16wrapped_functionINS8_6system6detail7generic6detail18binary_search_lessEbEEEE10hipError_tPvRmT1_T2_T3_mmT4_T5_P12ihipStream_tbEUlRKiE_EESZ_S13_S14_mS15_S18_bEUlT_E_NS1_11comp_targetILNS1_3genE3ELNS1_11target_archE908ELNS1_3gpuE7ELNS1_3repE0EEENS1_30default_config_static_selectorELNS0_4arch9wavefront6targetE1EEEvS12_: ; @_ZN7rocprim17ROCPRIM_400000_NS6detail17trampoline_kernelINS0_14default_configENS1_27upper_bound_config_selectorIilEEZNS1_14transform_implILb0ES3_S5_N6thrust23THRUST_200600_302600_NS6detail15normal_iteratorINS8_7pointerIiNS9_22execute_with_allocatorINS8_16device_allocatorIcEENS8_11hip_rocprim22execute_on_stream_baseEEENS8_11use_defaultESI_EEEENSA_INSB_IlSH_SI_SI_EEEEZNS1_13binary_searchIS3_S5_NSA_INS8_10device_ptrIiEEEESK_SM_NS1_21upper_bound_search_opENS9_16wrapped_functionINS8_6system6detail7generic6detail18binary_search_lessEbEEEE10hipError_tPvRmT1_T2_T3_mmT4_T5_P12ihipStream_tbEUlRKiE_EESZ_S13_S14_mS15_S18_bEUlT_E_NS1_11comp_targetILNS1_3genE3ELNS1_11target_archE908ELNS1_3gpuE7ELNS1_3repE0EEENS1_30default_config_static_selectorELNS0_4arch9wavefront6targetE1EEEvS12_
; %bb.0:
	.section	.rodata,"a",@progbits
	.p2align	6, 0x0
	.amdhsa_kernel _ZN7rocprim17ROCPRIM_400000_NS6detail17trampoline_kernelINS0_14default_configENS1_27upper_bound_config_selectorIilEEZNS1_14transform_implILb0ES3_S5_N6thrust23THRUST_200600_302600_NS6detail15normal_iteratorINS8_7pointerIiNS9_22execute_with_allocatorINS8_16device_allocatorIcEENS8_11hip_rocprim22execute_on_stream_baseEEENS8_11use_defaultESI_EEEENSA_INSB_IlSH_SI_SI_EEEEZNS1_13binary_searchIS3_S5_NSA_INS8_10device_ptrIiEEEESK_SM_NS1_21upper_bound_search_opENS9_16wrapped_functionINS8_6system6detail7generic6detail18binary_search_lessEbEEEE10hipError_tPvRmT1_T2_T3_mmT4_T5_P12ihipStream_tbEUlRKiE_EESZ_S13_S14_mS15_S18_bEUlT_E_NS1_11comp_targetILNS1_3genE3ELNS1_11target_archE908ELNS1_3gpuE7ELNS1_3repE0EEENS1_30default_config_static_selectorELNS0_4arch9wavefront6targetE1EEEvS12_
		.amdhsa_group_segment_fixed_size 0
		.amdhsa_private_segment_fixed_size 0
		.amdhsa_kernarg_size 56
		.amdhsa_user_sgpr_count 6
		.amdhsa_user_sgpr_private_segment_buffer 1
		.amdhsa_user_sgpr_dispatch_ptr 0
		.amdhsa_user_sgpr_queue_ptr 0
		.amdhsa_user_sgpr_kernarg_segment_ptr 1
		.amdhsa_user_sgpr_dispatch_id 0
		.amdhsa_user_sgpr_flat_scratch_init 0
		.amdhsa_user_sgpr_private_segment_size 0
		.amdhsa_uses_dynamic_stack 0
		.amdhsa_system_sgpr_private_segment_wavefront_offset 0
		.amdhsa_system_sgpr_workgroup_id_x 1
		.amdhsa_system_sgpr_workgroup_id_y 0
		.amdhsa_system_sgpr_workgroup_id_z 0
		.amdhsa_system_sgpr_workgroup_info 0
		.amdhsa_system_vgpr_workitem_id 0
		.amdhsa_next_free_vgpr 1
		.amdhsa_next_free_sgpr 0
		.amdhsa_reserve_vcc 0
		.amdhsa_reserve_flat_scratch 0
		.amdhsa_float_round_mode_32 0
		.amdhsa_float_round_mode_16_64 0
		.amdhsa_float_denorm_mode_32 3
		.amdhsa_float_denorm_mode_16_64 3
		.amdhsa_dx10_clamp 1
		.amdhsa_ieee_mode 1
		.amdhsa_fp16_overflow 0
		.amdhsa_exception_fp_ieee_invalid_op 0
		.amdhsa_exception_fp_denorm_src 0
		.amdhsa_exception_fp_ieee_div_zero 0
		.amdhsa_exception_fp_ieee_overflow 0
		.amdhsa_exception_fp_ieee_underflow 0
		.amdhsa_exception_fp_ieee_inexact 0
		.amdhsa_exception_int_div_zero 0
	.end_amdhsa_kernel
	.section	.text._ZN7rocprim17ROCPRIM_400000_NS6detail17trampoline_kernelINS0_14default_configENS1_27upper_bound_config_selectorIilEEZNS1_14transform_implILb0ES3_S5_N6thrust23THRUST_200600_302600_NS6detail15normal_iteratorINS8_7pointerIiNS9_22execute_with_allocatorINS8_16device_allocatorIcEENS8_11hip_rocprim22execute_on_stream_baseEEENS8_11use_defaultESI_EEEENSA_INSB_IlSH_SI_SI_EEEEZNS1_13binary_searchIS3_S5_NSA_INS8_10device_ptrIiEEEESK_SM_NS1_21upper_bound_search_opENS9_16wrapped_functionINS8_6system6detail7generic6detail18binary_search_lessEbEEEE10hipError_tPvRmT1_T2_T3_mmT4_T5_P12ihipStream_tbEUlRKiE_EESZ_S13_S14_mS15_S18_bEUlT_E_NS1_11comp_targetILNS1_3genE3ELNS1_11target_archE908ELNS1_3gpuE7ELNS1_3repE0EEENS1_30default_config_static_selectorELNS0_4arch9wavefront6targetE1EEEvS12_,"axG",@progbits,_ZN7rocprim17ROCPRIM_400000_NS6detail17trampoline_kernelINS0_14default_configENS1_27upper_bound_config_selectorIilEEZNS1_14transform_implILb0ES3_S5_N6thrust23THRUST_200600_302600_NS6detail15normal_iteratorINS8_7pointerIiNS9_22execute_with_allocatorINS8_16device_allocatorIcEENS8_11hip_rocprim22execute_on_stream_baseEEENS8_11use_defaultESI_EEEENSA_INSB_IlSH_SI_SI_EEEEZNS1_13binary_searchIS3_S5_NSA_INS8_10device_ptrIiEEEESK_SM_NS1_21upper_bound_search_opENS9_16wrapped_functionINS8_6system6detail7generic6detail18binary_search_lessEbEEEE10hipError_tPvRmT1_T2_T3_mmT4_T5_P12ihipStream_tbEUlRKiE_EESZ_S13_S14_mS15_S18_bEUlT_E_NS1_11comp_targetILNS1_3genE3ELNS1_11target_archE908ELNS1_3gpuE7ELNS1_3repE0EEENS1_30default_config_static_selectorELNS0_4arch9wavefront6targetE1EEEvS12_,comdat
.Lfunc_end782:
	.size	_ZN7rocprim17ROCPRIM_400000_NS6detail17trampoline_kernelINS0_14default_configENS1_27upper_bound_config_selectorIilEEZNS1_14transform_implILb0ES3_S5_N6thrust23THRUST_200600_302600_NS6detail15normal_iteratorINS8_7pointerIiNS9_22execute_with_allocatorINS8_16device_allocatorIcEENS8_11hip_rocprim22execute_on_stream_baseEEENS8_11use_defaultESI_EEEENSA_INSB_IlSH_SI_SI_EEEEZNS1_13binary_searchIS3_S5_NSA_INS8_10device_ptrIiEEEESK_SM_NS1_21upper_bound_search_opENS9_16wrapped_functionINS8_6system6detail7generic6detail18binary_search_lessEbEEEE10hipError_tPvRmT1_T2_T3_mmT4_T5_P12ihipStream_tbEUlRKiE_EESZ_S13_S14_mS15_S18_bEUlT_E_NS1_11comp_targetILNS1_3genE3ELNS1_11target_archE908ELNS1_3gpuE7ELNS1_3repE0EEENS1_30default_config_static_selectorELNS0_4arch9wavefront6targetE1EEEvS12_, .Lfunc_end782-_ZN7rocprim17ROCPRIM_400000_NS6detail17trampoline_kernelINS0_14default_configENS1_27upper_bound_config_selectorIilEEZNS1_14transform_implILb0ES3_S5_N6thrust23THRUST_200600_302600_NS6detail15normal_iteratorINS8_7pointerIiNS9_22execute_with_allocatorINS8_16device_allocatorIcEENS8_11hip_rocprim22execute_on_stream_baseEEENS8_11use_defaultESI_EEEENSA_INSB_IlSH_SI_SI_EEEEZNS1_13binary_searchIS3_S5_NSA_INS8_10device_ptrIiEEEESK_SM_NS1_21upper_bound_search_opENS9_16wrapped_functionINS8_6system6detail7generic6detail18binary_search_lessEbEEEE10hipError_tPvRmT1_T2_T3_mmT4_T5_P12ihipStream_tbEUlRKiE_EESZ_S13_S14_mS15_S18_bEUlT_E_NS1_11comp_targetILNS1_3genE3ELNS1_11target_archE908ELNS1_3gpuE7ELNS1_3repE0EEENS1_30default_config_static_selectorELNS0_4arch9wavefront6targetE1EEEvS12_
                                        ; -- End function
	.set _ZN7rocprim17ROCPRIM_400000_NS6detail17trampoline_kernelINS0_14default_configENS1_27upper_bound_config_selectorIilEEZNS1_14transform_implILb0ES3_S5_N6thrust23THRUST_200600_302600_NS6detail15normal_iteratorINS8_7pointerIiNS9_22execute_with_allocatorINS8_16device_allocatorIcEENS8_11hip_rocprim22execute_on_stream_baseEEENS8_11use_defaultESI_EEEENSA_INSB_IlSH_SI_SI_EEEEZNS1_13binary_searchIS3_S5_NSA_INS8_10device_ptrIiEEEESK_SM_NS1_21upper_bound_search_opENS9_16wrapped_functionINS8_6system6detail7generic6detail18binary_search_lessEbEEEE10hipError_tPvRmT1_T2_T3_mmT4_T5_P12ihipStream_tbEUlRKiE_EESZ_S13_S14_mS15_S18_bEUlT_E_NS1_11comp_targetILNS1_3genE3ELNS1_11target_archE908ELNS1_3gpuE7ELNS1_3repE0EEENS1_30default_config_static_selectorELNS0_4arch9wavefront6targetE1EEEvS12_.num_vgpr, 0
	.set _ZN7rocprim17ROCPRIM_400000_NS6detail17trampoline_kernelINS0_14default_configENS1_27upper_bound_config_selectorIilEEZNS1_14transform_implILb0ES3_S5_N6thrust23THRUST_200600_302600_NS6detail15normal_iteratorINS8_7pointerIiNS9_22execute_with_allocatorINS8_16device_allocatorIcEENS8_11hip_rocprim22execute_on_stream_baseEEENS8_11use_defaultESI_EEEENSA_INSB_IlSH_SI_SI_EEEEZNS1_13binary_searchIS3_S5_NSA_INS8_10device_ptrIiEEEESK_SM_NS1_21upper_bound_search_opENS9_16wrapped_functionINS8_6system6detail7generic6detail18binary_search_lessEbEEEE10hipError_tPvRmT1_T2_T3_mmT4_T5_P12ihipStream_tbEUlRKiE_EESZ_S13_S14_mS15_S18_bEUlT_E_NS1_11comp_targetILNS1_3genE3ELNS1_11target_archE908ELNS1_3gpuE7ELNS1_3repE0EEENS1_30default_config_static_selectorELNS0_4arch9wavefront6targetE1EEEvS12_.num_agpr, 0
	.set _ZN7rocprim17ROCPRIM_400000_NS6detail17trampoline_kernelINS0_14default_configENS1_27upper_bound_config_selectorIilEEZNS1_14transform_implILb0ES3_S5_N6thrust23THRUST_200600_302600_NS6detail15normal_iteratorINS8_7pointerIiNS9_22execute_with_allocatorINS8_16device_allocatorIcEENS8_11hip_rocprim22execute_on_stream_baseEEENS8_11use_defaultESI_EEEENSA_INSB_IlSH_SI_SI_EEEEZNS1_13binary_searchIS3_S5_NSA_INS8_10device_ptrIiEEEESK_SM_NS1_21upper_bound_search_opENS9_16wrapped_functionINS8_6system6detail7generic6detail18binary_search_lessEbEEEE10hipError_tPvRmT1_T2_T3_mmT4_T5_P12ihipStream_tbEUlRKiE_EESZ_S13_S14_mS15_S18_bEUlT_E_NS1_11comp_targetILNS1_3genE3ELNS1_11target_archE908ELNS1_3gpuE7ELNS1_3repE0EEENS1_30default_config_static_selectorELNS0_4arch9wavefront6targetE1EEEvS12_.numbered_sgpr, 0
	.set _ZN7rocprim17ROCPRIM_400000_NS6detail17trampoline_kernelINS0_14default_configENS1_27upper_bound_config_selectorIilEEZNS1_14transform_implILb0ES3_S5_N6thrust23THRUST_200600_302600_NS6detail15normal_iteratorINS8_7pointerIiNS9_22execute_with_allocatorINS8_16device_allocatorIcEENS8_11hip_rocprim22execute_on_stream_baseEEENS8_11use_defaultESI_EEEENSA_INSB_IlSH_SI_SI_EEEEZNS1_13binary_searchIS3_S5_NSA_INS8_10device_ptrIiEEEESK_SM_NS1_21upper_bound_search_opENS9_16wrapped_functionINS8_6system6detail7generic6detail18binary_search_lessEbEEEE10hipError_tPvRmT1_T2_T3_mmT4_T5_P12ihipStream_tbEUlRKiE_EESZ_S13_S14_mS15_S18_bEUlT_E_NS1_11comp_targetILNS1_3genE3ELNS1_11target_archE908ELNS1_3gpuE7ELNS1_3repE0EEENS1_30default_config_static_selectorELNS0_4arch9wavefront6targetE1EEEvS12_.num_named_barrier, 0
	.set _ZN7rocprim17ROCPRIM_400000_NS6detail17trampoline_kernelINS0_14default_configENS1_27upper_bound_config_selectorIilEEZNS1_14transform_implILb0ES3_S5_N6thrust23THRUST_200600_302600_NS6detail15normal_iteratorINS8_7pointerIiNS9_22execute_with_allocatorINS8_16device_allocatorIcEENS8_11hip_rocprim22execute_on_stream_baseEEENS8_11use_defaultESI_EEEENSA_INSB_IlSH_SI_SI_EEEEZNS1_13binary_searchIS3_S5_NSA_INS8_10device_ptrIiEEEESK_SM_NS1_21upper_bound_search_opENS9_16wrapped_functionINS8_6system6detail7generic6detail18binary_search_lessEbEEEE10hipError_tPvRmT1_T2_T3_mmT4_T5_P12ihipStream_tbEUlRKiE_EESZ_S13_S14_mS15_S18_bEUlT_E_NS1_11comp_targetILNS1_3genE3ELNS1_11target_archE908ELNS1_3gpuE7ELNS1_3repE0EEENS1_30default_config_static_selectorELNS0_4arch9wavefront6targetE1EEEvS12_.private_seg_size, 0
	.set _ZN7rocprim17ROCPRIM_400000_NS6detail17trampoline_kernelINS0_14default_configENS1_27upper_bound_config_selectorIilEEZNS1_14transform_implILb0ES3_S5_N6thrust23THRUST_200600_302600_NS6detail15normal_iteratorINS8_7pointerIiNS9_22execute_with_allocatorINS8_16device_allocatorIcEENS8_11hip_rocprim22execute_on_stream_baseEEENS8_11use_defaultESI_EEEENSA_INSB_IlSH_SI_SI_EEEEZNS1_13binary_searchIS3_S5_NSA_INS8_10device_ptrIiEEEESK_SM_NS1_21upper_bound_search_opENS9_16wrapped_functionINS8_6system6detail7generic6detail18binary_search_lessEbEEEE10hipError_tPvRmT1_T2_T3_mmT4_T5_P12ihipStream_tbEUlRKiE_EESZ_S13_S14_mS15_S18_bEUlT_E_NS1_11comp_targetILNS1_3genE3ELNS1_11target_archE908ELNS1_3gpuE7ELNS1_3repE0EEENS1_30default_config_static_selectorELNS0_4arch9wavefront6targetE1EEEvS12_.uses_vcc, 0
	.set _ZN7rocprim17ROCPRIM_400000_NS6detail17trampoline_kernelINS0_14default_configENS1_27upper_bound_config_selectorIilEEZNS1_14transform_implILb0ES3_S5_N6thrust23THRUST_200600_302600_NS6detail15normal_iteratorINS8_7pointerIiNS9_22execute_with_allocatorINS8_16device_allocatorIcEENS8_11hip_rocprim22execute_on_stream_baseEEENS8_11use_defaultESI_EEEENSA_INSB_IlSH_SI_SI_EEEEZNS1_13binary_searchIS3_S5_NSA_INS8_10device_ptrIiEEEESK_SM_NS1_21upper_bound_search_opENS9_16wrapped_functionINS8_6system6detail7generic6detail18binary_search_lessEbEEEE10hipError_tPvRmT1_T2_T3_mmT4_T5_P12ihipStream_tbEUlRKiE_EESZ_S13_S14_mS15_S18_bEUlT_E_NS1_11comp_targetILNS1_3genE3ELNS1_11target_archE908ELNS1_3gpuE7ELNS1_3repE0EEENS1_30default_config_static_selectorELNS0_4arch9wavefront6targetE1EEEvS12_.uses_flat_scratch, 0
	.set _ZN7rocprim17ROCPRIM_400000_NS6detail17trampoline_kernelINS0_14default_configENS1_27upper_bound_config_selectorIilEEZNS1_14transform_implILb0ES3_S5_N6thrust23THRUST_200600_302600_NS6detail15normal_iteratorINS8_7pointerIiNS9_22execute_with_allocatorINS8_16device_allocatorIcEENS8_11hip_rocprim22execute_on_stream_baseEEENS8_11use_defaultESI_EEEENSA_INSB_IlSH_SI_SI_EEEEZNS1_13binary_searchIS3_S5_NSA_INS8_10device_ptrIiEEEESK_SM_NS1_21upper_bound_search_opENS9_16wrapped_functionINS8_6system6detail7generic6detail18binary_search_lessEbEEEE10hipError_tPvRmT1_T2_T3_mmT4_T5_P12ihipStream_tbEUlRKiE_EESZ_S13_S14_mS15_S18_bEUlT_E_NS1_11comp_targetILNS1_3genE3ELNS1_11target_archE908ELNS1_3gpuE7ELNS1_3repE0EEENS1_30default_config_static_selectorELNS0_4arch9wavefront6targetE1EEEvS12_.has_dyn_sized_stack, 0
	.set _ZN7rocprim17ROCPRIM_400000_NS6detail17trampoline_kernelINS0_14default_configENS1_27upper_bound_config_selectorIilEEZNS1_14transform_implILb0ES3_S5_N6thrust23THRUST_200600_302600_NS6detail15normal_iteratorINS8_7pointerIiNS9_22execute_with_allocatorINS8_16device_allocatorIcEENS8_11hip_rocprim22execute_on_stream_baseEEENS8_11use_defaultESI_EEEENSA_INSB_IlSH_SI_SI_EEEEZNS1_13binary_searchIS3_S5_NSA_INS8_10device_ptrIiEEEESK_SM_NS1_21upper_bound_search_opENS9_16wrapped_functionINS8_6system6detail7generic6detail18binary_search_lessEbEEEE10hipError_tPvRmT1_T2_T3_mmT4_T5_P12ihipStream_tbEUlRKiE_EESZ_S13_S14_mS15_S18_bEUlT_E_NS1_11comp_targetILNS1_3genE3ELNS1_11target_archE908ELNS1_3gpuE7ELNS1_3repE0EEENS1_30default_config_static_selectorELNS0_4arch9wavefront6targetE1EEEvS12_.has_recursion, 0
	.set _ZN7rocprim17ROCPRIM_400000_NS6detail17trampoline_kernelINS0_14default_configENS1_27upper_bound_config_selectorIilEEZNS1_14transform_implILb0ES3_S5_N6thrust23THRUST_200600_302600_NS6detail15normal_iteratorINS8_7pointerIiNS9_22execute_with_allocatorINS8_16device_allocatorIcEENS8_11hip_rocprim22execute_on_stream_baseEEENS8_11use_defaultESI_EEEENSA_INSB_IlSH_SI_SI_EEEEZNS1_13binary_searchIS3_S5_NSA_INS8_10device_ptrIiEEEESK_SM_NS1_21upper_bound_search_opENS9_16wrapped_functionINS8_6system6detail7generic6detail18binary_search_lessEbEEEE10hipError_tPvRmT1_T2_T3_mmT4_T5_P12ihipStream_tbEUlRKiE_EESZ_S13_S14_mS15_S18_bEUlT_E_NS1_11comp_targetILNS1_3genE3ELNS1_11target_archE908ELNS1_3gpuE7ELNS1_3repE0EEENS1_30default_config_static_selectorELNS0_4arch9wavefront6targetE1EEEvS12_.has_indirect_call, 0
	.section	.AMDGPU.csdata,"",@progbits
; Kernel info:
; codeLenInByte = 0
; TotalNumSgprs: 4
; NumVgprs: 0
; ScratchSize: 0
; MemoryBound: 0
; FloatMode: 240
; IeeeMode: 1
; LDSByteSize: 0 bytes/workgroup (compile time only)
; SGPRBlocks: 0
; VGPRBlocks: 0
; NumSGPRsForWavesPerEU: 4
; NumVGPRsForWavesPerEU: 1
; Occupancy: 10
; WaveLimiterHint : 0
; COMPUTE_PGM_RSRC2:SCRATCH_EN: 0
; COMPUTE_PGM_RSRC2:USER_SGPR: 6
; COMPUTE_PGM_RSRC2:TRAP_HANDLER: 0
; COMPUTE_PGM_RSRC2:TGID_X_EN: 1
; COMPUTE_PGM_RSRC2:TGID_Y_EN: 0
; COMPUTE_PGM_RSRC2:TGID_Z_EN: 0
; COMPUTE_PGM_RSRC2:TIDIG_COMP_CNT: 0
	.section	.text._ZN7rocprim17ROCPRIM_400000_NS6detail17trampoline_kernelINS0_14default_configENS1_27upper_bound_config_selectorIilEEZNS1_14transform_implILb0ES3_S5_N6thrust23THRUST_200600_302600_NS6detail15normal_iteratorINS8_7pointerIiNS9_22execute_with_allocatorINS8_16device_allocatorIcEENS8_11hip_rocprim22execute_on_stream_baseEEENS8_11use_defaultESI_EEEENSA_INSB_IlSH_SI_SI_EEEEZNS1_13binary_searchIS3_S5_NSA_INS8_10device_ptrIiEEEESK_SM_NS1_21upper_bound_search_opENS9_16wrapped_functionINS8_6system6detail7generic6detail18binary_search_lessEbEEEE10hipError_tPvRmT1_T2_T3_mmT4_T5_P12ihipStream_tbEUlRKiE_EESZ_S13_S14_mS15_S18_bEUlT_E_NS1_11comp_targetILNS1_3genE2ELNS1_11target_archE906ELNS1_3gpuE6ELNS1_3repE0EEENS1_30default_config_static_selectorELNS0_4arch9wavefront6targetE1EEEvS12_,"axG",@progbits,_ZN7rocprim17ROCPRIM_400000_NS6detail17trampoline_kernelINS0_14default_configENS1_27upper_bound_config_selectorIilEEZNS1_14transform_implILb0ES3_S5_N6thrust23THRUST_200600_302600_NS6detail15normal_iteratorINS8_7pointerIiNS9_22execute_with_allocatorINS8_16device_allocatorIcEENS8_11hip_rocprim22execute_on_stream_baseEEENS8_11use_defaultESI_EEEENSA_INSB_IlSH_SI_SI_EEEEZNS1_13binary_searchIS3_S5_NSA_INS8_10device_ptrIiEEEESK_SM_NS1_21upper_bound_search_opENS9_16wrapped_functionINS8_6system6detail7generic6detail18binary_search_lessEbEEEE10hipError_tPvRmT1_T2_T3_mmT4_T5_P12ihipStream_tbEUlRKiE_EESZ_S13_S14_mS15_S18_bEUlT_E_NS1_11comp_targetILNS1_3genE2ELNS1_11target_archE906ELNS1_3gpuE6ELNS1_3repE0EEENS1_30default_config_static_selectorELNS0_4arch9wavefront6targetE1EEEvS12_,comdat
	.protected	_ZN7rocprim17ROCPRIM_400000_NS6detail17trampoline_kernelINS0_14default_configENS1_27upper_bound_config_selectorIilEEZNS1_14transform_implILb0ES3_S5_N6thrust23THRUST_200600_302600_NS6detail15normal_iteratorINS8_7pointerIiNS9_22execute_with_allocatorINS8_16device_allocatorIcEENS8_11hip_rocprim22execute_on_stream_baseEEENS8_11use_defaultESI_EEEENSA_INSB_IlSH_SI_SI_EEEEZNS1_13binary_searchIS3_S5_NSA_INS8_10device_ptrIiEEEESK_SM_NS1_21upper_bound_search_opENS9_16wrapped_functionINS8_6system6detail7generic6detail18binary_search_lessEbEEEE10hipError_tPvRmT1_T2_T3_mmT4_T5_P12ihipStream_tbEUlRKiE_EESZ_S13_S14_mS15_S18_bEUlT_E_NS1_11comp_targetILNS1_3genE2ELNS1_11target_archE906ELNS1_3gpuE6ELNS1_3repE0EEENS1_30default_config_static_selectorELNS0_4arch9wavefront6targetE1EEEvS12_ ; -- Begin function _ZN7rocprim17ROCPRIM_400000_NS6detail17trampoline_kernelINS0_14default_configENS1_27upper_bound_config_selectorIilEEZNS1_14transform_implILb0ES3_S5_N6thrust23THRUST_200600_302600_NS6detail15normal_iteratorINS8_7pointerIiNS9_22execute_with_allocatorINS8_16device_allocatorIcEENS8_11hip_rocprim22execute_on_stream_baseEEENS8_11use_defaultESI_EEEENSA_INSB_IlSH_SI_SI_EEEEZNS1_13binary_searchIS3_S5_NSA_INS8_10device_ptrIiEEEESK_SM_NS1_21upper_bound_search_opENS9_16wrapped_functionINS8_6system6detail7generic6detail18binary_search_lessEbEEEE10hipError_tPvRmT1_T2_T3_mmT4_T5_P12ihipStream_tbEUlRKiE_EESZ_S13_S14_mS15_S18_bEUlT_E_NS1_11comp_targetILNS1_3genE2ELNS1_11target_archE906ELNS1_3gpuE6ELNS1_3repE0EEENS1_30default_config_static_selectorELNS0_4arch9wavefront6targetE1EEEvS12_
	.globl	_ZN7rocprim17ROCPRIM_400000_NS6detail17trampoline_kernelINS0_14default_configENS1_27upper_bound_config_selectorIilEEZNS1_14transform_implILb0ES3_S5_N6thrust23THRUST_200600_302600_NS6detail15normal_iteratorINS8_7pointerIiNS9_22execute_with_allocatorINS8_16device_allocatorIcEENS8_11hip_rocprim22execute_on_stream_baseEEENS8_11use_defaultESI_EEEENSA_INSB_IlSH_SI_SI_EEEEZNS1_13binary_searchIS3_S5_NSA_INS8_10device_ptrIiEEEESK_SM_NS1_21upper_bound_search_opENS9_16wrapped_functionINS8_6system6detail7generic6detail18binary_search_lessEbEEEE10hipError_tPvRmT1_T2_T3_mmT4_T5_P12ihipStream_tbEUlRKiE_EESZ_S13_S14_mS15_S18_bEUlT_E_NS1_11comp_targetILNS1_3genE2ELNS1_11target_archE906ELNS1_3gpuE6ELNS1_3repE0EEENS1_30default_config_static_selectorELNS0_4arch9wavefront6targetE1EEEvS12_
	.p2align	8
	.type	_ZN7rocprim17ROCPRIM_400000_NS6detail17trampoline_kernelINS0_14default_configENS1_27upper_bound_config_selectorIilEEZNS1_14transform_implILb0ES3_S5_N6thrust23THRUST_200600_302600_NS6detail15normal_iteratorINS8_7pointerIiNS9_22execute_with_allocatorINS8_16device_allocatorIcEENS8_11hip_rocprim22execute_on_stream_baseEEENS8_11use_defaultESI_EEEENSA_INSB_IlSH_SI_SI_EEEEZNS1_13binary_searchIS3_S5_NSA_INS8_10device_ptrIiEEEESK_SM_NS1_21upper_bound_search_opENS9_16wrapped_functionINS8_6system6detail7generic6detail18binary_search_lessEbEEEE10hipError_tPvRmT1_T2_T3_mmT4_T5_P12ihipStream_tbEUlRKiE_EESZ_S13_S14_mS15_S18_bEUlT_E_NS1_11comp_targetILNS1_3genE2ELNS1_11target_archE906ELNS1_3gpuE6ELNS1_3repE0EEENS1_30default_config_static_selectorELNS0_4arch9wavefront6targetE1EEEvS12_,@function
_ZN7rocprim17ROCPRIM_400000_NS6detail17trampoline_kernelINS0_14default_configENS1_27upper_bound_config_selectorIilEEZNS1_14transform_implILb0ES3_S5_N6thrust23THRUST_200600_302600_NS6detail15normal_iteratorINS8_7pointerIiNS9_22execute_with_allocatorINS8_16device_allocatorIcEENS8_11hip_rocprim22execute_on_stream_baseEEENS8_11use_defaultESI_EEEENSA_INSB_IlSH_SI_SI_EEEEZNS1_13binary_searchIS3_S5_NSA_INS8_10device_ptrIiEEEESK_SM_NS1_21upper_bound_search_opENS9_16wrapped_functionINS8_6system6detail7generic6detail18binary_search_lessEbEEEE10hipError_tPvRmT1_T2_T3_mmT4_T5_P12ihipStream_tbEUlRKiE_EESZ_S13_S14_mS15_S18_bEUlT_E_NS1_11comp_targetILNS1_3genE2ELNS1_11target_archE906ELNS1_3gpuE6ELNS1_3repE0EEENS1_30default_config_static_selectorELNS0_4arch9wavefront6targetE1EEEvS12_: ; @_ZN7rocprim17ROCPRIM_400000_NS6detail17trampoline_kernelINS0_14default_configENS1_27upper_bound_config_selectorIilEEZNS1_14transform_implILb0ES3_S5_N6thrust23THRUST_200600_302600_NS6detail15normal_iteratorINS8_7pointerIiNS9_22execute_with_allocatorINS8_16device_allocatorIcEENS8_11hip_rocprim22execute_on_stream_baseEEENS8_11use_defaultESI_EEEENSA_INSB_IlSH_SI_SI_EEEEZNS1_13binary_searchIS3_S5_NSA_INS8_10device_ptrIiEEEESK_SM_NS1_21upper_bound_search_opENS9_16wrapped_functionINS8_6system6detail7generic6detail18binary_search_lessEbEEEE10hipError_tPvRmT1_T2_T3_mmT4_T5_P12ihipStream_tbEUlRKiE_EESZ_S13_S14_mS15_S18_bEUlT_E_NS1_11comp_targetILNS1_3genE2ELNS1_11target_archE906ELNS1_3gpuE6ELNS1_3repE0EEENS1_30default_config_static_selectorELNS0_4arch9wavefront6targetE1EEEvS12_
; %bb.0:
	s_load_dwordx4 s[16:19], s[4:5], 0x0
	s_load_dwordx4 s[8:11], s[4:5], 0x18
	s_load_dwordx2 s[12:13], s[4:5], 0x28
	s_load_dword s15, s[4:5], 0x38
	s_waitcnt lgkmcnt(0)
	s_lshl_b64 s[0:1], s[18:19], 2
	s_add_u32 s2, s16, s0
	s_addc_u32 s3, s17, s1
	s_lshl_b64 s[0:1], s[18:19], 3
	s_add_u32 s7, s8, s0
	s_addc_u32 s14, s9, s1
	s_lshl_b32 s8, s6, 8
	s_add_i32 s15, s15, -1
	s_mov_b32 s9, 0
	s_cmp_lg_u32 s6, s15
	s_mov_b64 s[0:1], -1
	s_cbranch_scc0 .LBB783_7
; %bb.1:
	s_cmp_eq_u64 s[12:13], 0
	s_mov_b64 s[0:1], 0
	s_cbranch_scc1 .LBB783_5
; %bb.2:
	s_lshl_b64 s[16:17], s[8:9], 2
	s_add_u32 s6, s2, s16
	s_addc_u32 s15, s3, s17
	v_lshlrev_b32_e32 v1, 2, v0
	v_mov_b32_e32 v2, s15
	v_add_co_u32_e32 v1, vcc, s6, v1
	v_addc_co_u32_e32 v2, vcc, 0, v2, vcc
	flat_load_dword v5, v[1:2]
	v_mov_b32_e32 v1, 0
	v_mov_b32_e32 v3, s12
	;; [unrolled: 1-line block ×5, first 2 shown]
.LBB783_3:                              ; =>This Inner Loop Header: Depth=1
	v_sub_co_u32_e32 v7, vcc, v3, v1
	v_subb_co_u32_e32 v8, vcc, v4, v2, vcc
	v_lshrrev_b64 v[9:10], 1, v[7:8]
	v_lshrrev_b64 v[7:8], 6, v[7:8]
	v_add_co_u32_e32 v9, vcc, v9, v1
	v_addc_co_u32_e32 v10, vcc, v10, v2, vcc
	v_add_co_u32_e32 v7, vcc, v9, v7
	v_addc_co_u32_e32 v8, vcc, v10, v8, vcc
	v_lshlrev_b64 v[9:10], 2, v[7:8]
	v_add_co_u32_e32 v9, vcc, s10, v9
	v_addc_co_u32_e32 v10, vcc, v6, v10, vcc
	global_load_dword v9, v[9:10], off
	v_add_co_u32_e32 v10, vcc, 1, v7
	v_addc_co_u32_e32 v11, vcc, 0, v8, vcc
	s_waitcnt vmcnt(0) lgkmcnt(0)
	v_cmp_lt_i32_e32 vcc, v5, v9
	v_cndmask_b32_e32 v4, v4, v8, vcc
	v_cndmask_b32_e32 v3, v3, v7, vcc
	;; [unrolled: 1-line block ×4, first 2 shown]
	v_cmp_ge_u64_e32 vcc, v[1:2], v[3:4]
	s_or_b64 s[0:1], vcc, s[0:1]
	s_andn2_b64 exec, exec, s[0:1]
	s_cbranch_execnz .LBB783_3
; %bb.4:
	s_or_b64 exec, exec, s[0:1]
	s_branch .LBB783_6
.LBB783_5:
	v_mov_b32_e32 v1, 0
	v_mov_b32_e32 v2, 0
.LBB783_6:
	s_lshl_b64 s[0:1], s[8:9], 3
	s_add_u32 s0, s7, s0
	s_addc_u32 s1, s14, s1
	v_lshlrev_b32_e32 v3, 3, v0
	v_mov_b32_e32 v4, s1
	v_add_co_u32_e32 v3, vcc, s0, v3
	v_addc_co_u32_e32 v4, vcc, 0, v4, vcc
	s_mov_b64 s[0:1], 0
	flat_store_dwordx2 v[3:4], v[1:2]
.LBB783_7:
	s_and_b64 vcc, exec, s[0:1]
	s_cbranch_vccz .LBB783_16
; %bb.8:
	s_load_dword s0, s[4:5], 0x10
                                        ; implicit-def: $vgpr5
	s_waitcnt lgkmcnt(0)
	s_sub_i32 s4, s0, s8
	v_cmp_le_u32_e64 s[0:1], s4, v0
	v_cmp_gt_u32_e32 vcc, s4, v0
	s_and_saveexec_b64 s[4:5], vcc
	s_cbranch_execz .LBB783_10
; %bb.9:
	s_lshl_b64 s[16:17], s[8:9], 2
	s_add_u32 s2, s2, s16
	s_addc_u32 s3, s3, s17
	v_lshlrev_b32_e32 v1, 2, v0
	v_mov_b32_e32 v2, s3
	v_add_co_u32_e64 v1, s[2:3], s2, v1
	v_addc_co_u32_e64 v2, s[2:3], 0, v2, s[2:3]
	flat_load_dword v5, v[1:2]
.LBB783_10:
	s_or_b64 exec, exec, s[4:5]
	s_cmp_lg_u64 s[12:13], 0
	s_cselect_b64 s[4:5], -1, 0
	s_xor_b64 s[0:1], s[0:1], -1
	v_mov_b32_e32 v1, 0
	s_mov_b64 s[2:3], 0
	v_mov_b32_e32 v2, 0
	s_and_b64 s[0:1], s[0:1], s[4:5]
	s_and_saveexec_b64 s[4:5], s[0:1]
	s_cbranch_execz .LBB783_14
; %bb.11:
	v_mov_b32_e32 v1, 0
	v_mov_b32_e32 v3, s12
	;; [unrolled: 1-line block ×5, first 2 shown]
.LBB783_12:                             ; =>This Inner Loop Header: Depth=1
	v_sub_co_u32_e64 v7, s[0:1], v3, v1
	v_subb_co_u32_e64 v8, s[0:1], v4, v2, s[0:1]
	v_lshrrev_b64 v[9:10], 1, v[7:8]
	v_lshrrev_b64 v[7:8], 6, v[7:8]
	v_add_co_u32_e64 v9, s[0:1], v9, v1
	v_addc_co_u32_e64 v10, s[0:1], v10, v2, s[0:1]
	v_add_co_u32_e64 v7, s[0:1], v9, v7
	v_addc_co_u32_e64 v8, s[0:1], v10, v8, s[0:1]
	v_lshlrev_b64 v[9:10], 2, v[7:8]
	v_add_co_u32_e64 v9, s[0:1], s10, v9
	v_addc_co_u32_e64 v10, s[0:1], v6, v10, s[0:1]
	global_load_dword v9, v[9:10], off
	v_add_co_u32_e64 v10, s[0:1], 1, v7
	v_addc_co_u32_e64 v11, s[0:1], 0, v8, s[0:1]
	s_waitcnt vmcnt(0) lgkmcnt(0)
	v_cmp_lt_i32_e64 s[0:1], v5, v9
	v_cndmask_b32_e64 v4, v4, v8, s[0:1]
	v_cndmask_b32_e64 v3, v3, v7, s[0:1]
	;; [unrolled: 1-line block ×4, first 2 shown]
	v_cmp_ge_u64_e64 s[0:1], v[1:2], v[3:4]
	s_or_b64 s[2:3], s[0:1], s[2:3]
	s_andn2_b64 exec, exec, s[2:3]
	s_cbranch_execnz .LBB783_12
; %bb.13:
	s_or_b64 exec, exec, s[2:3]
.LBB783_14:
	s_or_b64 exec, exec, s[4:5]
	s_and_saveexec_b64 s[0:1], vcc
	s_cbranch_execz .LBB783_16
; %bb.15:
	s_lshl_b64 s[0:1], s[8:9], 3
	s_add_u32 s0, s7, s0
	s_addc_u32 s1, s14, s1
	v_lshlrev_b32_e32 v0, 3, v0
	v_mov_b32_e32 v4, s1
	v_add_co_u32_e32 v3, vcc, s0, v0
	v_addc_co_u32_e32 v4, vcc, 0, v4, vcc
	flat_store_dwordx2 v[3:4], v[1:2]
.LBB783_16:
	s_endpgm
	.section	.rodata,"a",@progbits
	.p2align	6, 0x0
	.amdhsa_kernel _ZN7rocprim17ROCPRIM_400000_NS6detail17trampoline_kernelINS0_14default_configENS1_27upper_bound_config_selectorIilEEZNS1_14transform_implILb0ES3_S5_N6thrust23THRUST_200600_302600_NS6detail15normal_iteratorINS8_7pointerIiNS9_22execute_with_allocatorINS8_16device_allocatorIcEENS8_11hip_rocprim22execute_on_stream_baseEEENS8_11use_defaultESI_EEEENSA_INSB_IlSH_SI_SI_EEEEZNS1_13binary_searchIS3_S5_NSA_INS8_10device_ptrIiEEEESK_SM_NS1_21upper_bound_search_opENS9_16wrapped_functionINS8_6system6detail7generic6detail18binary_search_lessEbEEEE10hipError_tPvRmT1_T2_T3_mmT4_T5_P12ihipStream_tbEUlRKiE_EESZ_S13_S14_mS15_S18_bEUlT_E_NS1_11comp_targetILNS1_3genE2ELNS1_11target_archE906ELNS1_3gpuE6ELNS1_3repE0EEENS1_30default_config_static_selectorELNS0_4arch9wavefront6targetE1EEEvS12_
		.amdhsa_group_segment_fixed_size 0
		.amdhsa_private_segment_fixed_size 0
		.amdhsa_kernarg_size 312
		.amdhsa_user_sgpr_count 6
		.amdhsa_user_sgpr_private_segment_buffer 1
		.amdhsa_user_sgpr_dispatch_ptr 0
		.amdhsa_user_sgpr_queue_ptr 0
		.amdhsa_user_sgpr_kernarg_segment_ptr 1
		.amdhsa_user_sgpr_dispatch_id 0
		.amdhsa_user_sgpr_flat_scratch_init 0
		.amdhsa_user_sgpr_private_segment_size 0
		.amdhsa_uses_dynamic_stack 0
		.amdhsa_system_sgpr_private_segment_wavefront_offset 0
		.amdhsa_system_sgpr_workgroup_id_x 1
		.amdhsa_system_sgpr_workgroup_id_y 0
		.amdhsa_system_sgpr_workgroup_id_z 0
		.amdhsa_system_sgpr_workgroup_info 0
		.amdhsa_system_vgpr_workitem_id 0
		.amdhsa_next_free_vgpr 12
		.amdhsa_next_free_sgpr 20
		.amdhsa_reserve_vcc 1
		.amdhsa_reserve_flat_scratch 0
		.amdhsa_float_round_mode_32 0
		.amdhsa_float_round_mode_16_64 0
		.amdhsa_float_denorm_mode_32 3
		.amdhsa_float_denorm_mode_16_64 3
		.amdhsa_dx10_clamp 1
		.amdhsa_ieee_mode 1
		.amdhsa_fp16_overflow 0
		.amdhsa_exception_fp_ieee_invalid_op 0
		.amdhsa_exception_fp_denorm_src 0
		.amdhsa_exception_fp_ieee_div_zero 0
		.amdhsa_exception_fp_ieee_overflow 0
		.amdhsa_exception_fp_ieee_underflow 0
		.amdhsa_exception_fp_ieee_inexact 0
		.amdhsa_exception_int_div_zero 0
	.end_amdhsa_kernel
	.section	.text._ZN7rocprim17ROCPRIM_400000_NS6detail17trampoline_kernelINS0_14default_configENS1_27upper_bound_config_selectorIilEEZNS1_14transform_implILb0ES3_S5_N6thrust23THRUST_200600_302600_NS6detail15normal_iteratorINS8_7pointerIiNS9_22execute_with_allocatorINS8_16device_allocatorIcEENS8_11hip_rocprim22execute_on_stream_baseEEENS8_11use_defaultESI_EEEENSA_INSB_IlSH_SI_SI_EEEEZNS1_13binary_searchIS3_S5_NSA_INS8_10device_ptrIiEEEESK_SM_NS1_21upper_bound_search_opENS9_16wrapped_functionINS8_6system6detail7generic6detail18binary_search_lessEbEEEE10hipError_tPvRmT1_T2_T3_mmT4_T5_P12ihipStream_tbEUlRKiE_EESZ_S13_S14_mS15_S18_bEUlT_E_NS1_11comp_targetILNS1_3genE2ELNS1_11target_archE906ELNS1_3gpuE6ELNS1_3repE0EEENS1_30default_config_static_selectorELNS0_4arch9wavefront6targetE1EEEvS12_,"axG",@progbits,_ZN7rocprim17ROCPRIM_400000_NS6detail17trampoline_kernelINS0_14default_configENS1_27upper_bound_config_selectorIilEEZNS1_14transform_implILb0ES3_S5_N6thrust23THRUST_200600_302600_NS6detail15normal_iteratorINS8_7pointerIiNS9_22execute_with_allocatorINS8_16device_allocatorIcEENS8_11hip_rocprim22execute_on_stream_baseEEENS8_11use_defaultESI_EEEENSA_INSB_IlSH_SI_SI_EEEEZNS1_13binary_searchIS3_S5_NSA_INS8_10device_ptrIiEEEESK_SM_NS1_21upper_bound_search_opENS9_16wrapped_functionINS8_6system6detail7generic6detail18binary_search_lessEbEEEE10hipError_tPvRmT1_T2_T3_mmT4_T5_P12ihipStream_tbEUlRKiE_EESZ_S13_S14_mS15_S18_bEUlT_E_NS1_11comp_targetILNS1_3genE2ELNS1_11target_archE906ELNS1_3gpuE6ELNS1_3repE0EEENS1_30default_config_static_selectorELNS0_4arch9wavefront6targetE1EEEvS12_,comdat
.Lfunc_end783:
	.size	_ZN7rocprim17ROCPRIM_400000_NS6detail17trampoline_kernelINS0_14default_configENS1_27upper_bound_config_selectorIilEEZNS1_14transform_implILb0ES3_S5_N6thrust23THRUST_200600_302600_NS6detail15normal_iteratorINS8_7pointerIiNS9_22execute_with_allocatorINS8_16device_allocatorIcEENS8_11hip_rocprim22execute_on_stream_baseEEENS8_11use_defaultESI_EEEENSA_INSB_IlSH_SI_SI_EEEEZNS1_13binary_searchIS3_S5_NSA_INS8_10device_ptrIiEEEESK_SM_NS1_21upper_bound_search_opENS9_16wrapped_functionINS8_6system6detail7generic6detail18binary_search_lessEbEEEE10hipError_tPvRmT1_T2_T3_mmT4_T5_P12ihipStream_tbEUlRKiE_EESZ_S13_S14_mS15_S18_bEUlT_E_NS1_11comp_targetILNS1_3genE2ELNS1_11target_archE906ELNS1_3gpuE6ELNS1_3repE0EEENS1_30default_config_static_selectorELNS0_4arch9wavefront6targetE1EEEvS12_, .Lfunc_end783-_ZN7rocprim17ROCPRIM_400000_NS6detail17trampoline_kernelINS0_14default_configENS1_27upper_bound_config_selectorIilEEZNS1_14transform_implILb0ES3_S5_N6thrust23THRUST_200600_302600_NS6detail15normal_iteratorINS8_7pointerIiNS9_22execute_with_allocatorINS8_16device_allocatorIcEENS8_11hip_rocprim22execute_on_stream_baseEEENS8_11use_defaultESI_EEEENSA_INSB_IlSH_SI_SI_EEEEZNS1_13binary_searchIS3_S5_NSA_INS8_10device_ptrIiEEEESK_SM_NS1_21upper_bound_search_opENS9_16wrapped_functionINS8_6system6detail7generic6detail18binary_search_lessEbEEEE10hipError_tPvRmT1_T2_T3_mmT4_T5_P12ihipStream_tbEUlRKiE_EESZ_S13_S14_mS15_S18_bEUlT_E_NS1_11comp_targetILNS1_3genE2ELNS1_11target_archE906ELNS1_3gpuE6ELNS1_3repE0EEENS1_30default_config_static_selectorELNS0_4arch9wavefront6targetE1EEEvS12_
                                        ; -- End function
	.set _ZN7rocprim17ROCPRIM_400000_NS6detail17trampoline_kernelINS0_14default_configENS1_27upper_bound_config_selectorIilEEZNS1_14transform_implILb0ES3_S5_N6thrust23THRUST_200600_302600_NS6detail15normal_iteratorINS8_7pointerIiNS9_22execute_with_allocatorINS8_16device_allocatorIcEENS8_11hip_rocprim22execute_on_stream_baseEEENS8_11use_defaultESI_EEEENSA_INSB_IlSH_SI_SI_EEEEZNS1_13binary_searchIS3_S5_NSA_INS8_10device_ptrIiEEEESK_SM_NS1_21upper_bound_search_opENS9_16wrapped_functionINS8_6system6detail7generic6detail18binary_search_lessEbEEEE10hipError_tPvRmT1_T2_T3_mmT4_T5_P12ihipStream_tbEUlRKiE_EESZ_S13_S14_mS15_S18_bEUlT_E_NS1_11comp_targetILNS1_3genE2ELNS1_11target_archE906ELNS1_3gpuE6ELNS1_3repE0EEENS1_30default_config_static_selectorELNS0_4arch9wavefront6targetE1EEEvS12_.num_vgpr, 12
	.set _ZN7rocprim17ROCPRIM_400000_NS6detail17trampoline_kernelINS0_14default_configENS1_27upper_bound_config_selectorIilEEZNS1_14transform_implILb0ES3_S5_N6thrust23THRUST_200600_302600_NS6detail15normal_iteratorINS8_7pointerIiNS9_22execute_with_allocatorINS8_16device_allocatorIcEENS8_11hip_rocprim22execute_on_stream_baseEEENS8_11use_defaultESI_EEEENSA_INSB_IlSH_SI_SI_EEEEZNS1_13binary_searchIS3_S5_NSA_INS8_10device_ptrIiEEEESK_SM_NS1_21upper_bound_search_opENS9_16wrapped_functionINS8_6system6detail7generic6detail18binary_search_lessEbEEEE10hipError_tPvRmT1_T2_T3_mmT4_T5_P12ihipStream_tbEUlRKiE_EESZ_S13_S14_mS15_S18_bEUlT_E_NS1_11comp_targetILNS1_3genE2ELNS1_11target_archE906ELNS1_3gpuE6ELNS1_3repE0EEENS1_30default_config_static_selectorELNS0_4arch9wavefront6targetE1EEEvS12_.num_agpr, 0
	.set _ZN7rocprim17ROCPRIM_400000_NS6detail17trampoline_kernelINS0_14default_configENS1_27upper_bound_config_selectorIilEEZNS1_14transform_implILb0ES3_S5_N6thrust23THRUST_200600_302600_NS6detail15normal_iteratorINS8_7pointerIiNS9_22execute_with_allocatorINS8_16device_allocatorIcEENS8_11hip_rocprim22execute_on_stream_baseEEENS8_11use_defaultESI_EEEENSA_INSB_IlSH_SI_SI_EEEEZNS1_13binary_searchIS3_S5_NSA_INS8_10device_ptrIiEEEESK_SM_NS1_21upper_bound_search_opENS9_16wrapped_functionINS8_6system6detail7generic6detail18binary_search_lessEbEEEE10hipError_tPvRmT1_T2_T3_mmT4_T5_P12ihipStream_tbEUlRKiE_EESZ_S13_S14_mS15_S18_bEUlT_E_NS1_11comp_targetILNS1_3genE2ELNS1_11target_archE906ELNS1_3gpuE6ELNS1_3repE0EEENS1_30default_config_static_selectorELNS0_4arch9wavefront6targetE1EEEvS12_.numbered_sgpr, 20
	.set _ZN7rocprim17ROCPRIM_400000_NS6detail17trampoline_kernelINS0_14default_configENS1_27upper_bound_config_selectorIilEEZNS1_14transform_implILb0ES3_S5_N6thrust23THRUST_200600_302600_NS6detail15normal_iteratorINS8_7pointerIiNS9_22execute_with_allocatorINS8_16device_allocatorIcEENS8_11hip_rocprim22execute_on_stream_baseEEENS8_11use_defaultESI_EEEENSA_INSB_IlSH_SI_SI_EEEEZNS1_13binary_searchIS3_S5_NSA_INS8_10device_ptrIiEEEESK_SM_NS1_21upper_bound_search_opENS9_16wrapped_functionINS8_6system6detail7generic6detail18binary_search_lessEbEEEE10hipError_tPvRmT1_T2_T3_mmT4_T5_P12ihipStream_tbEUlRKiE_EESZ_S13_S14_mS15_S18_bEUlT_E_NS1_11comp_targetILNS1_3genE2ELNS1_11target_archE906ELNS1_3gpuE6ELNS1_3repE0EEENS1_30default_config_static_selectorELNS0_4arch9wavefront6targetE1EEEvS12_.num_named_barrier, 0
	.set _ZN7rocprim17ROCPRIM_400000_NS6detail17trampoline_kernelINS0_14default_configENS1_27upper_bound_config_selectorIilEEZNS1_14transform_implILb0ES3_S5_N6thrust23THRUST_200600_302600_NS6detail15normal_iteratorINS8_7pointerIiNS9_22execute_with_allocatorINS8_16device_allocatorIcEENS8_11hip_rocprim22execute_on_stream_baseEEENS8_11use_defaultESI_EEEENSA_INSB_IlSH_SI_SI_EEEEZNS1_13binary_searchIS3_S5_NSA_INS8_10device_ptrIiEEEESK_SM_NS1_21upper_bound_search_opENS9_16wrapped_functionINS8_6system6detail7generic6detail18binary_search_lessEbEEEE10hipError_tPvRmT1_T2_T3_mmT4_T5_P12ihipStream_tbEUlRKiE_EESZ_S13_S14_mS15_S18_bEUlT_E_NS1_11comp_targetILNS1_3genE2ELNS1_11target_archE906ELNS1_3gpuE6ELNS1_3repE0EEENS1_30default_config_static_selectorELNS0_4arch9wavefront6targetE1EEEvS12_.private_seg_size, 0
	.set _ZN7rocprim17ROCPRIM_400000_NS6detail17trampoline_kernelINS0_14default_configENS1_27upper_bound_config_selectorIilEEZNS1_14transform_implILb0ES3_S5_N6thrust23THRUST_200600_302600_NS6detail15normal_iteratorINS8_7pointerIiNS9_22execute_with_allocatorINS8_16device_allocatorIcEENS8_11hip_rocprim22execute_on_stream_baseEEENS8_11use_defaultESI_EEEENSA_INSB_IlSH_SI_SI_EEEEZNS1_13binary_searchIS3_S5_NSA_INS8_10device_ptrIiEEEESK_SM_NS1_21upper_bound_search_opENS9_16wrapped_functionINS8_6system6detail7generic6detail18binary_search_lessEbEEEE10hipError_tPvRmT1_T2_T3_mmT4_T5_P12ihipStream_tbEUlRKiE_EESZ_S13_S14_mS15_S18_bEUlT_E_NS1_11comp_targetILNS1_3genE2ELNS1_11target_archE906ELNS1_3gpuE6ELNS1_3repE0EEENS1_30default_config_static_selectorELNS0_4arch9wavefront6targetE1EEEvS12_.uses_vcc, 1
	.set _ZN7rocprim17ROCPRIM_400000_NS6detail17trampoline_kernelINS0_14default_configENS1_27upper_bound_config_selectorIilEEZNS1_14transform_implILb0ES3_S5_N6thrust23THRUST_200600_302600_NS6detail15normal_iteratorINS8_7pointerIiNS9_22execute_with_allocatorINS8_16device_allocatorIcEENS8_11hip_rocprim22execute_on_stream_baseEEENS8_11use_defaultESI_EEEENSA_INSB_IlSH_SI_SI_EEEEZNS1_13binary_searchIS3_S5_NSA_INS8_10device_ptrIiEEEESK_SM_NS1_21upper_bound_search_opENS9_16wrapped_functionINS8_6system6detail7generic6detail18binary_search_lessEbEEEE10hipError_tPvRmT1_T2_T3_mmT4_T5_P12ihipStream_tbEUlRKiE_EESZ_S13_S14_mS15_S18_bEUlT_E_NS1_11comp_targetILNS1_3genE2ELNS1_11target_archE906ELNS1_3gpuE6ELNS1_3repE0EEENS1_30default_config_static_selectorELNS0_4arch9wavefront6targetE1EEEvS12_.uses_flat_scratch, 0
	.set _ZN7rocprim17ROCPRIM_400000_NS6detail17trampoline_kernelINS0_14default_configENS1_27upper_bound_config_selectorIilEEZNS1_14transform_implILb0ES3_S5_N6thrust23THRUST_200600_302600_NS6detail15normal_iteratorINS8_7pointerIiNS9_22execute_with_allocatorINS8_16device_allocatorIcEENS8_11hip_rocprim22execute_on_stream_baseEEENS8_11use_defaultESI_EEEENSA_INSB_IlSH_SI_SI_EEEEZNS1_13binary_searchIS3_S5_NSA_INS8_10device_ptrIiEEEESK_SM_NS1_21upper_bound_search_opENS9_16wrapped_functionINS8_6system6detail7generic6detail18binary_search_lessEbEEEE10hipError_tPvRmT1_T2_T3_mmT4_T5_P12ihipStream_tbEUlRKiE_EESZ_S13_S14_mS15_S18_bEUlT_E_NS1_11comp_targetILNS1_3genE2ELNS1_11target_archE906ELNS1_3gpuE6ELNS1_3repE0EEENS1_30default_config_static_selectorELNS0_4arch9wavefront6targetE1EEEvS12_.has_dyn_sized_stack, 0
	.set _ZN7rocprim17ROCPRIM_400000_NS6detail17trampoline_kernelINS0_14default_configENS1_27upper_bound_config_selectorIilEEZNS1_14transform_implILb0ES3_S5_N6thrust23THRUST_200600_302600_NS6detail15normal_iteratorINS8_7pointerIiNS9_22execute_with_allocatorINS8_16device_allocatorIcEENS8_11hip_rocprim22execute_on_stream_baseEEENS8_11use_defaultESI_EEEENSA_INSB_IlSH_SI_SI_EEEEZNS1_13binary_searchIS3_S5_NSA_INS8_10device_ptrIiEEEESK_SM_NS1_21upper_bound_search_opENS9_16wrapped_functionINS8_6system6detail7generic6detail18binary_search_lessEbEEEE10hipError_tPvRmT1_T2_T3_mmT4_T5_P12ihipStream_tbEUlRKiE_EESZ_S13_S14_mS15_S18_bEUlT_E_NS1_11comp_targetILNS1_3genE2ELNS1_11target_archE906ELNS1_3gpuE6ELNS1_3repE0EEENS1_30default_config_static_selectorELNS0_4arch9wavefront6targetE1EEEvS12_.has_recursion, 0
	.set _ZN7rocprim17ROCPRIM_400000_NS6detail17trampoline_kernelINS0_14default_configENS1_27upper_bound_config_selectorIilEEZNS1_14transform_implILb0ES3_S5_N6thrust23THRUST_200600_302600_NS6detail15normal_iteratorINS8_7pointerIiNS9_22execute_with_allocatorINS8_16device_allocatorIcEENS8_11hip_rocprim22execute_on_stream_baseEEENS8_11use_defaultESI_EEEENSA_INSB_IlSH_SI_SI_EEEEZNS1_13binary_searchIS3_S5_NSA_INS8_10device_ptrIiEEEESK_SM_NS1_21upper_bound_search_opENS9_16wrapped_functionINS8_6system6detail7generic6detail18binary_search_lessEbEEEE10hipError_tPvRmT1_T2_T3_mmT4_T5_P12ihipStream_tbEUlRKiE_EESZ_S13_S14_mS15_S18_bEUlT_E_NS1_11comp_targetILNS1_3genE2ELNS1_11target_archE906ELNS1_3gpuE6ELNS1_3repE0EEENS1_30default_config_static_selectorELNS0_4arch9wavefront6targetE1EEEvS12_.has_indirect_call, 0
	.section	.AMDGPU.csdata,"",@progbits
; Kernel info:
; codeLenInByte = 700
; TotalNumSgprs: 24
; NumVgprs: 12
; ScratchSize: 0
; MemoryBound: 0
; FloatMode: 240
; IeeeMode: 1
; LDSByteSize: 0 bytes/workgroup (compile time only)
; SGPRBlocks: 2
; VGPRBlocks: 2
; NumSGPRsForWavesPerEU: 24
; NumVGPRsForWavesPerEU: 12
; Occupancy: 10
; WaveLimiterHint : 0
; COMPUTE_PGM_RSRC2:SCRATCH_EN: 0
; COMPUTE_PGM_RSRC2:USER_SGPR: 6
; COMPUTE_PGM_RSRC2:TRAP_HANDLER: 0
; COMPUTE_PGM_RSRC2:TGID_X_EN: 1
; COMPUTE_PGM_RSRC2:TGID_Y_EN: 0
; COMPUTE_PGM_RSRC2:TGID_Z_EN: 0
; COMPUTE_PGM_RSRC2:TIDIG_COMP_CNT: 0
	.section	.text._ZN7rocprim17ROCPRIM_400000_NS6detail17trampoline_kernelINS0_14default_configENS1_27upper_bound_config_selectorIilEEZNS1_14transform_implILb0ES3_S5_N6thrust23THRUST_200600_302600_NS6detail15normal_iteratorINS8_7pointerIiNS9_22execute_with_allocatorINS8_16device_allocatorIcEENS8_11hip_rocprim22execute_on_stream_baseEEENS8_11use_defaultESI_EEEENSA_INSB_IlSH_SI_SI_EEEEZNS1_13binary_searchIS3_S5_NSA_INS8_10device_ptrIiEEEESK_SM_NS1_21upper_bound_search_opENS9_16wrapped_functionINS8_6system6detail7generic6detail18binary_search_lessEbEEEE10hipError_tPvRmT1_T2_T3_mmT4_T5_P12ihipStream_tbEUlRKiE_EESZ_S13_S14_mS15_S18_bEUlT_E_NS1_11comp_targetILNS1_3genE10ELNS1_11target_archE1201ELNS1_3gpuE5ELNS1_3repE0EEENS1_30default_config_static_selectorELNS0_4arch9wavefront6targetE1EEEvS12_,"axG",@progbits,_ZN7rocprim17ROCPRIM_400000_NS6detail17trampoline_kernelINS0_14default_configENS1_27upper_bound_config_selectorIilEEZNS1_14transform_implILb0ES3_S5_N6thrust23THRUST_200600_302600_NS6detail15normal_iteratorINS8_7pointerIiNS9_22execute_with_allocatorINS8_16device_allocatorIcEENS8_11hip_rocprim22execute_on_stream_baseEEENS8_11use_defaultESI_EEEENSA_INSB_IlSH_SI_SI_EEEEZNS1_13binary_searchIS3_S5_NSA_INS8_10device_ptrIiEEEESK_SM_NS1_21upper_bound_search_opENS9_16wrapped_functionINS8_6system6detail7generic6detail18binary_search_lessEbEEEE10hipError_tPvRmT1_T2_T3_mmT4_T5_P12ihipStream_tbEUlRKiE_EESZ_S13_S14_mS15_S18_bEUlT_E_NS1_11comp_targetILNS1_3genE10ELNS1_11target_archE1201ELNS1_3gpuE5ELNS1_3repE0EEENS1_30default_config_static_selectorELNS0_4arch9wavefront6targetE1EEEvS12_,comdat
	.protected	_ZN7rocprim17ROCPRIM_400000_NS6detail17trampoline_kernelINS0_14default_configENS1_27upper_bound_config_selectorIilEEZNS1_14transform_implILb0ES3_S5_N6thrust23THRUST_200600_302600_NS6detail15normal_iteratorINS8_7pointerIiNS9_22execute_with_allocatorINS8_16device_allocatorIcEENS8_11hip_rocprim22execute_on_stream_baseEEENS8_11use_defaultESI_EEEENSA_INSB_IlSH_SI_SI_EEEEZNS1_13binary_searchIS3_S5_NSA_INS8_10device_ptrIiEEEESK_SM_NS1_21upper_bound_search_opENS9_16wrapped_functionINS8_6system6detail7generic6detail18binary_search_lessEbEEEE10hipError_tPvRmT1_T2_T3_mmT4_T5_P12ihipStream_tbEUlRKiE_EESZ_S13_S14_mS15_S18_bEUlT_E_NS1_11comp_targetILNS1_3genE10ELNS1_11target_archE1201ELNS1_3gpuE5ELNS1_3repE0EEENS1_30default_config_static_selectorELNS0_4arch9wavefront6targetE1EEEvS12_ ; -- Begin function _ZN7rocprim17ROCPRIM_400000_NS6detail17trampoline_kernelINS0_14default_configENS1_27upper_bound_config_selectorIilEEZNS1_14transform_implILb0ES3_S5_N6thrust23THRUST_200600_302600_NS6detail15normal_iteratorINS8_7pointerIiNS9_22execute_with_allocatorINS8_16device_allocatorIcEENS8_11hip_rocprim22execute_on_stream_baseEEENS8_11use_defaultESI_EEEENSA_INSB_IlSH_SI_SI_EEEEZNS1_13binary_searchIS3_S5_NSA_INS8_10device_ptrIiEEEESK_SM_NS1_21upper_bound_search_opENS9_16wrapped_functionINS8_6system6detail7generic6detail18binary_search_lessEbEEEE10hipError_tPvRmT1_T2_T3_mmT4_T5_P12ihipStream_tbEUlRKiE_EESZ_S13_S14_mS15_S18_bEUlT_E_NS1_11comp_targetILNS1_3genE10ELNS1_11target_archE1201ELNS1_3gpuE5ELNS1_3repE0EEENS1_30default_config_static_selectorELNS0_4arch9wavefront6targetE1EEEvS12_
	.globl	_ZN7rocprim17ROCPRIM_400000_NS6detail17trampoline_kernelINS0_14default_configENS1_27upper_bound_config_selectorIilEEZNS1_14transform_implILb0ES3_S5_N6thrust23THRUST_200600_302600_NS6detail15normal_iteratorINS8_7pointerIiNS9_22execute_with_allocatorINS8_16device_allocatorIcEENS8_11hip_rocprim22execute_on_stream_baseEEENS8_11use_defaultESI_EEEENSA_INSB_IlSH_SI_SI_EEEEZNS1_13binary_searchIS3_S5_NSA_INS8_10device_ptrIiEEEESK_SM_NS1_21upper_bound_search_opENS9_16wrapped_functionINS8_6system6detail7generic6detail18binary_search_lessEbEEEE10hipError_tPvRmT1_T2_T3_mmT4_T5_P12ihipStream_tbEUlRKiE_EESZ_S13_S14_mS15_S18_bEUlT_E_NS1_11comp_targetILNS1_3genE10ELNS1_11target_archE1201ELNS1_3gpuE5ELNS1_3repE0EEENS1_30default_config_static_selectorELNS0_4arch9wavefront6targetE1EEEvS12_
	.p2align	8
	.type	_ZN7rocprim17ROCPRIM_400000_NS6detail17trampoline_kernelINS0_14default_configENS1_27upper_bound_config_selectorIilEEZNS1_14transform_implILb0ES3_S5_N6thrust23THRUST_200600_302600_NS6detail15normal_iteratorINS8_7pointerIiNS9_22execute_with_allocatorINS8_16device_allocatorIcEENS8_11hip_rocprim22execute_on_stream_baseEEENS8_11use_defaultESI_EEEENSA_INSB_IlSH_SI_SI_EEEEZNS1_13binary_searchIS3_S5_NSA_INS8_10device_ptrIiEEEESK_SM_NS1_21upper_bound_search_opENS9_16wrapped_functionINS8_6system6detail7generic6detail18binary_search_lessEbEEEE10hipError_tPvRmT1_T2_T3_mmT4_T5_P12ihipStream_tbEUlRKiE_EESZ_S13_S14_mS15_S18_bEUlT_E_NS1_11comp_targetILNS1_3genE10ELNS1_11target_archE1201ELNS1_3gpuE5ELNS1_3repE0EEENS1_30default_config_static_selectorELNS0_4arch9wavefront6targetE1EEEvS12_,@function
_ZN7rocprim17ROCPRIM_400000_NS6detail17trampoline_kernelINS0_14default_configENS1_27upper_bound_config_selectorIilEEZNS1_14transform_implILb0ES3_S5_N6thrust23THRUST_200600_302600_NS6detail15normal_iteratorINS8_7pointerIiNS9_22execute_with_allocatorINS8_16device_allocatorIcEENS8_11hip_rocprim22execute_on_stream_baseEEENS8_11use_defaultESI_EEEENSA_INSB_IlSH_SI_SI_EEEEZNS1_13binary_searchIS3_S5_NSA_INS8_10device_ptrIiEEEESK_SM_NS1_21upper_bound_search_opENS9_16wrapped_functionINS8_6system6detail7generic6detail18binary_search_lessEbEEEE10hipError_tPvRmT1_T2_T3_mmT4_T5_P12ihipStream_tbEUlRKiE_EESZ_S13_S14_mS15_S18_bEUlT_E_NS1_11comp_targetILNS1_3genE10ELNS1_11target_archE1201ELNS1_3gpuE5ELNS1_3repE0EEENS1_30default_config_static_selectorELNS0_4arch9wavefront6targetE1EEEvS12_: ; @_ZN7rocprim17ROCPRIM_400000_NS6detail17trampoline_kernelINS0_14default_configENS1_27upper_bound_config_selectorIilEEZNS1_14transform_implILb0ES3_S5_N6thrust23THRUST_200600_302600_NS6detail15normal_iteratorINS8_7pointerIiNS9_22execute_with_allocatorINS8_16device_allocatorIcEENS8_11hip_rocprim22execute_on_stream_baseEEENS8_11use_defaultESI_EEEENSA_INSB_IlSH_SI_SI_EEEEZNS1_13binary_searchIS3_S5_NSA_INS8_10device_ptrIiEEEESK_SM_NS1_21upper_bound_search_opENS9_16wrapped_functionINS8_6system6detail7generic6detail18binary_search_lessEbEEEE10hipError_tPvRmT1_T2_T3_mmT4_T5_P12ihipStream_tbEUlRKiE_EESZ_S13_S14_mS15_S18_bEUlT_E_NS1_11comp_targetILNS1_3genE10ELNS1_11target_archE1201ELNS1_3gpuE5ELNS1_3repE0EEENS1_30default_config_static_selectorELNS0_4arch9wavefront6targetE1EEEvS12_
; %bb.0:
	.section	.rodata,"a",@progbits
	.p2align	6, 0x0
	.amdhsa_kernel _ZN7rocprim17ROCPRIM_400000_NS6detail17trampoline_kernelINS0_14default_configENS1_27upper_bound_config_selectorIilEEZNS1_14transform_implILb0ES3_S5_N6thrust23THRUST_200600_302600_NS6detail15normal_iteratorINS8_7pointerIiNS9_22execute_with_allocatorINS8_16device_allocatorIcEENS8_11hip_rocprim22execute_on_stream_baseEEENS8_11use_defaultESI_EEEENSA_INSB_IlSH_SI_SI_EEEEZNS1_13binary_searchIS3_S5_NSA_INS8_10device_ptrIiEEEESK_SM_NS1_21upper_bound_search_opENS9_16wrapped_functionINS8_6system6detail7generic6detail18binary_search_lessEbEEEE10hipError_tPvRmT1_T2_T3_mmT4_T5_P12ihipStream_tbEUlRKiE_EESZ_S13_S14_mS15_S18_bEUlT_E_NS1_11comp_targetILNS1_3genE10ELNS1_11target_archE1201ELNS1_3gpuE5ELNS1_3repE0EEENS1_30default_config_static_selectorELNS0_4arch9wavefront6targetE1EEEvS12_
		.amdhsa_group_segment_fixed_size 0
		.amdhsa_private_segment_fixed_size 0
		.amdhsa_kernarg_size 56
		.amdhsa_user_sgpr_count 6
		.amdhsa_user_sgpr_private_segment_buffer 1
		.amdhsa_user_sgpr_dispatch_ptr 0
		.amdhsa_user_sgpr_queue_ptr 0
		.amdhsa_user_sgpr_kernarg_segment_ptr 1
		.amdhsa_user_sgpr_dispatch_id 0
		.amdhsa_user_sgpr_flat_scratch_init 0
		.amdhsa_user_sgpr_private_segment_size 0
		.amdhsa_uses_dynamic_stack 0
		.amdhsa_system_sgpr_private_segment_wavefront_offset 0
		.amdhsa_system_sgpr_workgroup_id_x 1
		.amdhsa_system_sgpr_workgroup_id_y 0
		.amdhsa_system_sgpr_workgroup_id_z 0
		.amdhsa_system_sgpr_workgroup_info 0
		.amdhsa_system_vgpr_workitem_id 0
		.amdhsa_next_free_vgpr 1
		.amdhsa_next_free_sgpr 0
		.amdhsa_reserve_vcc 0
		.amdhsa_reserve_flat_scratch 0
		.amdhsa_float_round_mode_32 0
		.amdhsa_float_round_mode_16_64 0
		.amdhsa_float_denorm_mode_32 3
		.amdhsa_float_denorm_mode_16_64 3
		.amdhsa_dx10_clamp 1
		.amdhsa_ieee_mode 1
		.amdhsa_fp16_overflow 0
		.amdhsa_exception_fp_ieee_invalid_op 0
		.amdhsa_exception_fp_denorm_src 0
		.amdhsa_exception_fp_ieee_div_zero 0
		.amdhsa_exception_fp_ieee_overflow 0
		.amdhsa_exception_fp_ieee_underflow 0
		.amdhsa_exception_fp_ieee_inexact 0
		.amdhsa_exception_int_div_zero 0
	.end_amdhsa_kernel
	.section	.text._ZN7rocprim17ROCPRIM_400000_NS6detail17trampoline_kernelINS0_14default_configENS1_27upper_bound_config_selectorIilEEZNS1_14transform_implILb0ES3_S5_N6thrust23THRUST_200600_302600_NS6detail15normal_iteratorINS8_7pointerIiNS9_22execute_with_allocatorINS8_16device_allocatorIcEENS8_11hip_rocprim22execute_on_stream_baseEEENS8_11use_defaultESI_EEEENSA_INSB_IlSH_SI_SI_EEEEZNS1_13binary_searchIS3_S5_NSA_INS8_10device_ptrIiEEEESK_SM_NS1_21upper_bound_search_opENS9_16wrapped_functionINS8_6system6detail7generic6detail18binary_search_lessEbEEEE10hipError_tPvRmT1_T2_T3_mmT4_T5_P12ihipStream_tbEUlRKiE_EESZ_S13_S14_mS15_S18_bEUlT_E_NS1_11comp_targetILNS1_3genE10ELNS1_11target_archE1201ELNS1_3gpuE5ELNS1_3repE0EEENS1_30default_config_static_selectorELNS0_4arch9wavefront6targetE1EEEvS12_,"axG",@progbits,_ZN7rocprim17ROCPRIM_400000_NS6detail17trampoline_kernelINS0_14default_configENS1_27upper_bound_config_selectorIilEEZNS1_14transform_implILb0ES3_S5_N6thrust23THRUST_200600_302600_NS6detail15normal_iteratorINS8_7pointerIiNS9_22execute_with_allocatorINS8_16device_allocatorIcEENS8_11hip_rocprim22execute_on_stream_baseEEENS8_11use_defaultESI_EEEENSA_INSB_IlSH_SI_SI_EEEEZNS1_13binary_searchIS3_S5_NSA_INS8_10device_ptrIiEEEESK_SM_NS1_21upper_bound_search_opENS9_16wrapped_functionINS8_6system6detail7generic6detail18binary_search_lessEbEEEE10hipError_tPvRmT1_T2_T3_mmT4_T5_P12ihipStream_tbEUlRKiE_EESZ_S13_S14_mS15_S18_bEUlT_E_NS1_11comp_targetILNS1_3genE10ELNS1_11target_archE1201ELNS1_3gpuE5ELNS1_3repE0EEENS1_30default_config_static_selectorELNS0_4arch9wavefront6targetE1EEEvS12_,comdat
.Lfunc_end784:
	.size	_ZN7rocprim17ROCPRIM_400000_NS6detail17trampoline_kernelINS0_14default_configENS1_27upper_bound_config_selectorIilEEZNS1_14transform_implILb0ES3_S5_N6thrust23THRUST_200600_302600_NS6detail15normal_iteratorINS8_7pointerIiNS9_22execute_with_allocatorINS8_16device_allocatorIcEENS8_11hip_rocprim22execute_on_stream_baseEEENS8_11use_defaultESI_EEEENSA_INSB_IlSH_SI_SI_EEEEZNS1_13binary_searchIS3_S5_NSA_INS8_10device_ptrIiEEEESK_SM_NS1_21upper_bound_search_opENS9_16wrapped_functionINS8_6system6detail7generic6detail18binary_search_lessEbEEEE10hipError_tPvRmT1_T2_T3_mmT4_T5_P12ihipStream_tbEUlRKiE_EESZ_S13_S14_mS15_S18_bEUlT_E_NS1_11comp_targetILNS1_3genE10ELNS1_11target_archE1201ELNS1_3gpuE5ELNS1_3repE0EEENS1_30default_config_static_selectorELNS0_4arch9wavefront6targetE1EEEvS12_, .Lfunc_end784-_ZN7rocprim17ROCPRIM_400000_NS6detail17trampoline_kernelINS0_14default_configENS1_27upper_bound_config_selectorIilEEZNS1_14transform_implILb0ES3_S5_N6thrust23THRUST_200600_302600_NS6detail15normal_iteratorINS8_7pointerIiNS9_22execute_with_allocatorINS8_16device_allocatorIcEENS8_11hip_rocprim22execute_on_stream_baseEEENS8_11use_defaultESI_EEEENSA_INSB_IlSH_SI_SI_EEEEZNS1_13binary_searchIS3_S5_NSA_INS8_10device_ptrIiEEEESK_SM_NS1_21upper_bound_search_opENS9_16wrapped_functionINS8_6system6detail7generic6detail18binary_search_lessEbEEEE10hipError_tPvRmT1_T2_T3_mmT4_T5_P12ihipStream_tbEUlRKiE_EESZ_S13_S14_mS15_S18_bEUlT_E_NS1_11comp_targetILNS1_3genE10ELNS1_11target_archE1201ELNS1_3gpuE5ELNS1_3repE0EEENS1_30default_config_static_selectorELNS0_4arch9wavefront6targetE1EEEvS12_
                                        ; -- End function
	.set _ZN7rocprim17ROCPRIM_400000_NS6detail17trampoline_kernelINS0_14default_configENS1_27upper_bound_config_selectorIilEEZNS1_14transform_implILb0ES3_S5_N6thrust23THRUST_200600_302600_NS6detail15normal_iteratorINS8_7pointerIiNS9_22execute_with_allocatorINS8_16device_allocatorIcEENS8_11hip_rocprim22execute_on_stream_baseEEENS8_11use_defaultESI_EEEENSA_INSB_IlSH_SI_SI_EEEEZNS1_13binary_searchIS3_S5_NSA_INS8_10device_ptrIiEEEESK_SM_NS1_21upper_bound_search_opENS9_16wrapped_functionINS8_6system6detail7generic6detail18binary_search_lessEbEEEE10hipError_tPvRmT1_T2_T3_mmT4_T5_P12ihipStream_tbEUlRKiE_EESZ_S13_S14_mS15_S18_bEUlT_E_NS1_11comp_targetILNS1_3genE10ELNS1_11target_archE1201ELNS1_3gpuE5ELNS1_3repE0EEENS1_30default_config_static_selectorELNS0_4arch9wavefront6targetE1EEEvS12_.num_vgpr, 0
	.set _ZN7rocprim17ROCPRIM_400000_NS6detail17trampoline_kernelINS0_14default_configENS1_27upper_bound_config_selectorIilEEZNS1_14transform_implILb0ES3_S5_N6thrust23THRUST_200600_302600_NS6detail15normal_iteratorINS8_7pointerIiNS9_22execute_with_allocatorINS8_16device_allocatorIcEENS8_11hip_rocprim22execute_on_stream_baseEEENS8_11use_defaultESI_EEEENSA_INSB_IlSH_SI_SI_EEEEZNS1_13binary_searchIS3_S5_NSA_INS8_10device_ptrIiEEEESK_SM_NS1_21upper_bound_search_opENS9_16wrapped_functionINS8_6system6detail7generic6detail18binary_search_lessEbEEEE10hipError_tPvRmT1_T2_T3_mmT4_T5_P12ihipStream_tbEUlRKiE_EESZ_S13_S14_mS15_S18_bEUlT_E_NS1_11comp_targetILNS1_3genE10ELNS1_11target_archE1201ELNS1_3gpuE5ELNS1_3repE0EEENS1_30default_config_static_selectorELNS0_4arch9wavefront6targetE1EEEvS12_.num_agpr, 0
	.set _ZN7rocprim17ROCPRIM_400000_NS6detail17trampoline_kernelINS0_14default_configENS1_27upper_bound_config_selectorIilEEZNS1_14transform_implILb0ES3_S5_N6thrust23THRUST_200600_302600_NS6detail15normal_iteratorINS8_7pointerIiNS9_22execute_with_allocatorINS8_16device_allocatorIcEENS8_11hip_rocprim22execute_on_stream_baseEEENS8_11use_defaultESI_EEEENSA_INSB_IlSH_SI_SI_EEEEZNS1_13binary_searchIS3_S5_NSA_INS8_10device_ptrIiEEEESK_SM_NS1_21upper_bound_search_opENS9_16wrapped_functionINS8_6system6detail7generic6detail18binary_search_lessEbEEEE10hipError_tPvRmT1_T2_T3_mmT4_T5_P12ihipStream_tbEUlRKiE_EESZ_S13_S14_mS15_S18_bEUlT_E_NS1_11comp_targetILNS1_3genE10ELNS1_11target_archE1201ELNS1_3gpuE5ELNS1_3repE0EEENS1_30default_config_static_selectorELNS0_4arch9wavefront6targetE1EEEvS12_.numbered_sgpr, 0
	.set _ZN7rocprim17ROCPRIM_400000_NS6detail17trampoline_kernelINS0_14default_configENS1_27upper_bound_config_selectorIilEEZNS1_14transform_implILb0ES3_S5_N6thrust23THRUST_200600_302600_NS6detail15normal_iteratorINS8_7pointerIiNS9_22execute_with_allocatorINS8_16device_allocatorIcEENS8_11hip_rocprim22execute_on_stream_baseEEENS8_11use_defaultESI_EEEENSA_INSB_IlSH_SI_SI_EEEEZNS1_13binary_searchIS3_S5_NSA_INS8_10device_ptrIiEEEESK_SM_NS1_21upper_bound_search_opENS9_16wrapped_functionINS8_6system6detail7generic6detail18binary_search_lessEbEEEE10hipError_tPvRmT1_T2_T3_mmT4_T5_P12ihipStream_tbEUlRKiE_EESZ_S13_S14_mS15_S18_bEUlT_E_NS1_11comp_targetILNS1_3genE10ELNS1_11target_archE1201ELNS1_3gpuE5ELNS1_3repE0EEENS1_30default_config_static_selectorELNS0_4arch9wavefront6targetE1EEEvS12_.num_named_barrier, 0
	.set _ZN7rocprim17ROCPRIM_400000_NS6detail17trampoline_kernelINS0_14default_configENS1_27upper_bound_config_selectorIilEEZNS1_14transform_implILb0ES3_S5_N6thrust23THRUST_200600_302600_NS6detail15normal_iteratorINS8_7pointerIiNS9_22execute_with_allocatorINS8_16device_allocatorIcEENS8_11hip_rocprim22execute_on_stream_baseEEENS8_11use_defaultESI_EEEENSA_INSB_IlSH_SI_SI_EEEEZNS1_13binary_searchIS3_S5_NSA_INS8_10device_ptrIiEEEESK_SM_NS1_21upper_bound_search_opENS9_16wrapped_functionINS8_6system6detail7generic6detail18binary_search_lessEbEEEE10hipError_tPvRmT1_T2_T3_mmT4_T5_P12ihipStream_tbEUlRKiE_EESZ_S13_S14_mS15_S18_bEUlT_E_NS1_11comp_targetILNS1_3genE10ELNS1_11target_archE1201ELNS1_3gpuE5ELNS1_3repE0EEENS1_30default_config_static_selectorELNS0_4arch9wavefront6targetE1EEEvS12_.private_seg_size, 0
	.set _ZN7rocprim17ROCPRIM_400000_NS6detail17trampoline_kernelINS0_14default_configENS1_27upper_bound_config_selectorIilEEZNS1_14transform_implILb0ES3_S5_N6thrust23THRUST_200600_302600_NS6detail15normal_iteratorINS8_7pointerIiNS9_22execute_with_allocatorINS8_16device_allocatorIcEENS8_11hip_rocprim22execute_on_stream_baseEEENS8_11use_defaultESI_EEEENSA_INSB_IlSH_SI_SI_EEEEZNS1_13binary_searchIS3_S5_NSA_INS8_10device_ptrIiEEEESK_SM_NS1_21upper_bound_search_opENS9_16wrapped_functionINS8_6system6detail7generic6detail18binary_search_lessEbEEEE10hipError_tPvRmT1_T2_T3_mmT4_T5_P12ihipStream_tbEUlRKiE_EESZ_S13_S14_mS15_S18_bEUlT_E_NS1_11comp_targetILNS1_3genE10ELNS1_11target_archE1201ELNS1_3gpuE5ELNS1_3repE0EEENS1_30default_config_static_selectorELNS0_4arch9wavefront6targetE1EEEvS12_.uses_vcc, 0
	.set _ZN7rocprim17ROCPRIM_400000_NS6detail17trampoline_kernelINS0_14default_configENS1_27upper_bound_config_selectorIilEEZNS1_14transform_implILb0ES3_S5_N6thrust23THRUST_200600_302600_NS6detail15normal_iteratorINS8_7pointerIiNS9_22execute_with_allocatorINS8_16device_allocatorIcEENS8_11hip_rocprim22execute_on_stream_baseEEENS8_11use_defaultESI_EEEENSA_INSB_IlSH_SI_SI_EEEEZNS1_13binary_searchIS3_S5_NSA_INS8_10device_ptrIiEEEESK_SM_NS1_21upper_bound_search_opENS9_16wrapped_functionINS8_6system6detail7generic6detail18binary_search_lessEbEEEE10hipError_tPvRmT1_T2_T3_mmT4_T5_P12ihipStream_tbEUlRKiE_EESZ_S13_S14_mS15_S18_bEUlT_E_NS1_11comp_targetILNS1_3genE10ELNS1_11target_archE1201ELNS1_3gpuE5ELNS1_3repE0EEENS1_30default_config_static_selectorELNS0_4arch9wavefront6targetE1EEEvS12_.uses_flat_scratch, 0
	.set _ZN7rocprim17ROCPRIM_400000_NS6detail17trampoline_kernelINS0_14default_configENS1_27upper_bound_config_selectorIilEEZNS1_14transform_implILb0ES3_S5_N6thrust23THRUST_200600_302600_NS6detail15normal_iteratorINS8_7pointerIiNS9_22execute_with_allocatorINS8_16device_allocatorIcEENS8_11hip_rocprim22execute_on_stream_baseEEENS8_11use_defaultESI_EEEENSA_INSB_IlSH_SI_SI_EEEEZNS1_13binary_searchIS3_S5_NSA_INS8_10device_ptrIiEEEESK_SM_NS1_21upper_bound_search_opENS9_16wrapped_functionINS8_6system6detail7generic6detail18binary_search_lessEbEEEE10hipError_tPvRmT1_T2_T3_mmT4_T5_P12ihipStream_tbEUlRKiE_EESZ_S13_S14_mS15_S18_bEUlT_E_NS1_11comp_targetILNS1_3genE10ELNS1_11target_archE1201ELNS1_3gpuE5ELNS1_3repE0EEENS1_30default_config_static_selectorELNS0_4arch9wavefront6targetE1EEEvS12_.has_dyn_sized_stack, 0
	.set _ZN7rocprim17ROCPRIM_400000_NS6detail17trampoline_kernelINS0_14default_configENS1_27upper_bound_config_selectorIilEEZNS1_14transform_implILb0ES3_S5_N6thrust23THRUST_200600_302600_NS6detail15normal_iteratorINS8_7pointerIiNS9_22execute_with_allocatorINS8_16device_allocatorIcEENS8_11hip_rocprim22execute_on_stream_baseEEENS8_11use_defaultESI_EEEENSA_INSB_IlSH_SI_SI_EEEEZNS1_13binary_searchIS3_S5_NSA_INS8_10device_ptrIiEEEESK_SM_NS1_21upper_bound_search_opENS9_16wrapped_functionINS8_6system6detail7generic6detail18binary_search_lessEbEEEE10hipError_tPvRmT1_T2_T3_mmT4_T5_P12ihipStream_tbEUlRKiE_EESZ_S13_S14_mS15_S18_bEUlT_E_NS1_11comp_targetILNS1_3genE10ELNS1_11target_archE1201ELNS1_3gpuE5ELNS1_3repE0EEENS1_30default_config_static_selectorELNS0_4arch9wavefront6targetE1EEEvS12_.has_recursion, 0
	.set _ZN7rocprim17ROCPRIM_400000_NS6detail17trampoline_kernelINS0_14default_configENS1_27upper_bound_config_selectorIilEEZNS1_14transform_implILb0ES3_S5_N6thrust23THRUST_200600_302600_NS6detail15normal_iteratorINS8_7pointerIiNS9_22execute_with_allocatorINS8_16device_allocatorIcEENS8_11hip_rocprim22execute_on_stream_baseEEENS8_11use_defaultESI_EEEENSA_INSB_IlSH_SI_SI_EEEEZNS1_13binary_searchIS3_S5_NSA_INS8_10device_ptrIiEEEESK_SM_NS1_21upper_bound_search_opENS9_16wrapped_functionINS8_6system6detail7generic6detail18binary_search_lessEbEEEE10hipError_tPvRmT1_T2_T3_mmT4_T5_P12ihipStream_tbEUlRKiE_EESZ_S13_S14_mS15_S18_bEUlT_E_NS1_11comp_targetILNS1_3genE10ELNS1_11target_archE1201ELNS1_3gpuE5ELNS1_3repE0EEENS1_30default_config_static_selectorELNS0_4arch9wavefront6targetE1EEEvS12_.has_indirect_call, 0
	.section	.AMDGPU.csdata,"",@progbits
; Kernel info:
; codeLenInByte = 0
; TotalNumSgprs: 4
; NumVgprs: 0
; ScratchSize: 0
; MemoryBound: 0
; FloatMode: 240
; IeeeMode: 1
; LDSByteSize: 0 bytes/workgroup (compile time only)
; SGPRBlocks: 0
; VGPRBlocks: 0
; NumSGPRsForWavesPerEU: 4
; NumVGPRsForWavesPerEU: 1
; Occupancy: 10
; WaveLimiterHint : 0
; COMPUTE_PGM_RSRC2:SCRATCH_EN: 0
; COMPUTE_PGM_RSRC2:USER_SGPR: 6
; COMPUTE_PGM_RSRC2:TRAP_HANDLER: 0
; COMPUTE_PGM_RSRC2:TGID_X_EN: 1
; COMPUTE_PGM_RSRC2:TGID_Y_EN: 0
; COMPUTE_PGM_RSRC2:TGID_Z_EN: 0
; COMPUTE_PGM_RSRC2:TIDIG_COMP_CNT: 0
	.section	.text._ZN7rocprim17ROCPRIM_400000_NS6detail17trampoline_kernelINS0_14default_configENS1_27upper_bound_config_selectorIilEEZNS1_14transform_implILb0ES3_S5_N6thrust23THRUST_200600_302600_NS6detail15normal_iteratorINS8_7pointerIiNS9_22execute_with_allocatorINS8_16device_allocatorIcEENS8_11hip_rocprim22execute_on_stream_baseEEENS8_11use_defaultESI_EEEENSA_INSB_IlSH_SI_SI_EEEEZNS1_13binary_searchIS3_S5_NSA_INS8_10device_ptrIiEEEESK_SM_NS1_21upper_bound_search_opENS9_16wrapped_functionINS8_6system6detail7generic6detail18binary_search_lessEbEEEE10hipError_tPvRmT1_T2_T3_mmT4_T5_P12ihipStream_tbEUlRKiE_EESZ_S13_S14_mS15_S18_bEUlT_E_NS1_11comp_targetILNS1_3genE10ELNS1_11target_archE1200ELNS1_3gpuE4ELNS1_3repE0EEENS1_30default_config_static_selectorELNS0_4arch9wavefront6targetE1EEEvS12_,"axG",@progbits,_ZN7rocprim17ROCPRIM_400000_NS6detail17trampoline_kernelINS0_14default_configENS1_27upper_bound_config_selectorIilEEZNS1_14transform_implILb0ES3_S5_N6thrust23THRUST_200600_302600_NS6detail15normal_iteratorINS8_7pointerIiNS9_22execute_with_allocatorINS8_16device_allocatorIcEENS8_11hip_rocprim22execute_on_stream_baseEEENS8_11use_defaultESI_EEEENSA_INSB_IlSH_SI_SI_EEEEZNS1_13binary_searchIS3_S5_NSA_INS8_10device_ptrIiEEEESK_SM_NS1_21upper_bound_search_opENS9_16wrapped_functionINS8_6system6detail7generic6detail18binary_search_lessEbEEEE10hipError_tPvRmT1_T2_T3_mmT4_T5_P12ihipStream_tbEUlRKiE_EESZ_S13_S14_mS15_S18_bEUlT_E_NS1_11comp_targetILNS1_3genE10ELNS1_11target_archE1200ELNS1_3gpuE4ELNS1_3repE0EEENS1_30default_config_static_selectorELNS0_4arch9wavefront6targetE1EEEvS12_,comdat
	.protected	_ZN7rocprim17ROCPRIM_400000_NS6detail17trampoline_kernelINS0_14default_configENS1_27upper_bound_config_selectorIilEEZNS1_14transform_implILb0ES3_S5_N6thrust23THRUST_200600_302600_NS6detail15normal_iteratorINS8_7pointerIiNS9_22execute_with_allocatorINS8_16device_allocatorIcEENS8_11hip_rocprim22execute_on_stream_baseEEENS8_11use_defaultESI_EEEENSA_INSB_IlSH_SI_SI_EEEEZNS1_13binary_searchIS3_S5_NSA_INS8_10device_ptrIiEEEESK_SM_NS1_21upper_bound_search_opENS9_16wrapped_functionINS8_6system6detail7generic6detail18binary_search_lessEbEEEE10hipError_tPvRmT1_T2_T3_mmT4_T5_P12ihipStream_tbEUlRKiE_EESZ_S13_S14_mS15_S18_bEUlT_E_NS1_11comp_targetILNS1_3genE10ELNS1_11target_archE1200ELNS1_3gpuE4ELNS1_3repE0EEENS1_30default_config_static_selectorELNS0_4arch9wavefront6targetE1EEEvS12_ ; -- Begin function _ZN7rocprim17ROCPRIM_400000_NS6detail17trampoline_kernelINS0_14default_configENS1_27upper_bound_config_selectorIilEEZNS1_14transform_implILb0ES3_S5_N6thrust23THRUST_200600_302600_NS6detail15normal_iteratorINS8_7pointerIiNS9_22execute_with_allocatorINS8_16device_allocatorIcEENS8_11hip_rocprim22execute_on_stream_baseEEENS8_11use_defaultESI_EEEENSA_INSB_IlSH_SI_SI_EEEEZNS1_13binary_searchIS3_S5_NSA_INS8_10device_ptrIiEEEESK_SM_NS1_21upper_bound_search_opENS9_16wrapped_functionINS8_6system6detail7generic6detail18binary_search_lessEbEEEE10hipError_tPvRmT1_T2_T3_mmT4_T5_P12ihipStream_tbEUlRKiE_EESZ_S13_S14_mS15_S18_bEUlT_E_NS1_11comp_targetILNS1_3genE10ELNS1_11target_archE1200ELNS1_3gpuE4ELNS1_3repE0EEENS1_30default_config_static_selectorELNS0_4arch9wavefront6targetE1EEEvS12_
	.globl	_ZN7rocprim17ROCPRIM_400000_NS6detail17trampoline_kernelINS0_14default_configENS1_27upper_bound_config_selectorIilEEZNS1_14transform_implILb0ES3_S5_N6thrust23THRUST_200600_302600_NS6detail15normal_iteratorINS8_7pointerIiNS9_22execute_with_allocatorINS8_16device_allocatorIcEENS8_11hip_rocprim22execute_on_stream_baseEEENS8_11use_defaultESI_EEEENSA_INSB_IlSH_SI_SI_EEEEZNS1_13binary_searchIS3_S5_NSA_INS8_10device_ptrIiEEEESK_SM_NS1_21upper_bound_search_opENS9_16wrapped_functionINS8_6system6detail7generic6detail18binary_search_lessEbEEEE10hipError_tPvRmT1_T2_T3_mmT4_T5_P12ihipStream_tbEUlRKiE_EESZ_S13_S14_mS15_S18_bEUlT_E_NS1_11comp_targetILNS1_3genE10ELNS1_11target_archE1200ELNS1_3gpuE4ELNS1_3repE0EEENS1_30default_config_static_selectorELNS0_4arch9wavefront6targetE1EEEvS12_
	.p2align	8
	.type	_ZN7rocprim17ROCPRIM_400000_NS6detail17trampoline_kernelINS0_14default_configENS1_27upper_bound_config_selectorIilEEZNS1_14transform_implILb0ES3_S5_N6thrust23THRUST_200600_302600_NS6detail15normal_iteratorINS8_7pointerIiNS9_22execute_with_allocatorINS8_16device_allocatorIcEENS8_11hip_rocprim22execute_on_stream_baseEEENS8_11use_defaultESI_EEEENSA_INSB_IlSH_SI_SI_EEEEZNS1_13binary_searchIS3_S5_NSA_INS8_10device_ptrIiEEEESK_SM_NS1_21upper_bound_search_opENS9_16wrapped_functionINS8_6system6detail7generic6detail18binary_search_lessEbEEEE10hipError_tPvRmT1_T2_T3_mmT4_T5_P12ihipStream_tbEUlRKiE_EESZ_S13_S14_mS15_S18_bEUlT_E_NS1_11comp_targetILNS1_3genE10ELNS1_11target_archE1200ELNS1_3gpuE4ELNS1_3repE0EEENS1_30default_config_static_selectorELNS0_4arch9wavefront6targetE1EEEvS12_,@function
_ZN7rocprim17ROCPRIM_400000_NS6detail17trampoline_kernelINS0_14default_configENS1_27upper_bound_config_selectorIilEEZNS1_14transform_implILb0ES3_S5_N6thrust23THRUST_200600_302600_NS6detail15normal_iteratorINS8_7pointerIiNS9_22execute_with_allocatorINS8_16device_allocatorIcEENS8_11hip_rocprim22execute_on_stream_baseEEENS8_11use_defaultESI_EEEENSA_INSB_IlSH_SI_SI_EEEEZNS1_13binary_searchIS3_S5_NSA_INS8_10device_ptrIiEEEESK_SM_NS1_21upper_bound_search_opENS9_16wrapped_functionINS8_6system6detail7generic6detail18binary_search_lessEbEEEE10hipError_tPvRmT1_T2_T3_mmT4_T5_P12ihipStream_tbEUlRKiE_EESZ_S13_S14_mS15_S18_bEUlT_E_NS1_11comp_targetILNS1_3genE10ELNS1_11target_archE1200ELNS1_3gpuE4ELNS1_3repE0EEENS1_30default_config_static_selectorELNS0_4arch9wavefront6targetE1EEEvS12_: ; @_ZN7rocprim17ROCPRIM_400000_NS6detail17trampoline_kernelINS0_14default_configENS1_27upper_bound_config_selectorIilEEZNS1_14transform_implILb0ES3_S5_N6thrust23THRUST_200600_302600_NS6detail15normal_iteratorINS8_7pointerIiNS9_22execute_with_allocatorINS8_16device_allocatorIcEENS8_11hip_rocprim22execute_on_stream_baseEEENS8_11use_defaultESI_EEEENSA_INSB_IlSH_SI_SI_EEEEZNS1_13binary_searchIS3_S5_NSA_INS8_10device_ptrIiEEEESK_SM_NS1_21upper_bound_search_opENS9_16wrapped_functionINS8_6system6detail7generic6detail18binary_search_lessEbEEEE10hipError_tPvRmT1_T2_T3_mmT4_T5_P12ihipStream_tbEUlRKiE_EESZ_S13_S14_mS15_S18_bEUlT_E_NS1_11comp_targetILNS1_3genE10ELNS1_11target_archE1200ELNS1_3gpuE4ELNS1_3repE0EEENS1_30default_config_static_selectorELNS0_4arch9wavefront6targetE1EEEvS12_
; %bb.0:
	.section	.rodata,"a",@progbits
	.p2align	6, 0x0
	.amdhsa_kernel _ZN7rocprim17ROCPRIM_400000_NS6detail17trampoline_kernelINS0_14default_configENS1_27upper_bound_config_selectorIilEEZNS1_14transform_implILb0ES3_S5_N6thrust23THRUST_200600_302600_NS6detail15normal_iteratorINS8_7pointerIiNS9_22execute_with_allocatorINS8_16device_allocatorIcEENS8_11hip_rocprim22execute_on_stream_baseEEENS8_11use_defaultESI_EEEENSA_INSB_IlSH_SI_SI_EEEEZNS1_13binary_searchIS3_S5_NSA_INS8_10device_ptrIiEEEESK_SM_NS1_21upper_bound_search_opENS9_16wrapped_functionINS8_6system6detail7generic6detail18binary_search_lessEbEEEE10hipError_tPvRmT1_T2_T3_mmT4_T5_P12ihipStream_tbEUlRKiE_EESZ_S13_S14_mS15_S18_bEUlT_E_NS1_11comp_targetILNS1_3genE10ELNS1_11target_archE1200ELNS1_3gpuE4ELNS1_3repE0EEENS1_30default_config_static_selectorELNS0_4arch9wavefront6targetE1EEEvS12_
		.amdhsa_group_segment_fixed_size 0
		.amdhsa_private_segment_fixed_size 0
		.amdhsa_kernarg_size 56
		.amdhsa_user_sgpr_count 6
		.amdhsa_user_sgpr_private_segment_buffer 1
		.amdhsa_user_sgpr_dispatch_ptr 0
		.amdhsa_user_sgpr_queue_ptr 0
		.amdhsa_user_sgpr_kernarg_segment_ptr 1
		.amdhsa_user_sgpr_dispatch_id 0
		.amdhsa_user_sgpr_flat_scratch_init 0
		.amdhsa_user_sgpr_private_segment_size 0
		.amdhsa_uses_dynamic_stack 0
		.amdhsa_system_sgpr_private_segment_wavefront_offset 0
		.amdhsa_system_sgpr_workgroup_id_x 1
		.amdhsa_system_sgpr_workgroup_id_y 0
		.amdhsa_system_sgpr_workgroup_id_z 0
		.amdhsa_system_sgpr_workgroup_info 0
		.amdhsa_system_vgpr_workitem_id 0
		.amdhsa_next_free_vgpr 1
		.amdhsa_next_free_sgpr 0
		.amdhsa_reserve_vcc 0
		.amdhsa_reserve_flat_scratch 0
		.amdhsa_float_round_mode_32 0
		.amdhsa_float_round_mode_16_64 0
		.amdhsa_float_denorm_mode_32 3
		.amdhsa_float_denorm_mode_16_64 3
		.amdhsa_dx10_clamp 1
		.amdhsa_ieee_mode 1
		.amdhsa_fp16_overflow 0
		.amdhsa_exception_fp_ieee_invalid_op 0
		.amdhsa_exception_fp_denorm_src 0
		.amdhsa_exception_fp_ieee_div_zero 0
		.amdhsa_exception_fp_ieee_overflow 0
		.amdhsa_exception_fp_ieee_underflow 0
		.amdhsa_exception_fp_ieee_inexact 0
		.amdhsa_exception_int_div_zero 0
	.end_amdhsa_kernel
	.section	.text._ZN7rocprim17ROCPRIM_400000_NS6detail17trampoline_kernelINS0_14default_configENS1_27upper_bound_config_selectorIilEEZNS1_14transform_implILb0ES3_S5_N6thrust23THRUST_200600_302600_NS6detail15normal_iteratorINS8_7pointerIiNS9_22execute_with_allocatorINS8_16device_allocatorIcEENS8_11hip_rocprim22execute_on_stream_baseEEENS8_11use_defaultESI_EEEENSA_INSB_IlSH_SI_SI_EEEEZNS1_13binary_searchIS3_S5_NSA_INS8_10device_ptrIiEEEESK_SM_NS1_21upper_bound_search_opENS9_16wrapped_functionINS8_6system6detail7generic6detail18binary_search_lessEbEEEE10hipError_tPvRmT1_T2_T3_mmT4_T5_P12ihipStream_tbEUlRKiE_EESZ_S13_S14_mS15_S18_bEUlT_E_NS1_11comp_targetILNS1_3genE10ELNS1_11target_archE1200ELNS1_3gpuE4ELNS1_3repE0EEENS1_30default_config_static_selectorELNS0_4arch9wavefront6targetE1EEEvS12_,"axG",@progbits,_ZN7rocprim17ROCPRIM_400000_NS6detail17trampoline_kernelINS0_14default_configENS1_27upper_bound_config_selectorIilEEZNS1_14transform_implILb0ES3_S5_N6thrust23THRUST_200600_302600_NS6detail15normal_iteratorINS8_7pointerIiNS9_22execute_with_allocatorINS8_16device_allocatorIcEENS8_11hip_rocprim22execute_on_stream_baseEEENS8_11use_defaultESI_EEEENSA_INSB_IlSH_SI_SI_EEEEZNS1_13binary_searchIS3_S5_NSA_INS8_10device_ptrIiEEEESK_SM_NS1_21upper_bound_search_opENS9_16wrapped_functionINS8_6system6detail7generic6detail18binary_search_lessEbEEEE10hipError_tPvRmT1_T2_T3_mmT4_T5_P12ihipStream_tbEUlRKiE_EESZ_S13_S14_mS15_S18_bEUlT_E_NS1_11comp_targetILNS1_3genE10ELNS1_11target_archE1200ELNS1_3gpuE4ELNS1_3repE0EEENS1_30default_config_static_selectorELNS0_4arch9wavefront6targetE1EEEvS12_,comdat
.Lfunc_end785:
	.size	_ZN7rocprim17ROCPRIM_400000_NS6detail17trampoline_kernelINS0_14default_configENS1_27upper_bound_config_selectorIilEEZNS1_14transform_implILb0ES3_S5_N6thrust23THRUST_200600_302600_NS6detail15normal_iteratorINS8_7pointerIiNS9_22execute_with_allocatorINS8_16device_allocatorIcEENS8_11hip_rocprim22execute_on_stream_baseEEENS8_11use_defaultESI_EEEENSA_INSB_IlSH_SI_SI_EEEEZNS1_13binary_searchIS3_S5_NSA_INS8_10device_ptrIiEEEESK_SM_NS1_21upper_bound_search_opENS9_16wrapped_functionINS8_6system6detail7generic6detail18binary_search_lessEbEEEE10hipError_tPvRmT1_T2_T3_mmT4_T5_P12ihipStream_tbEUlRKiE_EESZ_S13_S14_mS15_S18_bEUlT_E_NS1_11comp_targetILNS1_3genE10ELNS1_11target_archE1200ELNS1_3gpuE4ELNS1_3repE0EEENS1_30default_config_static_selectorELNS0_4arch9wavefront6targetE1EEEvS12_, .Lfunc_end785-_ZN7rocprim17ROCPRIM_400000_NS6detail17trampoline_kernelINS0_14default_configENS1_27upper_bound_config_selectorIilEEZNS1_14transform_implILb0ES3_S5_N6thrust23THRUST_200600_302600_NS6detail15normal_iteratorINS8_7pointerIiNS9_22execute_with_allocatorINS8_16device_allocatorIcEENS8_11hip_rocprim22execute_on_stream_baseEEENS8_11use_defaultESI_EEEENSA_INSB_IlSH_SI_SI_EEEEZNS1_13binary_searchIS3_S5_NSA_INS8_10device_ptrIiEEEESK_SM_NS1_21upper_bound_search_opENS9_16wrapped_functionINS8_6system6detail7generic6detail18binary_search_lessEbEEEE10hipError_tPvRmT1_T2_T3_mmT4_T5_P12ihipStream_tbEUlRKiE_EESZ_S13_S14_mS15_S18_bEUlT_E_NS1_11comp_targetILNS1_3genE10ELNS1_11target_archE1200ELNS1_3gpuE4ELNS1_3repE0EEENS1_30default_config_static_selectorELNS0_4arch9wavefront6targetE1EEEvS12_
                                        ; -- End function
	.set _ZN7rocprim17ROCPRIM_400000_NS6detail17trampoline_kernelINS0_14default_configENS1_27upper_bound_config_selectorIilEEZNS1_14transform_implILb0ES3_S5_N6thrust23THRUST_200600_302600_NS6detail15normal_iteratorINS8_7pointerIiNS9_22execute_with_allocatorINS8_16device_allocatorIcEENS8_11hip_rocprim22execute_on_stream_baseEEENS8_11use_defaultESI_EEEENSA_INSB_IlSH_SI_SI_EEEEZNS1_13binary_searchIS3_S5_NSA_INS8_10device_ptrIiEEEESK_SM_NS1_21upper_bound_search_opENS9_16wrapped_functionINS8_6system6detail7generic6detail18binary_search_lessEbEEEE10hipError_tPvRmT1_T2_T3_mmT4_T5_P12ihipStream_tbEUlRKiE_EESZ_S13_S14_mS15_S18_bEUlT_E_NS1_11comp_targetILNS1_3genE10ELNS1_11target_archE1200ELNS1_3gpuE4ELNS1_3repE0EEENS1_30default_config_static_selectorELNS0_4arch9wavefront6targetE1EEEvS12_.num_vgpr, 0
	.set _ZN7rocprim17ROCPRIM_400000_NS6detail17trampoline_kernelINS0_14default_configENS1_27upper_bound_config_selectorIilEEZNS1_14transform_implILb0ES3_S5_N6thrust23THRUST_200600_302600_NS6detail15normal_iteratorINS8_7pointerIiNS9_22execute_with_allocatorINS8_16device_allocatorIcEENS8_11hip_rocprim22execute_on_stream_baseEEENS8_11use_defaultESI_EEEENSA_INSB_IlSH_SI_SI_EEEEZNS1_13binary_searchIS3_S5_NSA_INS8_10device_ptrIiEEEESK_SM_NS1_21upper_bound_search_opENS9_16wrapped_functionINS8_6system6detail7generic6detail18binary_search_lessEbEEEE10hipError_tPvRmT1_T2_T3_mmT4_T5_P12ihipStream_tbEUlRKiE_EESZ_S13_S14_mS15_S18_bEUlT_E_NS1_11comp_targetILNS1_3genE10ELNS1_11target_archE1200ELNS1_3gpuE4ELNS1_3repE0EEENS1_30default_config_static_selectorELNS0_4arch9wavefront6targetE1EEEvS12_.num_agpr, 0
	.set _ZN7rocprim17ROCPRIM_400000_NS6detail17trampoline_kernelINS0_14default_configENS1_27upper_bound_config_selectorIilEEZNS1_14transform_implILb0ES3_S5_N6thrust23THRUST_200600_302600_NS6detail15normal_iteratorINS8_7pointerIiNS9_22execute_with_allocatorINS8_16device_allocatorIcEENS8_11hip_rocprim22execute_on_stream_baseEEENS8_11use_defaultESI_EEEENSA_INSB_IlSH_SI_SI_EEEEZNS1_13binary_searchIS3_S5_NSA_INS8_10device_ptrIiEEEESK_SM_NS1_21upper_bound_search_opENS9_16wrapped_functionINS8_6system6detail7generic6detail18binary_search_lessEbEEEE10hipError_tPvRmT1_T2_T3_mmT4_T5_P12ihipStream_tbEUlRKiE_EESZ_S13_S14_mS15_S18_bEUlT_E_NS1_11comp_targetILNS1_3genE10ELNS1_11target_archE1200ELNS1_3gpuE4ELNS1_3repE0EEENS1_30default_config_static_selectorELNS0_4arch9wavefront6targetE1EEEvS12_.numbered_sgpr, 0
	.set _ZN7rocprim17ROCPRIM_400000_NS6detail17trampoline_kernelINS0_14default_configENS1_27upper_bound_config_selectorIilEEZNS1_14transform_implILb0ES3_S5_N6thrust23THRUST_200600_302600_NS6detail15normal_iteratorINS8_7pointerIiNS9_22execute_with_allocatorINS8_16device_allocatorIcEENS8_11hip_rocprim22execute_on_stream_baseEEENS8_11use_defaultESI_EEEENSA_INSB_IlSH_SI_SI_EEEEZNS1_13binary_searchIS3_S5_NSA_INS8_10device_ptrIiEEEESK_SM_NS1_21upper_bound_search_opENS9_16wrapped_functionINS8_6system6detail7generic6detail18binary_search_lessEbEEEE10hipError_tPvRmT1_T2_T3_mmT4_T5_P12ihipStream_tbEUlRKiE_EESZ_S13_S14_mS15_S18_bEUlT_E_NS1_11comp_targetILNS1_3genE10ELNS1_11target_archE1200ELNS1_3gpuE4ELNS1_3repE0EEENS1_30default_config_static_selectorELNS0_4arch9wavefront6targetE1EEEvS12_.num_named_barrier, 0
	.set _ZN7rocprim17ROCPRIM_400000_NS6detail17trampoline_kernelINS0_14default_configENS1_27upper_bound_config_selectorIilEEZNS1_14transform_implILb0ES3_S5_N6thrust23THRUST_200600_302600_NS6detail15normal_iteratorINS8_7pointerIiNS9_22execute_with_allocatorINS8_16device_allocatorIcEENS8_11hip_rocprim22execute_on_stream_baseEEENS8_11use_defaultESI_EEEENSA_INSB_IlSH_SI_SI_EEEEZNS1_13binary_searchIS3_S5_NSA_INS8_10device_ptrIiEEEESK_SM_NS1_21upper_bound_search_opENS9_16wrapped_functionINS8_6system6detail7generic6detail18binary_search_lessEbEEEE10hipError_tPvRmT1_T2_T3_mmT4_T5_P12ihipStream_tbEUlRKiE_EESZ_S13_S14_mS15_S18_bEUlT_E_NS1_11comp_targetILNS1_3genE10ELNS1_11target_archE1200ELNS1_3gpuE4ELNS1_3repE0EEENS1_30default_config_static_selectorELNS0_4arch9wavefront6targetE1EEEvS12_.private_seg_size, 0
	.set _ZN7rocprim17ROCPRIM_400000_NS6detail17trampoline_kernelINS0_14default_configENS1_27upper_bound_config_selectorIilEEZNS1_14transform_implILb0ES3_S5_N6thrust23THRUST_200600_302600_NS6detail15normal_iteratorINS8_7pointerIiNS9_22execute_with_allocatorINS8_16device_allocatorIcEENS8_11hip_rocprim22execute_on_stream_baseEEENS8_11use_defaultESI_EEEENSA_INSB_IlSH_SI_SI_EEEEZNS1_13binary_searchIS3_S5_NSA_INS8_10device_ptrIiEEEESK_SM_NS1_21upper_bound_search_opENS9_16wrapped_functionINS8_6system6detail7generic6detail18binary_search_lessEbEEEE10hipError_tPvRmT1_T2_T3_mmT4_T5_P12ihipStream_tbEUlRKiE_EESZ_S13_S14_mS15_S18_bEUlT_E_NS1_11comp_targetILNS1_3genE10ELNS1_11target_archE1200ELNS1_3gpuE4ELNS1_3repE0EEENS1_30default_config_static_selectorELNS0_4arch9wavefront6targetE1EEEvS12_.uses_vcc, 0
	.set _ZN7rocprim17ROCPRIM_400000_NS6detail17trampoline_kernelINS0_14default_configENS1_27upper_bound_config_selectorIilEEZNS1_14transform_implILb0ES3_S5_N6thrust23THRUST_200600_302600_NS6detail15normal_iteratorINS8_7pointerIiNS9_22execute_with_allocatorINS8_16device_allocatorIcEENS8_11hip_rocprim22execute_on_stream_baseEEENS8_11use_defaultESI_EEEENSA_INSB_IlSH_SI_SI_EEEEZNS1_13binary_searchIS3_S5_NSA_INS8_10device_ptrIiEEEESK_SM_NS1_21upper_bound_search_opENS9_16wrapped_functionINS8_6system6detail7generic6detail18binary_search_lessEbEEEE10hipError_tPvRmT1_T2_T3_mmT4_T5_P12ihipStream_tbEUlRKiE_EESZ_S13_S14_mS15_S18_bEUlT_E_NS1_11comp_targetILNS1_3genE10ELNS1_11target_archE1200ELNS1_3gpuE4ELNS1_3repE0EEENS1_30default_config_static_selectorELNS0_4arch9wavefront6targetE1EEEvS12_.uses_flat_scratch, 0
	.set _ZN7rocprim17ROCPRIM_400000_NS6detail17trampoline_kernelINS0_14default_configENS1_27upper_bound_config_selectorIilEEZNS1_14transform_implILb0ES3_S5_N6thrust23THRUST_200600_302600_NS6detail15normal_iteratorINS8_7pointerIiNS9_22execute_with_allocatorINS8_16device_allocatorIcEENS8_11hip_rocprim22execute_on_stream_baseEEENS8_11use_defaultESI_EEEENSA_INSB_IlSH_SI_SI_EEEEZNS1_13binary_searchIS3_S5_NSA_INS8_10device_ptrIiEEEESK_SM_NS1_21upper_bound_search_opENS9_16wrapped_functionINS8_6system6detail7generic6detail18binary_search_lessEbEEEE10hipError_tPvRmT1_T2_T3_mmT4_T5_P12ihipStream_tbEUlRKiE_EESZ_S13_S14_mS15_S18_bEUlT_E_NS1_11comp_targetILNS1_3genE10ELNS1_11target_archE1200ELNS1_3gpuE4ELNS1_3repE0EEENS1_30default_config_static_selectorELNS0_4arch9wavefront6targetE1EEEvS12_.has_dyn_sized_stack, 0
	.set _ZN7rocprim17ROCPRIM_400000_NS6detail17trampoline_kernelINS0_14default_configENS1_27upper_bound_config_selectorIilEEZNS1_14transform_implILb0ES3_S5_N6thrust23THRUST_200600_302600_NS6detail15normal_iteratorINS8_7pointerIiNS9_22execute_with_allocatorINS8_16device_allocatorIcEENS8_11hip_rocprim22execute_on_stream_baseEEENS8_11use_defaultESI_EEEENSA_INSB_IlSH_SI_SI_EEEEZNS1_13binary_searchIS3_S5_NSA_INS8_10device_ptrIiEEEESK_SM_NS1_21upper_bound_search_opENS9_16wrapped_functionINS8_6system6detail7generic6detail18binary_search_lessEbEEEE10hipError_tPvRmT1_T2_T3_mmT4_T5_P12ihipStream_tbEUlRKiE_EESZ_S13_S14_mS15_S18_bEUlT_E_NS1_11comp_targetILNS1_3genE10ELNS1_11target_archE1200ELNS1_3gpuE4ELNS1_3repE0EEENS1_30default_config_static_selectorELNS0_4arch9wavefront6targetE1EEEvS12_.has_recursion, 0
	.set _ZN7rocprim17ROCPRIM_400000_NS6detail17trampoline_kernelINS0_14default_configENS1_27upper_bound_config_selectorIilEEZNS1_14transform_implILb0ES3_S5_N6thrust23THRUST_200600_302600_NS6detail15normal_iteratorINS8_7pointerIiNS9_22execute_with_allocatorINS8_16device_allocatorIcEENS8_11hip_rocprim22execute_on_stream_baseEEENS8_11use_defaultESI_EEEENSA_INSB_IlSH_SI_SI_EEEEZNS1_13binary_searchIS3_S5_NSA_INS8_10device_ptrIiEEEESK_SM_NS1_21upper_bound_search_opENS9_16wrapped_functionINS8_6system6detail7generic6detail18binary_search_lessEbEEEE10hipError_tPvRmT1_T2_T3_mmT4_T5_P12ihipStream_tbEUlRKiE_EESZ_S13_S14_mS15_S18_bEUlT_E_NS1_11comp_targetILNS1_3genE10ELNS1_11target_archE1200ELNS1_3gpuE4ELNS1_3repE0EEENS1_30default_config_static_selectorELNS0_4arch9wavefront6targetE1EEEvS12_.has_indirect_call, 0
	.section	.AMDGPU.csdata,"",@progbits
; Kernel info:
; codeLenInByte = 0
; TotalNumSgprs: 4
; NumVgprs: 0
; ScratchSize: 0
; MemoryBound: 0
; FloatMode: 240
; IeeeMode: 1
; LDSByteSize: 0 bytes/workgroup (compile time only)
; SGPRBlocks: 0
; VGPRBlocks: 0
; NumSGPRsForWavesPerEU: 4
; NumVGPRsForWavesPerEU: 1
; Occupancy: 10
; WaveLimiterHint : 0
; COMPUTE_PGM_RSRC2:SCRATCH_EN: 0
; COMPUTE_PGM_RSRC2:USER_SGPR: 6
; COMPUTE_PGM_RSRC2:TRAP_HANDLER: 0
; COMPUTE_PGM_RSRC2:TGID_X_EN: 1
; COMPUTE_PGM_RSRC2:TGID_Y_EN: 0
; COMPUTE_PGM_RSRC2:TGID_Z_EN: 0
; COMPUTE_PGM_RSRC2:TIDIG_COMP_CNT: 0
	.section	.text._ZN7rocprim17ROCPRIM_400000_NS6detail17trampoline_kernelINS0_14default_configENS1_27upper_bound_config_selectorIilEEZNS1_14transform_implILb0ES3_S5_N6thrust23THRUST_200600_302600_NS6detail15normal_iteratorINS8_7pointerIiNS9_22execute_with_allocatorINS8_16device_allocatorIcEENS8_11hip_rocprim22execute_on_stream_baseEEENS8_11use_defaultESI_EEEENSA_INSB_IlSH_SI_SI_EEEEZNS1_13binary_searchIS3_S5_NSA_INS8_10device_ptrIiEEEESK_SM_NS1_21upper_bound_search_opENS9_16wrapped_functionINS8_6system6detail7generic6detail18binary_search_lessEbEEEE10hipError_tPvRmT1_T2_T3_mmT4_T5_P12ihipStream_tbEUlRKiE_EESZ_S13_S14_mS15_S18_bEUlT_E_NS1_11comp_targetILNS1_3genE9ELNS1_11target_archE1100ELNS1_3gpuE3ELNS1_3repE0EEENS1_30default_config_static_selectorELNS0_4arch9wavefront6targetE1EEEvS12_,"axG",@progbits,_ZN7rocprim17ROCPRIM_400000_NS6detail17trampoline_kernelINS0_14default_configENS1_27upper_bound_config_selectorIilEEZNS1_14transform_implILb0ES3_S5_N6thrust23THRUST_200600_302600_NS6detail15normal_iteratorINS8_7pointerIiNS9_22execute_with_allocatorINS8_16device_allocatorIcEENS8_11hip_rocprim22execute_on_stream_baseEEENS8_11use_defaultESI_EEEENSA_INSB_IlSH_SI_SI_EEEEZNS1_13binary_searchIS3_S5_NSA_INS8_10device_ptrIiEEEESK_SM_NS1_21upper_bound_search_opENS9_16wrapped_functionINS8_6system6detail7generic6detail18binary_search_lessEbEEEE10hipError_tPvRmT1_T2_T3_mmT4_T5_P12ihipStream_tbEUlRKiE_EESZ_S13_S14_mS15_S18_bEUlT_E_NS1_11comp_targetILNS1_3genE9ELNS1_11target_archE1100ELNS1_3gpuE3ELNS1_3repE0EEENS1_30default_config_static_selectorELNS0_4arch9wavefront6targetE1EEEvS12_,comdat
	.protected	_ZN7rocprim17ROCPRIM_400000_NS6detail17trampoline_kernelINS0_14default_configENS1_27upper_bound_config_selectorIilEEZNS1_14transform_implILb0ES3_S5_N6thrust23THRUST_200600_302600_NS6detail15normal_iteratorINS8_7pointerIiNS9_22execute_with_allocatorINS8_16device_allocatorIcEENS8_11hip_rocprim22execute_on_stream_baseEEENS8_11use_defaultESI_EEEENSA_INSB_IlSH_SI_SI_EEEEZNS1_13binary_searchIS3_S5_NSA_INS8_10device_ptrIiEEEESK_SM_NS1_21upper_bound_search_opENS9_16wrapped_functionINS8_6system6detail7generic6detail18binary_search_lessEbEEEE10hipError_tPvRmT1_T2_T3_mmT4_T5_P12ihipStream_tbEUlRKiE_EESZ_S13_S14_mS15_S18_bEUlT_E_NS1_11comp_targetILNS1_3genE9ELNS1_11target_archE1100ELNS1_3gpuE3ELNS1_3repE0EEENS1_30default_config_static_selectorELNS0_4arch9wavefront6targetE1EEEvS12_ ; -- Begin function _ZN7rocprim17ROCPRIM_400000_NS6detail17trampoline_kernelINS0_14default_configENS1_27upper_bound_config_selectorIilEEZNS1_14transform_implILb0ES3_S5_N6thrust23THRUST_200600_302600_NS6detail15normal_iteratorINS8_7pointerIiNS9_22execute_with_allocatorINS8_16device_allocatorIcEENS8_11hip_rocprim22execute_on_stream_baseEEENS8_11use_defaultESI_EEEENSA_INSB_IlSH_SI_SI_EEEEZNS1_13binary_searchIS3_S5_NSA_INS8_10device_ptrIiEEEESK_SM_NS1_21upper_bound_search_opENS9_16wrapped_functionINS8_6system6detail7generic6detail18binary_search_lessEbEEEE10hipError_tPvRmT1_T2_T3_mmT4_T5_P12ihipStream_tbEUlRKiE_EESZ_S13_S14_mS15_S18_bEUlT_E_NS1_11comp_targetILNS1_3genE9ELNS1_11target_archE1100ELNS1_3gpuE3ELNS1_3repE0EEENS1_30default_config_static_selectorELNS0_4arch9wavefront6targetE1EEEvS12_
	.globl	_ZN7rocprim17ROCPRIM_400000_NS6detail17trampoline_kernelINS0_14default_configENS1_27upper_bound_config_selectorIilEEZNS1_14transform_implILb0ES3_S5_N6thrust23THRUST_200600_302600_NS6detail15normal_iteratorINS8_7pointerIiNS9_22execute_with_allocatorINS8_16device_allocatorIcEENS8_11hip_rocprim22execute_on_stream_baseEEENS8_11use_defaultESI_EEEENSA_INSB_IlSH_SI_SI_EEEEZNS1_13binary_searchIS3_S5_NSA_INS8_10device_ptrIiEEEESK_SM_NS1_21upper_bound_search_opENS9_16wrapped_functionINS8_6system6detail7generic6detail18binary_search_lessEbEEEE10hipError_tPvRmT1_T2_T3_mmT4_T5_P12ihipStream_tbEUlRKiE_EESZ_S13_S14_mS15_S18_bEUlT_E_NS1_11comp_targetILNS1_3genE9ELNS1_11target_archE1100ELNS1_3gpuE3ELNS1_3repE0EEENS1_30default_config_static_selectorELNS0_4arch9wavefront6targetE1EEEvS12_
	.p2align	8
	.type	_ZN7rocprim17ROCPRIM_400000_NS6detail17trampoline_kernelINS0_14default_configENS1_27upper_bound_config_selectorIilEEZNS1_14transform_implILb0ES3_S5_N6thrust23THRUST_200600_302600_NS6detail15normal_iteratorINS8_7pointerIiNS9_22execute_with_allocatorINS8_16device_allocatorIcEENS8_11hip_rocprim22execute_on_stream_baseEEENS8_11use_defaultESI_EEEENSA_INSB_IlSH_SI_SI_EEEEZNS1_13binary_searchIS3_S5_NSA_INS8_10device_ptrIiEEEESK_SM_NS1_21upper_bound_search_opENS9_16wrapped_functionINS8_6system6detail7generic6detail18binary_search_lessEbEEEE10hipError_tPvRmT1_T2_T3_mmT4_T5_P12ihipStream_tbEUlRKiE_EESZ_S13_S14_mS15_S18_bEUlT_E_NS1_11comp_targetILNS1_3genE9ELNS1_11target_archE1100ELNS1_3gpuE3ELNS1_3repE0EEENS1_30default_config_static_selectorELNS0_4arch9wavefront6targetE1EEEvS12_,@function
_ZN7rocprim17ROCPRIM_400000_NS6detail17trampoline_kernelINS0_14default_configENS1_27upper_bound_config_selectorIilEEZNS1_14transform_implILb0ES3_S5_N6thrust23THRUST_200600_302600_NS6detail15normal_iteratorINS8_7pointerIiNS9_22execute_with_allocatorINS8_16device_allocatorIcEENS8_11hip_rocprim22execute_on_stream_baseEEENS8_11use_defaultESI_EEEENSA_INSB_IlSH_SI_SI_EEEEZNS1_13binary_searchIS3_S5_NSA_INS8_10device_ptrIiEEEESK_SM_NS1_21upper_bound_search_opENS9_16wrapped_functionINS8_6system6detail7generic6detail18binary_search_lessEbEEEE10hipError_tPvRmT1_T2_T3_mmT4_T5_P12ihipStream_tbEUlRKiE_EESZ_S13_S14_mS15_S18_bEUlT_E_NS1_11comp_targetILNS1_3genE9ELNS1_11target_archE1100ELNS1_3gpuE3ELNS1_3repE0EEENS1_30default_config_static_selectorELNS0_4arch9wavefront6targetE1EEEvS12_: ; @_ZN7rocprim17ROCPRIM_400000_NS6detail17trampoline_kernelINS0_14default_configENS1_27upper_bound_config_selectorIilEEZNS1_14transform_implILb0ES3_S5_N6thrust23THRUST_200600_302600_NS6detail15normal_iteratorINS8_7pointerIiNS9_22execute_with_allocatorINS8_16device_allocatorIcEENS8_11hip_rocprim22execute_on_stream_baseEEENS8_11use_defaultESI_EEEENSA_INSB_IlSH_SI_SI_EEEEZNS1_13binary_searchIS3_S5_NSA_INS8_10device_ptrIiEEEESK_SM_NS1_21upper_bound_search_opENS9_16wrapped_functionINS8_6system6detail7generic6detail18binary_search_lessEbEEEE10hipError_tPvRmT1_T2_T3_mmT4_T5_P12ihipStream_tbEUlRKiE_EESZ_S13_S14_mS15_S18_bEUlT_E_NS1_11comp_targetILNS1_3genE9ELNS1_11target_archE1100ELNS1_3gpuE3ELNS1_3repE0EEENS1_30default_config_static_selectorELNS0_4arch9wavefront6targetE1EEEvS12_
; %bb.0:
	.section	.rodata,"a",@progbits
	.p2align	6, 0x0
	.amdhsa_kernel _ZN7rocprim17ROCPRIM_400000_NS6detail17trampoline_kernelINS0_14default_configENS1_27upper_bound_config_selectorIilEEZNS1_14transform_implILb0ES3_S5_N6thrust23THRUST_200600_302600_NS6detail15normal_iteratorINS8_7pointerIiNS9_22execute_with_allocatorINS8_16device_allocatorIcEENS8_11hip_rocprim22execute_on_stream_baseEEENS8_11use_defaultESI_EEEENSA_INSB_IlSH_SI_SI_EEEEZNS1_13binary_searchIS3_S5_NSA_INS8_10device_ptrIiEEEESK_SM_NS1_21upper_bound_search_opENS9_16wrapped_functionINS8_6system6detail7generic6detail18binary_search_lessEbEEEE10hipError_tPvRmT1_T2_T3_mmT4_T5_P12ihipStream_tbEUlRKiE_EESZ_S13_S14_mS15_S18_bEUlT_E_NS1_11comp_targetILNS1_3genE9ELNS1_11target_archE1100ELNS1_3gpuE3ELNS1_3repE0EEENS1_30default_config_static_selectorELNS0_4arch9wavefront6targetE1EEEvS12_
		.amdhsa_group_segment_fixed_size 0
		.amdhsa_private_segment_fixed_size 0
		.amdhsa_kernarg_size 56
		.amdhsa_user_sgpr_count 6
		.amdhsa_user_sgpr_private_segment_buffer 1
		.amdhsa_user_sgpr_dispatch_ptr 0
		.amdhsa_user_sgpr_queue_ptr 0
		.amdhsa_user_sgpr_kernarg_segment_ptr 1
		.amdhsa_user_sgpr_dispatch_id 0
		.amdhsa_user_sgpr_flat_scratch_init 0
		.amdhsa_user_sgpr_private_segment_size 0
		.amdhsa_uses_dynamic_stack 0
		.amdhsa_system_sgpr_private_segment_wavefront_offset 0
		.amdhsa_system_sgpr_workgroup_id_x 1
		.amdhsa_system_sgpr_workgroup_id_y 0
		.amdhsa_system_sgpr_workgroup_id_z 0
		.amdhsa_system_sgpr_workgroup_info 0
		.amdhsa_system_vgpr_workitem_id 0
		.amdhsa_next_free_vgpr 1
		.amdhsa_next_free_sgpr 0
		.amdhsa_reserve_vcc 0
		.amdhsa_reserve_flat_scratch 0
		.amdhsa_float_round_mode_32 0
		.amdhsa_float_round_mode_16_64 0
		.amdhsa_float_denorm_mode_32 3
		.amdhsa_float_denorm_mode_16_64 3
		.amdhsa_dx10_clamp 1
		.amdhsa_ieee_mode 1
		.amdhsa_fp16_overflow 0
		.amdhsa_exception_fp_ieee_invalid_op 0
		.amdhsa_exception_fp_denorm_src 0
		.amdhsa_exception_fp_ieee_div_zero 0
		.amdhsa_exception_fp_ieee_overflow 0
		.amdhsa_exception_fp_ieee_underflow 0
		.amdhsa_exception_fp_ieee_inexact 0
		.amdhsa_exception_int_div_zero 0
	.end_amdhsa_kernel
	.section	.text._ZN7rocprim17ROCPRIM_400000_NS6detail17trampoline_kernelINS0_14default_configENS1_27upper_bound_config_selectorIilEEZNS1_14transform_implILb0ES3_S5_N6thrust23THRUST_200600_302600_NS6detail15normal_iteratorINS8_7pointerIiNS9_22execute_with_allocatorINS8_16device_allocatorIcEENS8_11hip_rocprim22execute_on_stream_baseEEENS8_11use_defaultESI_EEEENSA_INSB_IlSH_SI_SI_EEEEZNS1_13binary_searchIS3_S5_NSA_INS8_10device_ptrIiEEEESK_SM_NS1_21upper_bound_search_opENS9_16wrapped_functionINS8_6system6detail7generic6detail18binary_search_lessEbEEEE10hipError_tPvRmT1_T2_T3_mmT4_T5_P12ihipStream_tbEUlRKiE_EESZ_S13_S14_mS15_S18_bEUlT_E_NS1_11comp_targetILNS1_3genE9ELNS1_11target_archE1100ELNS1_3gpuE3ELNS1_3repE0EEENS1_30default_config_static_selectorELNS0_4arch9wavefront6targetE1EEEvS12_,"axG",@progbits,_ZN7rocprim17ROCPRIM_400000_NS6detail17trampoline_kernelINS0_14default_configENS1_27upper_bound_config_selectorIilEEZNS1_14transform_implILb0ES3_S5_N6thrust23THRUST_200600_302600_NS6detail15normal_iteratorINS8_7pointerIiNS9_22execute_with_allocatorINS8_16device_allocatorIcEENS8_11hip_rocprim22execute_on_stream_baseEEENS8_11use_defaultESI_EEEENSA_INSB_IlSH_SI_SI_EEEEZNS1_13binary_searchIS3_S5_NSA_INS8_10device_ptrIiEEEESK_SM_NS1_21upper_bound_search_opENS9_16wrapped_functionINS8_6system6detail7generic6detail18binary_search_lessEbEEEE10hipError_tPvRmT1_T2_T3_mmT4_T5_P12ihipStream_tbEUlRKiE_EESZ_S13_S14_mS15_S18_bEUlT_E_NS1_11comp_targetILNS1_3genE9ELNS1_11target_archE1100ELNS1_3gpuE3ELNS1_3repE0EEENS1_30default_config_static_selectorELNS0_4arch9wavefront6targetE1EEEvS12_,comdat
.Lfunc_end786:
	.size	_ZN7rocprim17ROCPRIM_400000_NS6detail17trampoline_kernelINS0_14default_configENS1_27upper_bound_config_selectorIilEEZNS1_14transform_implILb0ES3_S5_N6thrust23THRUST_200600_302600_NS6detail15normal_iteratorINS8_7pointerIiNS9_22execute_with_allocatorINS8_16device_allocatorIcEENS8_11hip_rocprim22execute_on_stream_baseEEENS8_11use_defaultESI_EEEENSA_INSB_IlSH_SI_SI_EEEEZNS1_13binary_searchIS3_S5_NSA_INS8_10device_ptrIiEEEESK_SM_NS1_21upper_bound_search_opENS9_16wrapped_functionINS8_6system6detail7generic6detail18binary_search_lessEbEEEE10hipError_tPvRmT1_T2_T3_mmT4_T5_P12ihipStream_tbEUlRKiE_EESZ_S13_S14_mS15_S18_bEUlT_E_NS1_11comp_targetILNS1_3genE9ELNS1_11target_archE1100ELNS1_3gpuE3ELNS1_3repE0EEENS1_30default_config_static_selectorELNS0_4arch9wavefront6targetE1EEEvS12_, .Lfunc_end786-_ZN7rocprim17ROCPRIM_400000_NS6detail17trampoline_kernelINS0_14default_configENS1_27upper_bound_config_selectorIilEEZNS1_14transform_implILb0ES3_S5_N6thrust23THRUST_200600_302600_NS6detail15normal_iteratorINS8_7pointerIiNS9_22execute_with_allocatorINS8_16device_allocatorIcEENS8_11hip_rocprim22execute_on_stream_baseEEENS8_11use_defaultESI_EEEENSA_INSB_IlSH_SI_SI_EEEEZNS1_13binary_searchIS3_S5_NSA_INS8_10device_ptrIiEEEESK_SM_NS1_21upper_bound_search_opENS9_16wrapped_functionINS8_6system6detail7generic6detail18binary_search_lessEbEEEE10hipError_tPvRmT1_T2_T3_mmT4_T5_P12ihipStream_tbEUlRKiE_EESZ_S13_S14_mS15_S18_bEUlT_E_NS1_11comp_targetILNS1_3genE9ELNS1_11target_archE1100ELNS1_3gpuE3ELNS1_3repE0EEENS1_30default_config_static_selectorELNS0_4arch9wavefront6targetE1EEEvS12_
                                        ; -- End function
	.set _ZN7rocprim17ROCPRIM_400000_NS6detail17trampoline_kernelINS0_14default_configENS1_27upper_bound_config_selectorIilEEZNS1_14transform_implILb0ES3_S5_N6thrust23THRUST_200600_302600_NS6detail15normal_iteratorINS8_7pointerIiNS9_22execute_with_allocatorINS8_16device_allocatorIcEENS8_11hip_rocprim22execute_on_stream_baseEEENS8_11use_defaultESI_EEEENSA_INSB_IlSH_SI_SI_EEEEZNS1_13binary_searchIS3_S5_NSA_INS8_10device_ptrIiEEEESK_SM_NS1_21upper_bound_search_opENS9_16wrapped_functionINS8_6system6detail7generic6detail18binary_search_lessEbEEEE10hipError_tPvRmT1_T2_T3_mmT4_T5_P12ihipStream_tbEUlRKiE_EESZ_S13_S14_mS15_S18_bEUlT_E_NS1_11comp_targetILNS1_3genE9ELNS1_11target_archE1100ELNS1_3gpuE3ELNS1_3repE0EEENS1_30default_config_static_selectorELNS0_4arch9wavefront6targetE1EEEvS12_.num_vgpr, 0
	.set _ZN7rocprim17ROCPRIM_400000_NS6detail17trampoline_kernelINS0_14default_configENS1_27upper_bound_config_selectorIilEEZNS1_14transform_implILb0ES3_S5_N6thrust23THRUST_200600_302600_NS6detail15normal_iteratorINS8_7pointerIiNS9_22execute_with_allocatorINS8_16device_allocatorIcEENS8_11hip_rocprim22execute_on_stream_baseEEENS8_11use_defaultESI_EEEENSA_INSB_IlSH_SI_SI_EEEEZNS1_13binary_searchIS3_S5_NSA_INS8_10device_ptrIiEEEESK_SM_NS1_21upper_bound_search_opENS9_16wrapped_functionINS8_6system6detail7generic6detail18binary_search_lessEbEEEE10hipError_tPvRmT1_T2_T3_mmT4_T5_P12ihipStream_tbEUlRKiE_EESZ_S13_S14_mS15_S18_bEUlT_E_NS1_11comp_targetILNS1_3genE9ELNS1_11target_archE1100ELNS1_3gpuE3ELNS1_3repE0EEENS1_30default_config_static_selectorELNS0_4arch9wavefront6targetE1EEEvS12_.num_agpr, 0
	.set _ZN7rocprim17ROCPRIM_400000_NS6detail17trampoline_kernelINS0_14default_configENS1_27upper_bound_config_selectorIilEEZNS1_14transform_implILb0ES3_S5_N6thrust23THRUST_200600_302600_NS6detail15normal_iteratorINS8_7pointerIiNS9_22execute_with_allocatorINS8_16device_allocatorIcEENS8_11hip_rocprim22execute_on_stream_baseEEENS8_11use_defaultESI_EEEENSA_INSB_IlSH_SI_SI_EEEEZNS1_13binary_searchIS3_S5_NSA_INS8_10device_ptrIiEEEESK_SM_NS1_21upper_bound_search_opENS9_16wrapped_functionINS8_6system6detail7generic6detail18binary_search_lessEbEEEE10hipError_tPvRmT1_T2_T3_mmT4_T5_P12ihipStream_tbEUlRKiE_EESZ_S13_S14_mS15_S18_bEUlT_E_NS1_11comp_targetILNS1_3genE9ELNS1_11target_archE1100ELNS1_3gpuE3ELNS1_3repE0EEENS1_30default_config_static_selectorELNS0_4arch9wavefront6targetE1EEEvS12_.numbered_sgpr, 0
	.set _ZN7rocprim17ROCPRIM_400000_NS6detail17trampoline_kernelINS0_14default_configENS1_27upper_bound_config_selectorIilEEZNS1_14transform_implILb0ES3_S5_N6thrust23THRUST_200600_302600_NS6detail15normal_iteratorINS8_7pointerIiNS9_22execute_with_allocatorINS8_16device_allocatorIcEENS8_11hip_rocprim22execute_on_stream_baseEEENS8_11use_defaultESI_EEEENSA_INSB_IlSH_SI_SI_EEEEZNS1_13binary_searchIS3_S5_NSA_INS8_10device_ptrIiEEEESK_SM_NS1_21upper_bound_search_opENS9_16wrapped_functionINS8_6system6detail7generic6detail18binary_search_lessEbEEEE10hipError_tPvRmT1_T2_T3_mmT4_T5_P12ihipStream_tbEUlRKiE_EESZ_S13_S14_mS15_S18_bEUlT_E_NS1_11comp_targetILNS1_3genE9ELNS1_11target_archE1100ELNS1_3gpuE3ELNS1_3repE0EEENS1_30default_config_static_selectorELNS0_4arch9wavefront6targetE1EEEvS12_.num_named_barrier, 0
	.set _ZN7rocprim17ROCPRIM_400000_NS6detail17trampoline_kernelINS0_14default_configENS1_27upper_bound_config_selectorIilEEZNS1_14transform_implILb0ES3_S5_N6thrust23THRUST_200600_302600_NS6detail15normal_iteratorINS8_7pointerIiNS9_22execute_with_allocatorINS8_16device_allocatorIcEENS8_11hip_rocprim22execute_on_stream_baseEEENS8_11use_defaultESI_EEEENSA_INSB_IlSH_SI_SI_EEEEZNS1_13binary_searchIS3_S5_NSA_INS8_10device_ptrIiEEEESK_SM_NS1_21upper_bound_search_opENS9_16wrapped_functionINS8_6system6detail7generic6detail18binary_search_lessEbEEEE10hipError_tPvRmT1_T2_T3_mmT4_T5_P12ihipStream_tbEUlRKiE_EESZ_S13_S14_mS15_S18_bEUlT_E_NS1_11comp_targetILNS1_3genE9ELNS1_11target_archE1100ELNS1_3gpuE3ELNS1_3repE0EEENS1_30default_config_static_selectorELNS0_4arch9wavefront6targetE1EEEvS12_.private_seg_size, 0
	.set _ZN7rocprim17ROCPRIM_400000_NS6detail17trampoline_kernelINS0_14default_configENS1_27upper_bound_config_selectorIilEEZNS1_14transform_implILb0ES3_S5_N6thrust23THRUST_200600_302600_NS6detail15normal_iteratorINS8_7pointerIiNS9_22execute_with_allocatorINS8_16device_allocatorIcEENS8_11hip_rocprim22execute_on_stream_baseEEENS8_11use_defaultESI_EEEENSA_INSB_IlSH_SI_SI_EEEEZNS1_13binary_searchIS3_S5_NSA_INS8_10device_ptrIiEEEESK_SM_NS1_21upper_bound_search_opENS9_16wrapped_functionINS8_6system6detail7generic6detail18binary_search_lessEbEEEE10hipError_tPvRmT1_T2_T3_mmT4_T5_P12ihipStream_tbEUlRKiE_EESZ_S13_S14_mS15_S18_bEUlT_E_NS1_11comp_targetILNS1_3genE9ELNS1_11target_archE1100ELNS1_3gpuE3ELNS1_3repE0EEENS1_30default_config_static_selectorELNS0_4arch9wavefront6targetE1EEEvS12_.uses_vcc, 0
	.set _ZN7rocprim17ROCPRIM_400000_NS6detail17trampoline_kernelINS0_14default_configENS1_27upper_bound_config_selectorIilEEZNS1_14transform_implILb0ES3_S5_N6thrust23THRUST_200600_302600_NS6detail15normal_iteratorINS8_7pointerIiNS9_22execute_with_allocatorINS8_16device_allocatorIcEENS8_11hip_rocprim22execute_on_stream_baseEEENS8_11use_defaultESI_EEEENSA_INSB_IlSH_SI_SI_EEEEZNS1_13binary_searchIS3_S5_NSA_INS8_10device_ptrIiEEEESK_SM_NS1_21upper_bound_search_opENS9_16wrapped_functionINS8_6system6detail7generic6detail18binary_search_lessEbEEEE10hipError_tPvRmT1_T2_T3_mmT4_T5_P12ihipStream_tbEUlRKiE_EESZ_S13_S14_mS15_S18_bEUlT_E_NS1_11comp_targetILNS1_3genE9ELNS1_11target_archE1100ELNS1_3gpuE3ELNS1_3repE0EEENS1_30default_config_static_selectorELNS0_4arch9wavefront6targetE1EEEvS12_.uses_flat_scratch, 0
	.set _ZN7rocprim17ROCPRIM_400000_NS6detail17trampoline_kernelINS0_14default_configENS1_27upper_bound_config_selectorIilEEZNS1_14transform_implILb0ES3_S5_N6thrust23THRUST_200600_302600_NS6detail15normal_iteratorINS8_7pointerIiNS9_22execute_with_allocatorINS8_16device_allocatorIcEENS8_11hip_rocprim22execute_on_stream_baseEEENS8_11use_defaultESI_EEEENSA_INSB_IlSH_SI_SI_EEEEZNS1_13binary_searchIS3_S5_NSA_INS8_10device_ptrIiEEEESK_SM_NS1_21upper_bound_search_opENS9_16wrapped_functionINS8_6system6detail7generic6detail18binary_search_lessEbEEEE10hipError_tPvRmT1_T2_T3_mmT4_T5_P12ihipStream_tbEUlRKiE_EESZ_S13_S14_mS15_S18_bEUlT_E_NS1_11comp_targetILNS1_3genE9ELNS1_11target_archE1100ELNS1_3gpuE3ELNS1_3repE0EEENS1_30default_config_static_selectorELNS0_4arch9wavefront6targetE1EEEvS12_.has_dyn_sized_stack, 0
	.set _ZN7rocprim17ROCPRIM_400000_NS6detail17trampoline_kernelINS0_14default_configENS1_27upper_bound_config_selectorIilEEZNS1_14transform_implILb0ES3_S5_N6thrust23THRUST_200600_302600_NS6detail15normal_iteratorINS8_7pointerIiNS9_22execute_with_allocatorINS8_16device_allocatorIcEENS8_11hip_rocprim22execute_on_stream_baseEEENS8_11use_defaultESI_EEEENSA_INSB_IlSH_SI_SI_EEEEZNS1_13binary_searchIS3_S5_NSA_INS8_10device_ptrIiEEEESK_SM_NS1_21upper_bound_search_opENS9_16wrapped_functionINS8_6system6detail7generic6detail18binary_search_lessEbEEEE10hipError_tPvRmT1_T2_T3_mmT4_T5_P12ihipStream_tbEUlRKiE_EESZ_S13_S14_mS15_S18_bEUlT_E_NS1_11comp_targetILNS1_3genE9ELNS1_11target_archE1100ELNS1_3gpuE3ELNS1_3repE0EEENS1_30default_config_static_selectorELNS0_4arch9wavefront6targetE1EEEvS12_.has_recursion, 0
	.set _ZN7rocprim17ROCPRIM_400000_NS6detail17trampoline_kernelINS0_14default_configENS1_27upper_bound_config_selectorIilEEZNS1_14transform_implILb0ES3_S5_N6thrust23THRUST_200600_302600_NS6detail15normal_iteratorINS8_7pointerIiNS9_22execute_with_allocatorINS8_16device_allocatorIcEENS8_11hip_rocprim22execute_on_stream_baseEEENS8_11use_defaultESI_EEEENSA_INSB_IlSH_SI_SI_EEEEZNS1_13binary_searchIS3_S5_NSA_INS8_10device_ptrIiEEEESK_SM_NS1_21upper_bound_search_opENS9_16wrapped_functionINS8_6system6detail7generic6detail18binary_search_lessEbEEEE10hipError_tPvRmT1_T2_T3_mmT4_T5_P12ihipStream_tbEUlRKiE_EESZ_S13_S14_mS15_S18_bEUlT_E_NS1_11comp_targetILNS1_3genE9ELNS1_11target_archE1100ELNS1_3gpuE3ELNS1_3repE0EEENS1_30default_config_static_selectorELNS0_4arch9wavefront6targetE1EEEvS12_.has_indirect_call, 0
	.section	.AMDGPU.csdata,"",@progbits
; Kernel info:
; codeLenInByte = 0
; TotalNumSgprs: 4
; NumVgprs: 0
; ScratchSize: 0
; MemoryBound: 0
; FloatMode: 240
; IeeeMode: 1
; LDSByteSize: 0 bytes/workgroup (compile time only)
; SGPRBlocks: 0
; VGPRBlocks: 0
; NumSGPRsForWavesPerEU: 4
; NumVGPRsForWavesPerEU: 1
; Occupancy: 10
; WaveLimiterHint : 0
; COMPUTE_PGM_RSRC2:SCRATCH_EN: 0
; COMPUTE_PGM_RSRC2:USER_SGPR: 6
; COMPUTE_PGM_RSRC2:TRAP_HANDLER: 0
; COMPUTE_PGM_RSRC2:TGID_X_EN: 1
; COMPUTE_PGM_RSRC2:TGID_Y_EN: 0
; COMPUTE_PGM_RSRC2:TGID_Z_EN: 0
; COMPUTE_PGM_RSRC2:TIDIG_COMP_CNT: 0
	.section	.text._ZN7rocprim17ROCPRIM_400000_NS6detail17trampoline_kernelINS0_14default_configENS1_27upper_bound_config_selectorIilEEZNS1_14transform_implILb0ES3_S5_N6thrust23THRUST_200600_302600_NS6detail15normal_iteratorINS8_7pointerIiNS9_22execute_with_allocatorINS8_16device_allocatorIcEENS8_11hip_rocprim22execute_on_stream_baseEEENS8_11use_defaultESI_EEEENSA_INSB_IlSH_SI_SI_EEEEZNS1_13binary_searchIS3_S5_NSA_INS8_10device_ptrIiEEEESK_SM_NS1_21upper_bound_search_opENS9_16wrapped_functionINS8_6system6detail7generic6detail18binary_search_lessEbEEEE10hipError_tPvRmT1_T2_T3_mmT4_T5_P12ihipStream_tbEUlRKiE_EESZ_S13_S14_mS15_S18_bEUlT_E_NS1_11comp_targetILNS1_3genE8ELNS1_11target_archE1030ELNS1_3gpuE2ELNS1_3repE0EEENS1_30default_config_static_selectorELNS0_4arch9wavefront6targetE1EEEvS12_,"axG",@progbits,_ZN7rocprim17ROCPRIM_400000_NS6detail17trampoline_kernelINS0_14default_configENS1_27upper_bound_config_selectorIilEEZNS1_14transform_implILb0ES3_S5_N6thrust23THRUST_200600_302600_NS6detail15normal_iteratorINS8_7pointerIiNS9_22execute_with_allocatorINS8_16device_allocatorIcEENS8_11hip_rocprim22execute_on_stream_baseEEENS8_11use_defaultESI_EEEENSA_INSB_IlSH_SI_SI_EEEEZNS1_13binary_searchIS3_S5_NSA_INS8_10device_ptrIiEEEESK_SM_NS1_21upper_bound_search_opENS9_16wrapped_functionINS8_6system6detail7generic6detail18binary_search_lessEbEEEE10hipError_tPvRmT1_T2_T3_mmT4_T5_P12ihipStream_tbEUlRKiE_EESZ_S13_S14_mS15_S18_bEUlT_E_NS1_11comp_targetILNS1_3genE8ELNS1_11target_archE1030ELNS1_3gpuE2ELNS1_3repE0EEENS1_30default_config_static_selectorELNS0_4arch9wavefront6targetE1EEEvS12_,comdat
	.protected	_ZN7rocprim17ROCPRIM_400000_NS6detail17trampoline_kernelINS0_14default_configENS1_27upper_bound_config_selectorIilEEZNS1_14transform_implILb0ES3_S5_N6thrust23THRUST_200600_302600_NS6detail15normal_iteratorINS8_7pointerIiNS9_22execute_with_allocatorINS8_16device_allocatorIcEENS8_11hip_rocprim22execute_on_stream_baseEEENS8_11use_defaultESI_EEEENSA_INSB_IlSH_SI_SI_EEEEZNS1_13binary_searchIS3_S5_NSA_INS8_10device_ptrIiEEEESK_SM_NS1_21upper_bound_search_opENS9_16wrapped_functionINS8_6system6detail7generic6detail18binary_search_lessEbEEEE10hipError_tPvRmT1_T2_T3_mmT4_T5_P12ihipStream_tbEUlRKiE_EESZ_S13_S14_mS15_S18_bEUlT_E_NS1_11comp_targetILNS1_3genE8ELNS1_11target_archE1030ELNS1_3gpuE2ELNS1_3repE0EEENS1_30default_config_static_selectorELNS0_4arch9wavefront6targetE1EEEvS12_ ; -- Begin function _ZN7rocprim17ROCPRIM_400000_NS6detail17trampoline_kernelINS0_14default_configENS1_27upper_bound_config_selectorIilEEZNS1_14transform_implILb0ES3_S5_N6thrust23THRUST_200600_302600_NS6detail15normal_iteratorINS8_7pointerIiNS9_22execute_with_allocatorINS8_16device_allocatorIcEENS8_11hip_rocprim22execute_on_stream_baseEEENS8_11use_defaultESI_EEEENSA_INSB_IlSH_SI_SI_EEEEZNS1_13binary_searchIS3_S5_NSA_INS8_10device_ptrIiEEEESK_SM_NS1_21upper_bound_search_opENS9_16wrapped_functionINS8_6system6detail7generic6detail18binary_search_lessEbEEEE10hipError_tPvRmT1_T2_T3_mmT4_T5_P12ihipStream_tbEUlRKiE_EESZ_S13_S14_mS15_S18_bEUlT_E_NS1_11comp_targetILNS1_3genE8ELNS1_11target_archE1030ELNS1_3gpuE2ELNS1_3repE0EEENS1_30default_config_static_selectorELNS0_4arch9wavefront6targetE1EEEvS12_
	.globl	_ZN7rocprim17ROCPRIM_400000_NS6detail17trampoline_kernelINS0_14default_configENS1_27upper_bound_config_selectorIilEEZNS1_14transform_implILb0ES3_S5_N6thrust23THRUST_200600_302600_NS6detail15normal_iteratorINS8_7pointerIiNS9_22execute_with_allocatorINS8_16device_allocatorIcEENS8_11hip_rocprim22execute_on_stream_baseEEENS8_11use_defaultESI_EEEENSA_INSB_IlSH_SI_SI_EEEEZNS1_13binary_searchIS3_S5_NSA_INS8_10device_ptrIiEEEESK_SM_NS1_21upper_bound_search_opENS9_16wrapped_functionINS8_6system6detail7generic6detail18binary_search_lessEbEEEE10hipError_tPvRmT1_T2_T3_mmT4_T5_P12ihipStream_tbEUlRKiE_EESZ_S13_S14_mS15_S18_bEUlT_E_NS1_11comp_targetILNS1_3genE8ELNS1_11target_archE1030ELNS1_3gpuE2ELNS1_3repE0EEENS1_30default_config_static_selectorELNS0_4arch9wavefront6targetE1EEEvS12_
	.p2align	8
	.type	_ZN7rocprim17ROCPRIM_400000_NS6detail17trampoline_kernelINS0_14default_configENS1_27upper_bound_config_selectorIilEEZNS1_14transform_implILb0ES3_S5_N6thrust23THRUST_200600_302600_NS6detail15normal_iteratorINS8_7pointerIiNS9_22execute_with_allocatorINS8_16device_allocatorIcEENS8_11hip_rocprim22execute_on_stream_baseEEENS8_11use_defaultESI_EEEENSA_INSB_IlSH_SI_SI_EEEEZNS1_13binary_searchIS3_S5_NSA_INS8_10device_ptrIiEEEESK_SM_NS1_21upper_bound_search_opENS9_16wrapped_functionINS8_6system6detail7generic6detail18binary_search_lessEbEEEE10hipError_tPvRmT1_T2_T3_mmT4_T5_P12ihipStream_tbEUlRKiE_EESZ_S13_S14_mS15_S18_bEUlT_E_NS1_11comp_targetILNS1_3genE8ELNS1_11target_archE1030ELNS1_3gpuE2ELNS1_3repE0EEENS1_30default_config_static_selectorELNS0_4arch9wavefront6targetE1EEEvS12_,@function
_ZN7rocprim17ROCPRIM_400000_NS6detail17trampoline_kernelINS0_14default_configENS1_27upper_bound_config_selectorIilEEZNS1_14transform_implILb0ES3_S5_N6thrust23THRUST_200600_302600_NS6detail15normal_iteratorINS8_7pointerIiNS9_22execute_with_allocatorINS8_16device_allocatorIcEENS8_11hip_rocprim22execute_on_stream_baseEEENS8_11use_defaultESI_EEEENSA_INSB_IlSH_SI_SI_EEEEZNS1_13binary_searchIS3_S5_NSA_INS8_10device_ptrIiEEEESK_SM_NS1_21upper_bound_search_opENS9_16wrapped_functionINS8_6system6detail7generic6detail18binary_search_lessEbEEEE10hipError_tPvRmT1_T2_T3_mmT4_T5_P12ihipStream_tbEUlRKiE_EESZ_S13_S14_mS15_S18_bEUlT_E_NS1_11comp_targetILNS1_3genE8ELNS1_11target_archE1030ELNS1_3gpuE2ELNS1_3repE0EEENS1_30default_config_static_selectorELNS0_4arch9wavefront6targetE1EEEvS12_: ; @_ZN7rocprim17ROCPRIM_400000_NS6detail17trampoline_kernelINS0_14default_configENS1_27upper_bound_config_selectorIilEEZNS1_14transform_implILb0ES3_S5_N6thrust23THRUST_200600_302600_NS6detail15normal_iteratorINS8_7pointerIiNS9_22execute_with_allocatorINS8_16device_allocatorIcEENS8_11hip_rocprim22execute_on_stream_baseEEENS8_11use_defaultESI_EEEENSA_INSB_IlSH_SI_SI_EEEEZNS1_13binary_searchIS3_S5_NSA_INS8_10device_ptrIiEEEESK_SM_NS1_21upper_bound_search_opENS9_16wrapped_functionINS8_6system6detail7generic6detail18binary_search_lessEbEEEE10hipError_tPvRmT1_T2_T3_mmT4_T5_P12ihipStream_tbEUlRKiE_EESZ_S13_S14_mS15_S18_bEUlT_E_NS1_11comp_targetILNS1_3genE8ELNS1_11target_archE1030ELNS1_3gpuE2ELNS1_3repE0EEENS1_30default_config_static_selectorELNS0_4arch9wavefront6targetE1EEEvS12_
; %bb.0:
	.section	.rodata,"a",@progbits
	.p2align	6, 0x0
	.amdhsa_kernel _ZN7rocprim17ROCPRIM_400000_NS6detail17trampoline_kernelINS0_14default_configENS1_27upper_bound_config_selectorIilEEZNS1_14transform_implILb0ES3_S5_N6thrust23THRUST_200600_302600_NS6detail15normal_iteratorINS8_7pointerIiNS9_22execute_with_allocatorINS8_16device_allocatorIcEENS8_11hip_rocprim22execute_on_stream_baseEEENS8_11use_defaultESI_EEEENSA_INSB_IlSH_SI_SI_EEEEZNS1_13binary_searchIS3_S5_NSA_INS8_10device_ptrIiEEEESK_SM_NS1_21upper_bound_search_opENS9_16wrapped_functionINS8_6system6detail7generic6detail18binary_search_lessEbEEEE10hipError_tPvRmT1_T2_T3_mmT4_T5_P12ihipStream_tbEUlRKiE_EESZ_S13_S14_mS15_S18_bEUlT_E_NS1_11comp_targetILNS1_3genE8ELNS1_11target_archE1030ELNS1_3gpuE2ELNS1_3repE0EEENS1_30default_config_static_selectorELNS0_4arch9wavefront6targetE1EEEvS12_
		.amdhsa_group_segment_fixed_size 0
		.amdhsa_private_segment_fixed_size 0
		.amdhsa_kernarg_size 56
		.amdhsa_user_sgpr_count 6
		.amdhsa_user_sgpr_private_segment_buffer 1
		.amdhsa_user_sgpr_dispatch_ptr 0
		.amdhsa_user_sgpr_queue_ptr 0
		.amdhsa_user_sgpr_kernarg_segment_ptr 1
		.amdhsa_user_sgpr_dispatch_id 0
		.amdhsa_user_sgpr_flat_scratch_init 0
		.amdhsa_user_sgpr_private_segment_size 0
		.amdhsa_uses_dynamic_stack 0
		.amdhsa_system_sgpr_private_segment_wavefront_offset 0
		.amdhsa_system_sgpr_workgroup_id_x 1
		.amdhsa_system_sgpr_workgroup_id_y 0
		.amdhsa_system_sgpr_workgroup_id_z 0
		.amdhsa_system_sgpr_workgroup_info 0
		.amdhsa_system_vgpr_workitem_id 0
		.amdhsa_next_free_vgpr 1
		.amdhsa_next_free_sgpr 0
		.amdhsa_reserve_vcc 0
		.amdhsa_reserve_flat_scratch 0
		.amdhsa_float_round_mode_32 0
		.amdhsa_float_round_mode_16_64 0
		.amdhsa_float_denorm_mode_32 3
		.amdhsa_float_denorm_mode_16_64 3
		.amdhsa_dx10_clamp 1
		.amdhsa_ieee_mode 1
		.amdhsa_fp16_overflow 0
		.amdhsa_exception_fp_ieee_invalid_op 0
		.amdhsa_exception_fp_denorm_src 0
		.amdhsa_exception_fp_ieee_div_zero 0
		.amdhsa_exception_fp_ieee_overflow 0
		.amdhsa_exception_fp_ieee_underflow 0
		.amdhsa_exception_fp_ieee_inexact 0
		.amdhsa_exception_int_div_zero 0
	.end_amdhsa_kernel
	.section	.text._ZN7rocprim17ROCPRIM_400000_NS6detail17trampoline_kernelINS0_14default_configENS1_27upper_bound_config_selectorIilEEZNS1_14transform_implILb0ES3_S5_N6thrust23THRUST_200600_302600_NS6detail15normal_iteratorINS8_7pointerIiNS9_22execute_with_allocatorINS8_16device_allocatorIcEENS8_11hip_rocprim22execute_on_stream_baseEEENS8_11use_defaultESI_EEEENSA_INSB_IlSH_SI_SI_EEEEZNS1_13binary_searchIS3_S5_NSA_INS8_10device_ptrIiEEEESK_SM_NS1_21upper_bound_search_opENS9_16wrapped_functionINS8_6system6detail7generic6detail18binary_search_lessEbEEEE10hipError_tPvRmT1_T2_T3_mmT4_T5_P12ihipStream_tbEUlRKiE_EESZ_S13_S14_mS15_S18_bEUlT_E_NS1_11comp_targetILNS1_3genE8ELNS1_11target_archE1030ELNS1_3gpuE2ELNS1_3repE0EEENS1_30default_config_static_selectorELNS0_4arch9wavefront6targetE1EEEvS12_,"axG",@progbits,_ZN7rocprim17ROCPRIM_400000_NS6detail17trampoline_kernelINS0_14default_configENS1_27upper_bound_config_selectorIilEEZNS1_14transform_implILb0ES3_S5_N6thrust23THRUST_200600_302600_NS6detail15normal_iteratorINS8_7pointerIiNS9_22execute_with_allocatorINS8_16device_allocatorIcEENS8_11hip_rocprim22execute_on_stream_baseEEENS8_11use_defaultESI_EEEENSA_INSB_IlSH_SI_SI_EEEEZNS1_13binary_searchIS3_S5_NSA_INS8_10device_ptrIiEEEESK_SM_NS1_21upper_bound_search_opENS9_16wrapped_functionINS8_6system6detail7generic6detail18binary_search_lessEbEEEE10hipError_tPvRmT1_T2_T3_mmT4_T5_P12ihipStream_tbEUlRKiE_EESZ_S13_S14_mS15_S18_bEUlT_E_NS1_11comp_targetILNS1_3genE8ELNS1_11target_archE1030ELNS1_3gpuE2ELNS1_3repE0EEENS1_30default_config_static_selectorELNS0_4arch9wavefront6targetE1EEEvS12_,comdat
.Lfunc_end787:
	.size	_ZN7rocprim17ROCPRIM_400000_NS6detail17trampoline_kernelINS0_14default_configENS1_27upper_bound_config_selectorIilEEZNS1_14transform_implILb0ES3_S5_N6thrust23THRUST_200600_302600_NS6detail15normal_iteratorINS8_7pointerIiNS9_22execute_with_allocatorINS8_16device_allocatorIcEENS8_11hip_rocprim22execute_on_stream_baseEEENS8_11use_defaultESI_EEEENSA_INSB_IlSH_SI_SI_EEEEZNS1_13binary_searchIS3_S5_NSA_INS8_10device_ptrIiEEEESK_SM_NS1_21upper_bound_search_opENS9_16wrapped_functionINS8_6system6detail7generic6detail18binary_search_lessEbEEEE10hipError_tPvRmT1_T2_T3_mmT4_T5_P12ihipStream_tbEUlRKiE_EESZ_S13_S14_mS15_S18_bEUlT_E_NS1_11comp_targetILNS1_3genE8ELNS1_11target_archE1030ELNS1_3gpuE2ELNS1_3repE0EEENS1_30default_config_static_selectorELNS0_4arch9wavefront6targetE1EEEvS12_, .Lfunc_end787-_ZN7rocprim17ROCPRIM_400000_NS6detail17trampoline_kernelINS0_14default_configENS1_27upper_bound_config_selectorIilEEZNS1_14transform_implILb0ES3_S5_N6thrust23THRUST_200600_302600_NS6detail15normal_iteratorINS8_7pointerIiNS9_22execute_with_allocatorINS8_16device_allocatorIcEENS8_11hip_rocprim22execute_on_stream_baseEEENS8_11use_defaultESI_EEEENSA_INSB_IlSH_SI_SI_EEEEZNS1_13binary_searchIS3_S5_NSA_INS8_10device_ptrIiEEEESK_SM_NS1_21upper_bound_search_opENS9_16wrapped_functionINS8_6system6detail7generic6detail18binary_search_lessEbEEEE10hipError_tPvRmT1_T2_T3_mmT4_T5_P12ihipStream_tbEUlRKiE_EESZ_S13_S14_mS15_S18_bEUlT_E_NS1_11comp_targetILNS1_3genE8ELNS1_11target_archE1030ELNS1_3gpuE2ELNS1_3repE0EEENS1_30default_config_static_selectorELNS0_4arch9wavefront6targetE1EEEvS12_
                                        ; -- End function
	.set _ZN7rocprim17ROCPRIM_400000_NS6detail17trampoline_kernelINS0_14default_configENS1_27upper_bound_config_selectorIilEEZNS1_14transform_implILb0ES3_S5_N6thrust23THRUST_200600_302600_NS6detail15normal_iteratorINS8_7pointerIiNS9_22execute_with_allocatorINS8_16device_allocatorIcEENS8_11hip_rocprim22execute_on_stream_baseEEENS8_11use_defaultESI_EEEENSA_INSB_IlSH_SI_SI_EEEEZNS1_13binary_searchIS3_S5_NSA_INS8_10device_ptrIiEEEESK_SM_NS1_21upper_bound_search_opENS9_16wrapped_functionINS8_6system6detail7generic6detail18binary_search_lessEbEEEE10hipError_tPvRmT1_T2_T3_mmT4_T5_P12ihipStream_tbEUlRKiE_EESZ_S13_S14_mS15_S18_bEUlT_E_NS1_11comp_targetILNS1_3genE8ELNS1_11target_archE1030ELNS1_3gpuE2ELNS1_3repE0EEENS1_30default_config_static_selectorELNS0_4arch9wavefront6targetE1EEEvS12_.num_vgpr, 0
	.set _ZN7rocprim17ROCPRIM_400000_NS6detail17trampoline_kernelINS0_14default_configENS1_27upper_bound_config_selectorIilEEZNS1_14transform_implILb0ES3_S5_N6thrust23THRUST_200600_302600_NS6detail15normal_iteratorINS8_7pointerIiNS9_22execute_with_allocatorINS8_16device_allocatorIcEENS8_11hip_rocprim22execute_on_stream_baseEEENS8_11use_defaultESI_EEEENSA_INSB_IlSH_SI_SI_EEEEZNS1_13binary_searchIS3_S5_NSA_INS8_10device_ptrIiEEEESK_SM_NS1_21upper_bound_search_opENS9_16wrapped_functionINS8_6system6detail7generic6detail18binary_search_lessEbEEEE10hipError_tPvRmT1_T2_T3_mmT4_T5_P12ihipStream_tbEUlRKiE_EESZ_S13_S14_mS15_S18_bEUlT_E_NS1_11comp_targetILNS1_3genE8ELNS1_11target_archE1030ELNS1_3gpuE2ELNS1_3repE0EEENS1_30default_config_static_selectorELNS0_4arch9wavefront6targetE1EEEvS12_.num_agpr, 0
	.set _ZN7rocprim17ROCPRIM_400000_NS6detail17trampoline_kernelINS0_14default_configENS1_27upper_bound_config_selectorIilEEZNS1_14transform_implILb0ES3_S5_N6thrust23THRUST_200600_302600_NS6detail15normal_iteratorINS8_7pointerIiNS9_22execute_with_allocatorINS8_16device_allocatorIcEENS8_11hip_rocprim22execute_on_stream_baseEEENS8_11use_defaultESI_EEEENSA_INSB_IlSH_SI_SI_EEEEZNS1_13binary_searchIS3_S5_NSA_INS8_10device_ptrIiEEEESK_SM_NS1_21upper_bound_search_opENS9_16wrapped_functionINS8_6system6detail7generic6detail18binary_search_lessEbEEEE10hipError_tPvRmT1_T2_T3_mmT4_T5_P12ihipStream_tbEUlRKiE_EESZ_S13_S14_mS15_S18_bEUlT_E_NS1_11comp_targetILNS1_3genE8ELNS1_11target_archE1030ELNS1_3gpuE2ELNS1_3repE0EEENS1_30default_config_static_selectorELNS0_4arch9wavefront6targetE1EEEvS12_.numbered_sgpr, 0
	.set _ZN7rocprim17ROCPRIM_400000_NS6detail17trampoline_kernelINS0_14default_configENS1_27upper_bound_config_selectorIilEEZNS1_14transform_implILb0ES3_S5_N6thrust23THRUST_200600_302600_NS6detail15normal_iteratorINS8_7pointerIiNS9_22execute_with_allocatorINS8_16device_allocatorIcEENS8_11hip_rocprim22execute_on_stream_baseEEENS8_11use_defaultESI_EEEENSA_INSB_IlSH_SI_SI_EEEEZNS1_13binary_searchIS3_S5_NSA_INS8_10device_ptrIiEEEESK_SM_NS1_21upper_bound_search_opENS9_16wrapped_functionINS8_6system6detail7generic6detail18binary_search_lessEbEEEE10hipError_tPvRmT1_T2_T3_mmT4_T5_P12ihipStream_tbEUlRKiE_EESZ_S13_S14_mS15_S18_bEUlT_E_NS1_11comp_targetILNS1_3genE8ELNS1_11target_archE1030ELNS1_3gpuE2ELNS1_3repE0EEENS1_30default_config_static_selectorELNS0_4arch9wavefront6targetE1EEEvS12_.num_named_barrier, 0
	.set _ZN7rocprim17ROCPRIM_400000_NS6detail17trampoline_kernelINS0_14default_configENS1_27upper_bound_config_selectorIilEEZNS1_14transform_implILb0ES3_S5_N6thrust23THRUST_200600_302600_NS6detail15normal_iteratorINS8_7pointerIiNS9_22execute_with_allocatorINS8_16device_allocatorIcEENS8_11hip_rocprim22execute_on_stream_baseEEENS8_11use_defaultESI_EEEENSA_INSB_IlSH_SI_SI_EEEEZNS1_13binary_searchIS3_S5_NSA_INS8_10device_ptrIiEEEESK_SM_NS1_21upper_bound_search_opENS9_16wrapped_functionINS8_6system6detail7generic6detail18binary_search_lessEbEEEE10hipError_tPvRmT1_T2_T3_mmT4_T5_P12ihipStream_tbEUlRKiE_EESZ_S13_S14_mS15_S18_bEUlT_E_NS1_11comp_targetILNS1_3genE8ELNS1_11target_archE1030ELNS1_3gpuE2ELNS1_3repE0EEENS1_30default_config_static_selectorELNS0_4arch9wavefront6targetE1EEEvS12_.private_seg_size, 0
	.set _ZN7rocprim17ROCPRIM_400000_NS6detail17trampoline_kernelINS0_14default_configENS1_27upper_bound_config_selectorIilEEZNS1_14transform_implILb0ES3_S5_N6thrust23THRUST_200600_302600_NS6detail15normal_iteratorINS8_7pointerIiNS9_22execute_with_allocatorINS8_16device_allocatorIcEENS8_11hip_rocprim22execute_on_stream_baseEEENS8_11use_defaultESI_EEEENSA_INSB_IlSH_SI_SI_EEEEZNS1_13binary_searchIS3_S5_NSA_INS8_10device_ptrIiEEEESK_SM_NS1_21upper_bound_search_opENS9_16wrapped_functionINS8_6system6detail7generic6detail18binary_search_lessEbEEEE10hipError_tPvRmT1_T2_T3_mmT4_T5_P12ihipStream_tbEUlRKiE_EESZ_S13_S14_mS15_S18_bEUlT_E_NS1_11comp_targetILNS1_3genE8ELNS1_11target_archE1030ELNS1_3gpuE2ELNS1_3repE0EEENS1_30default_config_static_selectorELNS0_4arch9wavefront6targetE1EEEvS12_.uses_vcc, 0
	.set _ZN7rocprim17ROCPRIM_400000_NS6detail17trampoline_kernelINS0_14default_configENS1_27upper_bound_config_selectorIilEEZNS1_14transform_implILb0ES3_S5_N6thrust23THRUST_200600_302600_NS6detail15normal_iteratorINS8_7pointerIiNS9_22execute_with_allocatorINS8_16device_allocatorIcEENS8_11hip_rocprim22execute_on_stream_baseEEENS8_11use_defaultESI_EEEENSA_INSB_IlSH_SI_SI_EEEEZNS1_13binary_searchIS3_S5_NSA_INS8_10device_ptrIiEEEESK_SM_NS1_21upper_bound_search_opENS9_16wrapped_functionINS8_6system6detail7generic6detail18binary_search_lessEbEEEE10hipError_tPvRmT1_T2_T3_mmT4_T5_P12ihipStream_tbEUlRKiE_EESZ_S13_S14_mS15_S18_bEUlT_E_NS1_11comp_targetILNS1_3genE8ELNS1_11target_archE1030ELNS1_3gpuE2ELNS1_3repE0EEENS1_30default_config_static_selectorELNS0_4arch9wavefront6targetE1EEEvS12_.uses_flat_scratch, 0
	.set _ZN7rocprim17ROCPRIM_400000_NS6detail17trampoline_kernelINS0_14default_configENS1_27upper_bound_config_selectorIilEEZNS1_14transform_implILb0ES3_S5_N6thrust23THRUST_200600_302600_NS6detail15normal_iteratorINS8_7pointerIiNS9_22execute_with_allocatorINS8_16device_allocatorIcEENS8_11hip_rocprim22execute_on_stream_baseEEENS8_11use_defaultESI_EEEENSA_INSB_IlSH_SI_SI_EEEEZNS1_13binary_searchIS3_S5_NSA_INS8_10device_ptrIiEEEESK_SM_NS1_21upper_bound_search_opENS9_16wrapped_functionINS8_6system6detail7generic6detail18binary_search_lessEbEEEE10hipError_tPvRmT1_T2_T3_mmT4_T5_P12ihipStream_tbEUlRKiE_EESZ_S13_S14_mS15_S18_bEUlT_E_NS1_11comp_targetILNS1_3genE8ELNS1_11target_archE1030ELNS1_3gpuE2ELNS1_3repE0EEENS1_30default_config_static_selectorELNS0_4arch9wavefront6targetE1EEEvS12_.has_dyn_sized_stack, 0
	.set _ZN7rocprim17ROCPRIM_400000_NS6detail17trampoline_kernelINS0_14default_configENS1_27upper_bound_config_selectorIilEEZNS1_14transform_implILb0ES3_S5_N6thrust23THRUST_200600_302600_NS6detail15normal_iteratorINS8_7pointerIiNS9_22execute_with_allocatorINS8_16device_allocatorIcEENS8_11hip_rocprim22execute_on_stream_baseEEENS8_11use_defaultESI_EEEENSA_INSB_IlSH_SI_SI_EEEEZNS1_13binary_searchIS3_S5_NSA_INS8_10device_ptrIiEEEESK_SM_NS1_21upper_bound_search_opENS9_16wrapped_functionINS8_6system6detail7generic6detail18binary_search_lessEbEEEE10hipError_tPvRmT1_T2_T3_mmT4_T5_P12ihipStream_tbEUlRKiE_EESZ_S13_S14_mS15_S18_bEUlT_E_NS1_11comp_targetILNS1_3genE8ELNS1_11target_archE1030ELNS1_3gpuE2ELNS1_3repE0EEENS1_30default_config_static_selectorELNS0_4arch9wavefront6targetE1EEEvS12_.has_recursion, 0
	.set _ZN7rocprim17ROCPRIM_400000_NS6detail17trampoline_kernelINS0_14default_configENS1_27upper_bound_config_selectorIilEEZNS1_14transform_implILb0ES3_S5_N6thrust23THRUST_200600_302600_NS6detail15normal_iteratorINS8_7pointerIiNS9_22execute_with_allocatorINS8_16device_allocatorIcEENS8_11hip_rocprim22execute_on_stream_baseEEENS8_11use_defaultESI_EEEENSA_INSB_IlSH_SI_SI_EEEEZNS1_13binary_searchIS3_S5_NSA_INS8_10device_ptrIiEEEESK_SM_NS1_21upper_bound_search_opENS9_16wrapped_functionINS8_6system6detail7generic6detail18binary_search_lessEbEEEE10hipError_tPvRmT1_T2_T3_mmT4_T5_P12ihipStream_tbEUlRKiE_EESZ_S13_S14_mS15_S18_bEUlT_E_NS1_11comp_targetILNS1_3genE8ELNS1_11target_archE1030ELNS1_3gpuE2ELNS1_3repE0EEENS1_30default_config_static_selectorELNS0_4arch9wavefront6targetE1EEEvS12_.has_indirect_call, 0
	.section	.AMDGPU.csdata,"",@progbits
; Kernel info:
; codeLenInByte = 0
; TotalNumSgprs: 4
; NumVgprs: 0
; ScratchSize: 0
; MemoryBound: 0
; FloatMode: 240
; IeeeMode: 1
; LDSByteSize: 0 bytes/workgroup (compile time only)
; SGPRBlocks: 0
; VGPRBlocks: 0
; NumSGPRsForWavesPerEU: 4
; NumVGPRsForWavesPerEU: 1
; Occupancy: 10
; WaveLimiterHint : 0
; COMPUTE_PGM_RSRC2:SCRATCH_EN: 0
; COMPUTE_PGM_RSRC2:USER_SGPR: 6
; COMPUTE_PGM_RSRC2:TRAP_HANDLER: 0
; COMPUTE_PGM_RSRC2:TGID_X_EN: 1
; COMPUTE_PGM_RSRC2:TGID_Y_EN: 0
; COMPUTE_PGM_RSRC2:TGID_Z_EN: 0
; COMPUTE_PGM_RSRC2:TIDIG_COMP_CNT: 0
	.section	.text._ZN7rocprim17ROCPRIM_400000_NS6detail17trampoline_kernelINS0_14default_configENS1_29binary_search_config_selectorIiiEEZNS1_14transform_implILb0ES3_S5_N6thrust23THRUST_200600_302600_NS6detail15normal_iteratorINS8_7pointerIiNS8_11hip_rocprim5par_tENS8_11use_defaultESE_EEEESG_ZNS1_13binary_searchIS3_S5_NS8_10device_ptrIiEESG_SG_NS1_16binary_search_opENS9_16wrapped_functionINS8_6system6detail7generic6detail18binary_search_lessEbEEEE10hipError_tPvRmT1_T2_T3_mmT4_T5_P12ihipStream_tbEUlRKiE_EESS_SW_SX_mSY_S11_bEUlT_E_NS1_11comp_targetILNS1_3genE0ELNS1_11target_archE4294967295ELNS1_3gpuE0ELNS1_3repE0EEENS1_30default_config_static_selectorELNS0_4arch9wavefront6targetE1EEEvSV_,"axG",@progbits,_ZN7rocprim17ROCPRIM_400000_NS6detail17trampoline_kernelINS0_14default_configENS1_29binary_search_config_selectorIiiEEZNS1_14transform_implILb0ES3_S5_N6thrust23THRUST_200600_302600_NS6detail15normal_iteratorINS8_7pointerIiNS8_11hip_rocprim5par_tENS8_11use_defaultESE_EEEESG_ZNS1_13binary_searchIS3_S5_NS8_10device_ptrIiEESG_SG_NS1_16binary_search_opENS9_16wrapped_functionINS8_6system6detail7generic6detail18binary_search_lessEbEEEE10hipError_tPvRmT1_T2_T3_mmT4_T5_P12ihipStream_tbEUlRKiE_EESS_SW_SX_mSY_S11_bEUlT_E_NS1_11comp_targetILNS1_3genE0ELNS1_11target_archE4294967295ELNS1_3gpuE0ELNS1_3repE0EEENS1_30default_config_static_selectorELNS0_4arch9wavefront6targetE1EEEvSV_,comdat
	.protected	_ZN7rocprim17ROCPRIM_400000_NS6detail17trampoline_kernelINS0_14default_configENS1_29binary_search_config_selectorIiiEEZNS1_14transform_implILb0ES3_S5_N6thrust23THRUST_200600_302600_NS6detail15normal_iteratorINS8_7pointerIiNS8_11hip_rocprim5par_tENS8_11use_defaultESE_EEEESG_ZNS1_13binary_searchIS3_S5_NS8_10device_ptrIiEESG_SG_NS1_16binary_search_opENS9_16wrapped_functionINS8_6system6detail7generic6detail18binary_search_lessEbEEEE10hipError_tPvRmT1_T2_T3_mmT4_T5_P12ihipStream_tbEUlRKiE_EESS_SW_SX_mSY_S11_bEUlT_E_NS1_11comp_targetILNS1_3genE0ELNS1_11target_archE4294967295ELNS1_3gpuE0ELNS1_3repE0EEENS1_30default_config_static_selectorELNS0_4arch9wavefront6targetE1EEEvSV_ ; -- Begin function _ZN7rocprim17ROCPRIM_400000_NS6detail17trampoline_kernelINS0_14default_configENS1_29binary_search_config_selectorIiiEEZNS1_14transform_implILb0ES3_S5_N6thrust23THRUST_200600_302600_NS6detail15normal_iteratorINS8_7pointerIiNS8_11hip_rocprim5par_tENS8_11use_defaultESE_EEEESG_ZNS1_13binary_searchIS3_S5_NS8_10device_ptrIiEESG_SG_NS1_16binary_search_opENS9_16wrapped_functionINS8_6system6detail7generic6detail18binary_search_lessEbEEEE10hipError_tPvRmT1_T2_T3_mmT4_T5_P12ihipStream_tbEUlRKiE_EESS_SW_SX_mSY_S11_bEUlT_E_NS1_11comp_targetILNS1_3genE0ELNS1_11target_archE4294967295ELNS1_3gpuE0ELNS1_3repE0EEENS1_30default_config_static_selectorELNS0_4arch9wavefront6targetE1EEEvSV_
	.globl	_ZN7rocprim17ROCPRIM_400000_NS6detail17trampoline_kernelINS0_14default_configENS1_29binary_search_config_selectorIiiEEZNS1_14transform_implILb0ES3_S5_N6thrust23THRUST_200600_302600_NS6detail15normal_iteratorINS8_7pointerIiNS8_11hip_rocprim5par_tENS8_11use_defaultESE_EEEESG_ZNS1_13binary_searchIS3_S5_NS8_10device_ptrIiEESG_SG_NS1_16binary_search_opENS9_16wrapped_functionINS8_6system6detail7generic6detail18binary_search_lessEbEEEE10hipError_tPvRmT1_T2_T3_mmT4_T5_P12ihipStream_tbEUlRKiE_EESS_SW_SX_mSY_S11_bEUlT_E_NS1_11comp_targetILNS1_3genE0ELNS1_11target_archE4294967295ELNS1_3gpuE0ELNS1_3repE0EEENS1_30default_config_static_selectorELNS0_4arch9wavefront6targetE1EEEvSV_
	.p2align	8
	.type	_ZN7rocprim17ROCPRIM_400000_NS6detail17trampoline_kernelINS0_14default_configENS1_29binary_search_config_selectorIiiEEZNS1_14transform_implILb0ES3_S5_N6thrust23THRUST_200600_302600_NS6detail15normal_iteratorINS8_7pointerIiNS8_11hip_rocprim5par_tENS8_11use_defaultESE_EEEESG_ZNS1_13binary_searchIS3_S5_NS8_10device_ptrIiEESG_SG_NS1_16binary_search_opENS9_16wrapped_functionINS8_6system6detail7generic6detail18binary_search_lessEbEEEE10hipError_tPvRmT1_T2_T3_mmT4_T5_P12ihipStream_tbEUlRKiE_EESS_SW_SX_mSY_S11_bEUlT_E_NS1_11comp_targetILNS1_3genE0ELNS1_11target_archE4294967295ELNS1_3gpuE0ELNS1_3repE0EEENS1_30default_config_static_selectorELNS0_4arch9wavefront6targetE1EEEvSV_,@function
_ZN7rocprim17ROCPRIM_400000_NS6detail17trampoline_kernelINS0_14default_configENS1_29binary_search_config_selectorIiiEEZNS1_14transform_implILb0ES3_S5_N6thrust23THRUST_200600_302600_NS6detail15normal_iteratorINS8_7pointerIiNS8_11hip_rocprim5par_tENS8_11use_defaultESE_EEEESG_ZNS1_13binary_searchIS3_S5_NS8_10device_ptrIiEESG_SG_NS1_16binary_search_opENS9_16wrapped_functionINS8_6system6detail7generic6detail18binary_search_lessEbEEEE10hipError_tPvRmT1_T2_T3_mmT4_T5_P12ihipStream_tbEUlRKiE_EESS_SW_SX_mSY_S11_bEUlT_E_NS1_11comp_targetILNS1_3genE0ELNS1_11target_archE4294967295ELNS1_3gpuE0ELNS1_3repE0EEENS1_30default_config_static_selectorELNS0_4arch9wavefront6targetE1EEEvSV_: ; @_ZN7rocprim17ROCPRIM_400000_NS6detail17trampoline_kernelINS0_14default_configENS1_29binary_search_config_selectorIiiEEZNS1_14transform_implILb0ES3_S5_N6thrust23THRUST_200600_302600_NS6detail15normal_iteratorINS8_7pointerIiNS8_11hip_rocprim5par_tENS8_11use_defaultESE_EEEESG_ZNS1_13binary_searchIS3_S5_NS8_10device_ptrIiEESG_SG_NS1_16binary_search_opENS9_16wrapped_functionINS8_6system6detail7generic6detail18binary_search_lessEbEEEE10hipError_tPvRmT1_T2_T3_mmT4_T5_P12ihipStream_tbEUlRKiE_EESS_SW_SX_mSY_S11_bEUlT_E_NS1_11comp_targetILNS1_3genE0ELNS1_11target_archE4294967295ELNS1_3gpuE0ELNS1_3repE0EEENS1_30default_config_static_selectorELNS0_4arch9wavefront6targetE1EEEvSV_
; %bb.0:
	.section	.rodata,"a",@progbits
	.p2align	6, 0x0
	.amdhsa_kernel _ZN7rocprim17ROCPRIM_400000_NS6detail17trampoline_kernelINS0_14default_configENS1_29binary_search_config_selectorIiiEEZNS1_14transform_implILb0ES3_S5_N6thrust23THRUST_200600_302600_NS6detail15normal_iteratorINS8_7pointerIiNS8_11hip_rocprim5par_tENS8_11use_defaultESE_EEEESG_ZNS1_13binary_searchIS3_S5_NS8_10device_ptrIiEESG_SG_NS1_16binary_search_opENS9_16wrapped_functionINS8_6system6detail7generic6detail18binary_search_lessEbEEEE10hipError_tPvRmT1_T2_T3_mmT4_T5_P12ihipStream_tbEUlRKiE_EESS_SW_SX_mSY_S11_bEUlT_E_NS1_11comp_targetILNS1_3genE0ELNS1_11target_archE4294967295ELNS1_3gpuE0ELNS1_3repE0EEENS1_30default_config_static_selectorELNS0_4arch9wavefront6targetE1EEEvSV_
		.amdhsa_group_segment_fixed_size 0
		.amdhsa_private_segment_fixed_size 0
		.amdhsa_kernarg_size 56
		.amdhsa_user_sgpr_count 6
		.amdhsa_user_sgpr_private_segment_buffer 1
		.amdhsa_user_sgpr_dispatch_ptr 0
		.amdhsa_user_sgpr_queue_ptr 0
		.amdhsa_user_sgpr_kernarg_segment_ptr 1
		.amdhsa_user_sgpr_dispatch_id 0
		.amdhsa_user_sgpr_flat_scratch_init 0
		.amdhsa_user_sgpr_private_segment_size 0
		.amdhsa_uses_dynamic_stack 0
		.amdhsa_system_sgpr_private_segment_wavefront_offset 0
		.amdhsa_system_sgpr_workgroup_id_x 1
		.amdhsa_system_sgpr_workgroup_id_y 0
		.amdhsa_system_sgpr_workgroup_id_z 0
		.amdhsa_system_sgpr_workgroup_info 0
		.amdhsa_system_vgpr_workitem_id 0
		.amdhsa_next_free_vgpr 1
		.amdhsa_next_free_sgpr 0
		.amdhsa_reserve_vcc 0
		.amdhsa_reserve_flat_scratch 0
		.amdhsa_float_round_mode_32 0
		.amdhsa_float_round_mode_16_64 0
		.amdhsa_float_denorm_mode_32 3
		.amdhsa_float_denorm_mode_16_64 3
		.amdhsa_dx10_clamp 1
		.amdhsa_ieee_mode 1
		.amdhsa_fp16_overflow 0
		.amdhsa_exception_fp_ieee_invalid_op 0
		.amdhsa_exception_fp_denorm_src 0
		.amdhsa_exception_fp_ieee_div_zero 0
		.amdhsa_exception_fp_ieee_overflow 0
		.amdhsa_exception_fp_ieee_underflow 0
		.amdhsa_exception_fp_ieee_inexact 0
		.amdhsa_exception_int_div_zero 0
	.end_amdhsa_kernel
	.section	.text._ZN7rocprim17ROCPRIM_400000_NS6detail17trampoline_kernelINS0_14default_configENS1_29binary_search_config_selectorIiiEEZNS1_14transform_implILb0ES3_S5_N6thrust23THRUST_200600_302600_NS6detail15normal_iteratorINS8_7pointerIiNS8_11hip_rocprim5par_tENS8_11use_defaultESE_EEEESG_ZNS1_13binary_searchIS3_S5_NS8_10device_ptrIiEESG_SG_NS1_16binary_search_opENS9_16wrapped_functionINS8_6system6detail7generic6detail18binary_search_lessEbEEEE10hipError_tPvRmT1_T2_T3_mmT4_T5_P12ihipStream_tbEUlRKiE_EESS_SW_SX_mSY_S11_bEUlT_E_NS1_11comp_targetILNS1_3genE0ELNS1_11target_archE4294967295ELNS1_3gpuE0ELNS1_3repE0EEENS1_30default_config_static_selectorELNS0_4arch9wavefront6targetE1EEEvSV_,"axG",@progbits,_ZN7rocprim17ROCPRIM_400000_NS6detail17trampoline_kernelINS0_14default_configENS1_29binary_search_config_selectorIiiEEZNS1_14transform_implILb0ES3_S5_N6thrust23THRUST_200600_302600_NS6detail15normal_iteratorINS8_7pointerIiNS8_11hip_rocprim5par_tENS8_11use_defaultESE_EEEESG_ZNS1_13binary_searchIS3_S5_NS8_10device_ptrIiEESG_SG_NS1_16binary_search_opENS9_16wrapped_functionINS8_6system6detail7generic6detail18binary_search_lessEbEEEE10hipError_tPvRmT1_T2_T3_mmT4_T5_P12ihipStream_tbEUlRKiE_EESS_SW_SX_mSY_S11_bEUlT_E_NS1_11comp_targetILNS1_3genE0ELNS1_11target_archE4294967295ELNS1_3gpuE0ELNS1_3repE0EEENS1_30default_config_static_selectorELNS0_4arch9wavefront6targetE1EEEvSV_,comdat
.Lfunc_end788:
	.size	_ZN7rocprim17ROCPRIM_400000_NS6detail17trampoline_kernelINS0_14default_configENS1_29binary_search_config_selectorIiiEEZNS1_14transform_implILb0ES3_S5_N6thrust23THRUST_200600_302600_NS6detail15normal_iteratorINS8_7pointerIiNS8_11hip_rocprim5par_tENS8_11use_defaultESE_EEEESG_ZNS1_13binary_searchIS3_S5_NS8_10device_ptrIiEESG_SG_NS1_16binary_search_opENS9_16wrapped_functionINS8_6system6detail7generic6detail18binary_search_lessEbEEEE10hipError_tPvRmT1_T2_T3_mmT4_T5_P12ihipStream_tbEUlRKiE_EESS_SW_SX_mSY_S11_bEUlT_E_NS1_11comp_targetILNS1_3genE0ELNS1_11target_archE4294967295ELNS1_3gpuE0ELNS1_3repE0EEENS1_30default_config_static_selectorELNS0_4arch9wavefront6targetE1EEEvSV_, .Lfunc_end788-_ZN7rocprim17ROCPRIM_400000_NS6detail17trampoline_kernelINS0_14default_configENS1_29binary_search_config_selectorIiiEEZNS1_14transform_implILb0ES3_S5_N6thrust23THRUST_200600_302600_NS6detail15normal_iteratorINS8_7pointerIiNS8_11hip_rocprim5par_tENS8_11use_defaultESE_EEEESG_ZNS1_13binary_searchIS3_S5_NS8_10device_ptrIiEESG_SG_NS1_16binary_search_opENS9_16wrapped_functionINS8_6system6detail7generic6detail18binary_search_lessEbEEEE10hipError_tPvRmT1_T2_T3_mmT4_T5_P12ihipStream_tbEUlRKiE_EESS_SW_SX_mSY_S11_bEUlT_E_NS1_11comp_targetILNS1_3genE0ELNS1_11target_archE4294967295ELNS1_3gpuE0ELNS1_3repE0EEENS1_30default_config_static_selectorELNS0_4arch9wavefront6targetE1EEEvSV_
                                        ; -- End function
	.set _ZN7rocprim17ROCPRIM_400000_NS6detail17trampoline_kernelINS0_14default_configENS1_29binary_search_config_selectorIiiEEZNS1_14transform_implILb0ES3_S5_N6thrust23THRUST_200600_302600_NS6detail15normal_iteratorINS8_7pointerIiNS8_11hip_rocprim5par_tENS8_11use_defaultESE_EEEESG_ZNS1_13binary_searchIS3_S5_NS8_10device_ptrIiEESG_SG_NS1_16binary_search_opENS9_16wrapped_functionINS8_6system6detail7generic6detail18binary_search_lessEbEEEE10hipError_tPvRmT1_T2_T3_mmT4_T5_P12ihipStream_tbEUlRKiE_EESS_SW_SX_mSY_S11_bEUlT_E_NS1_11comp_targetILNS1_3genE0ELNS1_11target_archE4294967295ELNS1_3gpuE0ELNS1_3repE0EEENS1_30default_config_static_selectorELNS0_4arch9wavefront6targetE1EEEvSV_.num_vgpr, 0
	.set _ZN7rocprim17ROCPRIM_400000_NS6detail17trampoline_kernelINS0_14default_configENS1_29binary_search_config_selectorIiiEEZNS1_14transform_implILb0ES3_S5_N6thrust23THRUST_200600_302600_NS6detail15normal_iteratorINS8_7pointerIiNS8_11hip_rocprim5par_tENS8_11use_defaultESE_EEEESG_ZNS1_13binary_searchIS3_S5_NS8_10device_ptrIiEESG_SG_NS1_16binary_search_opENS9_16wrapped_functionINS8_6system6detail7generic6detail18binary_search_lessEbEEEE10hipError_tPvRmT1_T2_T3_mmT4_T5_P12ihipStream_tbEUlRKiE_EESS_SW_SX_mSY_S11_bEUlT_E_NS1_11comp_targetILNS1_3genE0ELNS1_11target_archE4294967295ELNS1_3gpuE0ELNS1_3repE0EEENS1_30default_config_static_selectorELNS0_4arch9wavefront6targetE1EEEvSV_.num_agpr, 0
	.set _ZN7rocprim17ROCPRIM_400000_NS6detail17trampoline_kernelINS0_14default_configENS1_29binary_search_config_selectorIiiEEZNS1_14transform_implILb0ES3_S5_N6thrust23THRUST_200600_302600_NS6detail15normal_iteratorINS8_7pointerIiNS8_11hip_rocprim5par_tENS8_11use_defaultESE_EEEESG_ZNS1_13binary_searchIS3_S5_NS8_10device_ptrIiEESG_SG_NS1_16binary_search_opENS9_16wrapped_functionINS8_6system6detail7generic6detail18binary_search_lessEbEEEE10hipError_tPvRmT1_T2_T3_mmT4_T5_P12ihipStream_tbEUlRKiE_EESS_SW_SX_mSY_S11_bEUlT_E_NS1_11comp_targetILNS1_3genE0ELNS1_11target_archE4294967295ELNS1_3gpuE0ELNS1_3repE0EEENS1_30default_config_static_selectorELNS0_4arch9wavefront6targetE1EEEvSV_.numbered_sgpr, 0
	.set _ZN7rocprim17ROCPRIM_400000_NS6detail17trampoline_kernelINS0_14default_configENS1_29binary_search_config_selectorIiiEEZNS1_14transform_implILb0ES3_S5_N6thrust23THRUST_200600_302600_NS6detail15normal_iteratorINS8_7pointerIiNS8_11hip_rocprim5par_tENS8_11use_defaultESE_EEEESG_ZNS1_13binary_searchIS3_S5_NS8_10device_ptrIiEESG_SG_NS1_16binary_search_opENS9_16wrapped_functionINS8_6system6detail7generic6detail18binary_search_lessEbEEEE10hipError_tPvRmT1_T2_T3_mmT4_T5_P12ihipStream_tbEUlRKiE_EESS_SW_SX_mSY_S11_bEUlT_E_NS1_11comp_targetILNS1_3genE0ELNS1_11target_archE4294967295ELNS1_3gpuE0ELNS1_3repE0EEENS1_30default_config_static_selectorELNS0_4arch9wavefront6targetE1EEEvSV_.num_named_barrier, 0
	.set _ZN7rocprim17ROCPRIM_400000_NS6detail17trampoline_kernelINS0_14default_configENS1_29binary_search_config_selectorIiiEEZNS1_14transform_implILb0ES3_S5_N6thrust23THRUST_200600_302600_NS6detail15normal_iteratorINS8_7pointerIiNS8_11hip_rocprim5par_tENS8_11use_defaultESE_EEEESG_ZNS1_13binary_searchIS3_S5_NS8_10device_ptrIiEESG_SG_NS1_16binary_search_opENS9_16wrapped_functionINS8_6system6detail7generic6detail18binary_search_lessEbEEEE10hipError_tPvRmT1_T2_T3_mmT4_T5_P12ihipStream_tbEUlRKiE_EESS_SW_SX_mSY_S11_bEUlT_E_NS1_11comp_targetILNS1_3genE0ELNS1_11target_archE4294967295ELNS1_3gpuE0ELNS1_3repE0EEENS1_30default_config_static_selectorELNS0_4arch9wavefront6targetE1EEEvSV_.private_seg_size, 0
	.set _ZN7rocprim17ROCPRIM_400000_NS6detail17trampoline_kernelINS0_14default_configENS1_29binary_search_config_selectorIiiEEZNS1_14transform_implILb0ES3_S5_N6thrust23THRUST_200600_302600_NS6detail15normal_iteratorINS8_7pointerIiNS8_11hip_rocprim5par_tENS8_11use_defaultESE_EEEESG_ZNS1_13binary_searchIS3_S5_NS8_10device_ptrIiEESG_SG_NS1_16binary_search_opENS9_16wrapped_functionINS8_6system6detail7generic6detail18binary_search_lessEbEEEE10hipError_tPvRmT1_T2_T3_mmT4_T5_P12ihipStream_tbEUlRKiE_EESS_SW_SX_mSY_S11_bEUlT_E_NS1_11comp_targetILNS1_3genE0ELNS1_11target_archE4294967295ELNS1_3gpuE0ELNS1_3repE0EEENS1_30default_config_static_selectorELNS0_4arch9wavefront6targetE1EEEvSV_.uses_vcc, 0
	.set _ZN7rocprim17ROCPRIM_400000_NS6detail17trampoline_kernelINS0_14default_configENS1_29binary_search_config_selectorIiiEEZNS1_14transform_implILb0ES3_S5_N6thrust23THRUST_200600_302600_NS6detail15normal_iteratorINS8_7pointerIiNS8_11hip_rocprim5par_tENS8_11use_defaultESE_EEEESG_ZNS1_13binary_searchIS3_S5_NS8_10device_ptrIiEESG_SG_NS1_16binary_search_opENS9_16wrapped_functionINS8_6system6detail7generic6detail18binary_search_lessEbEEEE10hipError_tPvRmT1_T2_T3_mmT4_T5_P12ihipStream_tbEUlRKiE_EESS_SW_SX_mSY_S11_bEUlT_E_NS1_11comp_targetILNS1_3genE0ELNS1_11target_archE4294967295ELNS1_3gpuE0ELNS1_3repE0EEENS1_30default_config_static_selectorELNS0_4arch9wavefront6targetE1EEEvSV_.uses_flat_scratch, 0
	.set _ZN7rocprim17ROCPRIM_400000_NS6detail17trampoline_kernelINS0_14default_configENS1_29binary_search_config_selectorIiiEEZNS1_14transform_implILb0ES3_S5_N6thrust23THRUST_200600_302600_NS6detail15normal_iteratorINS8_7pointerIiNS8_11hip_rocprim5par_tENS8_11use_defaultESE_EEEESG_ZNS1_13binary_searchIS3_S5_NS8_10device_ptrIiEESG_SG_NS1_16binary_search_opENS9_16wrapped_functionINS8_6system6detail7generic6detail18binary_search_lessEbEEEE10hipError_tPvRmT1_T2_T3_mmT4_T5_P12ihipStream_tbEUlRKiE_EESS_SW_SX_mSY_S11_bEUlT_E_NS1_11comp_targetILNS1_3genE0ELNS1_11target_archE4294967295ELNS1_3gpuE0ELNS1_3repE0EEENS1_30default_config_static_selectorELNS0_4arch9wavefront6targetE1EEEvSV_.has_dyn_sized_stack, 0
	.set _ZN7rocprim17ROCPRIM_400000_NS6detail17trampoline_kernelINS0_14default_configENS1_29binary_search_config_selectorIiiEEZNS1_14transform_implILb0ES3_S5_N6thrust23THRUST_200600_302600_NS6detail15normal_iteratorINS8_7pointerIiNS8_11hip_rocprim5par_tENS8_11use_defaultESE_EEEESG_ZNS1_13binary_searchIS3_S5_NS8_10device_ptrIiEESG_SG_NS1_16binary_search_opENS9_16wrapped_functionINS8_6system6detail7generic6detail18binary_search_lessEbEEEE10hipError_tPvRmT1_T2_T3_mmT4_T5_P12ihipStream_tbEUlRKiE_EESS_SW_SX_mSY_S11_bEUlT_E_NS1_11comp_targetILNS1_3genE0ELNS1_11target_archE4294967295ELNS1_3gpuE0ELNS1_3repE0EEENS1_30default_config_static_selectorELNS0_4arch9wavefront6targetE1EEEvSV_.has_recursion, 0
	.set _ZN7rocprim17ROCPRIM_400000_NS6detail17trampoline_kernelINS0_14default_configENS1_29binary_search_config_selectorIiiEEZNS1_14transform_implILb0ES3_S5_N6thrust23THRUST_200600_302600_NS6detail15normal_iteratorINS8_7pointerIiNS8_11hip_rocprim5par_tENS8_11use_defaultESE_EEEESG_ZNS1_13binary_searchIS3_S5_NS8_10device_ptrIiEESG_SG_NS1_16binary_search_opENS9_16wrapped_functionINS8_6system6detail7generic6detail18binary_search_lessEbEEEE10hipError_tPvRmT1_T2_T3_mmT4_T5_P12ihipStream_tbEUlRKiE_EESS_SW_SX_mSY_S11_bEUlT_E_NS1_11comp_targetILNS1_3genE0ELNS1_11target_archE4294967295ELNS1_3gpuE0ELNS1_3repE0EEENS1_30default_config_static_selectorELNS0_4arch9wavefront6targetE1EEEvSV_.has_indirect_call, 0
	.section	.AMDGPU.csdata,"",@progbits
; Kernel info:
; codeLenInByte = 0
; TotalNumSgprs: 4
; NumVgprs: 0
; ScratchSize: 0
; MemoryBound: 0
; FloatMode: 240
; IeeeMode: 1
; LDSByteSize: 0 bytes/workgroup (compile time only)
; SGPRBlocks: 0
; VGPRBlocks: 0
; NumSGPRsForWavesPerEU: 4
; NumVGPRsForWavesPerEU: 1
; Occupancy: 10
; WaveLimiterHint : 0
; COMPUTE_PGM_RSRC2:SCRATCH_EN: 0
; COMPUTE_PGM_RSRC2:USER_SGPR: 6
; COMPUTE_PGM_RSRC2:TRAP_HANDLER: 0
; COMPUTE_PGM_RSRC2:TGID_X_EN: 1
; COMPUTE_PGM_RSRC2:TGID_Y_EN: 0
; COMPUTE_PGM_RSRC2:TGID_Z_EN: 0
; COMPUTE_PGM_RSRC2:TIDIG_COMP_CNT: 0
	.section	.text._ZN7rocprim17ROCPRIM_400000_NS6detail17trampoline_kernelINS0_14default_configENS1_29binary_search_config_selectorIiiEEZNS1_14transform_implILb0ES3_S5_N6thrust23THRUST_200600_302600_NS6detail15normal_iteratorINS8_7pointerIiNS8_11hip_rocprim5par_tENS8_11use_defaultESE_EEEESG_ZNS1_13binary_searchIS3_S5_NS8_10device_ptrIiEESG_SG_NS1_16binary_search_opENS9_16wrapped_functionINS8_6system6detail7generic6detail18binary_search_lessEbEEEE10hipError_tPvRmT1_T2_T3_mmT4_T5_P12ihipStream_tbEUlRKiE_EESS_SW_SX_mSY_S11_bEUlT_E_NS1_11comp_targetILNS1_3genE5ELNS1_11target_archE942ELNS1_3gpuE9ELNS1_3repE0EEENS1_30default_config_static_selectorELNS0_4arch9wavefront6targetE1EEEvSV_,"axG",@progbits,_ZN7rocprim17ROCPRIM_400000_NS6detail17trampoline_kernelINS0_14default_configENS1_29binary_search_config_selectorIiiEEZNS1_14transform_implILb0ES3_S5_N6thrust23THRUST_200600_302600_NS6detail15normal_iteratorINS8_7pointerIiNS8_11hip_rocprim5par_tENS8_11use_defaultESE_EEEESG_ZNS1_13binary_searchIS3_S5_NS8_10device_ptrIiEESG_SG_NS1_16binary_search_opENS9_16wrapped_functionINS8_6system6detail7generic6detail18binary_search_lessEbEEEE10hipError_tPvRmT1_T2_T3_mmT4_T5_P12ihipStream_tbEUlRKiE_EESS_SW_SX_mSY_S11_bEUlT_E_NS1_11comp_targetILNS1_3genE5ELNS1_11target_archE942ELNS1_3gpuE9ELNS1_3repE0EEENS1_30default_config_static_selectorELNS0_4arch9wavefront6targetE1EEEvSV_,comdat
	.protected	_ZN7rocprim17ROCPRIM_400000_NS6detail17trampoline_kernelINS0_14default_configENS1_29binary_search_config_selectorIiiEEZNS1_14transform_implILb0ES3_S5_N6thrust23THRUST_200600_302600_NS6detail15normal_iteratorINS8_7pointerIiNS8_11hip_rocprim5par_tENS8_11use_defaultESE_EEEESG_ZNS1_13binary_searchIS3_S5_NS8_10device_ptrIiEESG_SG_NS1_16binary_search_opENS9_16wrapped_functionINS8_6system6detail7generic6detail18binary_search_lessEbEEEE10hipError_tPvRmT1_T2_T3_mmT4_T5_P12ihipStream_tbEUlRKiE_EESS_SW_SX_mSY_S11_bEUlT_E_NS1_11comp_targetILNS1_3genE5ELNS1_11target_archE942ELNS1_3gpuE9ELNS1_3repE0EEENS1_30default_config_static_selectorELNS0_4arch9wavefront6targetE1EEEvSV_ ; -- Begin function _ZN7rocprim17ROCPRIM_400000_NS6detail17trampoline_kernelINS0_14default_configENS1_29binary_search_config_selectorIiiEEZNS1_14transform_implILb0ES3_S5_N6thrust23THRUST_200600_302600_NS6detail15normal_iteratorINS8_7pointerIiNS8_11hip_rocprim5par_tENS8_11use_defaultESE_EEEESG_ZNS1_13binary_searchIS3_S5_NS8_10device_ptrIiEESG_SG_NS1_16binary_search_opENS9_16wrapped_functionINS8_6system6detail7generic6detail18binary_search_lessEbEEEE10hipError_tPvRmT1_T2_T3_mmT4_T5_P12ihipStream_tbEUlRKiE_EESS_SW_SX_mSY_S11_bEUlT_E_NS1_11comp_targetILNS1_3genE5ELNS1_11target_archE942ELNS1_3gpuE9ELNS1_3repE0EEENS1_30default_config_static_selectorELNS0_4arch9wavefront6targetE1EEEvSV_
	.globl	_ZN7rocprim17ROCPRIM_400000_NS6detail17trampoline_kernelINS0_14default_configENS1_29binary_search_config_selectorIiiEEZNS1_14transform_implILb0ES3_S5_N6thrust23THRUST_200600_302600_NS6detail15normal_iteratorINS8_7pointerIiNS8_11hip_rocprim5par_tENS8_11use_defaultESE_EEEESG_ZNS1_13binary_searchIS3_S5_NS8_10device_ptrIiEESG_SG_NS1_16binary_search_opENS9_16wrapped_functionINS8_6system6detail7generic6detail18binary_search_lessEbEEEE10hipError_tPvRmT1_T2_T3_mmT4_T5_P12ihipStream_tbEUlRKiE_EESS_SW_SX_mSY_S11_bEUlT_E_NS1_11comp_targetILNS1_3genE5ELNS1_11target_archE942ELNS1_3gpuE9ELNS1_3repE0EEENS1_30default_config_static_selectorELNS0_4arch9wavefront6targetE1EEEvSV_
	.p2align	8
	.type	_ZN7rocprim17ROCPRIM_400000_NS6detail17trampoline_kernelINS0_14default_configENS1_29binary_search_config_selectorIiiEEZNS1_14transform_implILb0ES3_S5_N6thrust23THRUST_200600_302600_NS6detail15normal_iteratorINS8_7pointerIiNS8_11hip_rocprim5par_tENS8_11use_defaultESE_EEEESG_ZNS1_13binary_searchIS3_S5_NS8_10device_ptrIiEESG_SG_NS1_16binary_search_opENS9_16wrapped_functionINS8_6system6detail7generic6detail18binary_search_lessEbEEEE10hipError_tPvRmT1_T2_T3_mmT4_T5_P12ihipStream_tbEUlRKiE_EESS_SW_SX_mSY_S11_bEUlT_E_NS1_11comp_targetILNS1_3genE5ELNS1_11target_archE942ELNS1_3gpuE9ELNS1_3repE0EEENS1_30default_config_static_selectorELNS0_4arch9wavefront6targetE1EEEvSV_,@function
_ZN7rocprim17ROCPRIM_400000_NS6detail17trampoline_kernelINS0_14default_configENS1_29binary_search_config_selectorIiiEEZNS1_14transform_implILb0ES3_S5_N6thrust23THRUST_200600_302600_NS6detail15normal_iteratorINS8_7pointerIiNS8_11hip_rocprim5par_tENS8_11use_defaultESE_EEEESG_ZNS1_13binary_searchIS3_S5_NS8_10device_ptrIiEESG_SG_NS1_16binary_search_opENS9_16wrapped_functionINS8_6system6detail7generic6detail18binary_search_lessEbEEEE10hipError_tPvRmT1_T2_T3_mmT4_T5_P12ihipStream_tbEUlRKiE_EESS_SW_SX_mSY_S11_bEUlT_E_NS1_11comp_targetILNS1_3genE5ELNS1_11target_archE942ELNS1_3gpuE9ELNS1_3repE0EEENS1_30default_config_static_selectorELNS0_4arch9wavefront6targetE1EEEvSV_: ; @_ZN7rocprim17ROCPRIM_400000_NS6detail17trampoline_kernelINS0_14default_configENS1_29binary_search_config_selectorIiiEEZNS1_14transform_implILb0ES3_S5_N6thrust23THRUST_200600_302600_NS6detail15normal_iteratorINS8_7pointerIiNS8_11hip_rocprim5par_tENS8_11use_defaultESE_EEEESG_ZNS1_13binary_searchIS3_S5_NS8_10device_ptrIiEESG_SG_NS1_16binary_search_opENS9_16wrapped_functionINS8_6system6detail7generic6detail18binary_search_lessEbEEEE10hipError_tPvRmT1_T2_T3_mmT4_T5_P12ihipStream_tbEUlRKiE_EESS_SW_SX_mSY_S11_bEUlT_E_NS1_11comp_targetILNS1_3genE5ELNS1_11target_archE942ELNS1_3gpuE9ELNS1_3repE0EEENS1_30default_config_static_selectorELNS0_4arch9wavefront6targetE1EEEvSV_
; %bb.0:
	.section	.rodata,"a",@progbits
	.p2align	6, 0x0
	.amdhsa_kernel _ZN7rocprim17ROCPRIM_400000_NS6detail17trampoline_kernelINS0_14default_configENS1_29binary_search_config_selectorIiiEEZNS1_14transform_implILb0ES3_S5_N6thrust23THRUST_200600_302600_NS6detail15normal_iteratorINS8_7pointerIiNS8_11hip_rocprim5par_tENS8_11use_defaultESE_EEEESG_ZNS1_13binary_searchIS3_S5_NS8_10device_ptrIiEESG_SG_NS1_16binary_search_opENS9_16wrapped_functionINS8_6system6detail7generic6detail18binary_search_lessEbEEEE10hipError_tPvRmT1_T2_T3_mmT4_T5_P12ihipStream_tbEUlRKiE_EESS_SW_SX_mSY_S11_bEUlT_E_NS1_11comp_targetILNS1_3genE5ELNS1_11target_archE942ELNS1_3gpuE9ELNS1_3repE0EEENS1_30default_config_static_selectorELNS0_4arch9wavefront6targetE1EEEvSV_
		.amdhsa_group_segment_fixed_size 0
		.amdhsa_private_segment_fixed_size 0
		.amdhsa_kernarg_size 56
		.amdhsa_user_sgpr_count 6
		.amdhsa_user_sgpr_private_segment_buffer 1
		.amdhsa_user_sgpr_dispatch_ptr 0
		.amdhsa_user_sgpr_queue_ptr 0
		.amdhsa_user_sgpr_kernarg_segment_ptr 1
		.amdhsa_user_sgpr_dispatch_id 0
		.amdhsa_user_sgpr_flat_scratch_init 0
		.amdhsa_user_sgpr_private_segment_size 0
		.amdhsa_uses_dynamic_stack 0
		.amdhsa_system_sgpr_private_segment_wavefront_offset 0
		.amdhsa_system_sgpr_workgroup_id_x 1
		.amdhsa_system_sgpr_workgroup_id_y 0
		.amdhsa_system_sgpr_workgroup_id_z 0
		.amdhsa_system_sgpr_workgroup_info 0
		.amdhsa_system_vgpr_workitem_id 0
		.amdhsa_next_free_vgpr 1
		.amdhsa_next_free_sgpr 0
		.amdhsa_reserve_vcc 0
		.amdhsa_reserve_flat_scratch 0
		.amdhsa_float_round_mode_32 0
		.amdhsa_float_round_mode_16_64 0
		.amdhsa_float_denorm_mode_32 3
		.amdhsa_float_denorm_mode_16_64 3
		.amdhsa_dx10_clamp 1
		.amdhsa_ieee_mode 1
		.amdhsa_fp16_overflow 0
		.amdhsa_exception_fp_ieee_invalid_op 0
		.amdhsa_exception_fp_denorm_src 0
		.amdhsa_exception_fp_ieee_div_zero 0
		.amdhsa_exception_fp_ieee_overflow 0
		.amdhsa_exception_fp_ieee_underflow 0
		.amdhsa_exception_fp_ieee_inexact 0
		.amdhsa_exception_int_div_zero 0
	.end_amdhsa_kernel
	.section	.text._ZN7rocprim17ROCPRIM_400000_NS6detail17trampoline_kernelINS0_14default_configENS1_29binary_search_config_selectorIiiEEZNS1_14transform_implILb0ES3_S5_N6thrust23THRUST_200600_302600_NS6detail15normal_iteratorINS8_7pointerIiNS8_11hip_rocprim5par_tENS8_11use_defaultESE_EEEESG_ZNS1_13binary_searchIS3_S5_NS8_10device_ptrIiEESG_SG_NS1_16binary_search_opENS9_16wrapped_functionINS8_6system6detail7generic6detail18binary_search_lessEbEEEE10hipError_tPvRmT1_T2_T3_mmT4_T5_P12ihipStream_tbEUlRKiE_EESS_SW_SX_mSY_S11_bEUlT_E_NS1_11comp_targetILNS1_3genE5ELNS1_11target_archE942ELNS1_3gpuE9ELNS1_3repE0EEENS1_30default_config_static_selectorELNS0_4arch9wavefront6targetE1EEEvSV_,"axG",@progbits,_ZN7rocprim17ROCPRIM_400000_NS6detail17trampoline_kernelINS0_14default_configENS1_29binary_search_config_selectorIiiEEZNS1_14transform_implILb0ES3_S5_N6thrust23THRUST_200600_302600_NS6detail15normal_iteratorINS8_7pointerIiNS8_11hip_rocprim5par_tENS8_11use_defaultESE_EEEESG_ZNS1_13binary_searchIS3_S5_NS8_10device_ptrIiEESG_SG_NS1_16binary_search_opENS9_16wrapped_functionINS8_6system6detail7generic6detail18binary_search_lessEbEEEE10hipError_tPvRmT1_T2_T3_mmT4_T5_P12ihipStream_tbEUlRKiE_EESS_SW_SX_mSY_S11_bEUlT_E_NS1_11comp_targetILNS1_3genE5ELNS1_11target_archE942ELNS1_3gpuE9ELNS1_3repE0EEENS1_30default_config_static_selectorELNS0_4arch9wavefront6targetE1EEEvSV_,comdat
.Lfunc_end789:
	.size	_ZN7rocprim17ROCPRIM_400000_NS6detail17trampoline_kernelINS0_14default_configENS1_29binary_search_config_selectorIiiEEZNS1_14transform_implILb0ES3_S5_N6thrust23THRUST_200600_302600_NS6detail15normal_iteratorINS8_7pointerIiNS8_11hip_rocprim5par_tENS8_11use_defaultESE_EEEESG_ZNS1_13binary_searchIS3_S5_NS8_10device_ptrIiEESG_SG_NS1_16binary_search_opENS9_16wrapped_functionINS8_6system6detail7generic6detail18binary_search_lessEbEEEE10hipError_tPvRmT1_T2_T3_mmT4_T5_P12ihipStream_tbEUlRKiE_EESS_SW_SX_mSY_S11_bEUlT_E_NS1_11comp_targetILNS1_3genE5ELNS1_11target_archE942ELNS1_3gpuE9ELNS1_3repE0EEENS1_30default_config_static_selectorELNS0_4arch9wavefront6targetE1EEEvSV_, .Lfunc_end789-_ZN7rocprim17ROCPRIM_400000_NS6detail17trampoline_kernelINS0_14default_configENS1_29binary_search_config_selectorIiiEEZNS1_14transform_implILb0ES3_S5_N6thrust23THRUST_200600_302600_NS6detail15normal_iteratorINS8_7pointerIiNS8_11hip_rocprim5par_tENS8_11use_defaultESE_EEEESG_ZNS1_13binary_searchIS3_S5_NS8_10device_ptrIiEESG_SG_NS1_16binary_search_opENS9_16wrapped_functionINS8_6system6detail7generic6detail18binary_search_lessEbEEEE10hipError_tPvRmT1_T2_T3_mmT4_T5_P12ihipStream_tbEUlRKiE_EESS_SW_SX_mSY_S11_bEUlT_E_NS1_11comp_targetILNS1_3genE5ELNS1_11target_archE942ELNS1_3gpuE9ELNS1_3repE0EEENS1_30default_config_static_selectorELNS0_4arch9wavefront6targetE1EEEvSV_
                                        ; -- End function
	.set _ZN7rocprim17ROCPRIM_400000_NS6detail17trampoline_kernelINS0_14default_configENS1_29binary_search_config_selectorIiiEEZNS1_14transform_implILb0ES3_S5_N6thrust23THRUST_200600_302600_NS6detail15normal_iteratorINS8_7pointerIiNS8_11hip_rocprim5par_tENS8_11use_defaultESE_EEEESG_ZNS1_13binary_searchIS3_S5_NS8_10device_ptrIiEESG_SG_NS1_16binary_search_opENS9_16wrapped_functionINS8_6system6detail7generic6detail18binary_search_lessEbEEEE10hipError_tPvRmT1_T2_T3_mmT4_T5_P12ihipStream_tbEUlRKiE_EESS_SW_SX_mSY_S11_bEUlT_E_NS1_11comp_targetILNS1_3genE5ELNS1_11target_archE942ELNS1_3gpuE9ELNS1_3repE0EEENS1_30default_config_static_selectorELNS0_4arch9wavefront6targetE1EEEvSV_.num_vgpr, 0
	.set _ZN7rocprim17ROCPRIM_400000_NS6detail17trampoline_kernelINS0_14default_configENS1_29binary_search_config_selectorIiiEEZNS1_14transform_implILb0ES3_S5_N6thrust23THRUST_200600_302600_NS6detail15normal_iteratorINS8_7pointerIiNS8_11hip_rocprim5par_tENS8_11use_defaultESE_EEEESG_ZNS1_13binary_searchIS3_S5_NS8_10device_ptrIiEESG_SG_NS1_16binary_search_opENS9_16wrapped_functionINS8_6system6detail7generic6detail18binary_search_lessEbEEEE10hipError_tPvRmT1_T2_T3_mmT4_T5_P12ihipStream_tbEUlRKiE_EESS_SW_SX_mSY_S11_bEUlT_E_NS1_11comp_targetILNS1_3genE5ELNS1_11target_archE942ELNS1_3gpuE9ELNS1_3repE0EEENS1_30default_config_static_selectorELNS0_4arch9wavefront6targetE1EEEvSV_.num_agpr, 0
	.set _ZN7rocprim17ROCPRIM_400000_NS6detail17trampoline_kernelINS0_14default_configENS1_29binary_search_config_selectorIiiEEZNS1_14transform_implILb0ES3_S5_N6thrust23THRUST_200600_302600_NS6detail15normal_iteratorINS8_7pointerIiNS8_11hip_rocprim5par_tENS8_11use_defaultESE_EEEESG_ZNS1_13binary_searchIS3_S5_NS8_10device_ptrIiEESG_SG_NS1_16binary_search_opENS9_16wrapped_functionINS8_6system6detail7generic6detail18binary_search_lessEbEEEE10hipError_tPvRmT1_T2_T3_mmT4_T5_P12ihipStream_tbEUlRKiE_EESS_SW_SX_mSY_S11_bEUlT_E_NS1_11comp_targetILNS1_3genE5ELNS1_11target_archE942ELNS1_3gpuE9ELNS1_3repE0EEENS1_30default_config_static_selectorELNS0_4arch9wavefront6targetE1EEEvSV_.numbered_sgpr, 0
	.set _ZN7rocprim17ROCPRIM_400000_NS6detail17trampoline_kernelINS0_14default_configENS1_29binary_search_config_selectorIiiEEZNS1_14transform_implILb0ES3_S5_N6thrust23THRUST_200600_302600_NS6detail15normal_iteratorINS8_7pointerIiNS8_11hip_rocprim5par_tENS8_11use_defaultESE_EEEESG_ZNS1_13binary_searchIS3_S5_NS8_10device_ptrIiEESG_SG_NS1_16binary_search_opENS9_16wrapped_functionINS8_6system6detail7generic6detail18binary_search_lessEbEEEE10hipError_tPvRmT1_T2_T3_mmT4_T5_P12ihipStream_tbEUlRKiE_EESS_SW_SX_mSY_S11_bEUlT_E_NS1_11comp_targetILNS1_3genE5ELNS1_11target_archE942ELNS1_3gpuE9ELNS1_3repE0EEENS1_30default_config_static_selectorELNS0_4arch9wavefront6targetE1EEEvSV_.num_named_barrier, 0
	.set _ZN7rocprim17ROCPRIM_400000_NS6detail17trampoline_kernelINS0_14default_configENS1_29binary_search_config_selectorIiiEEZNS1_14transform_implILb0ES3_S5_N6thrust23THRUST_200600_302600_NS6detail15normal_iteratorINS8_7pointerIiNS8_11hip_rocprim5par_tENS8_11use_defaultESE_EEEESG_ZNS1_13binary_searchIS3_S5_NS8_10device_ptrIiEESG_SG_NS1_16binary_search_opENS9_16wrapped_functionINS8_6system6detail7generic6detail18binary_search_lessEbEEEE10hipError_tPvRmT1_T2_T3_mmT4_T5_P12ihipStream_tbEUlRKiE_EESS_SW_SX_mSY_S11_bEUlT_E_NS1_11comp_targetILNS1_3genE5ELNS1_11target_archE942ELNS1_3gpuE9ELNS1_3repE0EEENS1_30default_config_static_selectorELNS0_4arch9wavefront6targetE1EEEvSV_.private_seg_size, 0
	.set _ZN7rocprim17ROCPRIM_400000_NS6detail17trampoline_kernelINS0_14default_configENS1_29binary_search_config_selectorIiiEEZNS1_14transform_implILb0ES3_S5_N6thrust23THRUST_200600_302600_NS6detail15normal_iteratorINS8_7pointerIiNS8_11hip_rocprim5par_tENS8_11use_defaultESE_EEEESG_ZNS1_13binary_searchIS3_S5_NS8_10device_ptrIiEESG_SG_NS1_16binary_search_opENS9_16wrapped_functionINS8_6system6detail7generic6detail18binary_search_lessEbEEEE10hipError_tPvRmT1_T2_T3_mmT4_T5_P12ihipStream_tbEUlRKiE_EESS_SW_SX_mSY_S11_bEUlT_E_NS1_11comp_targetILNS1_3genE5ELNS1_11target_archE942ELNS1_3gpuE9ELNS1_3repE0EEENS1_30default_config_static_selectorELNS0_4arch9wavefront6targetE1EEEvSV_.uses_vcc, 0
	.set _ZN7rocprim17ROCPRIM_400000_NS6detail17trampoline_kernelINS0_14default_configENS1_29binary_search_config_selectorIiiEEZNS1_14transform_implILb0ES3_S5_N6thrust23THRUST_200600_302600_NS6detail15normal_iteratorINS8_7pointerIiNS8_11hip_rocprim5par_tENS8_11use_defaultESE_EEEESG_ZNS1_13binary_searchIS3_S5_NS8_10device_ptrIiEESG_SG_NS1_16binary_search_opENS9_16wrapped_functionINS8_6system6detail7generic6detail18binary_search_lessEbEEEE10hipError_tPvRmT1_T2_T3_mmT4_T5_P12ihipStream_tbEUlRKiE_EESS_SW_SX_mSY_S11_bEUlT_E_NS1_11comp_targetILNS1_3genE5ELNS1_11target_archE942ELNS1_3gpuE9ELNS1_3repE0EEENS1_30default_config_static_selectorELNS0_4arch9wavefront6targetE1EEEvSV_.uses_flat_scratch, 0
	.set _ZN7rocprim17ROCPRIM_400000_NS6detail17trampoline_kernelINS0_14default_configENS1_29binary_search_config_selectorIiiEEZNS1_14transform_implILb0ES3_S5_N6thrust23THRUST_200600_302600_NS6detail15normal_iteratorINS8_7pointerIiNS8_11hip_rocprim5par_tENS8_11use_defaultESE_EEEESG_ZNS1_13binary_searchIS3_S5_NS8_10device_ptrIiEESG_SG_NS1_16binary_search_opENS9_16wrapped_functionINS8_6system6detail7generic6detail18binary_search_lessEbEEEE10hipError_tPvRmT1_T2_T3_mmT4_T5_P12ihipStream_tbEUlRKiE_EESS_SW_SX_mSY_S11_bEUlT_E_NS1_11comp_targetILNS1_3genE5ELNS1_11target_archE942ELNS1_3gpuE9ELNS1_3repE0EEENS1_30default_config_static_selectorELNS0_4arch9wavefront6targetE1EEEvSV_.has_dyn_sized_stack, 0
	.set _ZN7rocprim17ROCPRIM_400000_NS6detail17trampoline_kernelINS0_14default_configENS1_29binary_search_config_selectorIiiEEZNS1_14transform_implILb0ES3_S5_N6thrust23THRUST_200600_302600_NS6detail15normal_iteratorINS8_7pointerIiNS8_11hip_rocprim5par_tENS8_11use_defaultESE_EEEESG_ZNS1_13binary_searchIS3_S5_NS8_10device_ptrIiEESG_SG_NS1_16binary_search_opENS9_16wrapped_functionINS8_6system6detail7generic6detail18binary_search_lessEbEEEE10hipError_tPvRmT1_T2_T3_mmT4_T5_P12ihipStream_tbEUlRKiE_EESS_SW_SX_mSY_S11_bEUlT_E_NS1_11comp_targetILNS1_3genE5ELNS1_11target_archE942ELNS1_3gpuE9ELNS1_3repE0EEENS1_30default_config_static_selectorELNS0_4arch9wavefront6targetE1EEEvSV_.has_recursion, 0
	.set _ZN7rocprim17ROCPRIM_400000_NS6detail17trampoline_kernelINS0_14default_configENS1_29binary_search_config_selectorIiiEEZNS1_14transform_implILb0ES3_S5_N6thrust23THRUST_200600_302600_NS6detail15normal_iteratorINS8_7pointerIiNS8_11hip_rocprim5par_tENS8_11use_defaultESE_EEEESG_ZNS1_13binary_searchIS3_S5_NS8_10device_ptrIiEESG_SG_NS1_16binary_search_opENS9_16wrapped_functionINS8_6system6detail7generic6detail18binary_search_lessEbEEEE10hipError_tPvRmT1_T2_T3_mmT4_T5_P12ihipStream_tbEUlRKiE_EESS_SW_SX_mSY_S11_bEUlT_E_NS1_11comp_targetILNS1_3genE5ELNS1_11target_archE942ELNS1_3gpuE9ELNS1_3repE0EEENS1_30default_config_static_selectorELNS0_4arch9wavefront6targetE1EEEvSV_.has_indirect_call, 0
	.section	.AMDGPU.csdata,"",@progbits
; Kernel info:
; codeLenInByte = 0
; TotalNumSgprs: 4
; NumVgprs: 0
; ScratchSize: 0
; MemoryBound: 0
; FloatMode: 240
; IeeeMode: 1
; LDSByteSize: 0 bytes/workgroup (compile time only)
; SGPRBlocks: 0
; VGPRBlocks: 0
; NumSGPRsForWavesPerEU: 4
; NumVGPRsForWavesPerEU: 1
; Occupancy: 10
; WaveLimiterHint : 0
; COMPUTE_PGM_RSRC2:SCRATCH_EN: 0
; COMPUTE_PGM_RSRC2:USER_SGPR: 6
; COMPUTE_PGM_RSRC2:TRAP_HANDLER: 0
; COMPUTE_PGM_RSRC2:TGID_X_EN: 1
; COMPUTE_PGM_RSRC2:TGID_Y_EN: 0
; COMPUTE_PGM_RSRC2:TGID_Z_EN: 0
; COMPUTE_PGM_RSRC2:TIDIG_COMP_CNT: 0
	.section	.text._ZN7rocprim17ROCPRIM_400000_NS6detail17trampoline_kernelINS0_14default_configENS1_29binary_search_config_selectorIiiEEZNS1_14transform_implILb0ES3_S5_N6thrust23THRUST_200600_302600_NS6detail15normal_iteratorINS8_7pointerIiNS8_11hip_rocprim5par_tENS8_11use_defaultESE_EEEESG_ZNS1_13binary_searchIS3_S5_NS8_10device_ptrIiEESG_SG_NS1_16binary_search_opENS9_16wrapped_functionINS8_6system6detail7generic6detail18binary_search_lessEbEEEE10hipError_tPvRmT1_T2_T3_mmT4_T5_P12ihipStream_tbEUlRKiE_EESS_SW_SX_mSY_S11_bEUlT_E_NS1_11comp_targetILNS1_3genE4ELNS1_11target_archE910ELNS1_3gpuE8ELNS1_3repE0EEENS1_30default_config_static_selectorELNS0_4arch9wavefront6targetE1EEEvSV_,"axG",@progbits,_ZN7rocprim17ROCPRIM_400000_NS6detail17trampoline_kernelINS0_14default_configENS1_29binary_search_config_selectorIiiEEZNS1_14transform_implILb0ES3_S5_N6thrust23THRUST_200600_302600_NS6detail15normal_iteratorINS8_7pointerIiNS8_11hip_rocprim5par_tENS8_11use_defaultESE_EEEESG_ZNS1_13binary_searchIS3_S5_NS8_10device_ptrIiEESG_SG_NS1_16binary_search_opENS9_16wrapped_functionINS8_6system6detail7generic6detail18binary_search_lessEbEEEE10hipError_tPvRmT1_T2_T3_mmT4_T5_P12ihipStream_tbEUlRKiE_EESS_SW_SX_mSY_S11_bEUlT_E_NS1_11comp_targetILNS1_3genE4ELNS1_11target_archE910ELNS1_3gpuE8ELNS1_3repE0EEENS1_30default_config_static_selectorELNS0_4arch9wavefront6targetE1EEEvSV_,comdat
	.protected	_ZN7rocprim17ROCPRIM_400000_NS6detail17trampoline_kernelINS0_14default_configENS1_29binary_search_config_selectorIiiEEZNS1_14transform_implILb0ES3_S5_N6thrust23THRUST_200600_302600_NS6detail15normal_iteratorINS8_7pointerIiNS8_11hip_rocprim5par_tENS8_11use_defaultESE_EEEESG_ZNS1_13binary_searchIS3_S5_NS8_10device_ptrIiEESG_SG_NS1_16binary_search_opENS9_16wrapped_functionINS8_6system6detail7generic6detail18binary_search_lessEbEEEE10hipError_tPvRmT1_T2_T3_mmT4_T5_P12ihipStream_tbEUlRKiE_EESS_SW_SX_mSY_S11_bEUlT_E_NS1_11comp_targetILNS1_3genE4ELNS1_11target_archE910ELNS1_3gpuE8ELNS1_3repE0EEENS1_30default_config_static_selectorELNS0_4arch9wavefront6targetE1EEEvSV_ ; -- Begin function _ZN7rocprim17ROCPRIM_400000_NS6detail17trampoline_kernelINS0_14default_configENS1_29binary_search_config_selectorIiiEEZNS1_14transform_implILb0ES3_S5_N6thrust23THRUST_200600_302600_NS6detail15normal_iteratorINS8_7pointerIiNS8_11hip_rocprim5par_tENS8_11use_defaultESE_EEEESG_ZNS1_13binary_searchIS3_S5_NS8_10device_ptrIiEESG_SG_NS1_16binary_search_opENS9_16wrapped_functionINS8_6system6detail7generic6detail18binary_search_lessEbEEEE10hipError_tPvRmT1_T2_T3_mmT4_T5_P12ihipStream_tbEUlRKiE_EESS_SW_SX_mSY_S11_bEUlT_E_NS1_11comp_targetILNS1_3genE4ELNS1_11target_archE910ELNS1_3gpuE8ELNS1_3repE0EEENS1_30default_config_static_selectorELNS0_4arch9wavefront6targetE1EEEvSV_
	.globl	_ZN7rocprim17ROCPRIM_400000_NS6detail17trampoline_kernelINS0_14default_configENS1_29binary_search_config_selectorIiiEEZNS1_14transform_implILb0ES3_S5_N6thrust23THRUST_200600_302600_NS6detail15normal_iteratorINS8_7pointerIiNS8_11hip_rocprim5par_tENS8_11use_defaultESE_EEEESG_ZNS1_13binary_searchIS3_S5_NS8_10device_ptrIiEESG_SG_NS1_16binary_search_opENS9_16wrapped_functionINS8_6system6detail7generic6detail18binary_search_lessEbEEEE10hipError_tPvRmT1_T2_T3_mmT4_T5_P12ihipStream_tbEUlRKiE_EESS_SW_SX_mSY_S11_bEUlT_E_NS1_11comp_targetILNS1_3genE4ELNS1_11target_archE910ELNS1_3gpuE8ELNS1_3repE0EEENS1_30default_config_static_selectorELNS0_4arch9wavefront6targetE1EEEvSV_
	.p2align	8
	.type	_ZN7rocprim17ROCPRIM_400000_NS6detail17trampoline_kernelINS0_14default_configENS1_29binary_search_config_selectorIiiEEZNS1_14transform_implILb0ES3_S5_N6thrust23THRUST_200600_302600_NS6detail15normal_iteratorINS8_7pointerIiNS8_11hip_rocprim5par_tENS8_11use_defaultESE_EEEESG_ZNS1_13binary_searchIS3_S5_NS8_10device_ptrIiEESG_SG_NS1_16binary_search_opENS9_16wrapped_functionINS8_6system6detail7generic6detail18binary_search_lessEbEEEE10hipError_tPvRmT1_T2_T3_mmT4_T5_P12ihipStream_tbEUlRKiE_EESS_SW_SX_mSY_S11_bEUlT_E_NS1_11comp_targetILNS1_3genE4ELNS1_11target_archE910ELNS1_3gpuE8ELNS1_3repE0EEENS1_30default_config_static_selectorELNS0_4arch9wavefront6targetE1EEEvSV_,@function
_ZN7rocprim17ROCPRIM_400000_NS6detail17trampoline_kernelINS0_14default_configENS1_29binary_search_config_selectorIiiEEZNS1_14transform_implILb0ES3_S5_N6thrust23THRUST_200600_302600_NS6detail15normal_iteratorINS8_7pointerIiNS8_11hip_rocprim5par_tENS8_11use_defaultESE_EEEESG_ZNS1_13binary_searchIS3_S5_NS8_10device_ptrIiEESG_SG_NS1_16binary_search_opENS9_16wrapped_functionINS8_6system6detail7generic6detail18binary_search_lessEbEEEE10hipError_tPvRmT1_T2_T3_mmT4_T5_P12ihipStream_tbEUlRKiE_EESS_SW_SX_mSY_S11_bEUlT_E_NS1_11comp_targetILNS1_3genE4ELNS1_11target_archE910ELNS1_3gpuE8ELNS1_3repE0EEENS1_30default_config_static_selectorELNS0_4arch9wavefront6targetE1EEEvSV_: ; @_ZN7rocprim17ROCPRIM_400000_NS6detail17trampoline_kernelINS0_14default_configENS1_29binary_search_config_selectorIiiEEZNS1_14transform_implILb0ES3_S5_N6thrust23THRUST_200600_302600_NS6detail15normal_iteratorINS8_7pointerIiNS8_11hip_rocprim5par_tENS8_11use_defaultESE_EEEESG_ZNS1_13binary_searchIS3_S5_NS8_10device_ptrIiEESG_SG_NS1_16binary_search_opENS9_16wrapped_functionINS8_6system6detail7generic6detail18binary_search_lessEbEEEE10hipError_tPvRmT1_T2_T3_mmT4_T5_P12ihipStream_tbEUlRKiE_EESS_SW_SX_mSY_S11_bEUlT_E_NS1_11comp_targetILNS1_3genE4ELNS1_11target_archE910ELNS1_3gpuE8ELNS1_3repE0EEENS1_30default_config_static_selectorELNS0_4arch9wavefront6targetE1EEEvSV_
; %bb.0:
	.section	.rodata,"a",@progbits
	.p2align	6, 0x0
	.amdhsa_kernel _ZN7rocprim17ROCPRIM_400000_NS6detail17trampoline_kernelINS0_14default_configENS1_29binary_search_config_selectorIiiEEZNS1_14transform_implILb0ES3_S5_N6thrust23THRUST_200600_302600_NS6detail15normal_iteratorINS8_7pointerIiNS8_11hip_rocprim5par_tENS8_11use_defaultESE_EEEESG_ZNS1_13binary_searchIS3_S5_NS8_10device_ptrIiEESG_SG_NS1_16binary_search_opENS9_16wrapped_functionINS8_6system6detail7generic6detail18binary_search_lessEbEEEE10hipError_tPvRmT1_T2_T3_mmT4_T5_P12ihipStream_tbEUlRKiE_EESS_SW_SX_mSY_S11_bEUlT_E_NS1_11comp_targetILNS1_3genE4ELNS1_11target_archE910ELNS1_3gpuE8ELNS1_3repE0EEENS1_30default_config_static_selectorELNS0_4arch9wavefront6targetE1EEEvSV_
		.amdhsa_group_segment_fixed_size 0
		.amdhsa_private_segment_fixed_size 0
		.amdhsa_kernarg_size 56
		.amdhsa_user_sgpr_count 6
		.amdhsa_user_sgpr_private_segment_buffer 1
		.amdhsa_user_sgpr_dispatch_ptr 0
		.amdhsa_user_sgpr_queue_ptr 0
		.amdhsa_user_sgpr_kernarg_segment_ptr 1
		.amdhsa_user_sgpr_dispatch_id 0
		.amdhsa_user_sgpr_flat_scratch_init 0
		.amdhsa_user_sgpr_private_segment_size 0
		.amdhsa_uses_dynamic_stack 0
		.amdhsa_system_sgpr_private_segment_wavefront_offset 0
		.amdhsa_system_sgpr_workgroup_id_x 1
		.amdhsa_system_sgpr_workgroup_id_y 0
		.amdhsa_system_sgpr_workgroup_id_z 0
		.amdhsa_system_sgpr_workgroup_info 0
		.amdhsa_system_vgpr_workitem_id 0
		.amdhsa_next_free_vgpr 1
		.amdhsa_next_free_sgpr 0
		.amdhsa_reserve_vcc 0
		.amdhsa_reserve_flat_scratch 0
		.amdhsa_float_round_mode_32 0
		.amdhsa_float_round_mode_16_64 0
		.amdhsa_float_denorm_mode_32 3
		.amdhsa_float_denorm_mode_16_64 3
		.amdhsa_dx10_clamp 1
		.amdhsa_ieee_mode 1
		.amdhsa_fp16_overflow 0
		.amdhsa_exception_fp_ieee_invalid_op 0
		.amdhsa_exception_fp_denorm_src 0
		.amdhsa_exception_fp_ieee_div_zero 0
		.amdhsa_exception_fp_ieee_overflow 0
		.amdhsa_exception_fp_ieee_underflow 0
		.amdhsa_exception_fp_ieee_inexact 0
		.amdhsa_exception_int_div_zero 0
	.end_amdhsa_kernel
	.section	.text._ZN7rocprim17ROCPRIM_400000_NS6detail17trampoline_kernelINS0_14default_configENS1_29binary_search_config_selectorIiiEEZNS1_14transform_implILb0ES3_S5_N6thrust23THRUST_200600_302600_NS6detail15normal_iteratorINS8_7pointerIiNS8_11hip_rocprim5par_tENS8_11use_defaultESE_EEEESG_ZNS1_13binary_searchIS3_S5_NS8_10device_ptrIiEESG_SG_NS1_16binary_search_opENS9_16wrapped_functionINS8_6system6detail7generic6detail18binary_search_lessEbEEEE10hipError_tPvRmT1_T2_T3_mmT4_T5_P12ihipStream_tbEUlRKiE_EESS_SW_SX_mSY_S11_bEUlT_E_NS1_11comp_targetILNS1_3genE4ELNS1_11target_archE910ELNS1_3gpuE8ELNS1_3repE0EEENS1_30default_config_static_selectorELNS0_4arch9wavefront6targetE1EEEvSV_,"axG",@progbits,_ZN7rocprim17ROCPRIM_400000_NS6detail17trampoline_kernelINS0_14default_configENS1_29binary_search_config_selectorIiiEEZNS1_14transform_implILb0ES3_S5_N6thrust23THRUST_200600_302600_NS6detail15normal_iteratorINS8_7pointerIiNS8_11hip_rocprim5par_tENS8_11use_defaultESE_EEEESG_ZNS1_13binary_searchIS3_S5_NS8_10device_ptrIiEESG_SG_NS1_16binary_search_opENS9_16wrapped_functionINS8_6system6detail7generic6detail18binary_search_lessEbEEEE10hipError_tPvRmT1_T2_T3_mmT4_T5_P12ihipStream_tbEUlRKiE_EESS_SW_SX_mSY_S11_bEUlT_E_NS1_11comp_targetILNS1_3genE4ELNS1_11target_archE910ELNS1_3gpuE8ELNS1_3repE0EEENS1_30default_config_static_selectorELNS0_4arch9wavefront6targetE1EEEvSV_,comdat
.Lfunc_end790:
	.size	_ZN7rocprim17ROCPRIM_400000_NS6detail17trampoline_kernelINS0_14default_configENS1_29binary_search_config_selectorIiiEEZNS1_14transform_implILb0ES3_S5_N6thrust23THRUST_200600_302600_NS6detail15normal_iteratorINS8_7pointerIiNS8_11hip_rocprim5par_tENS8_11use_defaultESE_EEEESG_ZNS1_13binary_searchIS3_S5_NS8_10device_ptrIiEESG_SG_NS1_16binary_search_opENS9_16wrapped_functionINS8_6system6detail7generic6detail18binary_search_lessEbEEEE10hipError_tPvRmT1_T2_T3_mmT4_T5_P12ihipStream_tbEUlRKiE_EESS_SW_SX_mSY_S11_bEUlT_E_NS1_11comp_targetILNS1_3genE4ELNS1_11target_archE910ELNS1_3gpuE8ELNS1_3repE0EEENS1_30default_config_static_selectorELNS0_4arch9wavefront6targetE1EEEvSV_, .Lfunc_end790-_ZN7rocprim17ROCPRIM_400000_NS6detail17trampoline_kernelINS0_14default_configENS1_29binary_search_config_selectorIiiEEZNS1_14transform_implILb0ES3_S5_N6thrust23THRUST_200600_302600_NS6detail15normal_iteratorINS8_7pointerIiNS8_11hip_rocprim5par_tENS8_11use_defaultESE_EEEESG_ZNS1_13binary_searchIS3_S5_NS8_10device_ptrIiEESG_SG_NS1_16binary_search_opENS9_16wrapped_functionINS8_6system6detail7generic6detail18binary_search_lessEbEEEE10hipError_tPvRmT1_T2_T3_mmT4_T5_P12ihipStream_tbEUlRKiE_EESS_SW_SX_mSY_S11_bEUlT_E_NS1_11comp_targetILNS1_3genE4ELNS1_11target_archE910ELNS1_3gpuE8ELNS1_3repE0EEENS1_30default_config_static_selectorELNS0_4arch9wavefront6targetE1EEEvSV_
                                        ; -- End function
	.set _ZN7rocprim17ROCPRIM_400000_NS6detail17trampoline_kernelINS0_14default_configENS1_29binary_search_config_selectorIiiEEZNS1_14transform_implILb0ES3_S5_N6thrust23THRUST_200600_302600_NS6detail15normal_iteratorINS8_7pointerIiNS8_11hip_rocprim5par_tENS8_11use_defaultESE_EEEESG_ZNS1_13binary_searchIS3_S5_NS8_10device_ptrIiEESG_SG_NS1_16binary_search_opENS9_16wrapped_functionINS8_6system6detail7generic6detail18binary_search_lessEbEEEE10hipError_tPvRmT1_T2_T3_mmT4_T5_P12ihipStream_tbEUlRKiE_EESS_SW_SX_mSY_S11_bEUlT_E_NS1_11comp_targetILNS1_3genE4ELNS1_11target_archE910ELNS1_3gpuE8ELNS1_3repE0EEENS1_30default_config_static_selectorELNS0_4arch9wavefront6targetE1EEEvSV_.num_vgpr, 0
	.set _ZN7rocprim17ROCPRIM_400000_NS6detail17trampoline_kernelINS0_14default_configENS1_29binary_search_config_selectorIiiEEZNS1_14transform_implILb0ES3_S5_N6thrust23THRUST_200600_302600_NS6detail15normal_iteratorINS8_7pointerIiNS8_11hip_rocprim5par_tENS8_11use_defaultESE_EEEESG_ZNS1_13binary_searchIS3_S5_NS8_10device_ptrIiEESG_SG_NS1_16binary_search_opENS9_16wrapped_functionINS8_6system6detail7generic6detail18binary_search_lessEbEEEE10hipError_tPvRmT1_T2_T3_mmT4_T5_P12ihipStream_tbEUlRKiE_EESS_SW_SX_mSY_S11_bEUlT_E_NS1_11comp_targetILNS1_3genE4ELNS1_11target_archE910ELNS1_3gpuE8ELNS1_3repE0EEENS1_30default_config_static_selectorELNS0_4arch9wavefront6targetE1EEEvSV_.num_agpr, 0
	.set _ZN7rocprim17ROCPRIM_400000_NS6detail17trampoline_kernelINS0_14default_configENS1_29binary_search_config_selectorIiiEEZNS1_14transform_implILb0ES3_S5_N6thrust23THRUST_200600_302600_NS6detail15normal_iteratorINS8_7pointerIiNS8_11hip_rocprim5par_tENS8_11use_defaultESE_EEEESG_ZNS1_13binary_searchIS3_S5_NS8_10device_ptrIiEESG_SG_NS1_16binary_search_opENS9_16wrapped_functionINS8_6system6detail7generic6detail18binary_search_lessEbEEEE10hipError_tPvRmT1_T2_T3_mmT4_T5_P12ihipStream_tbEUlRKiE_EESS_SW_SX_mSY_S11_bEUlT_E_NS1_11comp_targetILNS1_3genE4ELNS1_11target_archE910ELNS1_3gpuE8ELNS1_3repE0EEENS1_30default_config_static_selectorELNS0_4arch9wavefront6targetE1EEEvSV_.numbered_sgpr, 0
	.set _ZN7rocprim17ROCPRIM_400000_NS6detail17trampoline_kernelINS0_14default_configENS1_29binary_search_config_selectorIiiEEZNS1_14transform_implILb0ES3_S5_N6thrust23THRUST_200600_302600_NS6detail15normal_iteratorINS8_7pointerIiNS8_11hip_rocprim5par_tENS8_11use_defaultESE_EEEESG_ZNS1_13binary_searchIS3_S5_NS8_10device_ptrIiEESG_SG_NS1_16binary_search_opENS9_16wrapped_functionINS8_6system6detail7generic6detail18binary_search_lessEbEEEE10hipError_tPvRmT1_T2_T3_mmT4_T5_P12ihipStream_tbEUlRKiE_EESS_SW_SX_mSY_S11_bEUlT_E_NS1_11comp_targetILNS1_3genE4ELNS1_11target_archE910ELNS1_3gpuE8ELNS1_3repE0EEENS1_30default_config_static_selectorELNS0_4arch9wavefront6targetE1EEEvSV_.num_named_barrier, 0
	.set _ZN7rocprim17ROCPRIM_400000_NS6detail17trampoline_kernelINS0_14default_configENS1_29binary_search_config_selectorIiiEEZNS1_14transform_implILb0ES3_S5_N6thrust23THRUST_200600_302600_NS6detail15normal_iteratorINS8_7pointerIiNS8_11hip_rocprim5par_tENS8_11use_defaultESE_EEEESG_ZNS1_13binary_searchIS3_S5_NS8_10device_ptrIiEESG_SG_NS1_16binary_search_opENS9_16wrapped_functionINS8_6system6detail7generic6detail18binary_search_lessEbEEEE10hipError_tPvRmT1_T2_T3_mmT4_T5_P12ihipStream_tbEUlRKiE_EESS_SW_SX_mSY_S11_bEUlT_E_NS1_11comp_targetILNS1_3genE4ELNS1_11target_archE910ELNS1_3gpuE8ELNS1_3repE0EEENS1_30default_config_static_selectorELNS0_4arch9wavefront6targetE1EEEvSV_.private_seg_size, 0
	.set _ZN7rocprim17ROCPRIM_400000_NS6detail17trampoline_kernelINS0_14default_configENS1_29binary_search_config_selectorIiiEEZNS1_14transform_implILb0ES3_S5_N6thrust23THRUST_200600_302600_NS6detail15normal_iteratorINS8_7pointerIiNS8_11hip_rocprim5par_tENS8_11use_defaultESE_EEEESG_ZNS1_13binary_searchIS3_S5_NS8_10device_ptrIiEESG_SG_NS1_16binary_search_opENS9_16wrapped_functionINS8_6system6detail7generic6detail18binary_search_lessEbEEEE10hipError_tPvRmT1_T2_T3_mmT4_T5_P12ihipStream_tbEUlRKiE_EESS_SW_SX_mSY_S11_bEUlT_E_NS1_11comp_targetILNS1_3genE4ELNS1_11target_archE910ELNS1_3gpuE8ELNS1_3repE0EEENS1_30default_config_static_selectorELNS0_4arch9wavefront6targetE1EEEvSV_.uses_vcc, 0
	.set _ZN7rocprim17ROCPRIM_400000_NS6detail17trampoline_kernelINS0_14default_configENS1_29binary_search_config_selectorIiiEEZNS1_14transform_implILb0ES3_S5_N6thrust23THRUST_200600_302600_NS6detail15normal_iteratorINS8_7pointerIiNS8_11hip_rocprim5par_tENS8_11use_defaultESE_EEEESG_ZNS1_13binary_searchIS3_S5_NS8_10device_ptrIiEESG_SG_NS1_16binary_search_opENS9_16wrapped_functionINS8_6system6detail7generic6detail18binary_search_lessEbEEEE10hipError_tPvRmT1_T2_T3_mmT4_T5_P12ihipStream_tbEUlRKiE_EESS_SW_SX_mSY_S11_bEUlT_E_NS1_11comp_targetILNS1_3genE4ELNS1_11target_archE910ELNS1_3gpuE8ELNS1_3repE0EEENS1_30default_config_static_selectorELNS0_4arch9wavefront6targetE1EEEvSV_.uses_flat_scratch, 0
	.set _ZN7rocprim17ROCPRIM_400000_NS6detail17trampoline_kernelINS0_14default_configENS1_29binary_search_config_selectorIiiEEZNS1_14transform_implILb0ES3_S5_N6thrust23THRUST_200600_302600_NS6detail15normal_iteratorINS8_7pointerIiNS8_11hip_rocprim5par_tENS8_11use_defaultESE_EEEESG_ZNS1_13binary_searchIS3_S5_NS8_10device_ptrIiEESG_SG_NS1_16binary_search_opENS9_16wrapped_functionINS8_6system6detail7generic6detail18binary_search_lessEbEEEE10hipError_tPvRmT1_T2_T3_mmT4_T5_P12ihipStream_tbEUlRKiE_EESS_SW_SX_mSY_S11_bEUlT_E_NS1_11comp_targetILNS1_3genE4ELNS1_11target_archE910ELNS1_3gpuE8ELNS1_3repE0EEENS1_30default_config_static_selectorELNS0_4arch9wavefront6targetE1EEEvSV_.has_dyn_sized_stack, 0
	.set _ZN7rocprim17ROCPRIM_400000_NS6detail17trampoline_kernelINS0_14default_configENS1_29binary_search_config_selectorIiiEEZNS1_14transform_implILb0ES3_S5_N6thrust23THRUST_200600_302600_NS6detail15normal_iteratorINS8_7pointerIiNS8_11hip_rocprim5par_tENS8_11use_defaultESE_EEEESG_ZNS1_13binary_searchIS3_S5_NS8_10device_ptrIiEESG_SG_NS1_16binary_search_opENS9_16wrapped_functionINS8_6system6detail7generic6detail18binary_search_lessEbEEEE10hipError_tPvRmT1_T2_T3_mmT4_T5_P12ihipStream_tbEUlRKiE_EESS_SW_SX_mSY_S11_bEUlT_E_NS1_11comp_targetILNS1_3genE4ELNS1_11target_archE910ELNS1_3gpuE8ELNS1_3repE0EEENS1_30default_config_static_selectorELNS0_4arch9wavefront6targetE1EEEvSV_.has_recursion, 0
	.set _ZN7rocprim17ROCPRIM_400000_NS6detail17trampoline_kernelINS0_14default_configENS1_29binary_search_config_selectorIiiEEZNS1_14transform_implILb0ES3_S5_N6thrust23THRUST_200600_302600_NS6detail15normal_iteratorINS8_7pointerIiNS8_11hip_rocprim5par_tENS8_11use_defaultESE_EEEESG_ZNS1_13binary_searchIS3_S5_NS8_10device_ptrIiEESG_SG_NS1_16binary_search_opENS9_16wrapped_functionINS8_6system6detail7generic6detail18binary_search_lessEbEEEE10hipError_tPvRmT1_T2_T3_mmT4_T5_P12ihipStream_tbEUlRKiE_EESS_SW_SX_mSY_S11_bEUlT_E_NS1_11comp_targetILNS1_3genE4ELNS1_11target_archE910ELNS1_3gpuE8ELNS1_3repE0EEENS1_30default_config_static_selectorELNS0_4arch9wavefront6targetE1EEEvSV_.has_indirect_call, 0
	.section	.AMDGPU.csdata,"",@progbits
; Kernel info:
; codeLenInByte = 0
; TotalNumSgprs: 4
; NumVgprs: 0
; ScratchSize: 0
; MemoryBound: 0
; FloatMode: 240
; IeeeMode: 1
; LDSByteSize: 0 bytes/workgroup (compile time only)
; SGPRBlocks: 0
; VGPRBlocks: 0
; NumSGPRsForWavesPerEU: 4
; NumVGPRsForWavesPerEU: 1
; Occupancy: 10
; WaveLimiterHint : 0
; COMPUTE_PGM_RSRC2:SCRATCH_EN: 0
; COMPUTE_PGM_RSRC2:USER_SGPR: 6
; COMPUTE_PGM_RSRC2:TRAP_HANDLER: 0
; COMPUTE_PGM_RSRC2:TGID_X_EN: 1
; COMPUTE_PGM_RSRC2:TGID_Y_EN: 0
; COMPUTE_PGM_RSRC2:TGID_Z_EN: 0
; COMPUTE_PGM_RSRC2:TIDIG_COMP_CNT: 0
	.section	.text._ZN7rocprim17ROCPRIM_400000_NS6detail17trampoline_kernelINS0_14default_configENS1_29binary_search_config_selectorIiiEEZNS1_14transform_implILb0ES3_S5_N6thrust23THRUST_200600_302600_NS6detail15normal_iteratorINS8_7pointerIiNS8_11hip_rocprim5par_tENS8_11use_defaultESE_EEEESG_ZNS1_13binary_searchIS3_S5_NS8_10device_ptrIiEESG_SG_NS1_16binary_search_opENS9_16wrapped_functionINS8_6system6detail7generic6detail18binary_search_lessEbEEEE10hipError_tPvRmT1_T2_T3_mmT4_T5_P12ihipStream_tbEUlRKiE_EESS_SW_SX_mSY_S11_bEUlT_E_NS1_11comp_targetILNS1_3genE3ELNS1_11target_archE908ELNS1_3gpuE7ELNS1_3repE0EEENS1_30default_config_static_selectorELNS0_4arch9wavefront6targetE1EEEvSV_,"axG",@progbits,_ZN7rocprim17ROCPRIM_400000_NS6detail17trampoline_kernelINS0_14default_configENS1_29binary_search_config_selectorIiiEEZNS1_14transform_implILb0ES3_S5_N6thrust23THRUST_200600_302600_NS6detail15normal_iteratorINS8_7pointerIiNS8_11hip_rocprim5par_tENS8_11use_defaultESE_EEEESG_ZNS1_13binary_searchIS3_S5_NS8_10device_ptrIiEESG_SG_NS1_16binary_search_opENS9_16wrapped_functionINS8_6system6detail7generic6detail18binary_search_lessEbEEEE10hipError_tPvRmT1_T2_T3_mmT4_T5_P12ihipStream_tbEUlRKiE_EESS_SW_SX_mSY_S11_bEUlT_E_NS1_11comp_targetILNS1_3genE3ELNS1_11target_archE908ELNS1_3gpuE7ELNS1_3repE0EEENS1_30default_config_static_selectorELNS0_4arch9wavefront6targetE1EEEvSV_,comdat
	.protected	_ZN7rocprim17ROCPRIM_400000_NS6detail17trampoline_kernelINS0_14default_configENS1_29binary_search_config_selectorIiiEEZNS1_14transform_implILb0ES3_S5_N6thrust23THRUST_200600_302600_NS6detail15normal_iteratorINS8_7pointerIiNS8_11hip_rocprim5par_tENS8_11use_defaultESE_EEEESG_ZNS1_13binary_searchIS3_S5_NS8_10device_ptrIiEESG_SG_NS1_16binary_search_opENS9_16wrapped_functionINS8_6system6detail7generic6detail18binary_search_lessEbEEEE10hipError_tPvRmT1_T2_T3_mmT4_T5_P12ihipStream_tbEUlRKiE_EESS_SW_SX_mSY_S11_bEUlT_E_NS1_11comp_targetILNS1_3genE3ELNS1_11target_archE908ELNS1_3gpuE7ELNS1_3repE0EEENS1_30default_config_static_selectorELNS0_4arch9wavefront6targetE1EEEvSV_ ; -- Begin function _ZN7rocprim17ROCPRIM_400000_NS6detail17trampoline_kernelINS0_14default_configENS1_29binary_search_config_selectorIiiEEZNS1_14transform_implILb0ES3_S5_N6thrust23THRUST_200600_302600_NS6detail15normal_iteratorINS8_7pointerIiNS8_11hip_rocprim5par_tENS8_11use_defaultESE_EEEESG_ZNS1_13binary_searchIS3_S5_NS8_10device_ptrIiEESG_SG_NS1_16binary_search_opENS9_16wrapped_functionINS8_6system6detail7generic6detail18binary_search_lessEbEEEE10hipError_tPvRmT1_T2_T3_mmT4_T5_P12ihipStream_tbEUlRKiE_EESS_SW_SX_mSY_S11_bEUlT_E_NS1_11comp_targetILNS1_3genE3ELNS1_11target_archE908ELNS1_3gpuE7ELNS1_3repE0EEENS1_30default_config_static_selectorELNS0_4arch9wavefront6targetE1EEEvSV_
	.globl	_ZN7rocprim17ROCPRIM_400000_NS6detail17trampoline_kernelINS0_14default_configENS1_29binary_search_config_selectorIiiEEZNS1_14transform_implILb0ES3_S5_N6thrust23THRUST_200600_302600_NS6detail15normal_iteratorINS8_7pointerIiNS8_11hip_rocprim5par_tENS8_11use_defaultESE_EEEESG_ZNS1_13binary_searchIS3_S5_NS8_10device_ptrIiEESG_SG_NS1_16binary_search_opENS9_16wrapped_functionINS8_6system6detail7generic6detail18binary_search_lessEbEEEE10hipError_tPvRmT1_T2_T3_mmT4_T5_P12ihipStream_tbEUlRKiE_EESS_SW_SX_mSY_S11_bEUlT_E_NS1_11comp_targetILNS1_3genE3ELNS1_11target_archE908ELNS1_3gpuE7ELNS1_3repE0EEENS1_30default_config_static_selectorELNS0_4arch9wavefront6targetE1EEEvSV_
	.p2align	8
	.type	_ZN7rocprim17ROCPRIM_400000_NS6detail17trampoline_kernelINS0_14default_configENS1_29binary_search_config_selectorIiiEEZNS1_14transform_implILb0ES3_S5_N6thrust23THRUST_200600_302600_NS6detail15normal_iteratorINS8_7pointerIiNS8_11hip_rocprim5par_tENS8_11use_defaultESE_EEEESG_ZNS1_13binary_searchIS3_S5_NS8_10device_ptrIiEESG_SG_NS1_16binary_search_opENS9_16wrapped_functionINS8_6system6detail7generic6detail18binary_search_lessEbEEEE10hipError_tPvRmT1_T2_T3_mmT4_T5_P12ihipStream_tbEUlRKiE_EESS_SW_SX_mSY_S11_bEUlT_E_NS1_11comp_targetILNS1_3genE3ELNS1_11target_archE908ELNS1_3gpuE7ELNS1_3repE0EEENS1_30default_config_static_selectorELNS0_4arch9wavefront6targetE1EEEvSV_,@function
_ZN7rocprim17ROCPRIM_400000_NS6detail17trampoline_kernelINS0_14default_configENS1_29binary_search_config_selectorIiiEEZNS1_14transform_implILb0ES3_S5_N6thrust23THRUST_200600_302600_NS6detail15normal_iteratorINS8_7pointerIiNS8_11hip_rocprim5par_tENS8_11use_defaultESE_EEEESG_ZNS1_13binary_searchIS3_S5_NS8_10device_ptrIiEESG_SG_NS1_16binary_search_opENS9_16wrapped_functionINS8_6system6detail7generic6detail18binary_search_lessEbEEEE10hipError_tPvRmT1_T2_T3_mmT4_T5_P12ihipStream_tbEUlRKiE_EESS_SW_SX_mSY_S11_bEUlT_E_NS1_11comp_targetILNS1_3genE3ELNS1_11target_archE908ELNS1_3gpuE7ELNS1_3repE0EEENS1_30default_config_static_selectorELNS0_4arch9wavefront6targetE1EEEvSV_: ; @_ZN7rocprim17ROCPRIM_400000_NS6detail17trampoline_kernelINS0_14default_configENS1_29binary_search_config_selectorIiiEEZNS1_14transform_implILb0ES3_S5_N6thrust23THRUST_200600_302600_NS6detail15normal_iteratorINS8_7pointerIiNS8_11hip_rocprim5par_tENS8_11use_defaultESE_EEEESG_ZNS1_13binary_searchIS3_S5_NS8_10device_ptrIiEESG_SG_NS1_16binary_search_opENS9_16wrapped_functionINS8_6system6detail7generic6detail18binary_search_lessEbEEEE10hipError_tPvRmT1_T2_T3_mmT4_T5_P12ihipStream_tbEUlRKiE_EESS_SW_SX_mSY_S11_bEUlT_E_NS1_11comp_targetILNS1_3genE3ELNS1_11target_archE908ELNS1_3gpuE7ELNS1_3repE0EEENS1_30default_config_static_selectorELNS0_4arch9wavefront6targetE1EEEvSV_
; %bb.0:
	.section	.rodata,"a",@progbits
	.p2align	6, 0x0
	.amdhsa_kernel _ZN7rocprim17ROCPRIM_400000_NS6detail17trampoline_kernelINS0_14default_configENS1_29binary_search_config_selectorIiiEEZNS1_14transform_implILb0ES3_S5_N6thrust23THRUST_200600_302600_NS6detail15normal_iteratorINS8_7pointerIiNS8_11hip_rocprim5par_tENS8_11use_defaultESE_EEEESG_ZNS1_13binary_searchIS3_S5_NS8_10device_ptrIiEESG_SG_NS1_16binary_search_opENS9_16wrapped_functionINS8_6system6detail7generic6detail18binary_search_lessEbEEEE10hipError_tPvRmT1_T2_T3_mmT4_T5_P12ihipStream_tbEUlRKiE_EESS_SW_SX_mSY_S11_bEUlT_E_NS1_11comp_targetILNS1_3genE3ELNS1_11target_archE908ELNS1_3gpuE7ELNS1_3repE0EEENS1_30default_config_static_selectorELNS0_4arch9wavefront6targetE1EEEvSV_
		.amdhsa_group_segment_fixed_size 0
		.amdhsa_private_segment_fixed_size 0
		.amdhsa_kernarg_size 56
		.amdhsa_user_sgpr_count 6
		.amdhsa_user_sgpr_private_segment_buffer 1
		.amdhsa_user_sgpr_dispatch_ptr 0
		.amdhsa_user_sgpr_queue_ptr 0
		.amdhsa_user_sgpr_kernarg_segment_ptr 1
		.amdhsa_user_sgpr_dispatch_id 0
		.amdhsa_user_sgpr_flat_scratch_init 0
		.amdhsa_user_sgpr_private_segment_size 0
		.amdhsa_uses_dynamic_stack 0
		.amdhsa_system_sgpr_private_segment_wavefront_offset 0
		.amdhsa_system_sgpr_workgroup_id_x 1
		.amdhsa_system_sgpr_workgroup_id_y 0
		.amdhsa_system_sgpr_workgroup_id_z 0
		.amdhsa_system_sgpr_workgroup_info 0
		.amdhsa_system_vgpr_workitem_id 0
		.amdhsa_next_free_vgpr 1
		.amdhsa_next_free_sgpr 0
		.amdhsa_reserve_vcc 0
		.amdhsa_reserve_flat_scratch 0
		.amdhsa_float_round_mode_32 0
		.amdhsa_float_round_mode_16_64 0
		.amdhsa_float_denorm_mode_32 3
		.amdhsa_float_denorm_mode_16_64 3
		.amdhsa_dx10_clamp 1
		.amdhsa_ieee_mode 1
		.amdhsa_fp16_overflow 0
		.amdhsa_exception_fp_ieee_invalid_op 0
		.amdhsa_exception_fp_denorm_src 0
		.amdhsa_exception_fp_ieee_div_zero 0
		.amdhsa_exception_fp_ieee_overflow 0
		.amdhsa_exception_fp_ieee_underflow 0
		.amdhsa_exception_fp_ieee_inexact 0
		.amdhsa_exception_int_div_zero 0
	.end_amdhsa_kernel
	.section	.text._ZN7rocprim17ROCPRIM_400000_NS6detail17trampoline_kernelINS0_14default_configENS1_29binary_search_config_selectorIiiEEZNS1_14transform_implILb0ES3_S5_N6thrust23THRUST_200600_302600_NS6detail15normal_iteratorINS8_7pointerIiNS8_11hip_rocprim5par_tENS8_11use_defaultESE_EEEESG_ZNS1_13binary_searchIS3_S5_NS8_10device_ptrIiEESG_SG_NS1_16binary_search_opENS9_16wrapped_functionINS8_6system6detail7generic6detail18binary_search_lessEbEEEE10hipError_tPvRmT1_T2_T3_mmT4_T5_P12ihipStream_tbEUlRKiE_EESS_SW_SX_mSY_S11_bEUlT_E_NS1_11comp_targetILNS1_3genE3ELNS1_11target_archE908ELNS1_3gpuE7ELNS1_3repE0EEENS1_30default_config_static_selectorELNS0_4arch9wavefront6targetE1EEEvSV_,"axG",@progbits,_ZN7rocprim17ROCPRIM_400000_NS6detail17trampoline_kernelINS0_14default_configENS1_29binary_search_config_selectorIiiEEZNS1_14transform_implILb0ES3_S5_N6thrust23THRUST_200600_302600_NS6detail15normal_iteratorINS8_7pointerIiNS8_11hip_rocprim5par_tENS8_11use_defaultESE_EEEESG_ZNS1_13binary_searchIS3_S5_NS8_10device_ptrIiEESG_SG_NS1_16binary_search_opENS9_16wrapped_functionINS8_6system6detail7generic6detail18binary_search_lessEbEEEE10hipError_tPvRmT1_T2_T3_mmT4_T5_P12ihipStream_tbEUlRKiE_EESS_SW_SX_mSY_S11_bEUlT_E_NS1_11comp_targetILNS1_3genE3ELNS1_11target_archE908ELNS1_3gpuE7ELNS1_3repE0EEENS1_30default_config_static_selectorELNS0_4arch9wavefront6targetE1EEEvSV_,comdat
.Lfunc_end791:
	.size	_ZN7rocprim17ROCPRIM_400000_NS6detail17trampoline_kernelINS0_14default_configENS1_29binary_search_config_selectorIiiEEZNS1_14transform_implILb0ES3_S5_N6thrust23THRUST_200600_302600_NS6detail15normal_iteratorINS8_7pointerIiNS8_11hip_rocprim5par_tENS8_11use_defaultESE_EEEESG_ZNS1_13binary_searchIS3_S5_NS8_10device_ptrIiEESG_SG_NS1_16binary_search_opENS9_16wrapped_functionINS8_6system6detail7generic6detail18binary_search_lessEbEEEE10hipError_tPvRmT1_T2_T3_mmT4_T5_P12ihipStream_tbEUlRKiE_EESS_SW_SX_mSY_S11_bEUlT_E_NS1_11comp_targetILNS1_3genE3ELNS1_11target_archE908ELNS1_3gpuE7ELNS1_3repE0EEENS1_30default_config_static_selectorELNS0_4arch9wavefront6targetE1EEEvSV_, .Lfunc_end791-_ZN7rocprim17ROCPRIM_400000_NS6detail17trampoline_kernelINS0_14default_configENS1_29binary_search_config_selectorIiiEEZNS1_14transform_implILb0ES3_S5_N6thrust23THRUST_200600_302600_NS6detail15normal_iteratorINS8_7pointerIiNS8_11hip_rocprim5par_tENS8_11use_defaultESE_EEEESG_ZNS1_13binary_searchIS3_S5_NS8_10device_ptrIiEESG_SG_NS1_16binary_search_opENS9_16wrapped_functionINS8_6system6detail7generic6detail18binary_search_lessEbEEEE10hipError_tPvRmT1_T2_T3_mmT4_T5_P12ihipStream_tbEUlRKiE_EESS_SW_SX_mSY_S11_bEUlT_E_NS1_11comp_targetILNS1_3genE3ELNS1_11target_archE908ELNS1_3gpuE7ELNS1_3repE0EEENS1_30default_config_static_selectorELNS0_4arch9wavefront6targetE1EEEvSV_
                                        ; -- End function
	.set _ZN7rocprim17ROCPRIM_400000_NS6detail17trampoline_kernelINS0_14default_configENS1_29binary_search_config_selectorIiiEEZNS1_14transform_implILb0ES3_S5_N6thrust23THRUST_200600_302600_NS6detail15normal_iteratorINS8_7pointerIiNS8_11hip_rocprim5par_tENS8_11use_defaultESE_EEEESG_ZNS1_13binary_searchIS3_S5_NS8_10device_ptrIiEESG_SG_NS1_16binary_search_opENS9_16wrapped_functionINS8_6system6detail7generic6detail18binary_search_lessEbEEEE10hipError_tPvRmT1_T2_T3_mmT4_T5_P12ihipStream_tbEUlRKiE_EESS_SW_SX_mSY_S11_bEUlT_E_NS1_11comp_targetILNS1_3genE3ELNS1_11target_archE908ELNS1_3gpuE7ELNS1_3repE0EEENS1_30default_config_static_selectorELNS0_4arch9wavefront6targetE1EEEvSV_.num_vgpr, 0
	.set _ZN7rocprim17ROCPRIM_400000_NS6detail17trampoline_kernelINS0_14default_configENS1_29binary_search_config_selectorIiiEEZNS1_14transform_implILb0ES3_S5_N6thrust23THRUST_200600_302600_NS6detail15normal_iteratorINS8_7pointerIiNS8_11hip_rocprim5par_tENS8_11use_defaultESE_EEEESG_ZNS1_13binary_searchIS3_S5_NS8_10device_ptrIiEESG_SG_NS1_16binary_search_opENS9_16wrapped_functionINS8_6system6detail7generic6detail18binary_search_lessEbEEEE10hipError_tPvRmT1_T2_T3_mmT4_T5_P12ihipStream_tbEUlRKiE_EESS_SW_SX_mSY_S11_bEUlT_E_NS1_11comp_targetILNS1_3genE3ELNS1_11target_archE908ELNS1_3gpuE7ELNS1_3repE0EEENS1_30default_config_static_selectorELNS0_4arch9wavefront6targetE1EEEvSV_.num_agpr, 0
	.set _ZN7rocprim17ROCPRIM_400000_NS6detail17trampoline_kernelINS0_14default_configENS1_29binary_search_config_selectorIiiEEZNS1_14transform_implILb0ES3_S5_N6thrust23THRUST_200600_302600_NS6detail15normal_iteratorINS8_7pointerIiNS8_11hip_rocprim5par_tENS8_11use_defaultESE_EEEESG_ZNS1_13binary_searchIS3_S5_NS8_10device_ptrIiEESG_SG_NS1_16binary_search_opENS9_16wrapped_functionINS8_6system6detail7generic6detail18binary_search_lessEbEEEE10hipError_tPvRmT1_T2_T3_mmT4_T5_P12ihipStream_tbEUlRKiE_EESS_SW_SX_mSY_S11_bEUlT_E_NS1_11comp_targetILNS1_3genE3ELNS1_11target_archE908ELNS1_3gpuE7ELNS1_3repE0EEENS1_30default_config_static_selectorELNS0_4arch9wavefront6targetE1EEEvSV_.numbered_sgpr, 0
	.set _ZN7rocprim17ROCPRIM_400000_NS6detail17trampoline_kernelINS0_14default_configENS1_29binary_search_config_selectorIiiEEZNS1_14transform_implILb0ES3_S5_N6thrust23THRUST_200600_302600_NS6detail15normal_iteratorINS8_7pointerIiNS8_11hip_rocprim5par_tENS8_11use_defaultESE_EEEESG_ZNS1_13binary_searchIS3_S5_NS8_10device_ptrIiEESG_SG_NS1_16binary_search_opENS9_16wrapped_functionINS8_6system6detail7generic6detail18binary_search_lessEbEEEE10hipError_tPvRmT1_T2_T3_mmT4_T5_P12ihipStream_tbEUlRKiE_EESS_SW_SX_mSY_S11_bEUlT_E_NS1_11comp_targetILNS1_3genE3ELNS1_11target_archE908ELNS1_3gpuE7ELNS1_3repE0EEENS1_30default_config_static_selectorELNS0_4arch9wavefront6targetE1EEEvSV_.num_named_barrier, 0
	.set _ZN7rocprim17ROCPRIM_400000_NS6detail17trampoline_kernelINS0_14default_configENS1_29binary_search_config_selectorIiiEEZNS1_14transform_implILb0ES3_S5_N6thrust23THRUST_200600_302600_NS6detail15normal_iteratorINS8_7pointerIiNS8_11hip_rocprim5par_tENS8_11use_defaultESE_EEEESG_ZNS1_13binary_searchIS3_S5_NS8_10device_ptrIiEESG_SG_NS1_16binary_search_opENS9_16wrapped_functionINS8_6system6detail7generic6detail18binary_search_lessEbEEEE10hipError_tPvRmT1_T2_T3_mmT4_T5_P12ihipStream_tbEUlRKiE_EESS_SW_SX_mSY_S11_bEUlT_E_NS1_11comp_targetILNS1_3genE3ELNS1_11target_archE908ELNS1_3gpuE7ELNS1_3repE0EEENS1_30default_config_static_selectorELNS0_4arch9wavefront6targetE1EEEvSV_.private_seg_size, 0
	.set _ZN7rocprim17ROCPRIM_400000_NS6detail17trampoline_kernelINS0_14default_configENS1_29binary_search_config_selectorIiiEEZNS1_14transform_implILb0ES3_S5_N6thrust23THRUST_200600_302600_NS6detail15normal_iteratorINS8_7pointerIiNS8_11hip_rocprim5par_tENS8_11use_defaultESE_EEEESG_ZNS1_13binary_searchIS3_S5_NS8_10device_ptrIiEESG_SG_NS1_16binary_search_opENS9_16wrapped_functionINS8_6system6detail7generic6detail18binary_search_lessEbEEEE10hipError_tPvRmT1_T2_T3_mmT4_T5_P12ihipStream_tbEUlRKiE_EESS_SW_SX_mSY_S11_bEUlT_E_NS1_11comp_targetILNS1_3genE3ELNS1_11target_archE908ELNS1_3gpuE7ELNS1_3repE0EEENS1_30default_config_static_selectorELNS0_4arch9wavefront6targetE1EEEvSV_.uses_vcc, 0
	.set _ZN7rocprim17ROCPRIM_400000_NS6detail17trampoline_kernelINS0_14default_configENS1_29binary_search_config_selectorIiiEEZNS1_14transform_implILb0ES3_S5_N6thrust23THRUST_200600_302600_NS6detail15normal_iteratorINS8_7pointerIiNS8_11hip_rocprim5par_tENS8_11use_defaultESE_EEEESG_ZNS1_13binary_searchIS3_S5_NS8_10device_ptrIiEESG_SG_NS1_16binary_search_opENS9_16wrapped_functionINS8_6system6detail7generic6detail18binary_search_lessEbEEEE10hipError_tPvRmT1_T2_T3_mmT4_T5_P12ihipStream_tbEUlRKiE_EESS_SW_SX_mSY_S11_bEUlT_E_NS1_11comp_targetILNS1_3genE3ELNS1_11target_archE908ELNS1_3gpuE7ELNS1_3repE0EEENS1_30default_config_static_selectorELNS0_4arch9wavefront6targetE1EEEvSV_.uses_flat_scratch, 0
	.set _ZN7rocprim17ROCPRIM_400000_NS6detail17trampoline_kernelINS0_14default_configENS1_29binary_search_config_selectorIiiEEZNS1_14transform_implILb0ES3_S5_N6thrust23THRUST_200600_302600_NS6detail15normal_iteratorINS8_7pointerIiNS8_11hip_rocprim5par_tENS8_11use_defaultESE_EEEESG_ZNS1_13binary_searchIS3_S5_NS8_10device_ptrIiEESG_SG_NS1_16binary_search_opENS9_16wrapped_functionINS8_6system6detail7generic6detail18binary_search_lessEbEEEE10hipError_tPvRmT1_T2_T3_mmT4_T5_P12ihipStream_tbEUlRKiE_EESS_SW_SX_mSY_S11_bEUlT_E_NS1_11comp_targetILNS1_3genE3ELNS1_11target_archE908ELNS1_3gpuE7ELNS1_3repE0EEENS1_30default_config_static_selectorELNS0_4arch9wavefront6targetE1EEEvSV_.has_dyn_sized_stack, 0
	.set _ZN7rocprim17ROCPRIM_400000_NS6detail17trampoline_kernelINS0_14default_configENS1_29binary_search_config_selectorIiiEEZNS1_14transform_implILb0ES3_S5_N6thrust23THRUST_200600_302600_NS6detail15normal_iteratorINS8_7pointerIiNS8_11hip_rocprim5par_tENS8_11use_defaultESE_EEEESG_ZNS1_13binary_searchIS3_S5_NS8_10device_ptrIiEESG_SG_NS1_16binary_search_opENS9_16wrapped_functionINS8_6system6detail7generic6detail18binary_search_lessEbEEEE10hipError_tPvRmT1_T2_T3_mmT4_T5_P12ihipStream_tbEUlRKiE_EESS_SW_SX_mSY_S11_bEUlT_E_NS1_11comp_targetILNS1_3genE3ELNS1_11target_archE908ELNS1_3gpuE7ELNS1_3repE0EEENS1_30default_config_static_selectorELNS0_4arch9wavefront6targetE1EEEvSV_.has_recursion, 0
	.set _ZN7rocprim17ROCPRIM_400000_NS6detail17trampoline_kernelINS0_14default_configENS1_29binary_search_config_selectorIiiEEZNS1_14transform_implILb0ES3_S5_N6thrust23THRUST_200600_302600_NS6detail15normal_iteratorINS8_7pointerIiNS8_11hip_rocprim5par_tENS8_11use_defaultESE_EEEESG_ZNS1_13binary_searchIS3_S5_NS8_10device_ptrIiEESG_SG_NS1_16binary_search_opENS9_16wrapped_functionINS8_6system6detail7generic6detail18binary_search_lessEbEEEE10hipError_tPvRmT1_T2_T3_mmT4_T5_P12ihipStream_tbEUlRKiE_EESS_SW_SX_mSY_S11_bEUlT_E_NS1_11comp_targetILNS1_3genE3ELNS1_11target_archE908ELNS1_3gpuE7ELNS1_3repE0EEENS1_30default_config_static_selectorELNS0_4arch9wavefront6targetE1EEEvSV_.has_indirect_call, 0
	.section	.AMDGPU.csdata,"",@progbits
; Kernel info:
; codeLenInByte = 0
; TotalNumSgprs: 4
; NumVgprs: 0
; ScratchSize: 0
; MemoryBound: 0
; FloatMode: 240
; IeeeMode: 1
; LDSByteSize: 0 bytes/workgroup (compile time only)
; SGPRBlocks: 0
; VGPRBlocks: 0
; NumSGPRsForWavesPerEU: 4
; NumVGPRsForWavesPerEU: 1
; Occupancy: 10
; WaveLimiterHint : 0
; COMPUTE_PGM_RSRC2:SCRATCH_EN: 0
; COMPUTE_PGM_RSRC2:USER_SGPR: 6
; COMPUTE_PGM_RSRC2:TRAP_HANDLER: 0
; COMPUTE_PGM_RSRC2:TGID_X_EN: 1
; COMPUTE_PGM_RSRC2:TGID_Y_EN: 0
; COMPUTE_PGM_RSRC2:TGID_Z_EN: 0
; COMPUTE_PGM_RSRC2:TIDIG_COMP_CNT: 0
	.section	.text._ZN7rocprim17ROCPRIM_400000_NS6detail17trampoline_kernelINS0_14default_configENS1_29binary_search_config_selectorIiiEEZNS1_14transform_implILb0ES3_S5_N6thrust23THRUST_200600_302600_NS6detail15normal_iteratorINS8_7pointerIiNS8_11hip_rocprim5par_tENS8_11use_defaultESE_EEEESG_ZNS1_13binary_searchIS3_S5_NS8_10device_ptrIiEESG_SG_NS1_16binary_search_opENS9_16wrapped_functionINS8_6system6detail7generic6detail18binary_search_lessEbEEEE10hipError_tPvRmT1_T2_T3_mmT4_T5_P12ihipStream_tbEUlRKiE_EESS_SW_SX_mSY_S11_bEUlT_E_NS1_11comp_targetILNS1_3genE2ELNS1_11target_archE906ELNS1_3gpuE6ELNS1_3repE0EEENS1_30default_config_static_selectorELNS0_4arch9wavefront6targetE1EEEvSV_,"axG",@progbits,_ZN7rocprim17ROCPRIM_400000_NS6detail17trampoline_kernelINS0_14default_configENS1_29binary_search_config_selectorIiiEEZNS1_14transform_implILb0ES3_S5_N6thrust23THRUST_200600_302600_NS6detail15normal_iteratorINS8_7pointerIiNS8_11hip_rocprim5par_tENS8_11use_defaultESE_EEEESG_ZNS1_13binary_searchIS3_S5_NS8_10device_ptrIiEESG_SG_NS1_16binary_search_opENS9_16wrapped_functionINS8_6system6detail7generic6detail18binary_search_lessEbEEEE10hipError_tPvRmT1_T2_T3_mmT4_T5_P12ihipStream_tbEUlRKiE_EESS_SW_SX_mSY_S11_bEUlT_E_NS1_11comp_targetILNS1_3genE2ELNS1_11target_archE906ELNS1_3gpuE6ELNS1_3repE0EEENS1_30default_config_static_selectorELNS0_4arch9wavefront6targetE1EEEvSV_,comdat
	.protected	_ZN7rocprim17ROCPRIM_400000_NS6detail17trampoline_kernelINS0_14default_configENS1_29binary_search_config_selectorIiiEEZNS1_14transform_implILb0ES3_S5_N6thrust23THRUST_200600_302600_NS6detail15normal_iteratorINS8_7pointerIiNS8_11hip_rocprim5par_tENS8_11use_defaultESE_EEEESG_ZNS1_13binary_searchIS3_S5_NS8_10device_ptrIiEESG_SG_NS1_16binary_search_opENS9_16wrapped_functionINS8_6system6detail7generic6detail18binary_search_lessEbEEEE10hipError_tPvRmT1_T2_T3_mmT4_T5_P12ihipStream_tbEUlRKiE_EESS_SW_SX_mSY_S11_bEUlT_E_NS1_11comp_targetILNS1_3genE2ELNS1_11target_archE906ELNS1_3gpuE6ELNS1_3repE0EEENS1_30default_config_static_selectorELNS0_4arch9wavefront6targetE1EEEvSV_ ; -- Begin function _ZN7rocprim17ROCPRIM_400000_NS6detail17trampoline_kernelINS0_14default_configENS1_29binary_search_config_selectorIiiEEZNS1_14transform_implILb0ES3_S5_N6thrust23THRUST_200600_302600_NS6detail15normal_iteratorINS8_7pointerIiNS8_11hip_rocprim5par_tENS8_11use_defaultESE_EEEESG_ZNS1_13binary_searchIS3_S5_NS8_10device_ptrIiEESG_SG_NS1_16binary_search_opENS9_16wrapped_functionINS8_6system6detail7generic6detail18binary_search_lessEbEEEE10hipError_tPvRmT1_T2_T3_mmT4_T5_P12ihipStream_tbEUlRKiE_EESS_SW_SX_mSY_S11_bEUlT_E_NS1_11comp_targetILNS1_3genE2ELNS1_11target_archE906ELNS1_3gpuE6ELNS1_3repE0EEENS1_30default_config_static_selectorELNS0_4arch9wavefront6targetE1EEEvSV_
	.globl	_ZN7rocprim17ROCPRIM_400000_NS6detail17trampoline_kernelINS0_14default_configENS1_29binary_search_config_selectorIiiEEZNS1_14transform_implILb0ES3_S5_N6thrust23THRUST_200600_302600_NS6detail15normal_iteratorINS8_7pointerIiNS8_11hip_rocprim5par_tENS8_11use_defaultESE_EEEESG_ZNS1_13binary_searchIS3_S5_NS8_10device_ptrIiEESG_SG_NS1_16binary_search_opENS9_16wrapped_functionINS8_6system6detail7generic6detail18binary_search_lessEbEEEE10hipError_tPvRmT1_T2_T3_mmT4_T5_P12ihipStream_tbEUlRKiE_EESS_SW_SX_mSY_S11_bEUlT_E_NS1_11comp_targetILNS1_3genE2ELNS1_11target_archE906ELNS1_3gpuE6ELNS1_3repE0EEENS1_30default_config_static_selectorELNS0_4arch9wavefront6targetE1EEEvSV_
	.p2align	8
	.type	_ZN7rocprim17ROCPRIM_400000_NS6detail17trampoline_kernelINS0_14default_configENS1_29binary_search_config_selectorIiiEEZNS1_14transform_implILb0ES3_S5_N6thrust23THRUST_200600_302600_NS6detail15normal_iteratorINS8_7pointerIiNS8_11hip_rocprim5par_tENS8_11use_defaultESE_EEEESG_ZNS1_13binary_searchIS3_S5_NS8_10device_ptrIiEESG_SG_NS1_16binary_search_opENS9_16wrapped_functionINS8_6system6detail7generic6detail18binary_search_lessEbEEEE10hipError_tPvRmT1_T2_T3_mmT4_T5_P12ihipStream_tbEUlRKiE_EESS_SW_SX_mSY_S11_bEUlT_E_NS1_11comp_targetILNS1_3genE2ELNS1_11target_archE906ELNS1_3gpuE6ELNS1_3repE0EEENS1_30default_config_static_selectorELNS0_4arch9wavefront6targetE1EEEvSV_,@function
_ZN7rocprim17ROCPRIM_400000_NS6detail17trampoline_kernelINS0_14default_configENS1_29binary_search_config_selectorIiiEEZNS1_14transform_implILb0ES3_S5_N6thrust23THRUST_200600_302600_NS6detail15normal_iteratorINS8_7pointerIiNS8_11hip_rocprim5par_tENS8_11use_defaultESE_EEEESG_ZNS1_13binary_searchIS3_S5_NS8_10device_ptrIiEESG_SG_NS1_16binary_search_opENS9_16wrapped_functionINS8_6system6detail7generic6detail18binary_search_lessEbEEEE10hipError_tPvRmT1_T2_T3_mmT4_T5_P12ihipStream_tbEUlRKiE_EESS_SW_SX_mSY_S11_bEUlT_E_NS1_11comp_targetILNS1_3genE2ELNS1_11target_archE906ELNS1_3gpuE6ELNS1_3repE0EEENS1_30default_config_static_selectorELNS0_4arch9wavefront6targetE1EEEvSV_: ; @_ZN7rocprim17ROCPRIM_400000_NS6detail17trampoline_kernelINS0_14default_configENS1_29binary_search_config_selectorIiiEEZNS1_14transform_implILb0ES3_S5_N6thrust23THRUST_200600_302600_NS6detail15normal_iteratorINS8_7pointerIiNS8_11hip_rocprim5par_tENS8_11use_defaultESE_EEEESG_ZNS1_13binary_searchIS3_S5_NS8_10device_ptrIiEESG_SG_NS1_16binary_search_opENS9_16wrapped_functionINS8_6system6detail7generic6detail18binary_search_lessEbEEEE10hipError_tPvRmT1_T2_T3_mmT4_T5_P12ihipStream_tbEUlRKiE_EESS_SW_SX_mSY_S11_bEUlT_E_NS1_11comp_targetILNS1_3genE2ELNS1_11target_archE906ELNS1_3gpuE6ELNS1_3repE0EEENS1_30default_config_static_selectorELNS0_4arch9wavefront6targetE1EEEvSV_
; %bb.0:
	s_load_dwordx4 s[12:15], s[4:5], 0x0
	s_load_dwordx4 s[8:11], s[4:5], 0x18
	s_load_dwordx2 s[0:1], s[4:5], 0x28
	s_load_dword s7, s[4:5], 0x38
	s_waitcnt lgkmcnt(0)
	s_lshl_b64 s[2:3], s[14:15], 2
	s_add_u32 s18, s12, s2
	s_addc_u32 s19, s13, s3
	s_lshl_b32 s12, s6, 8
	s_add_i32 s7, s7, -1
	s_cmp_lg_u32 s6, s7
	s_mov_b32 s13, 0
	s_cbranch_scc0 .LBB792_6
; %bb.1:
	s_lshl_b64 s[6:7], s[12:13], 2
	s_add_u32 s6, s18, s6
	s_addc_u32 s7, s19, s7
	v_lshlrev_b32_e32 v1, 2, v0
	v_mov_b32_e32 v2, s7
	v_add_co_u32_e32 v1, vcc, s6, v1
	v_addc_co_u32_e32 v2, vcc, 0, v2, vcc
	flat_load_dword v6, v[1:2]
	v_mov_b32_e32 v2, 0
	v_mov_b32_e32 v1, 0
	s_cmp_eq_u64 s[0:1], 0
	s_mov_b64 s[6:7], 0
	v_mov_b32_e32 v3, 0
	s_cbranch_scc1 .LBB792_5
; %bb.2:
	v_mov_b32_e32 v5, s1
	v_mov_b32_e32 v4, s0
	;; [unrolled: 1-line block ×3, first 2 shown]
.LBB792_3:                              ; =>This Inner Loop Header: Depth=1
	v_sub_co_u32_e32 v8, vcc, v4, v2
	v_subb_co_u32_e32 v9, vcc, v5, v3, vcc
	v_lshrrev_b64 v[10:11], 1, v[8:9]
	v_lshrrev_b64 v[8:9], 6, v[8:9]
	v_add_co_u32_e32 v10, vcc, v10, v2
	v_addc_co_u32_e32 v11, vcc, v11, v3, vcc
	v_add_co_u32_e32 v8, vcc, v10, v8
	v_addc_co_u32_e32 v9, vcc, v11, v9, vcc
	v_lshlrev_b64 v[10:11], 2, v[8:9]
	v_add_co_u32_e32 v10, vcc, s10, v10
	v_addc_co_u32_e32 v11, vcc, v7, v11, vcc
	global_load_dword v10, v[10:11], off
	v_add_co_u32_e32 v11, vcc, 1, v8
	v_addc_co_u32_e32 v12, vcc, 0, v9, vcc
	s_waitcnt vmcnt(0) lgkmcnt(0)
	v_cmp_lt_i32_e32 vcc, v10, v6
	v_cndmask_b32_e32 v5, v9, v5, vcc
	v_cndmask_b32_e32 v4, v8, v4, vcc
	v_cndmask_b32_e32 v3, v3, v12, vcc
	v_cndmask_b32_e32 v2, v2, v11, vcc
	v_cmp_ge_u64_e32 vcc, v[2:3], v[4:5]
	s_or_b64 s[6:7], vcc, s[6:7]
	s_andn2_b64 exec, exec, s[6:7]
	s_cbranch_execnz .LBB792_3
; %bb.4:
	s_or_b64 exec, exec, s[6:7]
.LBB792_5:
	v_cmp_eq_u64_e64 s[6:7], s[0:1], v[2:3]
	v_cmp_ne_u64_e64 s[14:15], s[0:1], v[2:3]
	s_branch .LBB792_14
.LBB792_6:
	s_mov_b64 s[14:15], 0
	s_mov_b64 s[6:7], 0
                                        ; implicit-def: $vgpr6
                                        ; implicit-def: $vgpr2_vgpr3
	s_cbranch_execz .LBB792_14
; %bb.7:
	s_load_dword s4, s[4:5], 0x10
                                        ; implicit-def: $vgpr6
                                        ; implicit-def: $vgpr2_vgpr3
	s_waitcnt lgkmcnt(0)
	s_sub_i32 s4, s4, s12
	v_cmp_gt_u32_e32 vcc, s4, v0
	s_and_saveexec_b64 s[4:5], vcc
	s_cbranch_execz .LBB792_13
; %bb.8:
	s_lshl_b64 s[16:17], s[12:13], 2
	s_add_u32 s16, s18, s16
	s_addc_u32 s17, s19, s17
	v_lshlrev_b32_e32 v1, 2, v0
	v_mov_b32_e32 v2, s17
	v_add_co_u32_e32 v1, vcc, s16, v1
	v_addc_co_u32_e32 v2, vcc, 0, v2, vcc
	s_waitcnt vmcnt(0)
	flat_load_dword v6, v[1:2]
	v_mov_b32_e32 v2, 0
	v_mov_b32_e32 v1, 0
	s_cmp_eq_u64 s[0:1], 0
	s_mov_b64 s[16:17], 0
	v_mov_b32_e32 v3, 0
	s_cbranch_scc1 .LBB792_12
; %bb.9:
	v_mov_b32_e32 v5, s1
	v_mov_b32_e32 v4, s0
	;; [unrolled: 1-line block ×3, first 2 shown]
.LBB792_10:                             ; =>This Inner Loop Header: Depth=1
	v_sub_co_u32_e32 v8, vcc, v4, v2
	v_subb_co_u32_e32 v9, vcc, v5, v3, vcc
	v_lshrrev_b64 v[10:11], 1, v[8:9]
	v_lshrrev_b64 v[8:9], 6, v[8:9]
	v_add_co_u32_e32 v10, vcc, v10, v2
	v_addc_co_u32_e32 v11, vcc, v11, v3, vcc
	v_add_co_u32_e32 v8, vcc, v10, v8
	v_addc_co_u32_e32 v9, vcc, v11, v9, vcc
	v_lshlrev_b64 v[10:11], 2, v[8:9]
	v_add_co_u32_e32 v10, vcc, s10, v10
	v_addc_co_u32_e32 v11, vcc, v7, v11, vcc
	global_load_dword v10, v[10:11], off
	v_add_co_u32_e32 v11, vcc, 1, v8
	v_addc_co_u32_e32 v12, vcc, 0, v9, vcc
	s_waitcnt vmcnt(0) lgkmcnt(0)
	v_cmp_lt_i32_e32 vcc, v10, v6
	v_cndmask_b32_e32 v5, v9, v5, vcc
	v_cndmask_b32_e32 v4, v8, v4, vcc
	;; [unrolled: 1-line block ×4, first 2 shown]
	v_cmp_ge_u64_e32 vcc, v[2:3], v[4:5]
	s_or_b64 s[16:17], vcc, s[16:17]
	s_andn2_b64 exec, exec, s[16:17]
	s_cbranch_execnz .LBB792_10
; %bb.11:
	s_or_b64 exec, exec, s[16:17]
.LBB792_12:
	v_cmp_eq_u64_e32 vcc, s[0:1], v[2:3]
	v_cmp_ne_u64_e64 s[0:1], s[0:1], v[2:3]
	s_andn2_b64 s[6:7], s[6:7], exec
	s_and_b64 s[16:17], vcc, exec
	s_andn2_b64 s[14:15], s[14:15], exec
	s_and_b64 s[0:1], s[0:1], exec
	s_or_b64 s[6:7], s[6:7], s[16:17]
	s_or_b64 s[14:15], s[14:15], s[0:1]
.LBB792_13:
	s_or_b64 exec, exec, s[4:5]
.LBB792_14:
	v_mov_b32_e32 v4, 0
	s_and_saveexec_b64 s[0:1], s[14:15]
	s_cbranch_execnz .LBB792_17
; %bb.15:
	s_or_b64 exec, exec, s[0:1]
	s_and_saveexec_b64 s[0:1], s[6:7]
	s_cbranch_execnz .LBB792_18
.LBB792_16:
	s_endpgm
.LBB792_17:
	v_lshlrev_b64 v[2:3], 2, v[2:3]
	v_mov_b32_e32 v4, s11
	v_add_co_u32_e32 v2, vcc, s10, v2
	v_addc_co_u32_e32 v3, vcc, v4, v3, vcc
	global_load_dword v2, v[2:3], off
	s_or_b64 s[6:7], s[6:7], exec
	s_waitcnt vmcnt(0) lgkmcnt(0)
	v_cmp_ge_i32_e32 vcc, v6, v2
	v_cndmask_b32_e64 v4, 0, 1, vcc
	s_or_b64 exec, exec, s[0:1]
	s_and_saveexec_b64 s[0:1], s[6:7]
	s_cbranch_execz .LBB792_16
.LBB792_18:
	s_add_u32 s2, s8, s2
	s_addc_u32 s3, s9, s3
	s_lshl_b64 s[0:1], s[12:13], 2
	s_add_u32 s0, s2, s0
	v_lshlrev_b64 v[0:1], 2, v[0:1]
	s_addc_u32 s1, s3, s1
	v_mov_b32_e32 v2, s1
	v_add_co_u32_e32 v0, vcc, s0, v0
	v_addc_co_u32_e32 v1, vcc, v2, v1, vcc
	flat_store_dword v[0:1], v4
	s_endpgm
	.section	.rodata,"a",@progbits
	.p2align	6, 0x0
	.amdhsa_kernel _ZN7rocprim17ROCPRIM_400000_NS6detail17trampoline_kernelINS0_14default_configENS1_29binary_search_config_selectorIiiEEZNS1_14transform_implILb0ES3_S5_N6thrust23THRUST_200600_302600_NS6detail15normal_iteratorINS8_7pointerIiNS8_11hip_rocprim5par_tENS8_11use_defaultESE_EEEESG_ZNS1_13binary_searchIS3_S5_NS8_10device_ptrIiEESG_SG_NS1_16binary_search_opENS9_16wrapped_functionINS8_6system6detail7generic6detail18binary_search_lessEbEEEE10hipError_tPvRmT1_T2_T3_mmT4_T5_P12ihipStream_tbEUlRKiE_EESS_SW_SX_mSY_S11_bEUlT_E_NS1_11comp_targetILNS1_3genE2ELNS1_11target_archE906ELNS1_3gpuE6ELNS1_3repE0EEENS1_30default_config_static_selectorELNS0_4arch9wavefront6targetE1EEEvSV_
		.amdhsa_group_segment_fixed_size 0
		.amdhsa_private_segment_fixed_size 0
		.amdhsa_kernarg_size 312
		.amdhsa_user_sgpr_count 6
		.amdhsa_user_sgpr_private_segment_buffer 1
		.amdhsa_user_sgpr_dispatch_ptr 0
		.amdhsa_user_sgpr_queue_ptr 0
		.amdhsa_user_sgpr_kernarg_segment_ptr 1
		.amdhsa_user_sgpr_dispatch_id 0
		.amdhsa_user_sgpr_flat_scratch_init 0
		.amdhsa_user_sgpr_private_segment_size 0
		.amdhsa_uses_dynamic_stack 0
		.amdhsa_system_sgpr_private_segment_wavefront_offset 0
		.amdhsa_system_sgpr_workgroup_id_x 1
		.amdhsa_system_sgpr_workgroup_id_y 0
		.amdhsa_system_sgpr_workgroup_id_z 0
		.amdhsa_system_sgpr_workgroup_info 0
		.amdhsa_system_vgpr_workitem_id 0
		.amdhsa_next_free_vgpr 13
		.amdhsa_next_free_sgpr 20
		.amdhsa_reserve_vcc 1
		.amdhsa_reserve_flat_scratch 0
		.amdhsa_float_round_mode_32 0
		.amdhsa_float_round_mode_16_64 0
		.amdhsa_float_denorm_mode_32 3
		.amdhsa_float_denorm_mode_16_64 3
		.amdhsa_dx10_clamp 1
		.amdhsa_ieee_mode 1
		.amdhsa_fp16_overflow 0
		.amdhsa_exception_fp_ieee_invalid_op 0
		.amdhsa_exception_fp_denorm_src 0
		.amdhsa_exception_fp_ieee_div_zero 0
		.amdhsa_exception_fp_ieee_overflow 0
		.amdhsa_exception_fp_ieee_underflow 0
		.amdhsa_exception_fp_ieee_inexact 0
		.amdhsa_exception_int_div_zero 0
	.end_amdhsa_kernel
	.section	.text._ZN7rocprim17ROCPRIM_400000_NS6detail17trampoline_kernelINS0_14default_configENS1_29binary_search_config_selectorIiiEEZNS1_14transform_implILb0ES3_S5_N6thrust23THRUST_200600_302600_NS6detail15normal_iteratorINS8_7pointerIiNS8_11hip_rocprim5par_tENS8_11use_defaultESE_EEEESG_ZNS1_13binary_searchIS3_S5_NS8_10device_ptrIiEESG_SG_NS1_16binary_search_opENS9_16wrapped_functionINS8_6system6detail7generic6detail18binary_search_lessEbEEEE10hipError_tPvRmT1_T2_T3_mmT4_T5_P12ihipStream_tbEUlRKiE_EESS_SW_SX_mSY_S11_bEUlT_E_NS1_11comp_targetILNS1_3genE2ELNS1_11target_archE906ELNS1_3gpuE6ELNS1_3repE0EEENS1_30default_config_static_selectorELNS0_4arch9wavefront6targetE1EEEvSV_,"axG",@progbits,_ZN7rocprim17ROCPRIM_400000_NS6detail17trampoline_kernelINS0_14default_configENS1_29binary_search_config_selectorIiiEEZNS1_14transform_implILb0ES3_S5_N6thrust23THRUST_200600_302600_NS6detail15normal_iteratorINS8_7pointerIiNS8_11hip_rocprim5par_tENS8_11use_defaultESE_EEEESG_ZNS1_13binary_searchIS3_S5_NS8_10device_ptrIiEESG_SG_NS1_16binary_search_opENS9_16wrapped_functionINS8_6system6detail7generic6detail18binary_search_lessEbEEEE10hipError_tPvRmT1_T2_T3_mmT4_T5_P12ihipStream_tbEUlRKiE_EESS_SW_SX_mSY_S11_bEUlT_E_NS1_11comp_targetILNS1_3genE2ELNS1_11target_archE906ELNS1_3gpuE6ELNS1_3repE0EEENS1_30default_config_static_selectorELNS0_4arch9wavefront6targetE1EEEvSV_,comdat
.Lfunc_end792:
	.size	_ZN7rocprim17ROCPRIM_400000_NS6detail17trampoline_kernelINS0_14default_configENS1_29binary_search_config_selectorIiiEEZNS1_14transform_implILb0ES3_S5_N6thrust23THRUST_200600_302600_NS6detail15normal_iteratorINS8_7pointerIiNS8_11hip_rocprim5par_tENS8_11use_defaultESE_EEEESG_ZNS1_13binary_searchIS3_S5_NS8_10device_ptrIiEESG_SG_NS1_16binary_search_opENS9_16wrapped_functionINS8_6system6detail7generic6detail18binary_search_lessEbEEEE10hipError_tPvRmT1_T2_T3_mmT4_T5_P12ihipStream_tbEUlRKiE_EESS_SW_SX_mSY_S11_bEUlT_E_NS1_11comp_targetILNS1_3genE2ELNS1_11target_archE906ELNS1_3gpuE6ELNS1_3repE0EEENS1_30default_config_static_selectorELNS0_4arch9wavefront6targetE1EEEvSV_, .Lfunc_end792-_ZN7rocprim17ROCPRIM_400000_NS6detail17trampoline_kernelINS0_14default_configENS1_29binary_search_config_selectorIiiEEZNS1_14transform_implILb0ES3_S5_N6thrust23THRUST_200600_302600_NS6detail15normal_iteratorINS8_7pointerIiNS8_11hip_rocprim5par_tENS8_11use_defaultESE_EEEESG_ZNS1_13binary_searchIS3_S5_NS8_10device_ptrIiEESG_SG_NS1_16binary_search_opENS9_16wrapped_functionINS8_6system6detail7generic6detail18binary_search_lessEbEEEE10hipError_tPvRmT1_T2_T3_mmT4_T5_P12ihipStream_tbEUlRKiE_EESS_SW_SX_mSY_S11_bEUlT_E_NS1_11comp_targetILNS1_3genE2ELNS1_11target_archE906ELNS1_3gpuE6ELNS1_3repE0EEENS1_30default_config_static_selectorELNS0_4arch9wavefront6targetE1EEEvSV_
                                        ; -- End function
	.set _ZN7rocprim17ROCPRIM_400000_NS6detail17trampoline_kernelINS0_14default_configENS1_29binary_search_config_selectorIiiEEZNS1_14transform_implILb0ES3_S5_N6thrust23THRUST_200600_302600_NS6detail15normal_iteratorINS8_7pointerIiNS8_11hip_rocprim5par_tENS8_11use_defaultESE_EEEESG_ZNS1_13binary_searchIS3_S5_NS8_10device_ptrIiEESG_SG_NS1_16binary_search_opENS9_16wrapped_functionINS8_6system6detail7generic6detail18binary_search_lessEbEEEE10hipError_tPvRmT1_T2_T3_mmT4_T5_P12ihipStream_tbEUlRKiE_EESS_SW_SX_mSY_S11_bEUlT_E_NS1_11comp_targetILNS1_3genE2ELNS1_11target_archE906ELNS1_3gpuE6ELNS1_3repE0EEENS1_30default_config_static_selectorELNS0_4arch9wavefront6targetE1EEEvSV_.num_vgpr, 13
	.set _ZN7rocprim17ROCPRIM_400000_NS6detail17trampoline_kernelINS0_14default_configENS1_29binary_search_config_selectorIiiEEZNS1_14transform_implILb0ES3_S5_N6thrust23THRUST_200600_302600_NS6detail15normal_iteratorINS8_7pointerIiNS8_11hip_rocprim5par_tENS8_11use_defaultESE_EEEESG_ZNS1_13binary_searchIS3_S5_NS8_10device_ptrIiEESG_SG_NS1_16binary_search_opENS9_16wrapped_functionINS8_6system6detail7generic6detail18binary_search_lessEbEEEE10hipError_tPvRmT1_T2_T3_mmT4_T5_P12ihipStream_tbEUlRKiE_EESS_SW_SX_mSY_S11_bEUlT_E_NS1_11comp_targetILNS1_3genE2ELNS1_11target_archE906ELNS1_3gpuE6ELNS1_3repE0EEENS1_30default_config_static_selectorELNS0_4arch9wavefront6targetE1EEEvSV_.num_agpr, 0
	.set _ZN7rocprim17ROCPRIM_400000_NS6detail17trampoline_kernelINS0_14default_configENS1_29binary_search_config_selectorIiiEEZNS1_14transform_implILb0ES3_S5_N6thrust23THRUST_200600_302600_NS6detail15normal_iteratorINS8_7pointerIiNS8_11hip_rocprim5par_tENS8_11use_defaultESE_EEEESG_ZNS1_13binary_searchIS3_S5_NS8_10device_ptrIiEESG_SG_NS1_16binary_search_opENS9_16wrapped_functionINS8_6system6detail7generic6detail18binary_search_lessEbEEEE10hipError_tPvRmT1_T2_T3_mmT4_T5_P12ihipStream_tbEUlRKiE_EESS_SW_SX_mSY_S11_bEUlT_E_NS1_11comp_targetILNS1_3genE2ELNS1_11target_archE906ELNS1_3gpuE6ELNS1_3repE0EEENS1_30default_config_static_selectorELNS0_4arch9wavefront6targetE1EEEvSV_.numbered_sgpr, 20
	.set _ZN7rocprim17ROCPRIM_400000_NS6detail17trampoline_kernelINS0_14default_configENS1_29binary_search_config_selectorIiiEEZNS1_14transform_implILb0ES3_S5_N6thrust23THRUST_200600_302600_NS6detail15normal_iteratorINS8_7pointerIiNS8_11hip_rocprim5par_tENS8_11use_defaultESE_EEEESG_ZNS1_13binary_searchIS3_S5_NS8_10device_ptrIiEESG_SG_NS1_16binary_search_opENS9_16wrapped_functionINS8_6system6detail7generic6detail18binary_search_lessEbEEEE10hipError_tPvRmT1_T2_T3_mmT4_T5_P12ihipStream_tbEUlRKiE_EESS_SW_SX_mSY_S11_bEUlT_E_NS1_11comp_targetILNS1_3genE2ELNS1_11target_archE906ELNS1_3gpuE6ELNS1_3repE0EEENS1_30default_config_static_selectorELNS0_4arch9wavefront6targetE1EEEvSV_.num_named_barrier, 0
	.set _ZN7rocprim17ROCPRIM_400000_NS6detail17trampoline_kernelINS0_14default_configENS1_29binary_search_config_selectorIiiEEZNS1_14transform_implILb0ES3_S5_N6thrust23THRUST_200600_302600_NS6detail15normal_iteratorINS8_7pointerIiNS8_11hip_rocprim5par_tENS8_11use_defaultESE_EEEESG_ZNS1_13binary_searchIS3_S5_NS8_10device_ptrIiEESG_SG_NS1_16binary_search_opENS9_16wrapped_functionINS8_6system6detail7generic6detail18binary_search_lessEbEEEE10hipError_tPvRmT1_T2_T3_mmT4_T5_P12ihipStream_tbEUlRKiE_EESS_SW_SX_mSY_S11_bEUlT_E_NS1_11comp_targetILNS1_3genE2ELNS1_11target_archE906ELNS1_3gpuE6ELNS1_3repE0EEENS1_30default_config_static_selectorELNS0_4arch9wavefront6targetE1EEEvSV_.private_seg_size, 0
	.set _ZN7rocprim17ROCPRIM_400000_NS6detail17trampoline_kernelINS0_14default_configENS1_29binary_search_config_selectorIiiEEZNS1_14transform_implILb0ES3_S5_N6thrust23THRUST_200600_302600_NS6detail15normal_iteratorINS8_7pointerIiNS8_11hip_rocprim5par_tENS8_11use_defaultESE_EEEESG_ZNS1_13binary_searchIS3_S5_NS8_10device_ptrIiEESG_SG_NS1_16binary_search_opENS9_16wrapped_functionINS8_6system6detail7generic6detail18binary_search_lessEbEEEE10hipError_tPvRmT1_T2_T3_mmT4_T5_P12ihipStream_tbEUlRKiE_EESS_SW_SX_mSY_S11_bEUlT_E_NS1_11comp_targetILNS1_3genE2ELNS1_11target_archE906ELNS1_3gpuE6ELNS1_3repE0EEENS1_30default_config_static_selectorELNS0_4arch9wavefront6targetE1EEEvSV_.uses_vcc, 1
	.set _ZN7rocprim17ROCPRIM_400000_NS6detail17trampoline_kernelINS0_14default_configENS1_29binary_search_config_selectorIiiEEZNS1_14transform_implILb0ES3_S5_N6thrust23THRUST_200600_302600_NS6detail15normal_iteratorINS8_7pointerIiNS8_11hip_rocprim5par_tENS8_11use_defaultESE_EEEESG_ZNS1_13binary_searchIS3_S5_NS8_10device_ptrIiEESG_SG_NS1_16binary_search_opENS9_16wrapped_functionINS8_6system6detail7generic6detail18binary_search_lessEbEEEE10hipError_tPvRmT1_T2_T3_mmT4_T5_P12ihipStream_tbEUlRKiE_EESS_SW_SX_mSY_S11_bEUlT_E_NS1_11comp_targetILNS1_3genE2ELNS1_11target_archE906ELNS1_3gpuE6ELNS1_3repE0EEENS1_30default_config_static_selectorELNS0_4arch9wavefront6targetE1EEEvSV_.uses_flat_scratch, 0
	.set _ZN7rocprim17ROCPRIM_400000_NS6detail17trampoline_kernelINS0_14default_configENS1_29binary_search_config_selectorIiiEEZNS1_14transform_implILb0ES3_S5_N6thrust23THRUST_200600_302600_NS6detail15normal_iteratorINS8_7pointerIiNS8_11hip_rocprim5par_tENS8_11use_defaultESE_EEEESG_ZNS1_13binary_searchIS3_S5_NS8_10device_ptrIiEESG_SG_NS1_16binary_search_opENS9_16wrapped_functionINS8_6system6detail7generic6detail18binary_search_lessEbEEEE10hipError_tPvRmT1_T2_T3_mmT4_T5_P12ihipStream_tbEUlRKiE_EESS_SW_SX_mSY_S11_bEUlT_E_NS1_11comp_targetILNS1_3genE2ELNS1_11target_archE906ELNS1_3gpuE6ELNS1_3repE0EEENS1_30default_config_static_selectorELNS0_4arch9wavefront6targetE1EEEvSV_.has_dyn_sized_stack, 0
	.set _ZN7rocprim17ROCPRIM_400000_NS6detail17trampoline_kernelINS0_14default_configENS1_29binary_search_config_selectorIiiEEZNS1_14transform_implILb0ES3_S5_N6thrust23THRUST_200600_302600_NS6detail15normal_iteratorINS8_7pointerIiNS8_11hip_rocprim5par_tENS8_11use_defaultESE_EEEESG_ZNS1_13binary_searchIS3_S5_NS8_10device_ptrIiEESG_SG_NS1_16binary_search_opENS9_16wrapped_functionINS8_6system6detail7generic6detail18binary_search_lessEbEEEE10hipError_tPvRmT1_T2_T3_mmT4_T5_P12ihipStream_tbEUlRKiE_EESS_SW_SX_mSY_S11_bEUlT_E_NS1_11comp_targetILNS1_3genE2ELNS1_11target_archE906ELNS1_3gpuE6ELNS1_3repE0EEENS1_30default_config_static_selectorELNS0_4arch9wavefront6targetE1EEEvSV_.has_recursion, 0
	.set _ZN7rocprim17ROCPRIM_400000_NS6detail17trampoline_kernelINS0_14default_configENS1_29binary_search_config_selectorIiiEEZNS1_14transform_implILb0ES3_S5_N6thrust23THRUST_200600_302600_NS6detail15normal_iteratorINS8_7pointerIiNS8_11hip_rocprim5par_tENS8_11use_defaultESE_EEEESG_ZNS1_13binary_searchIS3_S5_NS8_10device_ptrIiEESG_SG_NS1_16binary_search_opENS9_16wrapped_functionINS8_6system6detail7generic6detail18binary_search_lessEbEEEE10hipError_tPvRmT1_T2_T3_mmT4_T5_P12ihipStream_tbEUlRKiE_EESS_SW_SX_mSY_S11_bEUlT_E_NS1_11comp_targetILNS1_3genE2ELNS1_11target_archE906ELNS1_3gpuE6ELNS1_3repE0EEENS1_30default_config_static_selectorELNS0_4arch9wavefront6targetE1EEEvSV_.has_indirect_call, 0
	.section	.AMDGPU.csdata,"",@progbits
; Kernel info:
; codeLenInByte = 688
; TotalNumSgprs: 24
; NumVgprs: 13
; ScratchSize: 0
; MemoryBound: 0
; FloatMode: 240
; IeeeMode: 1
; LDSByteSize: 0 bytes/workgroup (compile time only)
; SGPRBlocks: 2
; VGPRBlocks: 3
; NumSGPRsForWavesPerEU: 24
; NumVGPRsForWavesPerEU: 13
; Occupancy: 10
; WaveLimiterHint : 0
; COMPUTE_PGM_RSRC2:SCRATCH_EN: 0
; COMPUTE_PGM_RSRC2:USER_SGPR: 6
; COMPUTE_PGM_RSRC2:TRAP_HANDLER: 0
; COMPUTE_PGM_RSRC2:TGID_X_EN: 1
; COMPUTE_PGM_RSRC2:TGID_Y_EN: 0
; COMPUTE_PGM_RSRC2:TGID_Z_EN: 0
; COMPUTE_PGM_RSRC2:TIDIG_COMP_CNT: 0
	.section	.text._ZN7rocprim17ROCPRIM_400000_NS6detail17trampoline_kernelINS0_14default_configENS1_29binary_search_config_selectorIiiEEZNS1_14transform_implILb0ES3_S5_N6thrust23THRUST_200600_302600_NS6detail15normal_iteratorINS8_7pointerIiNS8_11hip_rocprim5par_tENS8_11use_defaultESE_EEEESG_ZNS1_13binary_searchIS3_S5_NS8_10device_ptrIiEESG_SG_NS1_16binary_search_opENS9_16wrapped_functionINS8_6system6detail7generic6detail18binary_search_lessEbEEEE10hipError_tPvRmT1_T2_T3_mmT4_T5_P12ihipStream_tbEUlRKiE_EESS_SW_SX_mSY_S11_bEUlT_E_NS1_11comp_targetILNS1_3genE10ELNS1_11target_archE1201ELNS1_3gpuE5ELNS1_3repE0EEENS1_30default_config_static_selectorELNS0_4arch9wavefront6targetE1EEEvSV_,"axG",@progbits,_ZN7rocprim17ROCPRIM_400000_NS6detail17trampoline_kernelINS0_14default_configENS1_29binary_search_config_selectorIiiEEZNS1_14transform_implILb0ES3_S5_N6thrust23THRUST_200600_302600_NS6detail15normal_iteratorINS8_7pointerIiNS8_11hip_rocprim5par_tENS8_11use_defaultESE_EEEESG_ZNS1_13binary_searchIS3_S5_NS8_10device_ptrIiEESG_SG_NS1_16binary_search_opENS9_16wrapped_functionINS8_6system6detail7generic6detail18binary_search_lessEbEEEE10hipError_tPvRmT1_T2_T3_mmT4_T5_P12ihipStream_tbEUlRKiE_EESS_SW_SX_mSY_S11_bEUlT_E_NS1_11comp_targetILNS1_3genE10ELNS1_11target_archE1201ELNS1_3gpuE5ELNS1_3repE0EEENS1_30default_config_static_selectorELNS0_4arch9wavefront6targetE1EEEvSV_,comdat
	.protected	_ZN7rocprim17ROCPRIM_400000_NS6detail17trampoline_kernelINS0_14default_configENS1_29binary_search_config_selectorIiiEEZNS1_14transform_implILb0ES3_S5_N6thrust23THRUST_200600_302600_NS6detail15normal_iteratorINS8_7pointerIiNS8_11hip_rocprim5par_tENS8_11use_defaultESE_EEEESG_ZNS1_13binary_searchIS3_S5_NS8_10device_ptrIiEESG_SG_NS1_16binary_search_opENS9_16wrapped_functionINS8_6system6detail7generic6detail18binary_search_lessEbEEEE10hipError_tPvRmT1_T2_T3_mmT4_T5_P12ihipStream_tbEUlRKiE_EESS_SW_SX_mSY_S11_bEUlT_E_NS1_11comp_targetILNS1_3genE10ELNS1_11target_archE1201ELNS1_3gpuE5ELNS1_3repE0EEENS1_30default_config_static_selectorELNS0_4arch9wavefront6targetE1EEEvSV_ ; -- Begin function _ZN7rocprim17ROCPRIM_400000_NS6detail17trampoline_kernelINS0_14default_configENS1_29binary_search_config_selectorIiiEEZNS1_14transform_implILb0ES3_S5_N6thrust23THRUST_200600_302600_NS6detail15normal_iteratorINS8_7pointerIiNS8_11hip_rocprim5par_tENS8_11use_defaultESE_EEEESG_ZNS1_13binary_searchIS3_S5_NS8_10device_ptrIiEESG_SG_NS1_16binary_search_opENS9_16wrapped_functionINS8_6system6detail7generic6detail18binary_search_lessEbEEEE10hipError_tPvRmT1_T2_T3_mmT4_T5_P12ihipStream_tbEUlRKiE_EESS_SW_SX_mSY_S11_bEUlT_E_NS1_11comp_targetILNS1_3genE10ELNS1_11target_archE1201ELNS1_3gpuE5ELNS1_3repE0EEENS1_30default_config_static_selectorELNS0_4arch9wavefront6targetE1EEEvSV_
	.globl	_ZN7rocprim17ROCPRIM_400000_NS6detail17trampoline_kernelINS0_14default_configENS1_29binary_search_config_selectorIiiEEZNS1_14transform_implILb0ES3_S5_N6thrust23THRUST_200600_302600_NS6detail15normal_iteratorINS8_7pointerIiNS8_11hip_rocprim5par_tENS8_11use_defaultESE_EEEESG_ZNS1_13binary_searchIS3_S5_NS8_10device_ptrIiEESG_SG_NS1_16binary_search_opENS9_16wrapped_functionINS8_6system6detail7generic6detail18binary_search_lessEbEEEE10hipError_tPvRmT1_T2_T3_mmT4_T5_P12ihipStream_tbEUlRKiE_EESS_SW_SX_mSY_S11_bEUlT_E_NS1_11comp_targetILNS1_3genE10ELNS1_11target_archE1201ELNS1_3gpuE5ELNS1_3repE0EEENS1_30default_config_static_selectorELNS0_4arch9wavefront6targetE1EEEvSV_
	.p2align	8
	.type	_ZN7rocprim17ROCPRIM_400000_NS6detail17trampoline_kernelINS0_14default_configENS1_29binary_search_config_selectorIiiEEZNS1_14transform_implILb0ES3_S5_N6thrust23THRUST_200600_302600_NS6detail15normal_iteratorINS8_7pointerIiNS8_11hip_rocprim5par_tENS8_11use_defaultESE_EEEESG_ZNS1_13binary_searchIS3_S5_NS8_10device_ptrIiEESG_SG_NS1_16binary_search_opENS9_16wrapped_functionINS8_6system6detail7generic6detail18binary_search_lessEbEEEE10hipError_tPvRmT1_T2_T3_mmT4_T5_P12ihipStream_tbEUlRKiE_EESS_SW_SX_mSY_S11_bEUlT_E_NS1_11comp_targetILNS1_3genE10ELNS1_11target_archE1201ELNS1_3gpuE5ELNS1_3repE0EEENS1_30default_config_static_selectorELNS0_4arch9wavefront6targetE1EEEvSV_,@function
_ZN7rocprim17ROCPRIM_400000_NS6detail17trampoline_kernelINS0_14default_configENS1_29binary_search_config_selectorIiiEEZNS1_14transform_implILb0ES3_S5_N6thrust23THRUST_200600_302600_NS6detail15normal_iteratorINS8_7pointerIiNS8_11hip_rocprim5par_tENS8_11use_defaultESE_EEEESG_ZNS1_13binary_searchIS3_S5_NS8_10device_ptrIiEESG_SG_NS1_16binary_search_opENS9_16wrapped_functionINS8_6system6detail7generic6detail18binary_search_lessEbEEEE10hipError_tPvRmT1_T2_T3_mmT4_T5_P12ihipStream_tbEUlRKiE_EESS_SW_SX_mSY_S11_bEUlT_E_NS1_11comp_targetILNS1_3genE10ELNS1_11target_archE1201ELNS1_3gpuE5ELNS1_3repE0EEENS1_30default_config_static_selectorELNS0_4arch9wavefront6targetE1EEEvSV_: ; @_ZN7rocprim17ROCPRIM_400000_NS6detail17trampoline_kernelINS0_14default_configENS1_29binary_search_config_selectorIiiEEZNS1_14transform_implILb0ES3_S5_N6thrust23THRUST_200600_302600_NS6detail15normal_iteratorINS8_7pointerIiNS8_11hip_rocprim5par_tENS8_11use_defaultESE_EEEESG_ZNS1_13binary_searchIS3_S5_NS8_10device_ptrIiEESG_SG_NS1_16binary_search_opENS9_16wrapped_functionINS8_6system6detail7generic6detail18binary_search_lessEbEEEE10hipError_tPvRmT1_T2_T3_mmT4_T5_P12ihipStream_tbEUlRKiE_EESS_SW_SX_mSY_S11_bEUlT_E_NS1_11comp_targetILNS1_3genE10ELNS1_11target_archE1201ELNS1_3gpuE5ELNS1_3repE0EEENS1_30default_config_static_selectorELNS0_4arch9wavefront6targetE1EEEvSV_
; %bb.0:
	.section	.rodata,"a",@progbits
	.p2align	6, 0x0
	.amdhsa_kernel _ZN7rocprim17ROCPRIM_400000_NS6detail17trampoline_kernelINS0_14default_configENS1_29binary_search_config_selectorIiiEEZNS1_14transform_implILb0ES3_S5_N6thrust23THRUST_200600_302600_NS6detail15normal_iteratorINS8_7pointerIiNS8_11hip_rocprim5par_tENS8_11use_defaultESE_EEEESG_ZNS1_13binary_searchIS3_S5_NS8_10device_ptrIiEESG_SG_NS1_16binary_search_opENS9_16wrapped_functionINS8_6system6detail7generic6detail18binary_search_lessEbEEEE10hipError_tPvRmT1_T2_T3_mmT4_T5_P12ihipStream_tbEUlRKiE_EESS_SW_SX_mSY_S11_bEUlT_E_NS1_11comp_targetILNS1_3genE10ELNS1_11target_archE1201ELNS1_3gpuE5ELNS1_3repE0EEENS1_30default_config_static_selectorELNS0_4arch9wavefront6targetE1EEEvSV_
		.amdhsa_group_segment_fixed_size 0
		.amdhsa_private_segment_fixed_size 0
		.amdhsa_kernarg_size 56
		.amdhsa_user_sgpr_count 6
		.amdhsa_user_sgpr_private_segment_buffer 1
		.amdhsa_user_sgpr_dispatch_ptr 0
		.amdhsa_user_sgpr_queue_ptr 0
		.amdhsa_user_sgpr_kernarg_segment_ptr 1
		.amdhsa_user_sgpr_dispatch_id 0
		.amdhsa_user_sgpr_flat_scratch_init 0
		.amdhsa_user_sgpr_private_segment_size 0
		.amdhsa_uses_dynamic_stack 0
		.amdhsa_system_sgpr_private_segment_wavefront_offset 0
		.amdhsa_system_sgpr_workgroup_id_x 1
		.amdhsa_system_sgpr_workgroup_id_y 0
		.amdhsa_system_sgpr_workgroup_id_z 0
		.amdhsa_system_sgpr_workgroup_info 0
		.amdhsa_system_vgpr_workitem_id 0
		.amdhsa_next_free_vgpr 1
		.amdhsa_next_free_sgpr 0
		.amdhsa_reserve_vcc 0
		.amdhsa_reserve_flat_scratch 0
		.amdhsa_float_round_mode_32 0
		.amdhsa_float_round_mode_16_64 0
		.amdhsa_float_denorm_mode_32 3
		.amdhsa_float_denorm_mode_16_64 3
		.amdhsa_dx10_clamp 1
		.amdhsa_ieee_mode 1
		.amdhsa_fp16_overflow 0
		.amdhsa_exception_fp_ieee_invalid_op 0
		.amdhsa_exception_fp_denorm_src 0
		.amdhsa_exception_fp_ieee_div_zero 0
		.amdhsa_exception_fp_ieee_overflow 0
		.amdhsa_exception_fp_ieee_underflow 0
		.amdhsa_exception_fp_ieee_inexact 0
		.amdhsa_exception_int_div_zero 0
	.end_amdhsa_kernel
	.section	.text._ZN7rocprim17ROCPRIM_400000_NS6detail17trampoline_kernelINS0_14default_configENS1_29binary_search_config_selectorIiiEEZNS1_14transform_implILb0ES3_S5_N6thrust23THRUST_200600_302600_NS6detail15normal_iteratorINS8_7pointerIiNS8_11hip_rocprim5par_tENS8_11use_defaultESE_EEEESG_ZNS1_13binary_searchIS3_S5_NS8_10device_ptrIiEESG_SG_NS1_16binary_search_opENS9_16wrapped_functionINS8_6system6detail7generic6detail18binary_search_lessEbEEEE10hipError_tPvRmT1_T2_T3_mmT4_T5_P12ihipStream_tbEUlRKiE_EESS_SW_SX_mSY_S11_bEUlT_E_NS1_11comp_targetILNS1_3genE10ELNS1_11target_archE1201ELNS1_3gpuE5ELNS1_3repE0EEENS1_30default_config_static_selectorELNS0_4arch9wavefront6targetE1EEEvSV_,"axG",@progbits,_ZN7rocprim17ROCPRIM_400000_NS6detail17trampoline_kernelINS0_14default_configENS1_29binary_search_config_selectorIiiEEZNS1_14transform_implILb0ES3_S5_N6thrust23THRUST_200600_302600_NS6detail15normal_iteratorINS8_7pointerIiNS8_11hip_rocprim5par_tENS8_11use_defaultESE_EEEESG_ZNS1_13binary_searchIS3_S5_NS8_10device_ptrIiEESG_SG_NS1_16binary_search_opENS9_16wrapped_functionINS8_6system6detail7generic6detail18binary_search_lessEbEEEE10hipError_tPvRmT1_T2_T3_mmT4_T5_P12ihipStream_tbEUlRKiE_EESS_SW_SX_mSY_S11_bEUlT_E_NS1_11comp_targetILNS1_3genE10ELNS1_11target_archE1201ELNS1_3gpuE5ELNS1_3repE0EEENS1_30default_config_static_selectorELNS0_4arch9wavefront6targetE1EEEvSV_,comdat
.Lfunc_end793:
	.size	_ZN7rocprim17ROCPRIM_400000_NS6detail17trampoline_kernelINS0_14default_configENS1_29binary_search_config_selectorIiiEEZNS1_14transform_implILb0ES3_S5_N6thrust23THRUST_200600_302600_NS6detail15normal_iteratorINS8_7pointerIiNS8_11hip_rocprim5par_tENS8_11use_defaultESE_EEEESG_ZNS1_13binary_searchIS3_S5_NS8_10device_ptrIiEESG_SG_NS1_16binary_search_opENS9_16wrapped_functionINS8_6system6detail7generic6detail18binary_search_lessEbEEEE10hipError_tPvRmT1_T2_T3_mmT4_T5_P12ihipStream_tbEUlRKiE_EESS_SW_SX_mSY_S11_bEUlT_E_NS1_11comp_targetILNS1_3genE10ELNS1_11target_archE1201ELNS1_3gpuE5ELNS1_3repE0EEENS1_30default_config_static_selectorELNS0_4arch9wavefront6targetE1EEEvSV_, .Lfunc_end793-_ZN7rocprim17ROCPRIM_400000_NS6detail17trampoline_kernelINS0_14default_configENS1_29binary_search_config_selectorIiiEEZNS1_14transform_implILb0ES3_S5_N6thrust23THRUST_200600_302600_NS6detail15normal_iteratorINS8_7pointerIiNS8_11hip_rocprim5par_tENS8_11use_defaultESE_EEEESG_ZNS1_13binary_searchIS3_S5_NS8_10device_ptrIiEESG_SG_NS1_16binary_search_opENS9_16wrapped_functionINS8_6system6detail7generic6detail18binary_search_lessEbEEEE10hipError_tPvRmT1_T2_T3_mmT4_T5_P12ihipStream_tbEUlRKiE_EESS_SW_SX_mSY_S11_bEUlT_E_NS1_11comp_targetILNS1_3genE10ELNS1_11target_archE1201ELNS1_3gpuE5ELNS1_3repE0EEENS1_30default_config_static_selectorELNS0_4arch9wavefront6targetE1EEEvSV_
                                        ; -- End function
	.set _ZN7rocprim17ROCPRIM_400000_NS6detail17trampoline_kernelINS0_14default_configENS1_29binary_search_config_selectorIiiEEZNS1_14transform_implILb0ES3_S5_N6thrust23THRUST_200600_302600_NS6detail15normal_iteratorINS8_7pointerIiNS8_11hip_rocprim5par_tENS8_11use_defaultESE_EEEESG_ZNS1_13binary_searchIS3_S5_NS8_10device_ptrIiEESG_SG_NS1_16binary_search_opENS9_16wrapped_functionINS8_6system6detail7generic6detail18binary_search_lessEbEEEE10hipError_tPvRmT1_T2_T3_mmT4_T5_P12ihipStream_tbEUlRKiE_EESS_SW_SX_mSY_S11_bEUlT_E_NS1_11comp_targetILNS1_3genE10ELNS1_11target_archE1201ELNS1_3gpuE5ELNS1_3repE0EEENS1_30default_config_static_selectorELNS0_4arch9wavefront6targetE1EEEvSV_.num_vgpr, 0
	.set _ZN7rocprim17ROCPRIM_400000_NS6detail17trampoline_kernelINS0_14default_configENS1_29binary_search_config_selectorIiiEEZNS1_14transform_implILb0ES3_S5_N6thrust23THRUST_200600_302600_NS6detail15normal_iteratorINS8_7pointerIiNS8_11hip_rocprim5par_tENS8_11use_defaultESE_EEEESG_ZNS1_13binary_searchIS3_S5_NS8_10device_ptrIiEESG_SG_NS1_16binary_search_opENS9_16wrapped_functionINS8_6system6detail7generic6detail18binary_search_lessEbEEEE10hipError_tPvRmT1_T2_T3_mmT4_T5_P12ihipStream_tbEUlRKiE_EESS_SW_SX_mSY_S11_bEUlT_E_NS1_11comp_targetILNS1_3genE10ELNS1_11target_archE1201ELNS1_3gpuE5ELNS1_3repE0EEENS1_30default_config_static_selectorELNS0_4arch9wavefront6targetE1EEEvSV_.num_agpr, 0
	.set _ZN7rocprim17ROCPRIM_400000_NS6detail17trampoline_kernelINS0_14default_configENS1_29binary_search_config_selectorIiiEEZNS1_14transform_implILb0ES3_S5_N6thrust23THRUST_200600_302600_NS6detail15normal_iteratorINS8_7pointerIiNS8_11hip_rocprim5par_tENS8_11use_defaultESE_EEEESG_ZNS1_13binary_searchIS3_S5_NS8_10device_ptrIiEESG_SG_NS1_16binary_search_opENS9_16wrapped_functionINS8_6system6detail7generic6detail18binary_search_lessEbEEEE10hipError_tPvRmT1_T2_T3_mmT4_T5_P12ihipStream_tbEUlRKiE_EESS_SW_SX_mSY_S11_bEUlT_E_NS1_11comp_targetILNS1_3genE10ELNS1_11target_archE1201ELNS1_3gpuE5ELNS1_3repE0EEENS1_30default_config_static_selectorELNS0_4arch9wavefront6targetE1EEEvSV_.numbered_sgpr, 0
	.set _ZN7rocprim17ROCPRIM_400000_NS6detail17trampoline_kernelINS0_14default_configENS1_29binary_search_config_selectorIiiEEZNS1_14transform_implILb0ES3_S5_N6thrust23THRUST_200600_302600_NS6detail15normal_iteratorINS8_7pointerIiNS8_11hip_rocprim5par_tENS8_11use_defaultESE_EEEESG_ZNS1_13binary_searchIS3_S5_NS8_10device_ptrIiEESG_SG_NS1_16binary_search_opENS9_16wrapped_functionINS8_6system6detail7generic6detail18binary_search_lessEbEEEE10hipError_tPvRmT1_T2_T3_mmT4_T5_P12ihipStream_tbEUlRKiE_EESS_SW_SX_mSY_S11_bEUlT_E_NS1_11comp_targetILNS1_3genE10ELNS1_11target_archE1201ELNS1_3gpuE5ELNS1_3repE0EEENS1_30default_config_static_selectorELNS0_4arch9wavefront6targetE1EEEvSV_.num_named_barrier, 0
	.set _ZN7rocprim17ROCPRIM_400000_NS6detail17trampoline_kernelINS0_14default_configENS1_29binary_search_config_selectorIiiEEZNS1_14transform_implILb0ES3_S5_N6thrust23THRUST_200600_302600_NS6detail15normal_iteratorINS8_7pointerIiNS8_11hip_rocprim5par_tENS8_11use_defaultESE_EEEESG_ZNS1_13binary_searchIS3_S5_NS8_10device_ptrIiEESG_SG_NS1_16binary_search_opENS9_16wrapped_functionINS8_6system6detail7generic6detail18binary_search_lessEbEEEE10hipError_tPvRmT1_T2_T3_mmT4_T5_P12ihipStream_tbEUlRKiE_EESS_SW_SX_mSY_S11_bEUlT_E_NS1_11comp_targetILNS1_3genE10ELNS1_11target_archE1201ELNS1_3gpuE5ELNS1_3repE0EEENS1_30default_config_static_selectorELNS0_4arch9wavefront6targetE1EEEvSV_.private_seg_size, 0
	.set _ZN7rocprim17ROCPRIM_400000_NS6detail17trampoline_kernelINS0_14default_configENS1_29binary_search_config_selectorIiiEEZNS1_14transform_implILb0ES3_S5_N6thrust23THRUST_200600_302600_NS6detail15normal_iteratorINS8_7pointerIiNS8_11hip_rocprim5par_tENS8_11use_defaultESE_EEEESG_ZNS1_13binary_searchIS3_S5_NS8_10device_ptrIiEESG_SG_NS1_16binary_search_opENS9_16wrapped_functionINS8_6system6detail7generic6detail18binary_search_lessEbEEEE10hipError_tPvRmT1_T2_T3_mmT4_T5_P12ihipStream_tbEUlRKiE_EESS_SW_SX_mSY_S11_bEUlT_E_NS1_11comp_targetILNS1_3genE10ELNS1_11target_archE1201ELNS1_3gpuE5ELNS1_3repE0EEENS1_30default_config_static_selectorELNS0_4arch9wavefront6targetE1EEEvSV_.uses_vcc, 0
	.set _ZN7rocprim17ROCPRIM_400000_NS6detail17trampoline_kernelINS0_14default_configENS1_29binary_search_config_selectorIiiEEZNS1_14transform_implILb0ES3_S5_N6thrust23THRUST_200600_302600_NS6detail15normal_iteratorINS8_7pointerIiNS8_11hip_rocprim5par_tENS8_11use_defaultESE_EEEESG_ZNS1_13binary_searchIS3_S5_NS8_10device_ptrIiEESG_SG_NS1_16binary_search_opENS9_16wrapped_functionINS8_6system6detail7generic6detail18binary_search_lessEbEEEE10hipError_tPvRmT1_T2_T3_mmT4_T5_P12ihipStream_tbEUlRKiE_EESS_SW_SX_mSY_S11_bEUlT_E_NS1_11comp_targetILNS1_3genE10ELNS1_11target_archE1201ELNS1_3gpuE5ELNS1_3repE0EEENS1_30default_config_static_selectorELNS0_4arch9wavefront6targetE1EEEvSV_.uses_flat_scratch, 0
	.set _ZN7rocprim17ROCPRIM_400000_NS6detail17trampoline_kernelINS0_14default_configENS1_29binary_search_config_selectorIiiEEZNS1_14transform_implILb0ES3_S5_N6thrust23THRUST_200600_302600_NS6detail15normal_iteratorINS8_7pointerIiNS8_11hip_rocprim5par_tENS8_11use_defaultESE_EEEESG_ZNS1_13binary_searchIS3_S5_NS8_10device_ptrIiEESG_SG_NS1_16binary_search_opENS9_16wrapped_functionINS8_6system6detail7generic6detail18binary_search_lessEbEEEE10hipError_tPvRmT1_T2_T3_mmT4_T5_P12ihipStream_tbEUlRKiE_EESS_SW_SX_mSY_S11_bEUlT_E_NS1_11comp_targetILNS1_3genE10ELNS1_11target_archE1201ELNS1_3gpuE5ELNS1_3repE0EEENS1_30default_config_static_selectorELNS0_4arch9wavefront6targetE1EEEvSV_.has_dyn_sized_stack, 0
	.set _ZN7rocprim17ROCPRIM_400000_NS6detail17trampoline_kernelINS0_14default_configENS1_29binary_search_config_selectorIiiEEZNS1_14transform_implILb0ES3_S5_N6thrust23THRUST_200600_302600_NS6detail15normal_iteratorINS8_7pointerIiNS8_11hip_rocprim5par_tENS8_11use_defaultESE_EEEESG_ZNS1_13binary_searchIS3_S5_NS8_10device_ptrIiEESG_SG_NS1_16binary_search_opENS9_16wrapped_functionINS8_6system6detail7generic6detail18binary_search_lessEbEEEE10hipError_tPvRmT1_T2_T3_mmT4_T5_P12ihipStream_tbEUlRKiE_EESS_SW_SX_mSY_S11_bEUlT_E_NS1_11comp_targetILNS1_3genE10ELNS1_11target_archE1201ELNS1_3gpuE5ELNS1_3repE0EEENS1_30default_config_static_selectorELNS0_4arch9wavefront6targetE1EEEvSV_.has_recursion, 0
	.set _ZN7rocprim17ROCPRIM_400000_NS6detail17trampoline_kernelINS0_14default_configENS1_29binary_search_config_selectorIiiEEZNS1_14transform_implILb0ES3_S5_N6thrust23THRUST_200600_302600_NS6detail15normal_iteratorINS8_7pointerIiNS8_11hip_rocprim5par_tENS8_11use_defaultESE_EEEESG_ZNS1_13binary_searchIS3_S5_NS8_10device_ptrIiEESG_SG_NS1_16binary_search_opENS9_16wrapped_functionINS8_6system6detail7generic6detail18binary_search_lessEbEEEE10hipError_tPvRmT1_T2_T3_mmT4_T5_P12ihipStream_tbEUlRKiE_EESS_SW_SX_mSY_S11_bEUlT_E_NS1_11comp_targetILNS1_3genE10ELNS1_11target_archE1201ELNS1_3gpuE5ELNS1_3repE0EEENS1_30default_config_static_selectorELNS0_4arch9wavefront6targetE1EEEvSV_.has_indirect_call, 0
	.section	.AMDGPU.csdata,"",@progbits
; Kernel info:
; codeLenInByte = 0
; TotalNumSgprs: 4
; NumVgprs: 0
; ScratchSize: 0
; MemoryBound: 0
; FloatMode: 240
; IeeeMode: 1
; LDSByteSize: 0 bytes/workgroup (compile time only)
; SGPRBlocks: 0
; VGPRBlocks: 0
; NumSGPRsForWavesPerEU: 4
; NumVGPRsForWavesPerEU: 1
; Occupancy: 10
; WaveLimiterHint : 0
; COMPUTE_PGM_RSRC2:SCRATCH_EN: 0
; COMPUTE_PGM_RSRC2:USER_SGPR: 6
; COMPUTE_PGM_RSRC2:TRAP_HANDLER: 0
; COMPUTE_PGM_RSRC2:TGID_X_EN: 1
; COMPUTE_PGM_RSRC2:TGID_Y_EN: 0
; COMPUTE_PGM_RSRC2:TGID_Z_EN: 0
; COMPUTE_PGM_RSRC2:TIDIG_COMP_CNT: 0
	.section	.text._ZN7rocprim17ROCPRIM_400000_NS6detail17trampoline_kernelINS0_14default_configENS1_29binary_search_config_selectorIiiEEZNS1_14transform_implILb0ES3_S5_N6thrust23THRUST_200600_302600_NS6detail15normal_iteratorINS8_7pointerIiNS8_11hip_rocprim5par_tENS8_11use_defaultESE_EEEESG_ZNS1_13binary_searchIS3_S5_NS8_10device_ptrIiEESG_SG_NS1_16binary_search_opENS9_16wrapped_functionINS8_6system6detail7generic6detail18binary_search_lessEbEEEE10hipError_tPvRmT1_T2_T3_mmT4_T5_P12ihipStream_tbEUlRKiE_EESS_SW_SX_mSY_S11_bEUlT_E_NS1_11comp_targetILNS1_3genE10ELNS1_11target_archE1200ELNS1_3gpuE4ELNS1_3repE0EEENS1_30default_config_static_selectorELNS0_4arch9wavefront6targetE1EEEvSV_,"axG",@progbits,_ZN7rocprim17ROCPRIM_400000_NS6detail17trampoline_kernelINS0_14default_configENS1_29binary_search_config_selectorIiiEEZNS1_14transform_implILb0ES3_S5_N6thrust23THRUST_200600_302600_NS6detail15normal_iteratorINS8_7pointerIiNS8_11hip_rocprim5par_tENS8_11use_defaultESE_EEEESG_ZNS1_13binary_searchIS3_S5_NS8_10device_ptrIiEESG_SG_NS1_16binary_search_opENS9_16wrapped_functionINS8_6system6detail7generic6detail18binary_search_lessEbEEEE10hipError_tPvRmT1_T2_T3_mmT4_T5_P12ihipStream_tbEUlRKiE_EESS_SW_SX_mSY_S11_bEUlT_E_NS1_11comp_targetILNS1_3genE10ELNS1_11target_archE1200ELNS1_3gpuE4ELNS1_3repE0EEENS1_30default_config_static_selectorELNS0_4arch9wavefront6targetE1EEEvSV_,comdat
	.protected	_ZN7rocprim17ROCPRIM_400000_NS6detail17trampoline_kernelINS0_14default_configENS1_29binary_search_config_selectorIiiEEZNS1_14transform_implILb0ES3_S5_N6thrust23THRUST_200600_302600_NS6detail15normal_iteratorINS8_7pointerIiNS8_11hip_rocprim5par_tENS8_11use_defaultESE_EEEESG_ZNS1_13binary_searchIS3_S5_NS8_10device_ptrIiEESG_SG_NS1_16binary_search_opENS9_16wrapped_functionINS8_6system6detail7generic6detail18binary_search_lessEbEEEE10hipError_tPvRmT1_T2_T3_mmT4_T5_P12ihipStream_tbEUlRKiE_EESS_SW_SX_mSY_S11_bEUlT_E_NS1_11comp_targetILNS1_3genE10ELNS1_11target_archE1200ELNS1_3gpuE4ELNS1_3repE0EEENS1_30default_config_static_selectorELNS0_4arch9wavefront6targetE1EEEvSV_ ; -- Begin function _ZN7rocprim17ROCPRIM_400000_NS6detail17trampoline_kernelINS0_14default_configENS1_29binary_search_config_selectorIiiEEZNS1_14transform_implILb0ES3_S5_N6thrust23THRUST_200600_302600_NS6detail15normal_iteratorINS8_7pointerIiNS8_11hip_rocprim5par_tENS8_11use_defaultESE_EEEESG_ZNS1_13binary_searchIS3_S5_NS8_10device_ptrIiEESG_SG_NS1_16binary_search_opENS9_16wrapped_functionINS8_6system6detail7generic6detail18binary_search_lessEbEEEE10hipError_tPvRmT1_T2_T3_mmT4_T5_P12ihipStream_tbEUlRKiE_EESS_SW_SX_mSY_S11_bEUlT_E_NS1_11comp_targetILNS1_3genE10ELNS1_11target_archE1200ELNS1_3gpuE4ELNS1_3repE0EEENS1_30default_config_static_selectorELNS0_4arch9wavefront6targetE1EEEvSV_
	.globl	_ZN7rocprim17ROCPRIM_400000_NS6detail17trampoline_kernelINS0_14default_configENS1_29binary_search_config_selectorIiiEEZNS1_14transform_implILb0ES3_S5_N6thrust23THRUST_200600_302600_NS6detail15normal_iteratorINS8_7pointerIiNS8_11hip_rocprim5par_tENS8_11use_defaultESE_EEEESG_ZNS1_13binary_searchIS3_S5_NS8_10device_ptrIiEESG_SG_NS1_16binary_search_opENS9_16wrapped_functionINS8_6system6detail7generic6detail18binary_search_lessEbEEEE10hipError_tPvRmT1_T2_T3_mmT4_T5_P12ihipStream_tbEUlRKiE_EESS_SW_SX_mSY_S11_bEUlT_E_NS1_11comp_targetILNS1_3genE10ELNS1_11target_archE1200ELNS1_3gpuE4ELNS1_3repE0EEENS1_30default_config_static_selectorELNS0_4arch9wavefront6targetE1EEEvSV_
	.p2align	8
	.type	_ZN7rocprim17ROCPRIM_400000_NS6detail17trampoline_kernelINS0_14default_configENS1_29binary_search_config_selectorIiiEEZNS1_14transform_implILb0ES3_S5_N6thrust23THRUST_200600_302600_NS6detail15normal_iteratorINS8_7pointerIiNS8_11hip_rocprim5par_tENS8_11use_defaultESE_EEEESG_ZNS1_13binary_searchIS3_S5_NS8_10device_ptrIiEESG_SG_NS1_16binary_search_opENS9_16wrapped_functionINS8_6system6detail7generic6detail18binary_search_lessEbEEEE10hipError_tPvRmT1_T2_T3_mmT4_T5_P12ihipStream_tbEUlRKiE_EESS_SW_SX_mSY_S11_bEUlT_E_NS1_11comp_targetILNS1_3genE10ELNS1_11target_archE1200ELNS1_3gpuE4ELNS1_3repE0EEENS1_30default_config_static_selectorELNS0_4arch9wavefront6targetE1EEEvSV_,@function
_ZN7rocprim17ROCPRIM_400000_NS6detail17trampoline_kernelINS0_14default_configENS1_29binary_search_config_selectorIiiEEZNS1_14transform_implILb0ES3_S5_N6thrust23THRUST_200600_302600_NS6detail15normal_iteratorINS8_7pointerIiNS8_11hip_rocprim5par_tENS8_11use_defaultESE_EEEESG_ZNS1_13binary_searchIS3_S5_NS8_10device_ptrIiEESG_SG_NS1_16binary_search_opENS9_16wrapped_functionINS8_6system6detail7generic6detail18binary_search_lessEbEEEE10hipError_tPvRmT1_T2_T3_mmT4_T5_P12ihipStream_tbEUlRKiE_EESS_SW_SX_mSY_S11_bEUlT_E_NS1_11comp_targetILNS1_3genE10ELNS1_11target_archE1200ELNS1_3gpuE4ELNS1_3repE0EEENS1_30default_config_static_selectorELNS0_4arch9wavefront6targetE1EEEvSV_: ; @_ZN7rocprim17ROCPRIM_400000_NS6detail17trampoline_kernelINS0_14default_configENS1_29binary_search_config_selectorIiiEEZNS1_14transform_implILb0ES3_S5_N6thrust23THRUST_200600_302600_NS6detail15normal_iteratorINS8_7pointerIiNS8_11hip_rocprim5par_tENS8_11use_defaultESE_EEEESG_ZNS1_13binary_searchIS3_S5_NS8_10device_ptrIiEESG_SG_NS1_16binary_search_opENS9_16wrapped_functionINS8_6system6detail7generic6detail18binary_search_lessEbEEEE10hipError_tPvRmT1_T2_T3_mmT4_T5_P12ihipStream_tbEUlRKiE_EESS_SW_SX_mSY_S11_bEUlT_E_NS1_11comp_targetILNS1_3genE10ELNS1_11target_archE1200ELNS1_3gpuE4ELNS1_3repE0EEENS1_30default_config_static_selectorELNS0_4arch9wavefront6targetE1EEEvSV_
; %bb.0:
	.section	.rodata,"a",@progbits
	.p2align	6, 0x0
	.amdhsa_kernel _ZN7rocprim17ROCPRIM_400000_NS6detail17trampoline_kernelINS0_14default_configENS1_29binary_search_config_selectorIiiEEZNS1_14transform_implILb0ES3_S5_N6thrust23THRUST_200600_302600_NS6detail15normal_iteratorINS8_7pointerIiNS8_11hip_rocprim5par_tENS8_11use_defaultESE_EEEESG_ZNS1_13binary_searchIS3_S5_NS8_10device_ptrIiEESG_SG_NS1_16binary_search_opENS9_16wrapped_functionINS8_6system6detail7generic6detail18binary_search_lessEbEEEE10hipError_tPvRmT1_T2_T3_mmT4_T5_P12ihipStream_tbEUlRKiE_EESS_SW_SX_mSY_S11_bEUlT_E_NS1_11comp_targetILNS1_3genE10ELNS1_11target_archE1200ELNS1_3gpuE4ELNS1_3repE0EEENS1_30default_config_static_selectorELNS0_4arch9wavefront6targetE1EEEvSV_
		.amdhsa_group_segment_fixed_size 0
		.amdhsa_private_segment_fixed_size 0
		.amdhsa_kernarg_size 56
		.amdhsa_user_sgpr_count 6
		.amdhsa_user_sgpr_private_segment_buffer 1
		.amdhsa_user_sgpr_dispatch_ptr 0
		.amdhsa_user_sgpr_queue_ptr 0
		.amdhsa_user_sgpr_kernarg_segment_ptr 1
		.amdhsa_user_sgpr_dispatch_id 0
		.amdhsa_user_sgpr_flat_scratch_init 0
		.amdhsa_user_sgpr_private_segment_size 0
		.amdhsa_uses_dynamic_stack 0
		.amdhsa_system_sgpr_private_segment_wavefront_offset 0
		.amdhsa_system_sgpr_workgroup_id_x 1
		.amdhsa_system_sgpr_workgroup_id_y 0
		.amdhsa_system_sgpr_workgroup_id_z 0
		.amdhsa_system_sgpr_workgroup_info 0
		.amdhsa_system_vgpr_workitem_id 0
		.amdhsa_next_free_vgpr 1
		.amdhsa_next_free_sgpr 0
		.amdhsa_reserve_vcc 0
		.amdhsa_reserve_flat_scratch 0
		.amdhsa_float_round_mode_32 0
		.amdhsa_float_round_mode_16_64 0
		.amdhsa_float_denorm_mode_32 3
		.amdhsa_float_denorm_mode_16_64 3
		.amdhsa_dx10_clamp 1
		.amdhsa_ieee_mode 1
		.amdhsa_fp16_overflow 0
		.amdhsa_exception_fp_ieee_invalid_op 0
		.amdhsa_exception_fp_denorm_src 0
		.amdhsa_exception_fp_ieee_div_zero 0
		.amdhsa_exception_fp_ieee_overflow 0
		.amdhsa_exception_fp_ieee_underflow 0
		.amdhsa_exception_fp_ieee_inexact 0
		.amdhsa_exception_int_div_zero 0
	.end_amdhsa_kernel
	.section	.text._ZN7rocprim17ROCPRIM_400000_NS6detail17trampoline_kernelINS0_14default_configENS1_29binary_search_config_selectorIiiEEZNS1_14transform_implILb0ES3_S5_N6thrust23THRUST_200600_302600_NS6detail15normal_iteratorINS8_7pointerIiNS8_11hip_rocprim5par_tENS8_11use_defaultESE_EEEESG_ZNS1_13binary_searchIS3_S5_NS8_10device_ptrIiEESG_SG_NS1_16binary_search_opENS9_16wrapped_functionINS8_6system6detail7generic6detail18binary_search_lessEbEEEE10hipError_tPvRmT1_T2_T3_mmT4_T5_P12ihipStream_tbEUlRKiE_EESS_SW_SX_mSY_S11_bEUlT_E_NS1_11comp_targetILNS1_3genE10ELNS1_11target_archE1200ELNS1_3gpuE4ELNS1_3repE0EEENS1_30default_config_static_selectorELNS0_4arch9wavefront6targetE1EEEvSV_,"axG",@progbits,_ZN7rocprim17ROCPRIM_400000_NS6detail17trampoline_kernelINS0_14default_configENS1_29binary_search_config_selectorIiiEEZNS1_14transform_implILb0ES3_S5_N6thrust23THRUST_200600_302600_NS6detail15normal_iteratorINS8_7pointerIiNS8_11hip_rocprim5par_tENS8_11use_defaultESE_EEEESG_ZNS1_13binary_searchIS3_S5_NS8_10device_ptrIiEESG_SG_NS1_16binary_search_opENS9_16wrapped_functionINS8_6system6detail7generic6detail18binary_search_lessEbEEEE10hipError_tPvRmT1_T2_T3_mmT4_T5_P12ihipStream_tbEUlRKiE_EESS_SW_SX_mSY_S11_bEUlT_E_NS1_11comp_targetILNS1_3genE10ELNS1_11target_archE1200ELNS1_3gpuE4ELNS1_3repE0EEENS1_30default_config_static_selectorELNS0_4arch9wavefront6targetE1EEEvSV_,comdat
.Lfunc_end794:
	.size	_ZN7rocprim17ROCPRIM_400000_NS6detail17trampoline_kernelINS0_14default_configENS1_29binary_search_config_selectorIiiEEZNS1_14transform_implILb0ES3_S5_N6thrust23THRUST_200600_302600_NS6detail15normal_iteratorINS8_7pointerIiNS8_11hip_rocprim5par_tENS8_11use_defaultESE_EEEESG_ZNS1_13binary_searchIS3_S5_NS8_10device_ptrIiEESG_SG_NS1_16binary_search_opENS9_16wrapped_functionINS8_6system6detail7generic6detail18binary_search_lessEbEEEE10hipError_tPvRmT1_T2_T3_mmT4_T5_P12ihipStream_tbEUlRKiE_EESS_SW_SX_mSY_S11_bEUlT_E_NS1_11comp_targetILNS1_3genE10ELNS1_11target_archE1200ELNS1_3gpuE4ELNS1_3repE0EEENS1_30default_config_static_selectorELNS0_4arch9wavefront6targetE1EEEvSV_, .Lfunc_end794-_ZN7rocprim17ROCPRIM_400000_NS6detail17trampoline_kernelINS0_14default_configENS1_29binary_search_config_selectorIiiEEZNS1_14transform_implILb0ES3_S5_N6thrust23THRUST_200600_302600_NS6detail15normal_iteratorINS8_7pointerIiNS8_11hip_rocprim5par_tENS8_11use_defaultESE_EEEESG_ZNS1_13binary_searchIS3_S5_NS8_10device_ptrIiEESG_SG_NS1_16binary_search_opENS9_16wrapped_functionINS8_6system6detail7generic6detail18binary_search_lessEbEEEE10hipError_tPvRmT1_T2_T3_mmT4_T5_P12ihipStream_tbEUlRKiE_EESS_SW_SX_mSY_S11_bEUlT_E_NS1_11comp_targetILNS1_3genE10ELNS1_11target_archE1200ELNS1_3gpuE4ELNS1_3repE0EEENS1_30default_config_static_selectorELNS0_4arch9wavefront6targetE1EEEvSV_
                                        ; -- End function
	.set _ZN7rocprim17ROCPRIM_400000_NS6detail17trampoline_kernelINS0_14default_configENS1_29binary_search_config_selectorIiiEEZNS1_14transform_implILb0ES3_S5_N6thrust23THRUST_200600_302600_NS6detail15normal_iteratorINS8_7pointerIiNS8_11hip_rocprim5par_tENS8_11use_defaultESE_EEEESG_ZNS1_13binary_searchIS3_S5_NS8_10device_ptrIiEESG_SG_NS1_16binary_search_opENS9_16wrapped_functionINS8_6system6detail7generic6detail18binary_search_lessEbEEEE10hipError_tPvRmT1_T2_T3_mmT4_T5_P12ihipStream_tbEUlRKiE_EESS_SW_SX_mSY_S11_bEUlT_E_NS1_11comp_targetILNS1_3genE10ELNS1_11target_archE1200ELNS1_3gpuE4ELNS1_3repE0EEENS1_30default_config_static_selectorELNS0_4arch9wavefront6targetE1EEEvSV_.num_vgpr, 0
	.set _ZN7rocprim17ROCPRIM_400000_NS6detail17trampoline_kernelINS0_14default_configENS1_29binary_search_config_selectorIiiEEZNS1_14transform_implILb0ES3_S5_N6thrust23THRUST_200600_302600_NS6detail15normal_iteratorINS8_7pointerIiNS8_11hip_rocprim5par_tENS8_11use_defaultESE_EEEESG_ZNS1_13binary_searchIS3_S5_NS8_10device_ptrIiEESG_SG_NS1_16binary_search_opENS9_16wrapped_functionINS8_6system6detail7generic6detail18binary_search_lessEbEEEE10hipError_tPvRmT1_T2_T3_mmT4_T5_P12ihipStream_tbEUlRKiE_EESS_SW_SX_mSY_S11_bEUlT_E_NS1_11comp_targetILNS1_3genE10ELNS1_11target_archE1200ELNS1_3gpuE4ELNS1_3repE0EEENS1_30default_config_static_selectorELNS0_4arch9wavefront6targetE1EEEvSV_.num_agpr, 0
	.set _ZN7rocprim17ROCPRIM_400000_NS6detail17trampoline_kernelINS0_14default_configENS1_29binary_search_config_selectorIiiEEZNS1_14transform_implILb0ES3_S5_N6thrust23THRUST_200600_302600_NS6detail15normal_iteratorINS8_7pointerIiNS8_11hip_rocprim5par_tENS8_11use_defaultESE_EEEESG_ZNS1_13binary_searchIS3_S5_NS8_10device_ptrIiEESG_SG_NS1_16binary_search_opENS9_16wrapped_functionINS8_6system6detail7generic6detail18binary_search_lessEbEEEE10hipError_tPvRmT1_T2_T3_mmT4_T5_P12ihipStream_tbEUlRKiE_EESS_SW_SX_mSY_S11_bEUlT_E_NS1_11comp_targetILNS1_3genE10ELNS1_11target_archE1200ELNS1_3gpuE4ELNS1_3repE0EEENS1_30default_config_static_selectorELNS0_4arch9wavefront6targetE1EEEvSV_.numbered_sgpr, 0
	.set _ZN7rocprim17ROCPRIM_400000_NS6detail17trampoline_kernelINS0_14default_configENS1_29binary_search_config_selectorIiiEEZNS1_14transform_implILb0ES3_S5_N6thrust23THRUST_200600_302600_NS6detail15normal_iteratorINS8_7pointerIiNS8_11hip_rocprim5par_tENS8_11use_defaultESE_EEEESG_ZNS1_13binary_searchIS3_S5_NS8_10device_ptrIiEESG_SG_NS1_16binary_search_opENS9_16wrapped_functionINS8_6system6detail7generic6detail18binary_search_lessEbEEEE10hipError_tPvRmT1_T2_T3_mmT4_T5_P12ihipStream_tbEUlRKiE_EESS_SW_SX_mSY_S11_bEUlT_E_NS1_11comp_targetILNS1_3genE10ELNS1_11target_archE1200ELNS1_3gpuE4ELNS1_3repE0EEENS1_30default_config_static_selectorELNS0_4arch9wavefront6targetE1EEEvSV_.num_named_barrier, 0
	.set _ZN7rocprim17ROCPRIM_400000_NS6detail17trampoline_kernelINS0_14default_configENS1_29binary_search_config_selectorIiiEEZNS1_14transform_implILb0ES3_S5_N6thrust23THRUST_200600_302600_NS6detail15normal_iteratorINS8_7pointerIiNS8_11hip_rocprim5par_tENS8_11use_defaultESE_EEEESG_ZNS1_13binary_searchIS3_S5_NS8_10device_ptrIiEESG_SG_NS1_16binary_search_opENS9_16wrapped_functionINS8_6system6detail7generic6detail18binary_search_lessEbEEEE10hipError_tPvRmT1_T2_T3_mmT4_T5_P12ihipStream_tbEUlRKiE_EESS_SW_SX_mSY_S11_bEUlT_E_NS1_11comp_targetILNS1_3genE10ELNS1_11target_archE1200ELNS1_3gpuE4ELNS1_3repE0EEENS1_30default_config_static_selectorELNS0_4arch9wavefront6targetE1EEEvSV_.private_seg_size, 0
	.set _ZN7rocprim17ROCPRIM_400000_NS6detail17trampoline_kernelINS0_14default_configENS1_29binary_search_config_selectorIiiEEZNS1_14transform_implILb0ES3_S5_N6thrust23THRUST_200600_302600_NS6detail15normal_iteratorINS8_7pointerIiNS8_11hip_rocprim5par_tENS8_11use_defaultESE_EEEESG_ZNS1_13binary_searchIS3_S5_NS8_10device_ptrIiEESG_SG_NS1_16binary_search_opENS9_16wrapped_functionINS8_6system6detail7generic6detail18binary_search_lessEbEEEE10hipError_tPvRmT1_T2_T3_mmT4_T5_P12ihipStream_tbEUlRKiE_EESS_SW_SX_mSY_S11_bEUlT_E_NS1_11comp_targetILNS1_3genE10ELNS1_11target_archE1200ELNS1_3gpuE4ELNS1_3repE0EEENS1_30default_config_static_selectorELNS0_4arch9wavefront6targetE1EEEvSV_.uses_vcc, 0
	.set _ZN7rocprim17ROCPRIM_400000_NS6detail17trampoline_kernelINS0_14default_configENS1_29binary_search_config_selectorIiiEEZNS1_14transform_implILb0ES3_S5_N6thrust23THRUST_200600_302600_NS6detail15normal_iteratorINS8_7pointerIiNS8_11hip_rocprim5par_tENS8_11use_defaultESE_EEEESG_ZNS1_13binary_searchIS3_S5_NS8_10device_ptrIiEESG_SG_NS1_16binary_search_opENS9_16wrapped_functionINS8_6system6detail7generic6detail18binary_search_lessEbEEEE10hipError_tPvRmT1_T2_T3_mmT4_T5_P12ihipStream_tbEUlRKiE_EESS_SW_SX_mSY_S11_bEUlT_E_NS1_11comp_targetILNS1_3genE10ELNS1_11target_archE1200ELNS1_3gpuE4ELNS1_3repE0EEENS1_30default_config_static_selectorELNS0_4arch9wavefront6targetE1EEEvSV_.uses_flat_scratch, 0
	.set _ZN7rocprim17ROCPRIM_400000_NS6detail17trampoline_kernelINS0_14default_configENS1_29binary_search_config_selectorIiiEEZNS1_14transform_implILb0ES3_S5_N6thrust23THRUST_200600_302600_NS6detail15normal_iteratorINS8_7pointerIiNS8_11hip_rocprim5par_tENS8_11use_defaultESE_EEEESG_ZNS1_13binary_searchIS3_S5_NS8_10device_ptrIiEESG_SG_NS1_16binary_search_opENS9_16wrapped_functionINS8_6system6detail7generic6detail18binary_search_lessEbEEEE10hipError_tPvRmT1_T2_T3_mmT4_T5_P12ihipStream_tbEUlRKiE_EESS_SW_SX_mSY_S11_bEUlT_E_NS1_11comp_targetILNS1_3genE10ELNS1_11target_archE1200ELNS1_3gpuE4ELNS1_3repE0EEENS1_30default_config_static_selectorELNS0_4arch9wavefront6targetE1EEEvSV_.has_dyn_sized_stack, 0
	.set _ZN7rocprim17ROCPRIM_400000_NS6detail17trampoline_kernelINS0_14default_configENS1_29binary_search_config_selectorIiiEEZNS1_14transform_implILb0ES3_S5_N6thrust23THRUST_200600_302600_NS6detail15normal_iteratorINS8_7pointerIiNS8_11hip_rocprim5par_tENS8_11use_defaultESE_EEEESG_ZNS1_13binary_searchIS3_S5_NS8_10device_ptrIiEESG_SG_NS1_16binary_search_opENS9_16wrapped_functionINS8_6system6detail7generic6detail18binary_search_lessEbEEEE10hipError_tPvRmT1_T2_T3_mmT4_T5_P12ihipStream_tbEUlRKiE_EESS_SW_SX_mSY_S11_bEUlT_E_NS1_11comp_targetILNS1_3genE10ELNS1_11target_archE1200ELNS1_3gpuE4ELNS1_3repE0EEENS1_30default_config_static_selectorELNS0_4arch9wavefront6targetE1EEEvSV_.has_recursion, 0
	.set _ZN7rocprim17ROCPRIM_400000_NS6detail17trampoline_kernelINS0_14default_configENS1_29binary_search_config_selectorIiiEEZNS1_14transform_implILb0ES3_S5_N6thrust23THRUST_200600_302600_NS6detail15normal_iteratorINS8_7pointerIiNS8_11hip_rocprim5par_tENS8_11use_defaultESE_EEEESG_ZNS1_13binary_searchIS3_S5_NS8_10device_ptrIiEESG_SG_NS1_16binary_search_opENS9_16wrapped_functionINS8_6system6detail7generic6detail18binary_search_lessEbEEEE10hipError_tPvRmT1_T2_T3_mmT4_T5_P12ihipStream_tbEUlRKiE_EESS_SW_SX_mSY_S11_bEUlT_E_NS1_11comp_targetILNS1_3genE10ELNS1_11target_archE1200ELNS1_3gpuE4ELNS1_3repE0EEENS1_30default_config_static_selectorELNS0_4arch9wavefront6targetE1EEEvSV_.has_indirect_call, 0
	.section	.AMDGPU.csdata,"",@progbits
; Kernel info:
; codeLenInByte = 0
; TotalNumSgprs: 4
; NumVgprs: 0
; ScratchSize: 0
; MemoryBound: 0
; FloatMode: 240
; IeeeMode: 1
; LDSByteSize: 0 bytes/workgroup (compile time only)
; SGPRBlocks: 0
; VGPRBlocks: 0
; NumSGPRsForWavesPerEU: 4
; NumVGPRsForWavesPerEU: 1
; Occupancy: 10
; WaveLimiterHint : 0
; COMPUTE_PGM_RSRC2:SCRATCH_EN: 0
; COMPUTE_PGM_RSRC2:USER_SGPR: 6
; COMPUTE_PGM_RSRC2:TRAP_HANDLER: 0
; COMPUTE_PGM_RSRC2:TGID_X_EN: 1
; COMPUTE_PGM_RSRC2:TGID_Y_EN: 0
; COMPUTE_PGM_RSRC2:TGID_Z_EN: 0
; COMPUTE_PGM_RSRC2:TIDIG_COMP_CNT: 0
	.section	.text._ZN7rocprim17ROCPRIM_400000_NS6detail17trampoline_kernelINS0_14default_configENS1_29binary_search_config_selectorIiiEEZNS1_14transform_implILb0ES3_S5_N6thrust23THRUST_200600_302600_NS6detail15normal_iteratorINS8_7pointerIiNS8_11hip_rocprim5par_tENS8_11use_defaultESE_EEEESG_ZNS1_13binary_searchIS3_S5_NS8_10device_ptrIiEESG_SG_NS1_16binary_search_opENS9_16wrapped_functionINS8_6system6detail7generic6detail18binary_search_lessEbEEEE10hipError_tPvRmT1_T2_T3_mmT4_T5_P12ihipStream_tbEUlRKiE_EESS_SW_SX_mSY_S11_bEUlT_E_NS1_11comp_targetILNS1_3genE9ELNS1_11target_archE1100ELNS1_3gpuE3ELNS1_3repE0EEENS1_30default_config_static_selectorELNS0_4arch9wavefront6targetE1EEEvSV_,"axG",@progbits,_ZN7rocprim17ROCPRIM_400000_NS6detail17trampoline_kernelINS0_14default_configENS1_29binary_search_config_selectorIiiEEZNS1_14transform_implILb0ES3_S5_N6thrust23THRUST_200600_302600_NS6detail15normal_iteratorINS8_7pointerIiNS8_11hip_rocprim5par_tENS8_11use_defaultESE_EEEESG_ZNS1_13binary_searchIS3_S5_NS8_10device_ptrIiEESG_SG_NS1_16binary_search_opENS9_16wrapped_functionINS8_6system6detail7generic6detail18binary_search_lessEbEEEE10hipError_tPvRmT1_T2_T3_mmT4_T5_P12ihipStream_tbEUlRKiE_EESS_SW_SX_mSY_S11_bEUlT_E_NS1_11comp_targetILNS1_3genE9ELNS1_11target_archE1100ELNS1_3gpuE3ELNS1_3repE0EEENS1_30default_config_static_selectorELNS0_4arch9wavefront6targetE1EEEvSV_,comdat
	.protected	_ZN7rocprim17ROCPRIM_400000_NS6detail17trampoline_kernelINS0_14default_configENS1_29binary_search_config_selectorIiiEEZNS1_14transform_implILb0ES3_S5_N6thrust23THRUST_200600_302600_NS6detail15normal_iteratorINS8_7pointerIiNS8_11hip_rocprim5par_tENS8_11use_defaultESE_EEEESG_ZNS1_13binary_searchIS3_S5_NS8_10device_ptrIiEESG_SG_NS1_16binary_search_opENS9_16wrapped_functionINS8_6system6detail7generic6detail18binary_search_lessEbEEEE10hipError_tPvRmT1_T2_T3_mmT4_T5_P12ihipStream_tbEUlRKiE_EESS_SW_SX_mSY_S11_bEUlT_E_NS1_11comp_targetILNS1_3genE9ELNS1_11target_archE1100ELNS1_3gpuE3ELNS1_3repE0EEENS1_30default_config_static_selectorELNS0_4arch9wavefront6targetE1EEEvSV_ ; -- Begin function _ZN7rocprim17ROCPRIM_400000_NS6detail17trampoline_kernelINS0_14default_configENS1_29binary_search_config_selectorIiiEEZNS1_14transform_implILb0ES3_S5_N6thrust23THRUST_200600_302600_NS6detail15normal_iteratorINS8_7pointerIiNS8_11hip_rocprim5par_tENS8_11use_defaultESE_EEEESG_ZNS1_13binary_searchIS3_S5_NS8_10device_ptrIiEESG_SG_NS1_16binary_search_opENS9_16wrapped_functionINS8_6system6detail7generic6detail18binary_search_lessEbEEEE10hipError_tPvRmT1_T2_T3_mmT4_T5_P12ihipStream_tbEUlRKiE_EESS_SW_SX_mSY_S11_bEUlT_E_NS1_11comp_targetILNS1_3genE9ELNS1_11target_archE1100ELNS1_3gpuE3ELNS1_3repE0EEENS1_30default_config_static_selectorELNS0_4arch9wavefront6targetE1EEEvSV_
	.globl	_ZN7rocprim17ROCPRIM_400000_NS6detail17trampoline_kernelINS0_14default_configENS1_29binary_search_config_selectorIiiEEZNS1_14transform_implILb0ES3_S5_N6thrust23THRUST_200600_302600_NS6detail15normal_iteratorINS8_7pointerIiNS8_11hip_rocprim5par_tENS8_11use_defaultESE_EEEESG_ZNS1_13binary_searchIS3_S5_NS8_10device_ptrIiEESG_SG_NS1_16binary_search_opENS9_16wrapped_functionINS8_6system6detail7generic6detail18binary_search_lessEbEEEE10hipError_tPvRmT1_T2_T3_mmT4_T5_P12ihipStream_tbEUlRKiE_EESS_SW_SX_mSY_S11_bEUlT_E_NS1_11comp_targetILNS1_3genE9ELNS1_11target_archE1100ELNS1_3gpuE3ELNS1_3repE0EEENS1_30default_config_static_selectorELNS0_4arch9wavefront6targetE1EEEvSV_
	.p2align	8
	.type	_ZN7rocprim17ROCPRIM_400000_NS6detail17trampoline_kernelINS0_14default_configENS1_29binary_search_config_selectorIiiEEZNS1_14transform_implILb0ES3_S5_N6thrust23THRUST_200600_302600_NS6detail15normal_iteratorINS8_7pointerIiNS8_11hip_rocprim5par_tENS8_11use_defaultESE_EEEESG_ZNS1_13binary_searchIS3_S5_NS8_10device_ptrIiEESG_SG_NS1_16binary_search_opENS9_16wrapped_functionINS8_6system6detail7generic6detail18binary_search_lessEbEEEE10hipError_tPvRmT1_T2_T3_mmT4_T5_P12ihipStream_tbEUlRKiE_EESS_SW_SX_mSY_S11_bEUlT_E_NS1_11comp_targetILNS1_3genE9ELNS1_11target_archE1100ELNS1_3gpuE3ELNS1_3repE0EEENS1_30default_config_static_selectorELNS0_4arch9wavefront6targetE1EEEvSV_,@function
_ZN7rocprim17ROCPRIM_400000_NS6detail17trampoline_kernelINS0_14default_configENS1_29binary_search_config_selectorIiiEEZNS1_14transform_implILb0ES3_S5_N6thrust23THRUST_200600_302600_NS6detail15normal_iteratorINS8_7pointerIiNS8_11hip_rocprim5par_tENS8_11use_defaultESE_EEEESG_ZNS1_13binary_searchIS3_S5_NS8_10device_ptrIiEESG_SG_NS1_16binary_search_opENS9_16wrapped_functionINS8_6system6detail7generic6detail18binary_search_lessEbEEEE10hipError_tPvRmT1_T2_T3_mmT4_T5_P12ihipStream_tbEUlRKiE_EESS_SW_SX_mSY_S11_bEUlT_E_NS1_11comp_targetILNS1_3genE9ELNS1_11target_archE1100ELNS1_3gpuE3ELNS1_3repE0EEENS1_30default_config_static_selectorELNS0_4arch9wavefront6targetE1EEEvSV_: ; @_ZN7rocprim17ROCPRIM_400000_NS6detail17trampoline_kernelINS0_14default_configENS1_29binary_search_config_selectorIiiEEZNS1_14transform_implILb0ES3_S5_N6thrust23THRUST_200600_302600_NS6detail15normal_iteratorINS8_7pointerIiNS8_11hip_rocprim5par_tENS8_11use_defaultESE_EEEESG_ZNS1_13binary_searchIS3_S5_NS8_10device_ptrIiEESG_SG_NS1_16binary_search_opENS9_16wrapped_functionINS8_6system6detail7generic6detail18binary_search_lessEbEEEE10hipError_tPvRmT1_T2_T3_mmT4_T5_P12ihipStream_tbEUlRKiE_EESS_SW_SX_mSY_S11_bEUlT_E_NS1_11comp_targetILNS1_3genE9ELNS1_11target_archE1100ELNS1_3gpuE3ELNS1_3repE0EEENS1_30default_config_static_selectorELNS0_4arch9wavefront6targetE1EEEvSV_
; %bb.0:
	.section	.rodata,"a",@progbits
	.p2align	6, 0x0
	.amdhsa_kernel _ZN7rocprim17ROCPRIM_400000_NS6detail17trampoline_kernelINS0_14default_configENS1_29binary_search_config_selectorIiiEEZNS1_14transform_implILb0ES3_S5_N6thrust23THRUST_200600_302600_NS6detail15normal_iteratorINS8_7pointerIiNS8_11hip_rocprim5par_tENS8_11use_defaultESE_EEEESG_ZNS1_13binary_searchIS3_S5_NS8_10device_ptrIiEESG_SG_NS1_16binary_search_opENS9_16wrapped_functionINS8_6system6detail7generic6detail18binary_search_lessEbEEEE10hipError_tPvRmT1_T2_T3_mmT4_T5_P12ihipStream_tbEUlRKiE_EESS_SW_SX_mSY_S11_bEUlT_E_NS1_11comp_targetILNS1_3genE9ELNS1_11target_archE1100ELNS1_3gpuE3ELNS1_3repE0EEENS1_30default_config_static_selectorELNS0_4arch9wavefront6targetE1EEEvSV_
		.amdhsa_group_segment_fixed_size 0
		.amdhsa_private_segment_fixed_size 0
		.amdhsa_kernarg_size 56
		.amdhsa_user_sgpr_count 6
		.amdhsa_user_sgpr_private_segment_buffer 1
		.amdhsa_user_sgpr_dispatch_ptr 0
		.amdhsa_user_sgpr_queue_ptr 0
		.amdhsa_user_sgpr_kernarg_segment_ptr 1
		.amdhsa_user_sgpr_dispatch_id 0
		.amdhsa_user_sgpr_flat_scratch_init 0
		.amdhsa_user_sgpr_private_segment_size 0
		.amdhsa_uses_dynamic_stack 0
		.amdhsa_system_sgpr_private_segment_wavefront_offset 0
		.amdhsa_system_sgpr_workgroup_id_x 1
		.amdhsa_system_sgpr_workgroup_id_y 0
		.amdhsa_system_sgpr_workgroup_id_z 0
		.amdhsa_system_sgpr_workgroup_info 0
		.amdhsa_system_vgpr_workitem_id 0
		.amdhsa_next_free_vgpr 1
		.amdhsa_next_free_sgpr 0
		.amdhsa_reserve_vcc 0
		.amdhsa_reserve_flat_scratch 0
		.amdhsa_float_round_mode_32 0
		.amdhsa_float_round_mode_16_64 0
		.amdhsa_float_denorm_mode_32 3
		.amdhsa_float_denorm_mode_16_64 3
		.amdhsa_dx10_clamp 1
		.amdhsa_ieee_mode 1
		.amdhsa_fp16_overflow 0
		.amdhsa_exception_fp_ieee_invalid_op 0
		.amdhsa_exception_fp_denorm_src 0
		.amdhsa_exception_fp_ieee_div_zero 0
		.amdhsa_exception_fp_ieee_overflow 0
		.amdhsa_exception_fp_ieee_underflow 0
		.amdhsa_exception_fp_ieee_inexact 0
		.amdhsa_exception_int_div_zero 0
	.end_amdhsa_kernel
	.section	.text._ZN7rocprim17ROCPRIM_400000_NS6detail17trampoline_kernelINS0_14default_configENS1_29binary_search_config_selectorIiiEEZNS1_14transform_implILb0ES3_S5_N6thrust23THRUST_200600_302600_NS6detail15normal_iteratorINS8_7pointerIiNS8_11hip_rocprim5par_tENS8_11use_defaultESE_EEEESG_ZNS1_13binary_searchIS3_S5_NS8_10device_ptrIiEESG_SG_NS1_16binary_search_opENS9_16wrapped_functionINS8_6system6detail7generic6detail18binary_search_lessEbEEEE10hipError_tPvRmT1_T2_T3_mmT4_T5_P12ihipStream_tbEUlRKiE_EESS_SW_SX_mSY_S11_bEUlT_E_NS1_11comp_targetILNS1_3genE9ELNS1_11target_archE1100ELNS1_3gpuE3ELNS1_3repE0EEENS1_30default_config_static_selectorELNS0_4arch9wavefront6targetE1EEEvSV_,"axG",@progbits,_ZN7rocprim17ROCPRIM_400000_NS6detail17trampoline_kernelINS0_14default_configENS1_29binary_search_config_selectorIiiEEZNS1_14transform_implILb0ES3_S5_N6thrust23THRUST_200600_302600_NS6detail15normal_iteratorINS8_7pointerIiNS8_11hip_rocprim5par_tENS8_11use_defaultESE_EEEESG_ZNS1_13binary_searchIS3_S5_NS8_10device_ptrIiEESG_SG_NS1_16binary_search_opENS9_16wrapped_functionINS8_6system6detail7generic6detail18binary_search_lessEbEEEE10hipError_tPvRmT1_T2_T3_mmT4_T5_P12ihipStream_tbEUlRKiE_EESS_SW_SX_mSY_S11_bEUlT_E_NS1_11comp_targetILNS1_3genE9ELNS1_11target_archE1100ELNS1_3gpuE3ELNS1_3repE0EEENS1_30default_config_static_selectorELNS0_4arch9wavefront6targetE1EEEvSV_,comdat
.Lfunc_end795:
	.size	_ZN7rocprim17ROCPRIM_400000_NS6detail17trampoline_kernelINS0_14default_configENS1_29binary_search_config_selectorIiiEEZNS1_14transform_implILb0ES3_S5_N6thrust23THRUST_200600_302600_NS6detail15normal_iteratorINS8_7pointerIiNS8_11hip_rocprim5par_tENS8_11use_defaultESE_EEEESG_ZNS1_13binary_searchIS3_S5_NS8_10device_ptrIiEESG_SG_NS1_16binary_search_opENS9_16wrapped_functionINS8_6system6detail7generic6detail18binary_search_lessEbEEEE10hipError_tPvRmT1_T2_T3_mmT4_T5_P12ihipStream_tbEUlRKiE_EESS_SW_SX_mSY_S11_bEUlT_E_NS1_11comp_targetILNS1_3genE9ELNS1_11target_archE1100ELNS1_3gpuE3ELNS1_3repE0EEENS1_30default_config_static_selectorELNS0_4arch9wavefront6targetE1EEEvSV_, .Lfunc_end795-_ZN7rocprim17ROCPRIM_400000_NS6detail17trampoline_kernelINS0_14default_configENS1_29binary_search_config_selectorIiiEEZNS1_14transform_implILb0ES3_S5_N6thrust23THRUST_200600_302600_NS6detail15normal_iteratorINS8_7pointerIiNS8_11hip_rocprim5par_tENS8_11use_defaultESE_EEEESG_ZNS1_13binary_searchIS3_S5_NS8_10device_ptrIiEESG_SG_NS1_16binary_search_opENS9_16wrapped_functionINS8_6system6detail7generic6detail18binary_search_lessEbEEEE10hipError_tPvRmT1_T2_T3_mmT4_T5_P12ihipStream_tbEUlRKiE_EESS_SW_SX_mSY_S11_bEUlT_E_NS1_11comp_targetILNS1_3genE9ELNS1_11target_archE1100ELNS1_3gpuE3ELNS1_3repE0EEENS1_30default_config_static_selectorELNS0_4arch9wavefront6targetE1EEEvSV_
                                        ; -- End function
	.set _ZN7rocprim17ROCPRIM_400000_NS6detail17trampoline_kernelINS0_14default_configENS1_29binary_search_config_selectorIiiEEZNS1_14transform_implILb0ES3_S5_N6thrust23THRUST_200600_302600_NS6detail15normal_iteratorINS8_7pointerIiNS8_11hip_rocprim5par_tENS8_11use_defaultESE_EEEESG_ZNS1_13binary_searchIS3_S5_NS8_10device_ptrIiEESG_SG_NS1_16binary_search_opENS9_16wrapped_functionINS8_6system6detail7generic6detail18binary_search_lessEbEEEE10hipError_tPvRmT1_T2_T3_mmT4_T5_P12ihipStream_tbEUlRKiE_EESS_SW_SX_mSY_S11_bEUlT_E_NS1_11comp_targetILNS1_3genE9ELNS1_11target_archE1100ELNS1_3gpuE3ELNS1_3repE0EEENS1_30default_config_static_selectorELNS0_4arch9wavefront6targetE1EEEvSV_.num_vgpr, 0
	.set _ZN7rocprim17ROCPRIM_400000_NS6detail17trampoline_kernelINS0_14default_configENS1_29binary_search_config_selectorIiiEEZNS1_14transform_implILb0ES3_S5_N6thrust23THRUST_200600_302600_NS6detail15normal_iteratorINS8_7pointerIiNS8_11hip_rocprim5par_tENS8_11use_defaultESE_EEEESG_ZNS1_13binary_searchIS3_S5_NS8_10device_ptrIiEESG_SG_NS1_16binary_search_opENS9_16wrapped_functionINS8_6system6detail7generic6detail18binary_search_lessEbEEEE10hipError_tPvRmT1_T2_T3_mmT4_T5_P12ihipStream_tbEUlRKiE_EESS_SW_SX_mSY_S11_bEUlT_E_NS1_11comp_targetILNS1_3genE9ELNS1_11target_archE1100ELNS1_3gpuE3ELNS1_3repE0EEENS1_30default_config_static_selectorELNS0_4arch9wavefront6targetE1EEEvSV_.num_agpr, 0
	.set _ZN7rocprim17ROCPRIM_400000_NS6detail17trampoline_kernelINS0_14default_configENS1_29binary_search_config_selectorIiiEEZNS1_14transform_implILb0ES3_S5_N6thrust23THRUST_200600_302600_NS6detail15normal_iteratorINS8_7pointerIiNS8_11hip_rocprim5par_tENS8_11use_defaultESE_EEEESG_ZNS1_13binary_searchIS3_S5_NS8_10device_ptrIiEESG_SG_NS1_16binary_search_opENS9_16wrapped_functionINS8_6system6detail7generic6detail18binary_search_lessEbEEEE10hipError_tPvRmT1_T2_T3_mmT4_T5_P12ihipStream_tbEUlRKiE_EESS_SW_SX_mSY_S11_bEUlT_E_NS1_11comp_targetILNS1_3genE9ELNS1_11target_archE1100ELNS1_3gpuE3ELNS1_3repE0EEENS1_30default_config_static_selectorELNS0_4arch9wavefront6targetE1EEEvSV_.numbered_sgpr, 0
	.set _ZN7rocprim17ROCPRIM_400000_NS6detail17trampoline_kernelINS0_14default_configENS1_29binary_search_config_selectorIiiEEZNS1_14transform_implILb0ES3_S5_N6thrust23THRUST_200600_302600_NS6detail15normal_iteratorINS8_7pointerIiNS8_11hip_rocprim5par_tENS8_11use_defaultESE_EEEESG_ZNS1_13binary_searchIS3_S5_NS8_10device_ptrIiEESG_SG_NS1_16binary_search_opENS9_16wrapped_functionINS8_6system6detail7generic6detail18binary_search_lessEbEEEE10hipError_tPvRmT1_T2_T3_mmT4_T5_P12ihipStream_tbEUlRKiE_EESS_SW_SX_mSY_S11_bEUlT_E_NS1_11comp_targetILNS1_3genE9ELNS1_11target_archE1100ELNS1_3gpuE3ELNS1_3repE0EEENS1_30default_config_static_selectorELNS0_4arch9wavefront6targetE1EEEvSV_.num_named_barrier, 0
	.set _ZN7rocprim17ROCPRIM_400000_NS6detail17trampoline_kernelINS0_14default_configENS1_29binary_search_config_selectorIiiEEZNS1_14transform_implILb0ES3_S5_N6thrust23THRUST_200600_302600_NS6detail15normal_iteratorINS8_7pointerIiNS8_11hip_rocprim5par_tENS8_11use_defaultESE_EEEESG_ZNS1_13binary_searchIS3_S5_NS8_10device_ptrIiEESG_SG_NS1_16binary_search_opENS9_16wrapped_functionINS8_6system6detail7generic6detail18binary_search_lessEbEEEE10hipError_tPvRmT1_T2_T3_mmT4_T5_P12ihipStream_tbEUlRKiE_EESS_SW_SX_mSY_S11_bEUlT_E_NS1_11comp_targetILNS1_3genE9ELNS1_11target_archE1100ELNS1_3gpuE3ELNS1_3repE0EEENS1_30default_config_static_selectorELNS0_4arch9wavefront6targetE1EEEvSV_.private_seg_size, 0
	.set _ZN7rocprim17ROCPRIM_400000_NS6detail17trampoline_kernelINS0_14default_configENS1_29binary_search_config_selectorIiiEEZNS1_14transform_implILb0ES3_S5_N6thrust23THRUST_200600_302600_NS6detail15normal_iteratorINS8_7pointerIiNS8_11hip_rocprim5par_tENS8_11use_defaultESE_EEEESG_ZNS1_13binary_searchIS3_S5_NS8_10device_ptrIiEESG_SG_NS1_16binary_search_opENS9_16wrapped_functionINS8_6system6detail7generic6detail18binary_search_lessEbEEEE10hipError_tPvRmT1_T2_T3_mmT4_T5_P12ihipStream_tbEUlRKiE_EESS_SW_SX_mSY_S11_bEUlT_E_NS1_11comp_targetILNS1_3genE9ELNS1_11target_archE1100ELNS1_3gpuE3ELNS1_3repE0EEENS1_30default_config_static_selectorELNS0_4arch9wavefront6targetE1EEEvSV_.uses_vcc, 0
	.set _ZN7rocprim17ROCPRIM_400000_NS6detail17trampoline_kernelINS0_14default_configENS1_29binary_search_config_selectorIiiEEZNS1_14transform_implILb0ES3_S5_N6thrust23THRUST_200600_302600_NS6detail15normal_iteratorINS8_7pointerIiNS8_11hip_rocprim5par_tENS8_11use_defaultESE_EEEESG_ZNS1_13binary_searchIS3_S5_NS8_10device_ptrIiEESG_SG_NS1_16binary_search_opENS9_16wrapped_functionINS8_6system6detail7generic6detail18binary_search_lessEbEEEE10hipError_tPvRmT1_T2_T3_mmT4_T5_P12ihipStream_tbEUlRKiE_EESS_SW_SX_mSY_S11_bEUlT_E_NS1_11comp_targetILNS1_3genE9ELNS1_11target_archE1100ELNS1_3gpuE3ELNS1_3repE0EEENS1_30default_config_static_selectorELNS0_4arch9wavefront6targetE1EEEvSV_.uses_flat_scratch, 0
	.set _ZN7rocprim17ROCPRIM_400000_NS6detail17trampoline_kernelINS0_14default_configENS1_29binary_search_config_selectorIiiEEZNS1_14transform_implILb0ES3_S5_N6thrust23THRUST_200600_302600_NS6detail15normal_iteratorINS8_7pointerIiNS8_11hip_rocprim5par_tENS8_11use_defaultESE_EEEESG_ZNS1_13binary_searchIS3_S5_NS8_10device_ptrIiEESG_SG_NS1_16binary_search_opENS9_16wrapped_functionINS8_6system6detail7generic6detail18binary_search_lessEbEEEE10hipError_tPvRmT1_T2_T3_mmT4_T5_P12ihipStream_tbEUlRKiE_EESS_SW_SX_mSY_S11_bEUlT_E_NS1_11comp_targetILNS1_3genE9ELNS1_11target_archE1100ELNS1_3gpuE3ELNS1_3repE0EEENS1_30default_config_static_selectorELNS0_4arch9wavefront6targetE1EEEvSV_.has_dyn_sized_stack, 0
	.set _ZN7rocprim17ROCPRIM_400000_NS6detail17trampoline_kernelINS0_14default_configENS1_29binary_search_config_selectorIiiEEZNS1_14transform_implILb0ES3_S5_N6thrust23THRUST_200600_302600_NS6detail15normal_iteratorINS8_7pointerIiNS8_11hip_rocprim5par_tENS8_11use_defaultESE_EEEESG_ZNS1_13binary_searchIS3_S5_NS8_10device_ptrIiEESG_SG_NS1_16binary_search_opENS9_16wrapped_functionINS8_6system6detail7generic6detail18binary_search_lessEbEEEE10hipError_tPvRmT1_T2_T3_mmT4_T5_P12ihipStream_tbEUlRKiE_EESS_SW_SX_mSY_S11_bEUlT_E_NS1_11comp_targetILNS1_3genE9ELNS1_11target_archE1100ELNS1_3gpuE3ELNS1_3repE0EEENS1_30default_config_static_selectorELNS0_4arch9wavefront6targetE1EEEvSV_.has_recursion, 0
	.set _ZN7rocprim17ROCPRIM_400000_NS6detail17trampoline_kernelINS0_14default_configENS1_29binary_search_config_selectorIiiEEZNS1_14transform_implILb0ES3_S5_N6thrust23THRUST_200600_302600_NS6detail15normal_iteratorINS8_7pointerIiNS8_11hip_rocprim5par_tENS8_11use_defaultESE_EEEESG_ZNS1_13binary_searchIS3_S5_NS8_10device_ptrIiEESG_SG_NS1_16binary_search_opENS9_16wrapped_functionINS8_6system6detail7generic6detail18binary_search_lessEbEEEE10hipError_tPvRmT1_T2_T3_mmT4_T5_P12ihipStream_tbEUlRKiE_EESS_SW_SX_mSY_S11_bEUlT_E_NS1_11comp_targetILNS1_3genE9ELNS1_11target_archE1100ELNS1_3gpuE3ELNS1_3repE0EEENS1_30default_config_static_selectorELNS0_4arch9wavefront6targetE1EEEvSV_.has_indirect_call, 0
	.section	.AMDGPU.csdata,"",@progbits
; Kernel info:
; codeLenInByte = 0
; TotalNumSgprs: 4
; NumVgprs: 0
; ScratchSize: 0
; MemoryBound: 0
; FloatMode: 240
; IeeeMode: 1
; LDSByteSize: 0 bytes/workgroup (compile time only)
; SGPRBlocks: 0
; VGPRBlocks: 0
; NumSGPRsForWavesPerEU: 4
; NumVGPRsForWavesPerEU: 1
; Occupancy: 10
; WaveLimiterHint : 0
; COMPUTE_PGM_RSRC2:SCRATCH_EN: 0
; COMPUTE_PGM_RSRC2:USER_SGPR: 6
; COMPUTE_PGM_RSRC2:TRAP_HANDLER: 0
; COMPUTE_PGM_RSRC2:TGID_X_EN: 1
; COMPUTE_PGM_RSRC2:TGID_Y_EN: 0
; COMPUTE_PGM_RSRC2:TGID_Z_EN: 0
; COMPUTE_PGM_RSRC2:TIDIG_COMP_CNT: 0
	.section	.text._ZN7rocprim17ROCPRIM_400000_NS6detail17trampoline_kernelINS0_14default_configENS1_29binary_search_config_selectorIiiEEZNS1_14transform_implILb0ES3_S5_N6thrust23THRUST_200600_302600_NS6detail15normal_iteratorINS8_7pointerIiNS8_11hip_rocprim5par_tENS8_11use_defaultESE_EEEESG_ZNS1_13binary_searchIS3_S5_NS8_10device_ptrIiEESG_SG_NS1_16binary_search_opENS9_16wrapped_functionINS8_6system6detail7generic6detail18binary_search_lessEbEEEE10hipError_tPvRmT1_T2_T3_mmT4_T5_P12ihipStream_tbEUlRKiE_EESS_SW_SX_mSY_S11_bEUlT_E_NS1_11comp_targetILNS1_3genE8ELNS1_11target_archE1030ELNS1_3gpuE2ELNS1_3repE0EEENS1_30default_config_static_selectorELNS0_4arch9wavefront6targetE1EEEvSV_,"axG",@progbits,_ZN7rocprim17ROCPRIM_400000_NS6detail17trampoline_kernelINS0_14default_configENS1_29binary_search_config_selectorIiiEEZNS1_14transform_implILb0ES3_S5_N6thrust23THRUST_200600_302600_NS6detail15normal_iteratorINS8_7pointerIiNS8_11hip_rocprim5par_tENS8_11use_defaultESE_EEEESG_ZNS1_13binary_searchIS3_S5_NS8_10device_ptrIiEESG_SG_NS1_16binary_search_opENS9_16wrapped_functionINS8_6system6detail7generic6detail18binary_search_lessEbEEEE10hipError_tPvRmT1_T2_T3_mmT4_T5_P12ihipStream_tbEUlRKiE_EESS_SW_SX_mSY_S11_bEUlT_E_NS1_11comp_targetILNS1_3genE8ELNS1_11target_archE1030ELNS1_3gpuE2ELNS1_3repE0EEENS1_30default_config_static_selectorELNS0_4arch9wavefront6targetE1EEEvSV_,comdat
	.protected	_ZN7rocprim17ROCPRIM_400000_NS6detail17trampoline_kernelINS0_14default_configENS1_29binary_search_config_selectorIiiEEZNS1_14transform_implILb0ES3_S5_N6thrust23THRUST_200600_302600_NS6detail15normal_iteratorINS8_7pointerIiNS8_11hip_rocprim5par_tENS8_11use_defaultESE_EEEESG_ZNS1_13binary_searchIS3_S5_NS8_10device_ptrIiEESG_SG_NS1_16binary_search_opENS9_16wrapped_functionINS8_6system6detail7generic6detail18binary_search_lessEbEEEE10hipError_tPvRmT1_T2_T3_mmT4_T5_P12ihipStream_tbEUlRKiE_EESS_SW_SX_mSY_S11_bEUlT_E_NS1_11comp_targetILNS1_3genE8ELNS1_11target_archE1030ELNS1_3gpuE2ELNS1_3repE0EEENS1_30default_config_static_selectorELNS0_4arch9wavefront6targetE1EEEvSV_ ; -- Begin function _ZN7rocprim17ROCPRIM_400000_NS6detail17trampoline_kernelINS0_14default_configENS1_29binary_search_config_selectorIiiEEZNS1_14transform_implILb0ES3_S5_N6thrust23THRUST_200600_302600_NS6detail15normal_iteratorINS8_7pointerIiNS8_11hip_rocprim5par_tENS8_11use_defaultESE_EEEESG_ZNS1_13binary_searchIS3_S5_NS8_10device_ptrIiEESG_SG_NS1_16binary_search_opENS9_16wrapped_functionINS8_6system6detail7generic6detail18binary_search_lessEbEEEE10hipError_tPvRmT1_T2_T3_mmT4_T5_P12ihipStream_tbEUlRKiE_EESS_SW_SX_mSY_S11_bEUlT_E_NS1_11comp_targetILNS1_3genE8ELNS1_11target_archE1030ELNS1_3gpuE2ELNS1_3repE0EEENS1_30default_config_static_selectorELNS0_4arch9wavefront6targetE1EEEvSV_
	.globl	_ZN7rocprim17ROCPRIM_400000_NS6detail17trampoline_kernelINS0_14default_configENS1_29binary_search_config_selectorIiiEEZNS1_14transform_implILb0ES3_S5_N6thrust23THRUST_200600_302600_NS6detail15normal_iteratorINS8_7pointerIiNS8_11hip_rocprim5par_tENS8_11use_defaultESE_EEEESG_ZNS1_13binary_searchIS3_S5_NS8_10device_ptrIiEESG_SG_NS1_16binary_search_opENS9_16wrapped_functionINS8_6system6detail7generic6detail18binary_search_lessEbEEEE10hipError_tPvRmT1_T2_T3_mmT4_T5_P12ihipStream_tbEUlRKiE_EESS_SW_SX_mSY_S11_bEUlT_E_NS1_11comp_targetILNS1_3genE8ELNS1_11target_archE1030ELNS1_3gpuE2ELNS1_3repE0EEENS1_30default_config_static_selectorELNS0_4arch9wavefront6targetE1EEEvSV_
	.p2align	8
	.type	_ZN7rocprim17ROCPRIM_400000_NS6detail17trampoline_kernelINS0_14default_configENS1_29binary_search_config_selectorIiiEEZNS1_14transform_implILb0ES3_S5_N6thrust23THRUST_200600_302600_NS6detail15normal_iteratorINS8_7pointerIiNS8_11hip_rocprim5par_tENS8_11use_defaultESE_EEEESG_ZNS1_13binary_searchIS3_S5_NS8_10device_ptrIiEESG_SG_NS1_16binary_search_opENS9_16wrapped_functionINS8_6system6detail7generic6detail18binary_search_lessEbEEEE10hipError_tPvRmT1_T2_T3_mmT4_T5_P12ihipStream_tbEUlRKiE_EESS_SW_SX_mSY_S11_bEUlT_E_NS1_11comp_targetILNS1_3genE8ELNS1_11target_archE1030ELNS1_3gpuE2ELNS1_3repE0EEENS1_30default_config_static_selectorELNS0_4arch9wavefront6targetE1EEEvSV_,@function
_ZN7rocprim17ROCPRIM_400000_NS6detail17trampoline_kernelINS0_14default_configENS1_29binary_search_config_selectorIiiEEZNS1_14transform_implILb0ES3_S5_N6thrust23THRUST_200600_302600_NS6detail15normal_iteratorINS8_7pointerIiNS8_11hip_rocprim5par_tENS8_11use_defaultESE_EEEESG_ZNS1_13binary_searchIS3_S5_NS8_10device_ptrIiEESG_SG_NS1_16binary_search_opENS9_16wrapped_functionINS8_6system6detail7generic6detail18binary_search_lessEbEEEE10hipError_tPvRmT1_T2_T3_mmT4_T5_P12ihipStream_tbEUlRKiE_EESS_SW_SX_mSY_S11_bEUlT_E_NS1_11comp_targetILNS1_3genE8ELNS1_11target_archE1030ELNS1_3gpuE2ELNS1_3repE0EEENS1_30default_config_static_selectorELNS0_4arch9wavefront6targetE1EEEvSV_: ; @_ZN7rocprim17ROCPRIM_400000_NS6detail17trampoline_kernelINS0_14default_configENS1_29binary_search_config_selectorIiiEEZNS1_14transform_implILb0ES3_S5_N6thrust23THRUST_200600_302600_NS6detail15normal_iteratorINS8_7pointerIiNS8_11hip_rocprim5par_tENS8_11use_defaultESE_EEEESG_ZNS1_13binary_searchIS3_S5_NS8_10device_ptrIiEESG_SG_NS1_16binary_search_opENS9_16wrapped_functionINS8_6system6detail7generic6detail18binary_search_lessEbEEEE10hipError_tPvRmT1_T2_T3_mmT4_T5_P12ihipStream_tbEUlRKiE_EESS_SW_SX_mSY_S11_bEUlT_E_NS1_11comp_targetILNS1_3genE8ELNS1_11target_archE1030ELNS1_3gpuE2ELNS1_3repE0EEENS1_30default_config_static_selectorELNS0_4arch9wavefront6targetE1EEEvSV_
; %bb.0:
	.section	.rodata,"a",@progbits
	.p2align	6, 0x0
	.amdhsa_kernel _ZN7rocprim17ROCPRIM_400000_NS6detail17trampoline_kernelINS0_14default_configENS1_29binary_search_config_selectorIiiEEZNS1_14transform_implILb0ES3_S5_N6thrust23THRUST_200600_302600_NS6detail15normal_iteratorINS8_7pointerIiNS8_11hip_rocprim5par_tENS8_11use_defaultESE_EEEESG_ZNS1_13binary_searchIS3_S5_NS8_10device_ptrIiEESG_SG_NS1_16binary_search_opENS9_16wrapped_functionINS8_6system6detail7generic6detail18binary_search_lessEbEEEE10hipError_tPvRmT1_T2_T3_mmT4_T5_P12ihipStream_tbEUlRKiE_EESS_SW_SX_mSY_S11_bEUlT_E_NS1_11comp_targetILNS1_3genE8ELNS1_11target_archE1030ELNS1_3gpuE2ELNS1_3repE0EEENS1_30default_config_static_selectorELNS0_4arch9wavefront6targetE1EEEvSV_
		.amdhsa_group_segment_fixed_size 0
		.amdhsa_private_segment_fixed_size 0
		.amdhsa_kernarg_size 56
		.amdhsa_user_sgpr_count 6
		.amdhsa_user_sgpr_private_segment_buffer 1
		.amdhsa_user_sgpr_dispatch_ptr 0
		.amdhsa_user_sgpr_queue_ptr 0
		.amdhsa_user_sgpr_kernarg_segment_ptr 1
		.amdhsa_user_sgpr_dispatch_id 0
		.amdhsa_user_sgpr_flat_scratch_init 0
		.amdhsa_user_sgpr_private_segment_size 0
		.amdhsa_uses_dynamic_stack 0
		.amdhsa_system_sgpr_private_segment_wavefront_offset 0
		.amdhsa_system_sgpr_workgroup_id_x 1
		.amdhsa_system_sgpr_workgroup_id_y 0
		.amdhsa_system_sgpr_workgroup_id_z 0
		.amdhsa_system_sgpr_workgroup_info 0
		.amdhsa_system_vgpr_workitem_id 0
		.amdhsa_next_free_vgpr 1
		.amdhsa_next_free_sgpr 0
		.amdhsa_reserve_vcc 0
		.amdhsa_reserve_flat_scratch 0
		.amdhsa_float_round_mode_32 0
		.amdhsa_float_round_mode_16_64 0
		.amdhsa_float_denorm_mode_32 3
		.amdhsa_float_denorm_mode_16_64 3
		.amdhsa_dx10_clamp 1
		.amdhsa_ieee_mode 1
		.amdhsa_fp16_overflow 0
		.amdhsa_exception_fp_ieee_invalid_op 0
		.amdhsa_exception_fp_denorm_src 0
		.amdhsa_exception_fp_ieee_div_zero 0
		.amdhsa_exception_fp_ieee_overflow 0
		.amdhsa_exception_fp_ieee_underflow 0
		.amdhsa_exception_fp_ieee_inexact 0
		.amdhsa_exception_int_div_zero 0
	.end_amdhsa_kernel
	.section	.text._ZN7rocprim17ROCPRIM_400000_NS6detail17trampoline_kernelINS0_14default_configENS1_29binary_search_config_selectorIiiEEZNS1_14transform_implILb0ES3_S5_N6thrust23THRUST_200600_302600_NS6detail15normal_iteratorINS8_7pointerIiNS8_11hip_rocprim5par_tENS8_11use_defaultESE_EEEESG_ZNS1_13binary_searchIS3_S5_NS8_10device_ptrIiEESG_SG_NS1_16binary_search_opENS9_16wrapped_functionINS8_6system6detail7generic6detail18binary_search_lessEbEEEE10hipError_tPvRmT1_T2_T3_mmT4_T5_P12ihipStream_tbEUlRKiE_EESS_SW_SX_mSY_S11_bEUlT_E_NS1_11comp_targetILNS1_3genE8ELNS1_11target_archE1030ELNS1_3gpuE2ELNS1_3repE0EEENS1_30default_config_static_selectorELNS0_4arch9wavefront6targetE1EEEvSV_,"axG",@progbits,_ZN7rocprim17ROCPRIM_400000_NS6detail17trampoline_kernelINS0_14default_configENS1_29binary_search_config_selectorIiiEEZNS1_14transform_implILb0ES3_S5_N6thrust23THRUST_200600_302600_NS6detail15normal_iteratorINS8_7pointerIiNS8_11hip_rocprim5par_tENS8_11use_defaultESE_EEEESG_ZNS1_13binary_searchIS3_S5_NS8_10device_ptrIiEESG_SG_NS1_16binary_search_opENS9_16wrapped_functionINS8_6system6detail7generic6detail18binary_search_lessEbEEEE10hipError_tPvRmT1_T2_T3_mmT4_T5_P12ihipStream_tbEUlRKiE_EESS_SW_SX_mSY_S11_bEUlT_E_NS1_11comp_targetILNS1_3genE8ELNS1_11target_archE1030ELNS1_3gpuE2ELNS1_3repE0EEENS1_30default_config_static_selectorELNS0_4arch9wavefront6targetE1EEEvSV_,comdat
.Lfunc_end796:
	.size	_ZN7rocprim17ROCPRIM_400000_NS6detail17trampoline_kernelINS0_14default_configENS1_29binary_search_config_selectorIiiEEZNS1_14transform_implILb0ES3_S5_N6thrust23THRUST_200600_302600_NS6detail15normal_iteratorINS8_7pointerIiNS8_11hip_rocprim5par_tENS8_11use_defaultESE_EEEESG_ZNS1_13binary_searchIS3_S5_NS8_10device_ptrIiEESG_SG_NS1_16binary_search_opENS9_16wrapped_functionINS8_6system6detail7generic6detail18binary_search_lessEbEEEE10hipError_tPvRmT1_T2_T3_mmT4_T5_P12ihipStream_tbEUlRKiE_EESS_SW_SX_mSY_S11_bEUlT_E_NS1_11comp_targetILNS1_3genE8ELNS1_11target_archE1030ELNS1_3gpuE2ELNS1_3repE0EEENS1_30default_config_static_selectorELNS0_4arch9wavefront6targetE1EEEvSV_, .Lfunc_end796-_ZN7rocprim17ROCPRIM_400000_NS6detail17trampoline_kernelINS0_14default_configENS1_29binary_search_config_selectorIiiEEZNS1_14transform_implILb0ES3_S5_N6thrust23THRUST_200600_302600_NS6detail15normal_iteratorINS8_7pointerIiNS8_11hip_rocprim5par_tENS8_11use_defaultESE_EEEESG_ZNS1_13binary_searchIS3_S5_NS8_10device_ptrIiEESG_SG_NS1_16binary_search_opENS9_16wrapped_functionINS8_6system6detail7generic6detail18binary_search_lessEbEEEE10hipError_tPvRmT1_T2_T3_mmT4_T5_P12ihipStream_tbEUlRKiE_EESS_SW_SX_mSY_S11_bEUlT_E_NS1_11comp_targetILNS1_3genE8ELNS1_11target_archE1030ELNS1_3gpuE2ELNS1_3repE0EEENS1_30default_config_static_selectorELNS0_4arch9wavefront6targetE1EEEvSV_
                                        ; -- End function
	.set _ZN7rocprim17ROCPRIM_400000_NS6detail17trampoline_kernelINS0_14default_configENS1_29binary_search_config_selectorIiiEEZNS1_14transform_implILb0ES3_S5_N6thrust23THRUST_200600_302600_NS6detail15normal_iteratorINS8_7pointerIiNS8_11hip_rocprim5par_tENS8_11use_defaultESE_EEEESG_ZNS1_13binary_searchIS3_S5_NS8_10device_ptrIiEESG_SG_NS1_16binary_search_opENS9_16wrapped_functionINS8_6system6detail7generic6detail18binary_search_lessEbEEEE10hipError_tPvRmT1_T2_T3_mmT4_T5_P12ihipStream_tbEUlRKiE_EESS_SW_SX_mSY_S11_bEUlT_E_NS1_11comp_targetILNS1_3genE8ELNS1_11target_archE1030ELNS1_3gpuE2ELNS1_3repE0EEENS1_30default_config_static_selectorELNS0_4arch9wavefront6targetE1EEEvSV_.num_vgpr, 0
	.set _ZN7rocprim17ROCPRIM_400000_NS6detail17trampoline_kernelINS0_14default_configENS1_29binary_search_config_selectorIiiEEZNS1_14transform_implILb0ES3_S5_N6thrust23THRUST_200600_302600_NS6detail15normal_iteratorINS8_7pointerIiNS8_11hip_rocprim5par_tENS8_11use_defaultESE_EEEESG_ZNS1_13binary_searchIS3_S5_NS8_10device_ptrIiEESG_SG_NS1_16binary_search_opENS9_16wrapped_functionINS8_6system6detail7generic6detail18binary_search_lessEbEEEE10hipError_tPvRmT1_T2_T3_mmT4_T5_P12ihipStream_tbEUlRKiE_EESS_SW_SX_mSY_S11_bEUlT_E_NS1_11comp_targetILNS1_3genE8ELNS1_11target_archE1030ELNS1_3gpuE2ELNS1_3repE0EEENS1_30default_config_static_selectorELNS0_4arch9wavefront6targetE1EEEvSV_.num_agpr, 0
	.set _ZN7rocprim17ROCPRIM_400000_NS6detail17trampoline_kernelINS0_14default_configENS1_29binary_search_config_selectorIiiEEZNS1_14transform_implILb0ES3_S5_N6thrust23THRUST_200600_302600_NS6detail15normal_iteratorINS8_7pointerIiNS8_11hip_rocprim5par_tENS8_11use_defaultESE_EEEESG_ZNS1_13binary_searchIS3_S5_NS8_10device_ptrIiEESG_SG_NS1_16binary_search_opENS9_16wrapped_functionINS8_6system6detail7generic6detail18binary_search_lessEbEEEE10hipError_tPvRmT1_T2_T3_mmT4_T5_P12ihipStream_tbEUlRKiE_EESS_SW_SX_mSY_S11_bEUlT_E_NS1_11comp_targetILNS1_3genE8ELNS1_11target_archE1030ELNS1_3gpuE2ELNS1_3repE0EEENS1_30default_config_static_selectorELNS0_4arch9wavefront6targetE1EEEvSV_.numbered_sgpr, 0
	.set _ZN7rocprim17ROCPRIM_400000_NS6detail17trampoline_kernelINS0_14default_configENS1_29binary_search_config_selectorIiiEEZNS1_14transform_implILb0ES3_S5_N6thrust23THRUST_200600_302600_NS6detail15normal_iteratorINS8_7pointerIiNS8_11hip_rocprim5par_tENS8_11use_defaultESE_EEEESG_ZNS1_13binary_searchIS3_S5_NS8_10device_ptrIiEESG_SG_NS1_16binary_search_opENS9_16wrapped_functionINS8_6system6detail7generic6detail18binary_search_lessEbEEEE10hipError_tPvRmT1_T2_T3_mmT4_T5_P12ihipStream_tbEUlRKiE_EESS_SW_SX_mSY_S11_bEUlT_E_NS1_11comp_targetILNS1_3genE8ELNS1_11target_archE1030ELNS1_3gpuE2ELNS1_3repE0EEENS1_30default_config_static_selectorELNS0_4arch9wavefront6targetE1EEEvSV_.num_named_barrier, 0
	.set _ZN7rocprim17ROCPRIM_400000_NS6detail17trampoline_kernelINS0_14default_configENS1_29binary_search_config_selectorIiiEEZNS1_14transform_implILb0ES3_S5_N6thrust23THRUST_200600_302600_NS6detail15normal_iteratorINS8_7pointerIiNS8_11hip_rocprim5par_tENS8_11use_defaultESE_EEEESG_ZNS1_13binary_searchIS3_S5_NS8_10device_ptrIiEESG_SG_NS1_16binary_search_opENS9_16wrapped_functionINS8_6system6detail7generic6detail18binary_search_lessEbEEEE10hipError_tPvRmT1_T2_T3_mmT4_T5_P12ihipStream_tbEUlRKiE_EESS_SW_SX_mSY_S11_bEUlT_E_NS1_11comp_targetILNS1_3genE8ELNS1_11target_archE1030ELNS1_3gpuE2ELNS1_3repE0EEENS1_30default_config_static_selectorELNS0_4arch9wavefront6targetE1EEEvSV_.private_seg_size, 0
	.set _ZN7rocprim17ROCPRIM_400000_NS6detail17trampoline_kernelINS0_14default_configENS1_29binary_search_config_selectorIiiEEZNS1_14transform_implILb0ES3_S5_N6thrust23THRUST_200600_302600_NS6detail15normal_iteratorINS8_7pointerIiNS8_11hip_rocprim5par_tENS8_11use_defaultESE_EEEESG_ZNS1_13binary_searchIS3_S5_NS8_10device_ptrIiEESG_SG_NS1_16binary_search_opENS9_16wrapped_functionINS8_6system6detail7generic6detail18binary_search_lessEbEEEE10hipError_tPvRmT1_T2_T3_mmT4_T5_P12ihipStream_tbEUlRKiE_EESS_SW_SX_mSY_S11_bEUlT_E_NS1_11comp_targetILNS1_3genE8ELNS1_11target_archE1030ELNS1_3gpuE2ELNS1_3repE0EEENS1_30default_config_static_selectorELNS0_4arch9wavefront6targetE1EEEvSV_.uses_vcc, 0
	.set _ZN7rocprim17ROCPRIM_400000_NS6detail17trampoline_kernelINS0_14default_configENS1_29binary_search_config_selectorIiiEEZNS1_14transform_implILb0ES3_S5_N6thrust23THRUST_200600_302600_NS6detail15normal_iteratorINS8_7pointerIiNS8_11hip_rocprim5par_tENS8_11use_defaultESE_EEEESG_ZNS1_13binary_searchIS3_S5_NS8_10device_ptrIiEESG_SG_NS1_16binary_search_opENS9_16wrapped_functionINS8_6system6detail7generic6detail18binary_search_lessEbEEEE10hipError_tPvRmT1_T2_T3_mmT4_T5_P12ihipStream_tbEUlRKiE_EESS_SW_SX_mSY_S11_bEUlT_E_NS1_11comp_targetILNS1_3genE8ELNS1_11target_archE1030ELNS1_3gpuE2ELNS1_3repE0EEENS1_30default_config_static_selectorELNS0_4arch9wavefront6targetE1EEEvSV_.uses_flat_scratch, 0
	.set _ZN7rocprim17ROCPRIM_400000_NS6detail17trampoline_kernelINS0_14default_configENS1_29binary_search_config_selectorIiiEEZNS1_14transform_implILb0ES3_S5_N6thrust23THRUST_200600_302600_NS6detail15normal_iteratorINS8_7pointerIiNS8_11hip_rocprim5par_tENS8_11use_defaultESE_EEEESG_ZNS1_13binary_searchIS3_S5_NS8_10device_ptrIiEESG_SG_NS1_16binary_search_opENS9_16wrapped_functionINS8_6system6detail7generic6detail18binary_search_lessEbEEEE10hipError_tPvRmT1_T2_T3_mmT4_T5_P12ihipStream_tbEUlRKiE_EESS_SW_SX_mSY_S11_bEUlT_E_NS1_11comp_targetILNS1_3genE8ELNS1_11target_archE1030ELNS1_3gpuE2ELNS1_3repE0EEENS1_30default_config_static_selectorELNS0_4arch9wavefront6targetE1EEEvSV_.has_dyn_sized_stack, 0
	.set _ZN7rocprim17ROCPRIM_400000_NS6detail17trampoline_kernelINS0_14default_configENS1_29binary_search_config_selectorIiiEEZNS1_14transform_implILb0ES3_S5_N6thrust23THRUST_200600_302600_NS6detail15normal_iteratorINS8_7pointerIiNS8_11hip_rocprim5par_tENS8_11use_defaultESE_EEEESG_ZNS1_13binary_searchIS3_S5_NS8_10device_ptrIiEESG_SG_NS1_16binary_search_opENS9_16wrapped_functionINS8_6system6detail7generic6detail18binary_search_lessEbEEEE10hipError_tPvRmT1_T2_T3_mmT4_T5_P12ihipStream_tbEUlRKiE_EESS_SW_SX_mSY_S11_bEUlT_E_NS1_11comp_targetILNS1_3genE8ELNS1_11target_archE1030ELNS1_3gpuE2ELNS1_3repE0EEENS1_30default_config_static_selectorELNS0_4arch9wavefront6targetE1EEEvSV_.has_recursion, 0
	.set _ZN7rocprim17ROCPRIM_400000_NS6detail17trampoline_kernelINS0_14default_configENS1_29binary_search_config_selectorIiiEEZNS1_14transform_implILb0ES3_S5_N6thrust23THRUST_200600_302600_NS6detail15normal_iteratorINS8_7pointerIiNS8_11hip_rocprim5par_tENS8_11use_defaultESE_EEEESG_ZNS1_13binary_searchIS3_S5_NS8_10device_ptrIiEESG_SG_NS1_16binary_search_opENS9_16wrapped_functionINS8_6system6detail7generic6detail18binary_search_lessEbEEEE10hipError_tPvRmT1_T2_T3_mmT4_T5_P12ihipStream_tbEUlRKiE_EESS_SW_SX_mSY_S11_bEUlT_E_NS1_11comp_targetILNS1_3genE8ELNS1_11target_archE1030ELNS1_3gpuE2ELNS1_3repE0EEENS1_30default_config_static_selectorELNS0_4arch9wavefront6targetE1EEEvSV_.has_indirect_call, 0
	.section	.AMDGPU.csdata,"",@progbits
; Kernel info:
; codeLenInByte = 0
; TotalNumSgprs: 4
; NumVgprs: 0
; ScratchSize: 0
; MemoryBound: 0
; FloatMode: 240
; IeeeMode: 1
; LDSByteSize: 0 bytes/workgroup (compile time only)
; SGPRBlocks: 0
; VGPRBlocks: 0
; NumSGPRsForWavesPerEU: 4
; NumVGPRsForWavesPerEU: 1
; Occupancy: 10
; WaveLimiterHint : 0
; COMPUTE_PGM_RSRC2:SCRATCH_EN: 0
; COMPUTE_PGM_RSRC2:USER_SGPR: 6
; COMPUTE_PGM_RSRC2:TRAP_HANDLER: 0
; COMPUTE_PGM_RSRC2:TGID_X_EN: 1
; COMPUTE_PGM_RSRC2:TGID_Y_EN: 0
; COMPUTE_PGM_RSRC2:TGID_Z_EN: 0
; COMPUTE_PGM_RSRC2:TIDIG_COMP_CNT: 0
	.section	.AMDGPU.gpr_maximums,"",@progbits
	.set amdgpu.max_num_vgpr, 0
	.set amdgpu.max_num_agpr, 0
	.set amdgpu.max_num_sgpr, 0
	.section	.AMDGPU.csdata,"",@progbits
	.type	__hip_cuid_c44bbe2e0b3fea9c,@object ; @__hip_cuid_c44bbe2e0b3fea9c
	.section	.bss,"aw",@nobits
	.globl	__hip_cuid_c44bbe2e0b3fea9c
__hip_cuid_c44bbe2e0b3fea9c:
	.byte	0                               ; 0x0
	.size	__hip_cuid_c44bbe2e0b3fea9c, 1

	.ident	"AMD clang version 22.0.0git (https://github.com/RadeonOpenCompute/llvm-project roc-7.2.4 26084 f58b06dce1f9c15707c5f808fd002e18c2accf7e)"
	.section	".note.GNU-stack","",@progbits
	.addrsig
	.addrsig_sym __hip_cuid_c44bbe2e0b3fea9c
	.amdgpu_metadata
---
amdhsa.kernels:
  - .args:
      - .offset:         0
        .size:           4
        .value_kind:     by_value
      - .address_space:  global
        .offset:         8
        .size:           8
        .value_kind:     global_buffer
      - .address_space:  global
        .offset:         16
        .size:           8
        .value_kind:     global_buffer
      - .offset:         24
        .size:           4
        .value_kind:     by_value
    .group_segment_fixed_size: 0
    .kernarg_segment_align: 8
    .kernarg_segment_size: 28
    .language:       OpenCL C
    .language_version:
      - 2
      - 0
    .max_flat_workgroup_size: 256
    .name:           _Z18BinarySearchKerneliPiS_i
    .private_segment_fixed_size: 0
    .sgpr_count:     20
    .sgpr_spill_count: 0
    .symbol:         _Z18BinarySearchKerneliPiS_i.kd
    .uniform_work_group_size: 1
    .uses_dynamic_stack: false
    .vgpr_count:     2
    .vgpr_spill_count: 0
    .wavefront_size: 64
  - .args:
      - .offset:         0
        .size:           16
        .value_kind:     by_value
      - .offset:         16
        .size:           8
        .value_kind:     by_value
      - .offset:         24
        .size:           8
        .value_kind:     by_value
    .group_segment_fixed_size: 0
    .kernarg_segment_align: 8
    .kernarg_segment_size: 32
    .language:       OpenCL C
    .language_version:
      - 2
      - 0
    .max_flat_workgroup_size: 256
    .name:           _ZN6thrust23THRUST_200600_302600_NS11hip_rocprim14__parallel_for6kernelILj256ENS1_20__uninitialized_fill7functorINS0_10device_ptrIdEEdEEmLj1EEEvT0_T1_SA_
    .private_segment_fixed_size: 0
    .sgpr_count:     20
    .sgpr_spill_count: 0
    .symbol:         _ZN6thrust23THRUST_200600_302600_NS11hip_rocprim14__parallel_for6kernelILj256ENS1_20__uninitialized_fill7functorINS0_10device_ptrIdEEdEEmLj1EEEvT0_T1_SA_.kd
    .uniform_work_group_size: 1
    .uses_dynamic_stack: false
    .vgpr_count:     5
    .vgpr_spill_count: 0
    .wavefront_size: 64
  - .args:
      - .offset:         0
        .size:           16
        .value_kind:     by_value
      - .offset:         16
        .size:           8
        .value_kind:     by_value
      - .offset:         24
        .size:           8
        .value_kind:     by_value
    .group_segment_fixed_size: 0
    .kernarg_segment_align: 8
    .kernarg_segment_size: 32
    .language:       OpenCL C
    .language_version:
      - 2
      - 0
    .max_flat_workgroup_size: 256
    .name:           _ZN6thrust23THRUST_200600_302600_NS11hip_rocprim14__parallel_for6kernelILj256ENS1_20__uninitialized_fill7functorINS0_10device_ptrIlEElEEmLj1EEEvT0_T1_SA_
    .private_segment_fixed_size: 0
    .sgpr_count:     20
    .sgpr_spill_count: 0
    .symbol:         _ZN6thrust23THRUST_200600_302600_NS11hip_rocprim14__parallel_for6kernelILj256ENS1_20__uninitialized_fill7functorINS0_10device_ptrIlEElEEmLj1EEEvT0_T1_SA_.kd
    .uniform_work_group_size: 1
    .uses_dynamic_stack: false
    .vgpr_count:     5
    .vgpr_spill_count: 0
    .wavefront_size: 64
  - .args:
      - .offset:         0
        .size:           8
        .value_kind:     by_value
      - .address_space:  global
        .offset:         8
        .size:           8
        .value_kind:     global_buffer
      - .address_space:  global
        .offset:         16
        .size:           8
        .value_kind:     global_buffer
    .group_segment_fixed_size: 0
    .kernarg_segment_align: 8
    .kernarg_segment_size: 24
    .language:       OpenCL C
    .language_version:
      - 2
      - 0
    .max_flat_workgroup_size: 256
    .name:           _Z18lower_bound_kernelIdEvmPT_Pl
    .private_segment_fixed_size: 0
    .sgpr_count:     22
    .sgpr_spill_count: 0
    .symbol:         _Z18lower_bound_kernelIdEvmPT_Pl.kd
    .uniform_work_group_size: 1
    .uses_dynamic_stack: false
    .vgpr_count:     4
    .vgpr_spill_count: 0
    .wavefront_size: 64
  - .args:
      - .offset:         0
        .size:           56
        .value_kind:     by_value
    .group_segment_fixed_size: 0
    .kernarg_segment_align: 8
    .kernarg_segment_size: 56
    .language:       OpenCL C
    .language_version:
      - 2
      - 0
    .max_flat_workgroup_size: 64
    .name:           _ZN7rocprim17ROCPRIM_400000_NS6detail17trampoline_kernelINS0_14default_configENS1_27lower_bound_config_selectorIdlEEZNS1_14transform_implILb0ES3_S5_N6thrust23THRUST_200600_302600_NS6detail15normal_iteratorINS8_7pointerIdNS8_11hip_rocprim5par_tENS8_11use_defaultESE_EEEENSA_INSB_IlSD_SE_SE_EEEEZNS1_13binary_searchIS3_S5_PdSG_SI_NS1_21lower_bound_search_opENS9_16wrapped_functionI11custom_lessbEEEE10hipError_tPvRmT1_T2_T3_mmT4_T5_P12ihipStream_tbEUlRKdE_EESP_ST_SU_mSV_SY_bEUlT_E_NS1_11comp_targetILNS1_3genE0ELNS1_11target_archE4294967295ELNS1_3gpuE0ELNS1_3repE0EEENS1_30default_config_static_selectorELNS0_4arch9wavefront6targetE1EEEvSS_
    .private_segment_fixed_size: 0
    .sgpr_count:     4
    .sgpr_spill_count: 0
    .symbol:         _ZN7rocprim17ROCPRIM_400000_NS6detail17trampoline_kernelINS0_14default_configENS1_27lower_bound_config_selectorIdlEEZNS1_14transform_implILb0ES3_S5_N6thrust23THRUST_200600_302600_NS6detail15normal_iteratorINS8_7pointerIdNS8_11hip_rocprim5par_tENS8_11use_defaultESE_EEEENSA_INSB_IlSD_SE_SE_EEEEZNS1_13binary_searchIS3_S5_PdSG_SI_NS1_21lower_bound_search_opENS9_16wrapped_functionI11custom_lessbEEEE10hipError_tPvRmT1_T2_T3_mmT4_T5_P12ihipStream_tbEUlRKdE_EESP_ST_SU_mSV_SY_bEUlT_E_NS1_11comp_targetILNS1_3genE0ELNS1_11target_archE4294967295ELNS1_3gpuE0ELNS1_3repE0EEENS1_30default_config_static_selectorELNS0_4arch9wavefront6targetE1EEEvSS_.kd
    .uniform_work_group_size: 1
    .uses_dynamic_stack: false
    .vgpr_count:     0
    .vgpr_spill_count: 0
    .wavefront_size: 64
  - .args:
      - .offset:         0
        .size:           56
        .value_kind:     by_value
    .group_segment_fixed_size: 0
    .kernarg_segment_align: 8
    .kernarg_segment_size: 56
    .language:       OpenCL C
    .language_version:
      - 2
      - 0
    .max_flat_workgroup_size: 64
    .name:           _ZN7rocprim17ROCPRIM_400000_NS6detail17trampoline_kernelINS0_14default_configENS1_27lower_bound_config_selectorIdlEEZNS1_14transform_implILb0ES3_S5_N6thrust23THRUST_200600_302600_NS6detail15normal_iteratorINS8_7pointerIdNS8_11hip_rocprim5par_tENS8_11use_defaultESE_EEEENSA_INSB_IlSD_SE_SE_EEEEZNS1_13binary_searchIS3_S5_PdSG_SI_NS1_21lower_bound_search_opENS9_16wrapped_functionI11custom_lessbEEEE10hipError_tPvRmT1_T2_T3_mmT4_T5_P12ihipStream_tbEUlRKdE_EESP_ST_SU_mSV_SY_bEUlT_E_NS1_11comp_targetILNS1_3genE5ELNS1_11target_archE942ELNS1_3gpuE9ELNS1_3repE0EEENS1_30default_config_static_selectorELNS0_4arch9wavefront6targetE1EEEvSS_
    .private_segment_fixed_size: 0
    .sgpr_count:     4
    .sgpr_spill_count: 0
    .symbol:         _ZN7rocprim17ROCPRIM_400000_NS6detail17trampoline_kernelINS0_14default_configENS1_27lower_bound_config_selectorIdlEEZNS1_14transform_implILb0ES3_S5_N6thrust23THRUST_200600_302600_NS6detail15normal_iteratorINS8_7pointerIdNS8_11hip_rocprim5par_tENS8_11use_defaultESE_EEEENSA_INSB_IlSD_SE_SE_EEEEZNS1_13binary_searchIS3_S5_PdSG_SI_NS1_21lower_bound_search_opENS9_16wrapped_functionI11custom_lessbEEEE10hipError_tPvRmT1_T2_T3_mmT4_T5_P12ihipStream_tbEUlRKdE_EESP_ST_SU_mSV_SY_bEUlT_E_NS1_11comp_targetILNS1_3genE5ELNS1_11target_archE942ELNS1_3gpuE9ELNS1_3repE0EEENS1_30default_config_static_selectorELNS0_4arch9wavefront6targetE1EEEvSS_.kd
    .uniform_work_group_size: 1
    .uses_dynamic_stack: false
    .vgpr_count:     0
    .vgpr_spill_count: 0
    .wavefront_size: 64
  - .args:
      - .offset:         0
        .size:           56
        .value_kind:     by_value
    .group_segment_fixed_size: 0
    .kernarg_segment_align: 8
    .kernarg_segment_size: 56
    .language:       OpenCL C
    .language_version:
      - 2
      - 0
    .max_flat_workgroup_size: 64
    .name:           _ZN7rocprim17ROCPRIM_400000_NS6detail17trampoline_kernelINS0_14default_configENS1_27lower_bound_config_selectorIdlEEZNS1_14transform_implILb0ES3_S5_N6thrust23THRUST_200600_302600_NS6detail15normal_iteratorINS8_7pointerIdNS8_11hip_rocprim5par_tENS8_11use_defaultESE_EEEENSA_INSB_IlSD_SE_SE_EEEEZNS1_13binary_searchIS3_S5_PdSG_SI_NS1_21lower_bound_search_opENS9_16wrapped_functionI11custom_lessbEEEE10hipError_tPvRmT1_T2_T3_mmT4_T5_P12ihipStream_tbEUlRKdE_EESP_ST_SU_mSV_SY_bEUlT_E_NS1_11comp_targetILNS1_3genE4ELNS1_11target_archE910ELNS1_3gpuE8ELNS1_3repE0EEENS1_30default_config_static_selectorELNS0_4arch9wavefront6targetE1EEEvSS_
    .private_segment_fixed_size: 0
    .sgpr_count:     4
    .sgpr_spill_count: 0
    .symbol:         _ZN7rocprim17ROCPRIM_400000_NS6detail17trampoline_kernelINS0_14default_configENS1_27lower_bound_config_selectorIdlEEZNS1_14transform_implILb0ES3_S5_N6thrust23THRUST_200600_302600_NS6detail15normal_iteratorINS8_7pointerIdNS8_11hip_rocprim5par_tENS8_11use_defaultESE_EEEENSA_INSB_IlSD_SE_SE_EEEEZNS1_13binary_searchIS3_S5_PdSG_SI_NS1_21lower_bound_search_opENS9_16wrapped_functionI11custom_lessbEEEE10hipError_tPvRmT1_T2_T3_mmT4_T5_P12ihipStream_tbEUlRKdE_EESP_ST_SU_mSV_SY_bEUlT_E_NS1_11comp_targetILNS1_3genE4ELNS1_11target_archE910ELNS1_3gpuE8ELNS1_3repE0EEENS1_30default_config_static_selectorELNS0_4arch9wavefront6targetE1EEEvSS_.kd
    .uniform_work_group_size: 1
    .uses_dynamic_stack: false
    .vgpr_count:     0
    .vgpr_spill_count: 0
    .wavefront_size: 64
  - .args:
      - .offset:         0
        .size:           56
        .value_kind:     by_value
    .group_segment_fixed_size: 0
    .kernarg_segment_align: 8
    .kernarg_segment_size: 56
    .language:       OpenCL C
    .language_version:
      - 2
      - 0
    .max_flat_workgroup_size: 64
    .name:           _ZN7rocprim17ROCPRIM_400000_NS6detail17trampoline_kernelINS0_14default_configENS1_27lower_bound_config_selectorIdlEEZNS1_14transform_implILb0ES3_S5_N6thrust23THRUST_200600_302600_NS6detail15normal_iteratorINS8_7pointerIdNS8_11hip_rocprim5par_tENS8_11use_defaultESE_EEEENSA_INSB_IlSD_SE_SE_EEEEZNS1_13binary_searchIS3_S5_PdSG_SI_NS1_21lower_bound_search_opENS9_16wrapped_functionI11custom_lessbEEEE10hipError_tPvRmT1_T2_T3_mmT4_T5_P12ihipStream_tbEUlRKdE_EESP_ST_SU_mSV_SY_bEUlT_E_NS1_11comp_targetILNS1_3genE3ELNS1_11target_archE908ELNS1_3gpuE7ELNS1_3repE0EEENS1_30default_config_static_selectorELNS0_4arch9wavefront6targetE1EEEvSS_
    .private_segment_fixed_size: 0
    .sgpr_count:     4
    .sgpr_spill_count: 0
    .symbol:         _ZN7rocprim17ROCPRIM_400000_NS6detail17trampoline_kernelINS0_14default_configENS1_27lower_bound_config_selectorIdlEEZNS1_14transform_implILb0ES3_S5_N6thrust23THRUST_200600_302600_NS6detail15normal_iteratorINS8_7pointerIdNS8_11hip_rocprim5par_tENS8_11use_defaultESE_EEEENSA_INSB_IlSD_SE_SE_EEEEZNS1_13binary_searchIS3_S5_PdSG_SI_NS1_21lower_bound_search_opENS9_16wrapped_functionI11custom_lessbEEEE10hipError_tPvRmT1_T2_T3_mmT4_T5_P12ihipStream_tbEUlRKdE_EESP_ST_SU_mSV_SY_bEUlT_E_NS1_11comp_targetILNS1_3genE3ELNS1_11target_archE908ELNS1_3gpuE7ELNS1_3repE0EEENS1_30default_config_static_selectorELNS0_4arch9wavefront6targetE1EEEvSS_.kd
    .uniform_work_group_size: 1
    .uses_dynamic_stack: false
    .vgpr_count:     0
    .vgpr_spill_count: 0
    .wavefront_size: 64
  - .args:
      - .offset:         0
        .size:           56
        .value_kind:     by_value
      - .offset:         56
        .size:           4
        .value_kind:     hidden_block_count_x
      - .offset:         60
        .size:           4
        .value_kind:     hidden_block_count_y
      - .offset:         64
        .size:           4
        .value_kind:     hidden_block_count_z
      - .offset:         68
        .size:           2
        .value_kind:     hidden_group_size_x
      - .offset:         70
        .size:           2
        .value_kind:     hidden_group_size_y
      - .offset:         72
        .size:           2
        .value_kind:     hidden_group_size_z
      - .offset:         74
        .size:           2
        .value_kind:     hidden_remainder_x
      - .offset:         76
        .size:           2
        .value_kind:     hidden_remainder_y
      - .offset:         78
        .size:           2
        .value_kind:     hidden_remainder_z
      - .offset:         96
        .size:           8
        .value_kind:     hidden_global_offset_x
      - .offset:         104
        .size:           8
        .value_kind:     hidden_global_offset_y
      - .offset:         112
        .size:           8
        .value_kind:     hidden_global_offset_z
      - .offset:         120
        .size:           2
        .value_kind:     hidden_grid_dims
    .group_segment_fixed_size: 0
    .kernarg_segment_align: 8
    .kernarg_segment_size: 312
    .language:       OpenCL C
    .language_version:
      - 2
      - 0
    .max_flat_workgroup_size: 256
    .name:           _ZN7rocprim17ROCPRIM_400000_NS6detail17trampoline_kernelINS0_14default_configENS1_27lower_bound_config_selectorIdlEEZNS1_14transform_implILb0ES3_S5_N6thrust23THRUST_200600_302600_NS6detail15normal_iteratorINS8_7pointerIdNS8_11hip_rocprim5par_tENS8_11use_defaultESE_EEEENSA_INSB_IlSD_SE_SE_EEEEZNS1_13binary_searchIS3_S5_PdSG_SI_NS1_21lower_bound_search_opENS9_16wrapped_functionI11custom_lessbEEEE10hipError_tPvRmT1_T2_T3_mmT4_T5_P12ihipStream_tbEUlRKdE_EESP_ST_SU_mSV_SY_bEUlT_E_NS1_11comp_targetILNS1_3genE2ELNS1_11target_archE906ELNS1_3gpuE6ELNS1_3repE0EEENS1_30default_config_static_selectorELNS0_4arch9wavefront6targetE1EEEvSS_
    .private_segment_fixed_size: 0
    .sgpr_count:     22
    .sgpr_spill_count: 0
    .symbol:         _ZN7rocprim17ROCPRIM_400000_NS6detail17trampoline_kernelINS0_14default_configENS1_27lower_bound_config_selectorIdlEEZNS1_14transform_implILb0ES3_S5_N6thrust23THRUST_200600_302600_NS6detail15normal_iteratorINS8_7pointerIdNS8_11hip_rocprim5par_tENS8_11use_defaultESE_EEEENSA_INSB_IlSD_SE_SE_EEEEZNS1_13binary_searchIS3_S5_PdSG_SI_NS1_21lower_bound_search_opENS9_16wrapped_functionI11custom_lessbEEEE10hipError_tPvRmT1_T2_T3_mmT4_T5_P12ihipStream_tbEUlRKdE_EESP_ST_SU_mSV_SY_bEUlT_E_NS1_11comp_targetILNS1_3genE2ELNS1_11target_archE906ELNS1_3gpuE6ELNS1_3repE0EEENS1_30default_config_static_selectorELNS0_4arch9wavefront6targetE1EEEvSS_.kd
    .uniform_work_group_size: 1
    .uses_dynamic_stack: false
    .vgpr_count:     12
    .vgpr_spill_count: 0
    .wavefront_size: 64
  - .args:
      - .offset:         0
        .size:           56
        .value_kind:     by_value
    .group_segment_fixed_size: 0
    .kernarg_segment_align: 8
    .kernarg_segment_size: 56
    .language:       OpenCL C
    .language_version:
      - 2
      - 0
    .max_flat_workgroup_size: 128
    .name:           _ZN7rocprim17ROCPRIM_400000_NS6detail17trampoline_kernelINS0_14default_configENS1_27lower_bound_config_selectorIdlEEZNS1_14transform_implILb0ES3_S5_N6thrust23THRUST_200600_302600_NS6detail15normal_iteratorINS8_7pointerIdNS8_11hip_rocprim5par_tENS8_11use_defaultESE_EEEENSA_INSB_IlSD_SE_SE_EEEEZNS1_13binary_searchIS3_S5_PdSG_SI_NS1_21lower_bound_search_opENS9_16wrapped_functionI11custom_lessbEEEE10hipError_tPvRmT1_T2_T3_mmT4_T5_P12ihipStream_tbEUlRKdE_EESP_ST_SU_mSV_SY_bEUlT_E_NS1_11comp_targetILNS1_3genE10ELNS1_11target_archE1201ELNS1_3gpuE5ELNS1_3repE0EEENS1_30default_config_static_selectorELNS0_4arch9wavefront6targetE1EEEvSS_
    .private_segment_fixed_size: 0
    .sgpr_count:     4
    .sgpr_spill_count: 0
    .symbol:         _ZN7rocprim17ROCPRIM_400000_NS6detail17trampoline_kernelINS0_14default_configENS1_27lower_bound_config_selectorIdlEEZNS1_14transform_implILb0ES3_S5_N6thrust23THRUST_200600_302600_NS6detail15normal_iteratorINS8_7pointerIdNS8_11hip_rocprim5par_tENS8_11use_defaultESE_EEEENSA_INSB_IlSD_SE_SE_EEEEZNS1_13binary_searchIS3_S5_PdSG_SI_NS1_21lower_bound_search_opENS9_16wrapped_functionI11custom_lessbEEEE10hipError_tPvRmT1_T2_T3_mmT4_T5_P12ihipStream_tbEUlRKdE_EESP_ST_SU_mSV_SY_bEUlT_E_NS1_11comp_targetILNS1_3genE10ELNS1_11target_archE1201ELNS1_3gpuE5ELNS1_3repE0EEENS1_30default_config_static_selectorELNS0_4arch9wavefront6targetE1EEEvSS_.kd
    .uniform_work_group_size: 1
    .uses_dynamic_stack: false
    .vgpr_count:     0
    .vgpr_spill_count: 0
    .wavefront_size: 64
  - .args:
      - .offset:         0
        .size:           56
        .value_kind:     by_value
    .group_segment_fixed_size: 0
    .kernarg_segment_align: 8
    .kernarg_segment_size: 56
    .language:       OpenCL C
    .language_version:
      - 2
      - 0
    .max_flat_workgroup_size: 128
    .name:           _ZN7rocprim17ROCPRIM_400000_NS6detail17trampoline_kernelINS0_14default_configENS1_27lower_bound_config_selectorIdlEEZNS1_14transform_implILb0ES3_S5_N6thrust23THRUST_200600_302600_NS6detail15normal_iteratorINS8_7pointerIdNS8_11hip_rocprim5par_tENS8_11use_defaultESE_EEEENSA_INSB_IlSD_SE_SE_EEEEZNS1_13binary_searchIS3_S5_PdSG_SI_NS1_21lower_bound_search_opENS9_16wrapped_functionI11custom_lessbEEEE10hipError_tPvRmT1_T2_T3_mmT4_T5_P12ihipStream_tbEUlRKdE_EESP_ST_SU_mSV_SY_bEUlT_E_NS1_11comp_targetILNS1_3genE10ELNS1_11target_archE1200ELNS1_3gpuE4ELNS1_3repE0EEENS1_30default_config_static_selectorELNS0_4arch9wavefront6targetE1EEEvSS_
    .private_segment_fixed_size: 0
    .sgpr_count:     4
    .sgpr_spill_count: 0
    .symbol:         _ZN7rocprim17ROCPRIM_400000_NS6detail17trampoline_kernelINS0_14default_configENS1_27lower_bound_config_selectorIdlEEZNS1_14transform_implILb0ES3_S5_N6thrust23THRUST_200600_302600_NS6detail15normal_iteratorINS8_7pointerIdNS8_11hip_rocprim5par_tENS8_11use_defaultESE_EEEENSA_INSB_IlSD_SE_SE_EEEEZNS1_13binary_searchIS3_S5_PdSG_SI_NS1_21lower_bound_search_opENS9_16wrapped_functionI11custom_lessbEEEE10hipError_tPvRmT1_T2_T3_mmT4_T5_P12ihipStream_tbEUlRKdE_EESP_ST_SU_mSV_SY_bEUlT_E_NS1_11comp_targetILNS1_3genE10ELNS1_11target_archE1200ELNS1_3gpuE4ELNS1_3repE0EEENS1_30default_config_static_selectorELNS0_4arch9wavefront6targetE1EEEvSS_.kd
    .uniform_work_group_size: 1
    .uses_dynamic_stack: false
    .vgpr_count:     0
    .vgpr_spill_count: 0
    .wavefront_size: 64
  - .args:
      - .offset:         0
        .size:           56
        .value_kind:     by_value
    .group_segment_fixed_size: 0
    .kernarg_segment_align: 8
    .kernarg_segment_size: 56
    .language:       OpenCL C
    .language_version:
      - 2
      - 0
    .max_flat_workgroup_size: 256
    .name:           _ZN7rocprim17ROCPRIM_400000_NS6detail17trampoline_kernelINS0_14default_configENS1_27lower_bound_config_selectorIdlEEZNS1_14transform_implILb0ES3_S5_N6thrust23THRUST_200600_302600_NS6detail15normal_iteratorINS8_7pointerIdNS8_11hip_rocprim5par_tENS8_11use_defaultESE_EEEENSA_INSB_IlSD_SE_SE_EEEEZNS1_13binary_searchIS3_S5_PdSG_SI_NS1_21lower_bound_search_opENS9_16wrapped_functionI11custom_lessbEEEE10hipError_tPvRmT1_T2_T3_mmT4_T5_P12ihipStream_tbEUlRKdE_EESP_ST_SU_mSV_SY_bEUlT_E_NS1_11comp_targetILNS1_3genE9ELNS1_11target_archE1100ELNS1_3gpuE3ELNS1_3repE0EEENS1_30default_config_static_selectorELNS0_4arch9wavefront6targetE1EEEvSS_
    .private_segment_fixed_size: 0
    .sgpr_count:     4
    .sgpr_spill_count: 0
    .symbol:         _ZN7rocprim17ROCPRIM_400000_NS6detail17trampoline_kernelINS0_14default_configENS1_27lower_bound_config_selectorIdlEEZNS1_14transform_implILb0ES3_S5_N6thrust23THRUST_200600_302600_NS6detail15normal_iteratorINS8_7pointerIdNS8_11hip_rocprim5par_tENS8_11use_defaultESE_EEEENSA_INSB_IlSD_SE_SE_EEEEZNS1_13binary_searchIS3_S5_PdSG_SI_NS1_21lower_bound_search_opENS9_16wrapped_functionI11custom_lessbEEEE10hipError_tPvRmT1_T2_T3_mmT4_T5_P12ihipStream_tbEUlRKdE_EESP_ST_SU_mSV_SY_bEUlT_E_NS1_11comp_targetILNS1_3genE9ELNS1_11target_archE1100ELNS1_3gpuE3ELNS1_3repE0EEENS1_30default_config_static_selectorELNS0_4arch9wavefront6targetE1EEEvSS_.kd
    .uniform_work_group_size: 1
    .uses_dynamic_stack: false
    .vgpr_count:     0
    .vgpr_spill_count: 0
    .wavefront_size: 64
  - .args:
      - .offset:         0
        .size:           56
        .value_kind:     by_value
    .group_segment_fixed_size: 0
    .kernarg_segment_align: 8
    .kernarg_segment_size: 56
    .language:       OpenCL C
    .language_version:
      - 2
      - 0
    .max_flat_workgroup_size: 256
    .name:           _ZN7rocprim17ROCPRIM_400000_NS6detail17trampoline_kernelINS0_14default_configENS1_27lower_bound_config_selectorIdlEEZNS1_14transform_implILb0ES3_S5_N6thrust23THRUST_200600_302600_NS6detail15normal_iteratorINS8_7pointerIdNS8_11hip_rocprim5par_tENS8_11use_defaultESE_EEEENSA_INSB_IlSD_SE_SE_EEEEZNS1_13binary_searchIS3_S5_PdSG_SI_NS1_21lower_bound_search_opENS9_16wrapped_functionI11custom_lessbEEEE10hipError_tPvRmT1_T2_T3_mmT4_T5_P12ihipStream_tbEUlRKdE_EESP_ST_SU_mSV_SY_bEUlT_E_NS1_11comp_targetILNS1_3genE8ELNS1_11target_archE1030ELNS1_3gpuE2ELNS1_3repE0EEENS1_30default_config_static_selectorELNS0_4arch9wavefront6targetE1EEEvSS_
    .private_segment_fixed_size: 0
    .sgpr_count:     4
    .sgpr_spill_count: 0
    .symbol:         _ZN7rocprim17ROCPRIM_400000_NS6detail17trampoline_kernelINS0_14default_configENS1_27lower_bound_config_selectorIdlEEZNS1_14transform_implILb0ES3_S5_N6thrust23THRUST_200600_302600_NS6detail15normal_iteratorINS8_7pointerIdNS8_11hip_rocprim5par_tENS8_11use_defaultESE_EEEENSA_INSB_IlSD_SE_SE_EEEEZNS1_13binary_searchIS3_S5_PdSG_SI_NS1_21lower_bound_search_opENS9_16wrapped_functionI11custom_lessbEEEE10hipError_tPvRmT1_T2_T3_mmT4_T5_P12ihipStream_tbEUlRKdE_EESP_ST_SU_mSV_SY_bEUlT_E_NS1_11comp_targetILNS1_3genE8ELNS1_11target_archE1030ELNS1_3gpuE2ELNS1_3repE0EEENS1_30default_config_static_selectorELNS0_4arch9wavefront6targetE1EEEvSS_.kd
    .uniform_work_group_size: 1
    .uses_dynamic_stack: false
    .vgpr_count:     0
    .vgpr_spill_count: 0
    .wavefront_size: 64
  - .args:
      - .offset:         0
        .size:           56
        .value_kind:     by_value
    .group_segment_fixed_size: 0
    .kernarg_segment_align: 8
    .kernarg_segment_size: 56
    .language:       OpenCL C
    .language_version:
      - 2
      - 0
    .max_flat_workgroup_size: 64
    .name:           _ZN7rocprim17ROCPRIM_400000_NS6detail17trampoline_kernelINS0_14default_configENS1_27lower_bound_config_selectorIdlEEZNS1_14transform_implILb0ES3_S5_N6thrust23THRUST_200600_302600_NS6detail15normal_iteratorINS8_7pointerIdNS8_11hip_rocprim5par_tENS8_11use_defaultESE_EEEENSA_INSB_IlSD_SE_SE_EEEEZNS1_13binary_searchIS3_S5_PdSG_SI_NS1_21lower_bound_search_opENS9_16wrapped_functionINS8_6system6detail7generic6detail18binary_search_lessEbEEEE10hipError_tPvRmT1_T2_T3_mmT4_T5_P12ihipStream_tbEUlRKdE_EEST_SX_SY_mSZ_S12_bEUlT_E_NS1_11comp_targetILNS1_3genE0ELNS1_11target_archE4294967295ELNS1_3gpuE0ELNS1_3repE0EEENS1_30default_config_static_selectorELNS0_4arch9wavefront6targetE1EEEvSW_
    .private_segment_fixed_size: 0
    .sgpr_count:     4
    .sgpr_spill_count: 0
    .symbol:         _ZN7rocprim17ROCPRIM_400000_NS6detail17trampoline_kernelINS0_14default_configENS1_27lower_bound_config_selectorIdlEEZNS1_14transform_implILb0ES3_S5_N6thrust23THRUST_200600_302600_NS6detail15normal_iteratorINS8_7pointerIdNS8_11hip_rocprim5par_tENS8_11use_defaultESE_EEEENSA_INSB_IlSD_SE_SE_EEEEZNS1_13binary_searchIS3_S5_PdSG_SI_NS1_21lower_bound_search_opENS9_16wrapped_functionINS8_6system6detail7generic6detail18binary_search_lessEbEEEE10hipError_tPvRmT1_T2_T3_mmT4_T5_P12ihipStream_tbEUlRKdE_EEST_SX_SY_mSZ_S12_bEUlT_E_NS1_11comp_targetILNS1_3genE0ELNS1_11target_archE4294967295ELNS1_3gpuE0ELNS1_3repE0EEENS1_30default_config_static_selectorELNS0_4arch9wavefront6targetE1EEEvSW_.kd
    .uniform_work_group_size: 1
    .uses_dynamic_stack: false
    .vgpr_count:     0
    .vgpr_spill_count: 0
    .wavefront_size: 64
  - .args:
      - .offset:         0
        .size:           56
        .value_kind:     by_value
    .group_segment_fixed_size: 0
    .kernarg_segment_align: 8
    .kernarg_segment_size: 56
    .language:       OpenCL C
    .language_version:
      - 2
      - 0
    .max_flat_workgroup_size: 64
    .name:           _ZN7rocprim17ROCPRIM_400000_NS6detail17trampoline_kernelINS0_14default_configENS1_27lower_bound_config_selectorIdlEEZNS1_14transform_implILb0ES3_S5_N6thrust23THRUST_200600_302600_NS6detail15normal_iteratorINS8_7pointerIdNS8_11hip_rocprim5par_tENS8_11use_defaultESE_EEEENSA_INSB_IlSD_SE_SE_EEEEZNS1_13binary_searchIS3_S5_PdSG_SI_NS1_21lower_bound_search_opENS9_16wrapped_functionINS8_6system6detail7generic6detail18binary_search_lessEbEEEE10hipError_tPvRmT1_T2_T3_mmT4_T5_P12ihipStream_tbEUlRKdE_EEST_SX_SY_mSZ_S12_bEUlT_E_NS1_11comp_targetILNS1_3genE5ELNS1_11target_archE942ELNS1_3gpuE9ELNS1_3repE0EEENS1_30default_config_static_selectorELNS0_4arch9wavefront6targetE1EEEvSW_
    .private_segment_fixed_size: 0
    .sgpr_count:     4
    .sgpr_spill_count: 0
    .symbol:         _ZN7rocprim17ROCPRIM_400000_NS6detail17trampoline_kernelINS0_14default_configENS1_27lower_bound_config_selectorIdlEEZNS1_14transform_implILb0ES3_S5_N6thrust23THRUST_200600_302600_NS6detail15normal_iteratorINS8_7pointerIdNS8_11hip_rocprim5par_tENS8_11use_defaultESE_EEEENSA_INSB_IlSD_SE_SE_EEEEZNS1_13binary_searchIS3_S5_PdSG_SI_NS1_21lower_bound_search_opENS9_16wrapped_functionINS8_6system6detail7generic6detail18binary_search_lessEbEEEE10hipError_tPvRmT1_T2_T3_mmT4_T5_P12ihipStream_tbEUlRKdE_EEST_SX_SY_mSZ_S12_bEUlT_E_NS1_11comp_targetILNS1_3genE5ELNS1_11target_archE942ELNS1_3gpuE9ELNS1_3repE0EEENS1_30default_config_static_selectorELNS0_4arch9wavefront6targetE1EEEvSW_.kd
    .uniform_work_group_size: 1
    .uses_dynamic_stack: false
    .vgpr_count:     0
    .vgpr_spill_count: 0
    .wavefront_size: 64
  - .args:
      - .offset:         0
        .size:           56
        .value_kind:     by_value
    .group_segment_fixed_size: 0
    .kernarg_segment_align: 8
    .kernarg_segment_size: 56
    .language:       OpenCL C
    .language_version:
      - 2
      - 0
    .max_flat_workgroup_size: 64
    .name:           _ZN7rocprim17ROCPRIM_400000_NS6detail17trampoline_kernelINS0_14default_configENS1_27lower_bound_config_selectorIdlEEZNS1_14transform_implILb0ES3_S5_N6thrust23THRUST_200600_302600_NS6detail15normal_iteratorINS8_7pointerIdNS8_11hip_rocprim5par_tENS8_11use_defaultESE_EEEENSA_INSB_IlSD_SE_SE_EEEEZNS1_13binary_searchIS3_S5_PdSG_SI_NS1_21lower_bound_search_opENS9_16wrapped_functionINS8_6system6detail7generic6detail18binary_search_lessEbEEEE10hipError_tPvRmT1_T2_T3_mmT4_T5_P12ihipStream_tbEUlRKdE_EEST_SX_SY_mSZ_S12_bEUlT_E_NS1_11comp_targetILNS1_3genE4ELNS1_11target_archE910ELNS1_3gpuE8ELNS1_3repE0EEENS1_30default_config_static_selectorELNS0_4arch9wavefront6targetE1EEEvSW_
    .private_segment_fixed_size: 0
    .sgpr_count:     4
    .sgpr_spill_count: 0
    .symbol:         _ZN7rocprim17ROCPRIM_400000_NS6detail17trampoline_kernelINS0_14default_configENS1_27lower_bound_config_selectorIdlEEZNS1_14transform_implILb0ES3_S5_N6thrust23THRUST_200600_302600_NS6detail15normal_iteratorINS8_7pointerIdNS8_11hip_rocprim5par_tENS8_11use_defaultESE_EEEENSA_INSB_IlSD_SE_SE_EEEEZNS1_13binary_searchIS3_S5_PdSG_SI_NS1_21lower_bound_search_opENS9_16wrapped_functionINS8_6system6detail7generic6detail18binary_search_lessEbEEEE10hipError_tPvRmT1_T2_T3_mmT4_T5_P12ihipStream_tbEUlRKdE_EEST_SX_SY_mSZ_S12_bEUlT_E_NS1_11comp_targetILNS1_3genE4ELNS1_11target_archE910ELNS1_3gpuE8ELNS1_3repE0EEENS1_30default_config_static_selectorELNS0_4arch9wavefront6targetE1EEEvSW_.kd
    .uniform_work_group_size: 1
    .uses_dynamic_stack: false
    .vgpr_count:     0
    .vgpr_spill_count: 0
    .wavefront_size: 64
  - .args:
      - .offset:         0
        .size:           56
        .value_kind:     by_value
    .group_segment_fixed_size: 0
    .kernarg_segment_align: 8
    .kernarg_segment_size: 56
    .language:       OpenCL C
    .language_version:
      - 2
      - 0
    .max_flat_workgroup_size: 64
    .name:           _ZN7rocprim17ROCPRIM_400000_NS6detail17trampoline_kernelINS0_14default_configENS1_27lower_bound_config_selectorIdlEEZNS1_14transform_implILb0ES3_S5_N6thrust23THRUST_200600_302600_NS6detail15normal_iteratorINS8_7pointerIdNS8_11hip_rocprim5par_tENS8_11use_defaultESE_EEEENSA_INSB_IlSD_SE_SE_EEEEZNS1_13binary_searchIS3_S5_PdSG_SI_NS1_21lower_bound_search_opENS9_16wrapped_functionINS8_6system6detail7generic6detail18binary_search_lessEbEEEE10hipError_tPvRmT1_T2_T3_mmT4_T5_P12ihipStream_tbEUlRKdE_EEST_SX_SY_mSZ_S12_bEUlT_E_NS1_11comp_targetILNS1_3genE3ELNS1_11target_archE908ELNS1_3gpuE7ELNS1_3repE0EEENS1_30default_config_static_selectorELNS0_4arch9wavefront6targetE1EEEvSW_
    .private_segment_fixed_size: 0
    .sgpr_count:     4
    .sgpr_spill_count: 0
    .symbol:         _ZN7rocprim17ROCPRIM_400000_NS6detail17trampoline_kernelINS0_14default_configENS1_27lower_bound_config_selectorIdlEEZNS1_14transform_implILb0ES3_S5_N6thrust23THRUST_200600_302600_NS6detail15normal_iteratorINS8_7pointerIdNS8_11hip_rocprim5par_tENS8_11use_defaultESE_EEEENSA_INSB_IlSD_SE_SE_EEEEZNS1_13binary_searchIS3_S5_PdSG_SI_NS1_21lower_bound_search_opENS9_16wrapped_functionINS8_6system6detail7generic6detail18binary_search_lessEbEEEE10hipError_tPvRmT1_T2_T3_mmT4_T5_P12ihipStream_tbEUlRKdE_EEST_SX_SY_mSZ_S12_bEUlT_E_NS1_11comp_targetILNS1_3genE3ELNS1_11target_archE908ELNS1_3gpuE7ELNS1_3repE0EEENS1_30default_config_static_selectorELNS0_4arch9wavefront6targetE1EEEvSW_.kd
    .uniform_work_group_size: 1
    .uses_dynamic_stack: false
    .vgpr_count:     0
    .vgpr_spill_count: 0
    .wavefront_size: 64
  - .args:
      - .offset:         0
        .size:           56
        .value_kind:     by_value
      - .offset:         56
        .size:           4
        .value_kind:     hidden_block_count_x
      - .offset:         60
        .size:           4
        .value_kind:     hidden_block_count_y
      - .offset:         64
        .size:           4
        .value_kind:     hidden_block_count_z
      - .offset:         68
        .size:           2
        .value_kind:     hidden_group_size_x
      - .offset:         70
        .size:           2
        .value_kind:     hidden_group_size_y
      - .offset:         72
        .size:           2
        .value_kind:     hidden_group_size_z
      - .offset:         74
        .size:           2
        .value_kind:     hidden_remainder_x
      - .offset:         76
        .size:           2
        .value_kind:     hidden_remainder_y
      - .offset:         78
        .size:           2
        .value_kind:     hidden_remainder_z
      - .offset:         96
        .size:           8
        .value_kind:     hidden_global_offset_x
      - .offset:         104
        .size:           8
        .value_kind:     hidden_global_offset_y
      - .offset:         112
        .size:           8
        .value_kind:     hidden_global_offset_z
      - .offset:         120
        .size:           2
        .value_kind:     hidden_grid_dims
    .group_segment_fixed_size: 0
    .kernarg_segment_align: 8
    .kernarg_segment_size: 312
    .language:       OpenCL C
    .language_version:
      - 2
      - 0
    .max_flat_workgroup_size: 256
    .name:           _ZN7rocprim17ROCPRIM_400000_NS6detail17trampoline_kernelINS0_14default_configENS1_27lower_bound_config_selectorIdlEEZNS1_14transform_implILb0ES3_S5_N6thrust23THRUST_200600_302600_NS6detail15normal_iteratorINS8_7pointerIdNS8_11hip_rocprim5par_tENS8_11use_defaultESE_EEEENSA_INSB_IlSD_SE_SE_EEEEZNS1_13binary_searchIS3_S5_PdSG_SI_NS1_21lower_bound_search_opENS9_16wrapped_functionINS8_6system6detail7generic6detail18binary_search_lessEbEEEE10hipError_tPvRmT1_T2_T3_mmT4_T5_P12ihipStream_tbEUlRKdE_EEST_SX_SY_mSZ_S12_bEUlT_E_NS1_11comp_targetILNS1_3genE2ELNS1_11target_archE906ELNS1_3gpuE6ELNS1_3repE0EEENS1_30default_config_static_selectorELNS0_4arch9wavefront6targetE1EEEvSW_
    .private_segment_fixed_size: 0
    .sgpr_count:     22
    .sgpr_spill_count: 0
    .symbol:         _ZN7rocprim17ROCPRIM_400000_NS6detail17trampoline_kernelINS0_14default_configENS1_27lower_bound_config_selectorIdlEEZNS1_14transform_implILb0ES3_S5_N6thrust23THRUST_200600_302600_NS6detail15normal_iteratorINS8_7pointerIdNS8_11hip_rocprim5par_tENS8_11use_defaultESE_EEEENSA_INSB_IlSD_SE_SE_EEEEZNS1_13binary_searchIS3_S5_PdSG_SI_NS1_21lower_bound_search_opENS9_16wrapped_functionINS8_6system6detail7generic6detail18binary_search_lessEbEEEE10hipError_tPvRmT1_T2_T3_mmT4_T5_P12ihipStream_tbEUlRKdE_EEST_SX_SY_mSZ_S12_bEUlT_E_NS1_11comp_targetILNS1_3genE2ELNS1_11target_archE906ELNS1_3gpuE6ELNS1_3repE0EEENS1_30default_config_static_selectorELNS0_4arch9wavefront6targetE1EEEvSW_.kd
    .uniform_work_group_size: 1
    .uses_dynamic_stack: false
    .vgpr_count:     12
    .vgpr_spill_count: 0
    .wavefront_size: 64
  - .args:
      - .offset:         0
        .size:           56
        .value_kind:     by_value
    .group_segment_fixed_size: 0
    .kernarg_segment_align: 8
    .kernarg_segment_size: 56
    .language:       OpenCL C
    .language_version:
      - 2
      - 0
    .max_flat_workgroup_size: 128
    .name:           _ZN7rocprim17ROCPRIM_400000_NS6detail17trampoline_kernelINS0_14default_configENS1_27lower_bound_config_selectorIdlEEZNS1_14transform_implILb0ES3_S5_N6thrust23THRUST_200600_302600_NS6detail15normal_iteratorINS8_7pointerIdNS8_11hip_rocprim5par_tENS8_11use_defaultESE_EEEENSA_INSB_IlSD_SE_SE_EEEEZNS1_13binary_searchIS3_S5_PdSG_SI_NS1_21lower_bound_search_opENS9_16wrapped_functionINS8_6system6detail7generic6detail18binary_search_lessEbEEEE10hipError_tPvRmT1_T2_T3_mmT4_T5_P12ihipStream_tbEUlRKdE_EEST_SX_SY_mSZ_S12_bEUlT_E_NS1_11comp_targetILNS1_3genE10ELNS1_11target_archE1201ELNS1_3gpuE5ELNS1_3repE0EEENS1_30default_config_static_selectorELNS0_4arch9wavefront6targetE1EEEvSW_
    .private_segment_fixed_size: 0
    .sgpr_count:     4
    .sgpr_spill_count: 0
    .symbol:         _ZN7rocprim17ROCPRIM_400000_NS6detail17trampoline_kernelINS0_14default_configENS1_27lower_bound_config_selectorIdlEEZNS1_14transform_implILb0ES3_S5_N6thrust23THRUST_200600_302600_NS6detail15normal_iteratorINS8_7pointerIdNS8_11hip_rocprim5par_tENS8_11use_defaultESE_EEEENSA_INSB_IlSD_SE_SE_EEEEZNS1_13binary_searchIS3_S5_PdSG_SI_NS1_21lower_bound_search_opENS9_16wrapped_functionINS8_6system6detail7generic6detail18binary_search_lessEbEEEE10hipError_tPvRmT1_T2_T3_mmT4_T5_P12ihipStream_tbEUlRKdE_EEST_SX_SY_mSZ_S12_bEUlT_E_NS1_11comp_targetILNS1_3genE10ELNS1_11target_archE1201ELNS1_3gpuE5ELNS1_3repE0EEENS1_30default_config_static_selectorELNS0_4arch9wavefront6targetE1EEEvSW_.kd
    .uniform_work_group_size: 1
    .uses_dynamic_stack: false
    .vgpr_count:     0
    .vgpr_spill_count: 0
    .wavefront_size: 64
  - .args:
      - .offset:         0
        .size:           56
        .value_kind:     by_value
    .group_segment_fixed_size: 0
    .kernarg_segment_align: 8
    .kernarg_segment_size: 56
    .language:       OpenCL C
    .language_version:
      - 2
      - 0
    .max_flat_workgroup_size: 128
    .name:           _ZN7rocprim17ROCPRIM_400000_NS6detail17trampoline_kernelINS0_14default_configENS1_27lower_bound_config_selectorIdlEEZNS1_14transform_implILb0ES3_S5_N6thrust23THRUST_200600_302600_NS6detail15normal_iteratorINS8_7pointerIdNS8_11hip_rocprim5par_tENS8_11use_defaultESE_EEEENSA_INSB_IlSD_SE_SE_EEEEZNS1_13binary_searchIS3_S5_PdSG_SI_NS1_21lower_bound_search_opENS9_16wrapped_functionINS8_6system6detail7generic6detail18binary_search_lessEbEEEE10hipError_tPvRmT1_T2_T3_mmT4_T5_P12ihipStream_tbEUlRKdE_EEST_SX_SY_mSZ_S12_bEUlT_E_NS1_11comp_targetILNS1_3genE10ELNS1_11target_archE1200ELNS1_3gpuE4ELNS1_3repE0EEENS1_30default_config_static_selectorELNS0_4arch9wavefront6targetE1EEEvSW_
    .private_segment_fixed_size: 0
    .sgpr_count:     4
    .sgpr_spill_count: 0
    .symbol:         _ZN7rocprim17ROCPRIM_400000_NS6detail17trampoline_kernelINS0_14default_configENS1_27lower_bound_config_selectorIdlEEZNS1_14transform_implILb0ES3_S5_N6thrust23THRUST_200600_302600_NS6detail15normal_iteratorINS8_7pointerIdNS8_11hip_rocprim5par_tENS8_11use_defaultESE_EEEENSA_INSB_IlSD_SE_SE_EEEEZNS1_13binary_searchIS3_S5_PdSG_SI_NS1_21lower_bound_search_opENS9_16wrapped_functionINS8_6system6detail7generic6detail18binary_search_lessEbEEEE10hipError_tPvRmT1_T2_T3_mmT4_T5_P12ihipStream_tbEUlRKdE_EEST_SX_SY_mSZ_S12_bEUlT_E_NS1_11comp_targetILNS1_3genE10ELNS1_11target_archE1200ELNS1_3gpuE4ELNS1_3repE0EEENS1_30default_config_static_selectorELNS0_4arch9wavefront6targetE1EEEvSW_.kd
    .uniform_work_group_size: 1
    .uses_dynamic_stack: false
    .vgpr_count:     0
    .vgpr_spill_count: 0
    .wavefront_size: 64
  - .args:
      - .offset:         0
        .size:           56
        .value_kind:     by_value
    .group_segment_fixed_size: 0
    .kernarg_segment_align: 8
    .kernarg_segment_size: 56
    .language:       OpenCL C
    .language_version:
      - 2
      - 0
    .max_flat_workgroup_size: 256
    .name:           _ZN7rocprim17ROCPRIM_400000_NS6detail17trampoline_kernelINS0_14default_configENS1_27lower_bound_config_selectorIdlEEZNS1_14transform_implILb0ES3_S5_N6thrust23THRUST_200600_302600_NS6detail15normal_iteratorINS8_7pointerIdNS8_11hip_rocprim5par_tENS8_11use_defaultESE_EEEENSA_INSB_IlSD_SE_SE_EEEEZNS1_13binary_searchIS3_S5_PdSG_SI_NS1_21lower_bound_search_opENS9_16wrapped_functionINS8_6system6detail7generic6detail18binary_search_lessEbEEEE10hipError_tPvRmT1_T2_T3_mmT4_T5_P12ihipStream_tbEUlRKdE_EEST_SX_SY_mSZ_S12_bEUlT_E_NS1_11comp_targetILNS1_3genE9ELNS1_11target_archE1100ELNS1_3gpuE3ELNS1_3repE0EEENS1_30default_config_static_selectorELNS0_4arch9wavefront6targetE1EEEvSW_
    .private_segment_fixed_size: 0
    .sgpr_count:     4
    .sgpr_spill_count: 0
    .symbol:         _ZN7rocprim17ROCPRIM_400000_NS6detail17trampoline_kernelINS0_14default_configENS1_27lower_bound_config_selectorIdlEEZNS1_14transform_implILb0ES3_S5_N6thrust23THRUST_200600_302600_NS6detail15normal_iteratorINS8_7pointerIdNS8_11hip_rocprim5par_tENS8_11use_defaultESE_EEEENSA_INSB_IlSD_SE_SE_EEEEZNS1_13binary_searchIS3_S5_PdSG_SI_NS1_21lower_bound_search_opENS9_16wrapped_functionINS8_6system6detail7generic6detail18binary_search_lessEbEEEE10hipError_tPvRmT1_T2_T3_mmT4_T5_P12ihipStream_tbEUlRKdE_EEST_SX_SY_mSZ_S12_bEUlT_E_NS1_11comp_targetILNS1_3genE9ELNS1_11target_archE1100ELNS1_3gpuE3ELNS1_3repE0EEENS1_30default_config_static_selectorELNS0_4arch9wavefront6targetE1EEEvSW_.kd
    .uniform_work_group_size: 1
    .uses_dynamic_stack: false
    .vgpr_count:     0
    .vgpr_spill_count: 0
    .wavefront_size: 64
  - .args:
      - .offset:         0
        .size:           56
        .value_kind:     by_value
    .group_segment_fixed_size: 0
    .kernarg_segment_align: 8
    .kernarg_segment_size: 56
    .language:       OpenCL C
    .language_version:
      - 2
      - 0
    .max_flat_workgroup_size: 256
    .name:           _ZN7rocprim17ROCPRIM_400000_NS6detail17trampoline_kernelINS0_14default_configENS1_27lower_bound_config_selectorIdlEEZNS1_14transform_implILb0ES3_S5_N6thrust23THRUST_200600_302600_NS6detail15normal_iteratorINS8_7pointerIdNS8_11hip_rocprim5par_tENS8_11use_defaultESE_EEEENSA_INSB_IlSD_SE_SE_EEEEZNS1_13binary_searchIS3_S5_PdSG_SI_NS1_21lower_bound_search_opENS9_16wrapped_functionINS8_6system6detail7generic6detail18binary_search_lessEbEEEE10hipError_tPvRmT1_T2_T3_mmT4_T5_P12ihipStream_tbEUlRKdE_EEST_SX_SY_mSZ_S12_bEUlT_E_NS1_11comp_targetILNS1_3genE8ELNS1_11target_archE1030ELNS1_3gpuE2ELNS1_3repE0EEENS1_30default_config_static_selectorELNS0_4arch9wavefront6targetE1EEEvSW_
    .private_segment_fixed_size: 0
    .sgpr_count:     4
    .sgpr_spill_count: 0
    .symbol:         _ZN7rocprim17ROCPRIM_400000_NS6detail17trampoline_kernelINS0_14default_configENS1_27lower_bound_config_selectorIdlEEZNS1_14transform_implILb0ES3_S5_N6thrust23THRUST_200600_302600_NS6detail15normal_iteratorINS8_7pointerIdNS8_11hip_rocprim5par_tENS8_11use_defaultESE_EEEENSA_INSB_IlSD_SE_SE_EEEEZNS1_13binary_searchIS3_S5_PdSG_SI_NS1_21lower_bound_search_opENS9_16wrapped_functionINS8_6system6detail7generic6detail18binary_search_lessEbEEEE10hipError_tPvRmT1_T2_T3_mmT4_T5_P12ihipStream_tbEUlRKdE_EEST_SX_SY_mSZ_S12_bEUlT_E_NS1_11comp_targetILNS1_3genE8ELNS1_11target_archE1030ELNS1_3gpuE2ELNS1_3repE0EEENS1_30default_config_static_selectorELNS0_4arch9wavefront6targetE1EEEvSW_.kd
    .uniform_work_group_size: 1
    .uses_dynamic_stack: false
    .vgpr_count:     0
    .vgpr_spill_count: 0
    .wavefront_size: 64
  - .args:
      - .offset:         0
        .size:           16
        .value_kind:     by_value
      - .offset:         16
        .size:           8
        .value_kind:     by_value
      - .offset:         24
        .size:           8
        .value_kind:     by_value
    .group_segment_fixed_size: 0
    .kernarg_segment_align: 8
    .kernarg_segment_size: 32
    .language:       OpenCL C
    .language_version:
      - 2
      - 0
    .max_flat_workgroup_size: 256
    .name:           _ZN6thrust23THRUST_200600_302600_NS11hip_rocprim14__parallel_for6kernelILj256ENS1_20__uninitialized_fill7functorINS0_10device_ptrIfEEfEEmLj1EEEvT0_T1_SA_
    .private_segment_fixed_size: 0
    .sgpr_count:     20
    .sgpr_spill_count: 0
    .symbol:         _ZN6thrust23THRUST_200600_302600_NS11hip_rocprim14__parallel_for6kernelILj256ENS1_20__uninitialized_fill7functorINS0_10device_ptrIfEEfEEmLj1EEEvT0_T1_SA_.kd
    .uniform_work_group_size: 1
    .uses_dynamic_stack: false
    .vgpr_count:     4
    .vgpr_spill_count: 0
    .wavefront_size: 64
  - .args:
      - .offset:         0
        .size:           8
        .value_kind:     by_value
      - .address_space:  global
        .offset:         8
        .size:           8
        .value_kind:     global_buffer
      - .address_space:  global
        .offset:         16
        .size:           8
        .value_kind:     global_buffer
    .group_segment_fixed_size: 0
    .kernarg_segment_align: 8
    .kernarg_segment_size: 24
    .language:       OpenCL C
    .language_version:
      - 2
      - 0
    .max_flat_workgroup_size: 256
    .name:           _Z18lower_bound_kernelIfEvmPT_Pl
    .private_segment_fixed_size: 0
    .sgpr_count:     22
    .sgpr_spill_count: 0
    .symbol:         _Z18lower_bound_kernelIfEvmPT_Pl.kd
    .uniform_work_group_size: 1
    .uses_dynamic_stack: false
    .vgpr_count:     3
    .vgpr_spill_count: 0
    .wavefront_size: 64
  - .args:
      - .offset:         0
        .size:           56
        .value_kind:     by_value
    .group_segment_fixed_size: 0
    .kernarg_segment_align: 8
    .kernarg_segment_size: 56
    .language:       OpenCL C
    .language_version:
      - 2
      - 0
    .max_flat_workgroup_size: 256
    .name:           _ZN7rocprim17ROCPRIM_400000_NS6detail17trampoline_kernelINS0_14default_configENS1_27lower_bound_config_selectorIflEEZNS1_14transform_implILb0ES3_S5_N6thrust23THRUST_200600_302600_NS6detail15normal_iteratorINS8_7pointerIfNS8_11hip_rocprim5par_tENS8_11use_defaultESE_EEEENSA_INSB_IlSD_SE_SE_EEEEZNS1_13binary_searchIS3_S5_PfSG_SI_NS1_21lower_bound_search_opENS9_16wrapped_functionI11custom_lessbEEEE10hipError_tPvRmT1_T2_T3_mmT4_T5_P12ihipStream_tbEUlRKfE_EESP_ST_SU_mSV_SY_bEUlT_E_NS1_11comp_targetILNS1_3genE0ELNS1_11target_archE4294967295ELNS1_3gpuE0ELNS1_3repE0EEENS1_30default_config_static_selectorELNS0_4arch9wavefront6targetE1EEEvSS_
    .private_segment_fixed_size: 0
    .sgpr_count:     4
    .sgpr_spill_count: 0
    .symbol:         _ZN7rocprim17ROCPRIM_400000_NS6detail17trampoline_kernelINS0_14default_configENS1_27lower_bound_config_selectorIflEEZNS1_14transform_implILb0ES3_S5_N6thrust23THRUST_200600_302600_NS6detail15normal_iteratorINS8_7pointerIfNS8_11hip_rocprim5par_tENS8_11use_defaultESE_EEEENSA_INSB_IlSD_SE_SE_EEEEZNS1_13binary_searchIS3_S5_PfSG_SI_NS1_21lower_bound_search_opENS9_16wrapped_functionI11custom_lessbEEEE10hipError_tPvRmT1_T2_T3_mmT4_T5_P12ihipStream_tbEUlRKfE_EESP_ST_SU_mSV_SY_bEUlT_E_NS1_11comp_targetILNS1_3genE0ELNS1_11target_archE4294967295ELNS1_3gpuE0ELNS1_3repE0EEENS1_30default_config_static_selectorELNS0_4arch9wavefront6targetE1EEEvSS_.kd
    .uniform_work_group_size: 1
    .uses_dynamic_stack: false
    .vgpr_count:     0
    .vgpr_spill_count: 0
    .wavefront_size: 64
  - .args:
      - .offset:         0
        .size:           56
        .value_kind:     by_value
    .group_segment_fixed_size: 0
    .kernarg_segment_align: 8
    .kernarg_segment_size: 56
    .language:       OpenCL C
    .language_version:
      - 2
      - 0
    .max_flat_workgroup_size: 256
    .name:           _ZN7rocprim17ROCPRIM_400000_NS6detail17trampoline_kernelINS0_14default_configENS1_27lower_bound_config_selectorIflEEZNS1_14transform_implILb0ES3_S5_N6thrust23THRUST_200600_302600_NS6detail15normal_iteratorINS8_7pointerIfNS8_11hip_rocprim5par_tENS8_11use_defaultESE_EEEENSA_INSB_IlSD_SE_SE_EEEEZNS1_13binary_searchIS3_S5_PfSG_SI_NS1_21lower_bound_search_opENS9_16wrapped_functionI11custom_lessbEEEE10hipError_tPvRmT1_T2_T3_mmT4_T5_P12ihipStream_tbEUlRKfE_EESP_ST_SU_mSV_SY_bEUlT_E_NS1_11comp_targetILNS1_3genE5ELNS1_11target_archE942ELNS1_3gpuE9ELNS1_3repE0EEENS1_30default_config_static_selectorELNS0_4arch9wavefront6targetE1EEEvSS_
    .private_segment_fixed_size: 0
    .sgpr_count:     4
    .sgpr_spill_count: 0
    .symbol:         _ZN7rocprim17ROCPRIM_400000_NS6detail17trampoline_kernelINS0_14default_configENS1_27lower_bound_config_selectorIflEEZNS1_14transform_implILb0ES3_S5_N6thrust23THRUST_200600_302600_NS6detail15normal_iteratorINS8_7pointerIfNS8_11hip_rocprim5par_tENS8_11use_defaultESE_EEEENSA_INSB_IlSD_SE_SE_EEEEZNS1_13binary_searchIS3_S5_PfSG_SI_NS1_21lower_bound_search_opENS9_16wrapped_functionI11custom_lessbEEEE10hipError_tPvRmT1_T2_T3_mmT4_T5_P12ihipStream_tbEUlRKfE_EESP_ST_SU_mSV_SY_bEUlT_E_NS1_11comp_targetILNS1_3genE5ELNS1_11target_archE942ELNS1_3gpuE9ELNS1_3repE0EEENS1_30default_config_static_selectorELNS0_4arch9wavefront6targetE1EEEvSS_.kd
    .uniform_work_group_size: 1
    .uses_dynamic_stack: false
    .vgpr_count:     0
    .vgpr_spill_count: 0
    .wavefront_size: 64
  - .args:
      - .offset:         0
        .size:           56
        .value_kind:     by_value
    .group_segment_fixed_size: 0
    .kernarg_segment_align: 8
    .kernarg_segment_size: 56
    .language:       OpenCL C
    .language_version:
      - 2
      - 0
    .max_flat_workgroup_size: 256
    .name:           _ZN7rocprim17ROCPRIM_400000_NS6detail17trampoline_kernelINS0_14default_configENS1_27lower_bound_config_selectorIflEEZNS1_14transform_implILb0ES3_S5_N6thrust23THRUST_200600_302600_NS6detail15normal_iteratorINS8_7pointerIfNS8_11hip_rocprim5par_tENS8_11use_defaultESE_EEEENSA_INSB_IlSD_SE_SE_EEEEZNS1_13binary_searchIS3_S5_PfSG_SI_NS1_21lower_bound_search_opENS9_16wrapped_functionI11custom_lessbEEEE10hipError_tPvRmT1_T2_T3_mmT4_T5_P12ihipStream_tbEUlRKfE_EESP_ST_SU_mSV_SY_bEUlT_E_NS1_11comp_targetILNS1_3genE4ELNS1_11target_archE910ELNS1_3gpuE8ELNS1_3repE0EEENS1_30default_config_static_selectorELNS0_4arch9wavefront6targetE1EEEvSS_
    .private_segment_fixed_size: 0
    .sgpr_count:     4
    .sgpr_spill_count: 0
    .symbol:         _ZN7rocprim17ROCPRIM_400000_NS6detail17trampoline_kernelINS0_14default_configENS1_27lower_bound_config_selectorIflEEZNS1_14transform_implILb0ES3_S5_N6thrust23THRUST_200600_302600_NS6detail15normal_iteratorINS8_7pointerIfNS8_11hip_rocprim5par_tENS8_11use_defaultESE_EEEENSA_INSB_IlSD_SE_SE_EEEEZNS1_13binary_searchIS3_S5_PfSG_SI_NS1_21lower_bound_search_opENS9_16wrapped_functionI11custom_lessbEEEE10hipError_tPvRmT1_T2_T3_mmT4_T5_P12ihipStream_tbEUlRKfE_EESP_ST_SU_mSV_SY_bEUlT_E_NS1_11comp_targetILNS1_3genE4ELNS1_11target_archE910ELNS1_3gpuE8ELNS1_3repE0EEENS1_30default_config_static_selectorELNS0_4arch9wavefront6targetE1EEEvSS_.kd
    .uniform_work_group_size: 1
    .uses_dynamic_stack: false
    .vgpr_count:     0
    .vgpr_spill_count: 0
    .wavefront_size: 64
  - .args:
      - .offset:         0
        .size:           56
        .value_kind:     by_value
    .group_segment_fixed_size: 0
    .kernarg_segment_align: 8
    .kernarg_segment_size: 56
    .language:       OpenCL C
    .language_version:
      - 2
      - 0
    .max_flat_workgroup_size: 256
    .name:           _ZN7rocprim17ROCPRIM_400000_NS6detail17trampoline_kernelINS0_14default_configENS1_27lower_bound_config_selectorIflEEZNS1_14transform_implILb0ES3_S5_N6thrust23THRUST_200600_302600_NS6detail15normal_iteratorINS8_7pointerIfNS8_11hip_rocprim5par_tENS8_11use_defaultESE_EEEENSA_INSB_IlSD_SE_SE_EEEEZNS1_13binary_searchIS3_S5_PfSG_SI_NS1_21lower_bound_search_opENS9_16wrapped_functionI11custom_lessbEEEE10hipError_tPvRmT1_T2_T3_mmT4_T5_P12ihipStream_tbEUlRKfE_EESP_ST_SU_mSV_SY_bEUlT_E_NS1_11comp_targetILNS1_3genE3ELNS1_11target_archE908ELNS1_3gpuE7ELNS1_3repE0EEENS1_30default_config_static_selectorELNS0_4arch9wavefront6targetE1EEEvSS_
    .private_segment_fixed_size: 0
    .sgpr_count:     4
    .sgpr_spill_count: 0
    .symbol:         _ZN7rocprim17ROCPRIM_400000_NS6detail17trampoline_kernelINS0_14default_configENS1_27lower_bound_config_selectorIflEEZNS1_14transform_implILb0ES3_S5_N6thrust23THRUST_200600_302600_NS6detail15normal_iteratorINS8_7pointerIfNS8_11hip_rocprim5par_tENS8_11use_defaultESE_EEEENSA_INSB_IlSD_SE_SE_EEEEZNS1_13binary_searchIS3_S5_PfSG_SI_NS1_21lower_bound_search_opENS9_16wrapped_functionI11custom_lessbEEEE10hipError_tPvRmT1_T2_T3_mmT4_T5_P12ihipStream_tbEUlRKfE_EESP_ST_SU_mSV_SY_bEUlT_E_NS1_11comp_targetILNS1_3genE3ELNS1_11target_archE908ELNS1_3gpuE7ELNS1_3repE0EEENS1_30default_config_static_selectorELNS0_4arch9wavefront6targetE1EEEvSS_.kd
    .uniform_work_group_size: 1
    .uses_dynamic_stack: false
    .vgpr_count:     0
    .vgpr_spill_count: 0
    .wavefront_size: 64
  - .args:
      - .offset:         0
        .size:           56
        .value_kind:     by_value
      - .offset:         56
        .size:           4
        .value_kind:     hidden_block_count_x
      - .offset:         60
        .size:           4
        .value_kind:     hidden_block_count_y
      - .offset:         64
        .size:           4
        .value_kind:     hidden_block_count_z
      - .offset:         68
        .size:           2
        .value_kind:     hidden_group_size_x
      - .offset:         70
        .size:           2
        .value_kind:     hidden_group_size_y
      - .offset:         72
        .size:           2
        .value_kind:     hidden_group_size_z
      - .offset:         74
        .size:           2
        .value_kind:     hidden_remainder_x
      - .offset:         76
        .size:           2
        .value_kind:     hidden_remainder_y
      - .offset:         78
        .size:           2
        .value_kind:     hidden_remainder_z
      - .offset:         96
        .size:           8
        .value_kind:     hidden_global_offset_x
      - .offset:         104
        .size:           8
        .value_kind:     hidden_global_offset_y
      - .offset:         112
        .size:           8
        .value_kind:     hidden_global_offset_z
      - .offset:         120
        .size:           2
        .value_kind:     hidden_grid_dims
    .group_segment_fixed_size: 0
    .kernarg_segment_align: 8
    .kernarg_segment_size: 312
    .language:       OpenCL C
    .language_version:
      - 2
      - 0
    .max_flat_workgroup_size: 256
    .name:           _ZN7rocprim17ROCPRIM_400000_NS6detail17trampoline_kernelINS0_14default_configENS1_27lower_bound_config_selectorIflEEZNS1_14transform_implILb0ES3_S5_N6thrust23THRUST_200600_302600_NS6detail15normal_iteratorINS8_7pointerIfNS8_11hip_rocprim5par_tENS8_11use_defaultESE_EEEENSA_INSB_IlSD_SE_SE_EEEEZNS1_13binary_searchIS3_S5_PfSG_SI_NS1_21lower_bound_search_opENS9_16wrapped_functionI11custom_lessbEEEE10hipError_tPvRmT1_T2_T3_mmT4_T5_P12ihipStream_tbEUlRKfE_EESP_ST_SU_mSV_SY_bEUlT_E_NS1_11comp_targetILNS1_3genE2ELNS1_11target_archE906ELNS1_3gpuE6ELNS1_3repE0EEENS1_30default_config_static_selectorELNS0_4arch9wavefront6targetE1EEEvSS_
    .private_segment_fixed_size: 0
    .sgpr_count:     24
    .sgpr_spill_count: 0
    .symbol:         _ZN7rocprim17ROCPRIM_400000_NS6detail17trampoline_kernelINS0_14default_configENS1_27lower_bound_config_selectorIflEEZNS1_14transform_implILb0ES3_S5_N6thrust23THRUST_200600_302600_NS6detail15normal_iteratorINS8_7pointerIfNS8_11hip_rocprim5par_tENS8_11use_defaultESE_EEEENSA_INSB_IlSD_SE_SE_EEEEZNS1_13binary_searchIS3_S5_PfSG_SI_NS1_21lower_bound_search_opENS9_16wrapped_functionI11custom_lessbEEEE10hipError_tPvRmT1_T2_T3_mmT4_T5_P12ihipStream_tbEUlRKfE_EESP_ST_SU_mSV_SY_bEUlT_E_NS1_11comp_targetILNS1_3genE2ELNS1_11target_archE906ELNS1_3gpuE6ELNS1_3repE0EEENS1_30default_config_static_selectorELNS0_4arch9wavefront6targetE1EEEvSS_.kd
    .uniform_work_group_size: 1
    .uses_dynamic_stack: false
    .vgpr_count:     12
    .vgpr_spill_count: 0
    .wavefront_size: 64
  - .args:
      - .offset:         0
        .size:           56
        .value_kind:     by_value
    .group_segment_fixed_size: 0
    .kernarg_segment_align: 8
    .kernarg_segment_size: 56
    .language:       OpenCL C
    .language_version:
      - 2
      - 0
    .max_flat_workgroup_size: 128
    .name:           _ZN7rocprim17ROCPRIM_400000_NS6detail17trampoline_kernelINS0_14default_configENS1_27lower_bound_config_selectorIflEEZNS1_14transform_implILb0ES3_S5_N6thrust23THRUST_200600_302600_NS6detail15normal_iteratorINS8_7pointerIfNS8_11hip_rocprim5par_tENS8_11use_defaultESE_EEEENSA_INSB_IlSD_SE_SE_EEEEZNS1_13binary_searchIS3_S5_PfSG_SI_NS1_21lower_bound_search_opENS9_16wrapped_functionI11custom_lessbEEEE10hipError_tPvRmT1_T2_T3_mmT4_T5_P12ihipStream_tbEUlRKfE_EESP_ST_SU_mSV_SY_bEUlT_E_NS1_11comp_targetILNS1_3genE10ELNS1_11target_archE1201ELNS1_3gpuE5ELNS1_3repE0EEENS1_30default_config_static_selectorELNS0_4arch9wavefront6targetE1EEEvSS_
    .private_segment_fixed_size: 0
    .sgpr_count:     4
    .sgpr_spill_count: 0
    .symbol:         _ZN7rocprim17ROCPRIM_400000_NS6detail17trampoline_kernelINS0_14default_configENS1_27lower_bound_config_selectorIflEEZNS1_14transform_implILb0ES3_S5_N6thrust23THRUST_200600_302600_NS6detail15normal_iteratorINS8_7pointerIfNS8_11hip_rocprim5par_tENS8_11use_defaultESE_EEEENSA_INSB_IlSD_SE_SE_EEEEZNS1_13binary_searchIS3_S5_PfSG_SI_NS1_21lower_bound_search_opENS9_16wrapped_functionI11custom_lessbEEEE10hipError_tPvRmT1_T2_T3_mmT4_T5_P12ihipStream_tbEUlRKfE_EESP_ST_SU_mSV_SY_bEUlT_E_NS1_11comp_targetILNS1_3genE10ELNS1_11target_archE1201ELNS1_3gpuE5ELNS1_3repE0EEENS1_30default_config_static_selectorELNS0_4arch9wavefront6targetE1EEEvSS_.kd
    .uniform_work_group_size: 1
    .uses_dynamic_stack: false
    .vgpr_count:     0
    .vgpr_spill_count: 0
    .wavefront_size: 64
  - .args:
      - .offset:         0
        .size:           56
        .value_kind:     by_value
    .group_segment_fixed_size: 0
    .kernarg_segment_align: 8
    .kernarg_segment_size: 56
    .language:       OpenCL C
    .language_version:
      - 2
      - 0
    .max_flat_workgroup_size: 128
    .name:           _ZN7rocprim17ROCPRIM_400000_NS6detail17trampoline_kernelINS0_14default_configENS1_27lower_bound_config_selectorIflEEZNS1_14transform_implILb0ES3_S5_N6thrust23THRUST_200600_302600_NS6detail15normal_iteratorINS8_7pointerIfNS8_11hip_rocprim5par_tENS8_11use_defaultESE_EEEENSA_INSB_IlSD_SE_SE_EEEEZNS1_13binary_searchIS3_S5_PfSG_SI_NS1_21lower_bound_search_opENS9_16wrapped_functionI11custom_lessbEEEE10hipError_tPvRmT1_T2_T3_mmT4_T5_P12ihipStream_tbEUlRKfE_EESP_ST_SU_mSV_SY_bEUlT_E_NS1_11comp_targetILNS1_3genE10ELNS1_11target_archE1200ELNS1_3gpuE4ELNS1_3repE0EEENS1_30default_config_static_selectorELNS0_4arch9wavefront6targetE1EEEvSS_
    .private_segment_fixed_size: 0
    .sgpr_count:     4
    .sgpr_spill_count: 0
    .symbol:         _ZN7rocprim17ROCPRIM_400000_NS6detail17trampoline_kernelINS0_14default_configENS1_27lower_bound_config_selectorIflEEZNS1_14transform_implILb0ES3_S5_N6thrust23THRUST_200600_302600_NS6detail15normal_iteratorINS8_7pointerIfNS8_11hip_rocprim5par_tENS8_11use_defaultESE_EEEENSA_INSB_IlSD_SE_SE_EEEEZNS1_13binary_searchIS3_S5_PfSG_SI_NS1_21lower_bound_search_opENS9_16wrapped_functionI11custom_lessbEEEE10hipError_tPvRmT1_T2_T3_mmT4_T5_P12ihipStream_tbEUlRKfE_EESP_ST_SU_mSV_SY_bEUlT_E_NS1_11comp_targetILNS1_3genE10ELNS1_11target_archE1200ELNS1_3gpuE4ELNS1_3repE0EEENS1_30default_config_static_selectorELNS0_4arch9wavefront6targetE1EEEvSS_.kd
    .uniform_work_group_size: 1
    .uses_dynamic_stack: false
    .vgpr_count:     0
    .vgpr_spill_count: 0
    .wavefront_size: 64
  - .args:
      - .offset:         0
        .size:           56
        .value_kind:     by_value
    .group_segment_fixed_size: 0
    .kernarg_segment_align: 8
    .kernarg_segment_size: 56
    .language:       OpenCL C
    .language_version:
      - 2
      - 0
    .max_flat_workgroup_size: 256
    .name:           _ZN7rocprim17ROCPRIM_400000_NS6detail17trampoline_kernelINS0_14default_configENS1_27lower_bound_config_selectorIflEEZNS1_14transform_implILb0ES3_S5_N6thrust23THRUST_200600_302600_NS6detail15normal_iteratorINS8_7pointerIfNS8_11hip_rocprim5par_tENS8_11use_defaultESE_EEEENSA_INSB_IlSD_SE_SE_EEEEZNS1_13binary_searchIS3_S5_PfSG_SI_NS1_21lower_bound_search_opENS9_16wrapped_functionI11custom_lessbEEEE10hipError_tPvRmT1_T2_T3_mmT4_T5_P12ihipStream_tbEUlRKfE_EESP_ST_SU_mSV_SY_bEUlT_E_NS1_11comp_targetILNS1_3genE9ELNS1_11target_archE1100ELNS1_3gpuE3ELNS1_3repE0EEENS1_30default_config_static_selectorELNS0_4arch9wavefront6targetE1EEEvSS_
    .private_segment_fixed_size: 0
    .sgpr_count:     4
    .sgpr_spill_count: 0
    .symbol:         _ZN7rocprim17ROCPRIM_400000_NS6detail17trampoline_kernelINS0_14default_configENS1_27lower_bound_config_selectorIflEEZNS1_14transform_implILb0ES3_S5_N6thrust23THRUST_200600_302600_NS6detail15normal_iteratorINS8_7pointerIfNS8_11hip_rocprim5par_tENS8_11use_defaultESE_EEEENSA_INSB_IlSD_SE_SE_EEEEZNS1_13binary_searchIS3_S5_PfSG_SI_NS1_21lower_bound_search_opENS9_16wrapped_functionI11custom_lessbEEEE10hipError_tPvRmT1_T2_T3_mmT4_T5_P12ihipStream_tbEUlRKfE_EESP_ST_SU_mSV_SY_bEUlT_E_NS1_11comp_targetILNS1_3genE9ELNS1_11target_archE1100ELNS1_3gpuE3ELNS1_3repE0EEENS1_30default_config_static_selectorELNS0_4arch9wavefront6targetE1EEEvSS_.kd
    .uniform_work_group_size: 1
    .uses_dynamic_stack: false
    .vgpr_count:     0
    .vgpr_spill_count: 0
    .wavefront_size: 64
  - .args:
      - .offset:         0
        .size:           56
        .value_kind:     by_value
    .group_segment_fixed_size: 0
    .kernarg_segment_align: 8
    .kernarg_segment_size: 56
    .language:       OpenCL C
    .language_version:
      - 2
      - 0
    .max_flat_workgroup_size: 256
    .name:           _ZN7rocprim17ROCPRIM_400000_NS6detail17trampoline_kernelINS0_14default_configENS1_27lower_bound_config_selectorIflEEZNS1_14transform_implILb0ES3_S5_N6thrust23THRUST_200600_302600_NS6detail15normal_iteratorINS8_7pointerIfNS8_11hip_rocprim5par_tENS8_11use_defaultESE_EEEENSA_INSB_IlSD_SE_SE_EEEEZNS1_13binary_searchIS3_S5_PfSG_SI_NS1_21lower_bound_search_opENS9_16wrapped_functionI11custom_lessbEEEE10hipError_tPvRmT1_T2_T3_mmT4_T5_P12ihipStream_tbEUlRKfE_EESP_ST_SU_mSV_SY_bEUlT_E_NS1_11comp_targetILNS1_3genE8ELNS1_11target_archE1030ELNS1_3gpuE2ELNS1_3repE0EEENS1_30default_config_static_selectorELNS0_4arch9wavefront6targetE1EEEvSS_
    .private_segment_fixed_size: 0
    .sgpr_count:     4
    .sgpr_spill_count: 0
    .symbol:         _ZN7rocprim17ROCPRIM_400000_NS6detail17trampoline_kernelINS0_14default_configENS1_27lower_bound_config_selectorIflEEZNS1_14transform_implILb0ES3_S5_N6thrust23THRUST_200600_302600_NS6detail15normal_iteratorINS8_7pointerIfNS8_11hip_rocprim5par_tENS8_11use_defaultESE_EEEENSA_INSB_IlSD_SE_SE_EEEEZNS1_13binary_searchIS3_S5_PfSG_SI_NS1_21lower_bound_search_opENS9_16wrapped_functionI11custom_lessbEEEE10hipError_tPvRmT1_T2_T3_mmT4_T5_P12ihipStream_tbEUlRKfE_EESP_ST_SU_mSV_SY_bEUlT_E_NS1_11comp_targetILNS1_3genE8ELNS1_11target_archE1030ELNS1_3gpuE2ELNS1_3repE0EEENS1_30default_config_static_selectorELNS0_4arch9wavefront6targetE1EEEvSS_.kd
    .uniform_work_group_size: 1
    .uses_dynamic_stack: false
    .vgpr_count:     0
    .vgpr_spill_count: 0
    .wavefront_size: 64
  - .args:
      - .offset:         0
        .size:           56
        .value_kind:     by_value
    .group_segment_fixed_size: 0
    .kernarg_segment_align: 8
    .kernarg_segment_size: 56
    .language:       OpenCL C
    .language_version:
      - 2
      - 0
    .max_flat_workgroup_size: 256
    .name:           _ZN7rocprim17ROCPRIM_400000_NS6detail17trampoline_kernelINS0_14default_configENS1_27lower_bound_config_selectorIflEEZNS1_14transform_implILb0ES3_S5_N6thrust23THRUST_200600_302600_NS6detail15normal_iteratorINS8_7pointerIfNS8_11hip_rocprim5par_tENS8_11use_defaultESE_EEEENSA_INSB_IlSD_SE_SE_EEEEZNS1_13binary_searchIS3_S5_PfSG_SI_NS1_21lower_bound_search_opENS9_16wrapped_functionINS8_6system6detail7generic6detail18binary_search_lessEbEEEE10hipError_tPvRmT1_T2_T3_mmT4_T5_P12ihipStream_tbEUlRKfE_EEST_SX_SY_mSZ_S12_bEUlT_E_NS1_11comp_targetILNS1_3genE0ELNS1_11target_archE4294967295ELNS1_3gpuE0ELNS1_3repE0EEENS1_30default_config_static_selectorELNS0_4arch9wavefront6targetE1EEEvSW_
    .private_segment_fixed_size: 0
    .sgpr_count:     4
    .sgpr_spill_count: 0
    .symbol:         _ZN7rocprim17ROCPRIM_400000_NS6detail17trampoline_kernelINS0_14default_configENS1_27lower_bound_config_selectorIflEEZNS1_14transform_implILb0ES3_S5_N6thrust23THRUST_200600_302600_NS6detail15normal_iteratorINS8_7pointerIfNS8_11hip_rocprim5par_tENS8_11use_defaultESE_EEEENSA_INSB_IlSD_SE_SE_EEEEZNS1_13binary_searchIS3_S5_PfSG_SI_NS1_21lower_bound_search_opENS9_16wrapped_functionINS8_6system6detail7generic6detail18binary_search_lessEbEEEE10hipError_tPvRmT1_T2_T3_mmT4_T5_P12ihipStream_tbEUlRKfE_EEST_SX_SY_mSZ_S12_bEUlT_E_NS1_11comp_targetILNS1_3genE0ELNS1_11target_archE4294967295ELNS1_3gpuE0ELNS1_3repE0EEENS1_30default_config_static_selectorELNS0_4arch9wavefront6targetE1EEEvSW_.kd
    .uniform_work_group_size: 1
    .uses_dynamic_stack: false
    .vgpr_count:     0
    .vgpr_spill_count: 0
    .wavefront_size: 64
  - .args:
      - .offset:         0
        .size:           56
        .value_kind:     by_value
    .group_segment_fixed_size: 0
    .kernarg_segment_align: 8
    .kernarg_segment_size: 56
    .language:       OpenCL C
    .language_version:
      - 2
      - 0
    .max_flat_workgroup_size: 256
    .name:           _ZN7rocprim17ROCPRIM_400000_NS6detail17trampoline_kernelINS0_14default_configENS1_27lower_bound_config_selectorIflEEZNS1_14transform_implILb0ES3_S5_N6thrust23THRUST_200600_302600_NS6detail15normal_iteratorINS8_7pointerIfNS8_11hip_rocprim5par_tENS8_11use_defaultESE_EEEENSA_INSB_IlSD_SE_SE_EEEEZNS1_13binary_searchIS3_S5_PfSG_SI_NS1_21lower_bound_search_opENS9_16wrapped_functionINS8_6system6detail7generic6detail18binary_search_lessEbEEEE10hipError_tPvRmT1_T2_T3_mmT4_T5_P12ihipStream_tbEUlRKfE_EEST_SX_SY_mSZ_S12_bEUlT_E_NS1_11comp_targetILNS1_3genE5ELNS1_11target_archE942ELNS1_3gpuE9ELNS1_3repE0EEENS1_30default_config_static_selectorELNS0_4arch9wavefront6targetE1EEEvSW_
    .private_segment_fixed_size: 0
    .sgpr_count:     4
    .sgpr_spill_count: 0
    .symbol:         _ZN7rocprim17ROCPRIM_400000_NS6detail17trampoline_kernelINS0_14default_configENS1_27lower_bound_config_selectorIflEEZNS1_14transform_implILb0ES3_S5_N6thrust23THRUST_200600_302600_NS6detail15normal_iteratorINS8_7pointerIfNS8_11hip_rocprim5par_tENS8_11use_defaultESE_EEEENSA_INSB_IlSD_SE_SE_EEEEZNS1_13binary_searchIS3_S5_PfSG_SI_NS1_21lower_bound_search_opENS9_16wrapped_functionINS8_6system6detail7generic6detail18binary_search_lessEbEEEE10hipError_tPvRmT1_T2_T3_mmT4_T5_P12ihipStream_tbEUlRKfE_EEST_SX_SY_mSZ_S12_bEUlT_E_NS1_11comp_targetILNS1_3genE5ELNS1_11target_archE942ELNS1_3gpuE9ELNS1_3repE0EEENS1_30default_config_static_selectorELNS0_4arch9wavefront6targetE1EEEvSW_.kd
    .uniform_work_group_size: 1
    .uses_dynamic_stack: false
    .vgpr_count:     0
    .vgpr_spill_count: 0
    .wavefront_size: 64
  - .args:
      - .offset:         0
        .size:           56
        .value_kind:     by_value
    .group_segment_fixed_size: 0
    .kernarg_segment_align: 8
    .kernarg_segment_size: 56
    .language:       OpenCL C
    .language_version:
      - 2
      - 0
    .max_flat_workgroup_size: 256
    .name:           _ZN7rocprim17ROCPRIM_400000_NS6detail17trampoline_kernelINS0_14default_configENS1_27lower_bound_config_selectorIflEEZNS1_14transform_implILb0ES3_S5_N6thrust23THRUST_200600_302600_NS6detail15normal_iteratorINS8_7pointerIfNS8_11hip_rocprim5par_tENS8_11use_defaultESE_EEEENSA_INSB_IlSD_SE_SE_EEEEZNS1_13binary_searchIS3_S5_PfSG_SI_NS1_21lower_bound_search_opENS9_16wrapped_functionINS8_6system6detail7generic6detail18binary_search_lessEbEEEE10hipError_tPvRmT1_T2_T3_mmT4_T5_P12ihipStream_tbEUlRKfE_EEST_SX_SY_mSZ_S12_bEUlT_E_NS1_11comp_targetILNS1_3genE4ELNS1_11target_archE910ELNS1_3gpuE8ELNS1_3repE0EEENS1_30default_config_static_selectorELNS0_4arch9wavefront6targetE1EEEvSW_
    .private_segment_fixed_size: 0
    .sgpr_count:     4
    .sgpr_spill_count: 0
    .symbol:         _ZN7rocprim17ROCPRIM_400000_NS6detail17trampoline_kernelINS0_14default_configENS1_27lower_bound_config_selectorIflEEZNS1_14transform_implILb0ES3_S5_N6thrust23THRUST_200600_302600_NS6detail15normal_iteratorINS8_7pointerIfNS8_11hip_rocprim5par_tENS8_11use_defaultESE_EEEENSA_INSB_IlSD_SE_SE_EEEEZNS1_13binary_searchIS3_S5_PfSG_SI_NS1_21lower_bound_search_opENS9_16wrapped_functionINS8_6system6detail7generic6detail18binary_search_lessEbEEEE10hipError_tPvRmT1_T2_T3_mmT4_T5_P12ihipStream_tbEUlRKfE_EEST_SX_SY_mSZ_S12_bEUlT_E_NS1_11comp_targetILNS1_3genE4ELNS1_11target_archE910ELNS1_3gpuE8ELNS1_3repE0EEENS1_30default_config_static_selectorELNS0_4arch9wavefront6targetE1EEEvSW_.kd
    .uniform_work_group_size: 1
    .uses_dynamic_stack: false
    .vgpr_count:     0
    .vgpr_spill_count: 0
    .wavefront_size: 64
  - .args:
      - .offset:         0
        .size:           56
        .value_kind:     by_value
    .group_segment_fixed_size: 0
    .kernarg_segment_align: 8
    .kernarg_segment_size: 56
    .language:       OpenCL C
    .language_version:
      - 2
      - 0
    .max_flat_workgroup_size: 256
    .name:           _ZN7rocprim17ROCPRIM_400000_NS6detail17trampoline_kernelINS0_14default_configENS1_27lower_bound_config_selectorIflEEZNS1_14transform_implILb0ES3_S5_N6thrust23THRUST_200600_302600_NS6detail15normal_iteratorINS8_7pointerIfNS8_11hip_rocprim5par_tENS8_11use_defaultESE_EEEENSA_INSB_IlSD_SE_SE_EEEEZNS1_13binary_searchIS3_S5_PfSG_SI_NS1_21lower_bound_search_opENS9_16wrapped_functionINS8_6system6detail7generic6detail18binary_search_lessEbEEEE10hipError_tPvRmT1_T2_T3_mmT4_T5_P12ihipStream_tbEUlRKfE_EEST_SX_SY_mSZ_S12_bEUlT_E_NS1_11comp_targetILNS1_3genE3ELNS1_11target_archE908ELNS1_3gpuE7ELNS1_3repE0EEENS1_30default_config_static_selectorELNS0_4arch9wavefront6targetE1EEEvSW_
    .private_segment_fixed_size: 0
    .sgpr_count:     4
    .sgpr_spill_count: 0
    .symbol:         _ZN7rocprim17ROCPRIM_400000_NS6detail17trampoline_kernelINS0_14default_configENS1_27lower_bound_config_selectorIflEEZNS1_14transform_implILb0ES3_S5_N6thrust23THRUST_200600_302600_NS6detail15normal_iteratorINS8_7pointerIfNS8_11hip_rocprim5par_tENS8_11use_defaultESE_EEEENSA_INSB_IlSD_SE_SE_EEEEZNS1_13binary_searchIS3_S5_PfSG_SI_NS1_21lower_bound_search_opENS9_16wrapped_functionINS8_6system6detail7generic6detail18binary_search_lessEbEEEE10hipError_tPvRmT1_T2_T3_mmT4_T5_P12ihipStream_tbEUlRKfE_EEST_SX_SY_mSZ_S12_bEUlT_E_NS1_11comp_targetILNS1_3genE3ELNS1_11target_archE908ELNS1_3gpuE7ELNS1_3repE0EEENS1_30default_config_static_selectorELNS0_4arch9wavefront6targetE1EEEvSW_.kd
    .uniform_work_group_size: 1
    .uses_dynamic_stack: false
    .vgpr_count:     0
    .vgpr_spill_count: 0
    .wavefront_size: 64
  - .args:
      - .offset:         0
        .size:           56
        .value_kind:     by_value
      - .offset:         56
        .size:           4
        .value_kind:     hidden_block_count_x
      - .offset:         60
        .size:           4
        .value_kind:     hidden_block_count_y
      - .offset:         64
        .size:           4
        .value_kind:     hidden_block_count_z
      - .offset:         68
        .size:           2
        .value_kind:     hidden_group_size_x
      - .offset:         70
        .size:           2
        .value_kind:     hidden_group_size_y
      - .offset:         72
        .size:           2
        .value_kind:     hidden_group_size_z
      - .offset:         74
        .size:           2
        .value_kind:     hidden_remainder_x
      - .offset:         76
        .size:           2
        .value_kind:     hidden_remainder_y
      - .offset:         78
        .size:           2
        .value_kind:     hidden_remainder_z
      - .offset:         96
        .size:           8
        .value_kind:     hidden_global_offset_x
      - .offset:         104
        .size:           8
        .value_kind:     hidden_global_offset_y
      - .offset:         112
        .size:           8
        .value_kind:     hidden_global_offset_z
      - .offset:         120
        .size:           2
        .value_kind:     hidden_grid_dims
    .group_segment_fixed_size: 0
    .kernarg_segment_align: 8
    .kernarg_segment_size: 312
    .language:       OpenCL C
    .language_version:
      - 2
      - 0
    .max_flat_workgroup_size: 256
    .name:           _ZN7rocprim17ROCPRIM_400000_NS6detail17trampoline_kernelINS0_14default_configENS1_27lower_bound_config_selectorIflEEZNS1_14transform_implILb0ES3_S5_N6thrust23THRUST_200600_302600_NS6detail15normal_iteratorINS8_7pointerIfNS8_11hip_rocprim5par_tENS8_11use_defaultESE_EEEENSA_INSB_IlSD_SE_SE_EEEEZNS1_13binary_searchIS3_S5_PfSG_SI_NS1_21lower_bound_search_opENS9_16wrapped_functionINS8_6system6detail7generic6detail18binary_search_lessEbEEEE10hipError_tPvRmT1_T2_T3_mmT4_T5_P12ihipStream_tbEUlRKfE_EEST_SX_SY_mSZ_S12_bEUlT_E_NS1_11comp_targetILNS1_3genE2ELNS1_11target_archE906ELNS1_3gpuE6ELNS1_3repE0EEENS1_30default_config_static_selectorELNS0_4arch9wavefront6targetE1EEEvSW_
    .private_segment_fixed_size: 0
    .sgpr_count:     24
    .sgpr_spill_count: 0
    .symbol:         _ZN7rocprim17ROCPRIM_400000_NS6detail17trampoline_kernelINS0_14default_configENS1_27lower_bound_config_selectorIflEEZNS1_14transform_implILb0ES3_S5_N6thrust23THRUST_200600_302600_NS6detail15normal_iteratorINS8_7pointerIfNS8_11hip_rocprim5par_tENS8_11use_defaultESE_EEEENSA_INSB_IlSD_SE_SE_EEEEZNS1_13binary_searchIS3_S5_PfSG_SI_NS1_21lower_bound_search_opENS9_16wrapped_functionINS8_6system6detail7generic6detail18binary_search_lessEbEEEE10hipError_tPvRmT1_T2_T3_mmT4_T5_P12ihipStream_tbEUlRKfE_EEST_SX_SY_mSZ_S12_bEUlT_E_NS1_11comp_targetILNS1_3genE2ELNS1_11target_archE906ELNS1_3gpuE6ELNS1_3repE0EEENS1_30default_config_static_selectorELNS0_4arch9wavefront6targetE1EEEvSW_.kd
    .uniform_work_group_size: 1
    .uses_dynamic_stack: false
    .vgpr_count:     12
    .vgpr_spill_count: 0
    .wavefront_size: 64
  - .args:
      - .offset:         0
        .size:           56
        .value_kind:     by_value
    .group_segment_fixed_size: 0
    .kernarg_segment_align: 8
    .kernarg_segment_size: 56
    .language:       OpenCL C
    .language_version:
      - 2
      - 0
    .max_flat_workgroup_size: 128
    .name:           _ZN7rocprim17ROCPRIM_400000_NS6detail17trampoline_kernelINS0_14default_configENS1_27lower_bound_config_selectorIflEEZNS1_14transform_implILb0ES3_S5_N6thrust23THRUST_200600_302600_NS6detail15normal_iteratorINS8_7pointerIfNS8_11hip_rocprim5par_tENS8_11use_defaultESE_EEEENSA_INSB_IlSD_SE_SE_EEEEZNS1_13binary_searchIS3_S5_PfSG_SI_NS1_21lower_bound_search_opENS9_16wrapped_functionINS8_6system6detail7generic6detail18binary_search_lessEbEEEE10hipError_tPvRmT1_T2_T3_mmT4_T5_P12ihipStream_tbEUlRKfE_EEST_SX_SY_mSZ_S12_bEUlT_E_NS1_11comp_targetILNS1_3genE10ELNS1_11target_archE1201ELNS1_3gpuE5ELNS1_3repE0EEENS1_30default_config_static_selectorELNS0_4arch9wavefront6targetE1EEEvSW_
    .private_segment_fixed_size: 0
    .sgpr_count:     4
    .sgpr_spill_count: 0
    .symbol:         _ZN7rocprim17ROCPRIM_400000_NS6detail17trampoline_kernelINS0_14default_configENS1_27lower_bound_config_selectorIflEEZNS1_14transform_implILb0ES3_S5_N6thrust23THRUST_200600_302600_NS6detail15normal_iteratorINS8_7pointerIfNS8_11hip_rocprim5par_tENS8_11use_defaultESE_EEEENSA_INSB_IlSD_SE_SE_EEEEZNS1_13binary_searchIS3_S5_PfSG_SI_NS1_21lower_bound_search_opENS9_16wrapped_functionINS8_6system6detail7generic6detail18binary_search_lessEbEEEE10hipError_tPvRmT1_T2_T3_mmT4_T5_P12ihipStream_tbEUlRKfE_EEST_SX_SY_mSZ_S12_bEUlT_E_NS1_11comp_targetILNS1_3genE10ELNS1_11target_archE1201ELNS1_3gpuE5ELNS1_3repE0EEENS1_30default_config_static_selectorELNS0_4arch9wavefront6targetE1EEEvSW_.kd
    .uniform_work_group_size: 1
    .uses_dynamic_stack: false
    .vgpr_count:     0
    .vgpr_spill_count: 0
    .wavefront_size: 64
  - .args:
      - .offset:         0
        .size:           56
        .value_kind:     by_value
    .group_segment_fixed_size: 0
    .kernarg_segment_align: 8
    .kernarg_segment_size: 56
    .language:       OpenCL C
    .language_version:
      - 2
      - 0
    .max_flat_workgroup_size: 128
    .name:           _ZN7rocprim17ROCPRIM_400000_NS6detail17trampoline_kernelINS0_14default_configENS1_27lower_bound_config_selectorIflEEZNS1_14transform_implILb0ES3_S5_N6thrust23THRUST_200600_302600_NS6detail15normal_iteratorINS8_7pointerIfNS8_11hip_rocprim5par_tENS8_11use_defaultESE_EEEENSA_INSB_IlSD_SE_SE_EEEEZNS1_13binary_searchIS3_S5_PfSG_SI_NS1_21lower_bound_search_opENS9_16wrapped_functionINS8_6system6detail7generic6detail18binary_search_lessEbEEEE10hipError_tPvRmT1_T2_T3_mmT4_T5_P12ihipStream_tbEUlRKfE_EEST_SX_SY_mSZ_S12_bEUlT_E_NS1_11comp_targetILNS1_3genE10ELNS1_11target_archE1200ELNS1_3gpuE4ELNS1_3repE0EEENS1_30default_config_static_selectorELNS0_4arch9wavefront6targetE1EEEvSW_
    .private_segment_fixed_size: 0
    .sgpr_count:     4
    .sgpr_spill_count: 0
    .symbol:         _ZN7rocprim17ROCPRIM_400000_NS6detail17trampoline_kernelINS0_14default_configENS1_27lower_bound_config_selectorIflEEZNS1_14transform_implILb0ES3_S5_N6thrust23THRUST_200600_302600_NS6detail15normal_iteratorINS8_7pointerIfNS8_11hip_rocprim5par_tENS8_11use_defaultESE_EEEENSA_INSB_IlSD_SE_SE_EEEEZNS1_13binary_searchIS3_S5_PfSG_SI_NS1_21lower_bound_search_opENS9_16wrapped_functionINS8_6system6detail7generic6detail18binary_search_lessEbEEEE10hipError_tPvRmT1_T2_T3_mmT4_T5_P12ihipStream_tbEUlRKfE_EEST_SX_SY_mSZ_S12_bEUlT_E_NS1_11comp_targetILNS1_3genE10ELNS1_11target_archE1200ELNS1_3gpuE4ELNS1_3repE0EEENS1_30default_config_static_selectorELNS0_4arch9wavefront6targetE1EEEvSW_.kd
    .uniform_work_group_size: 1
    .uses_dynamic_stack: false
    .vgpr_count:     0
    .vgpr_spill_count: 0
    .wavefront_size: 64
  - .args:
      - .offset:         0
        .size:           56
        .value_kind:     by_value
    .group_segment_fixed_size: 0
    .kernarg_segment_align: 8
    .kernarg_segment_size: 56
    .language:       OpenCL C
    .language_version:
      - 2
      - 0
    .max_flat_workgroup_size: 256
    .name:           _ZN7rocprim17ROCPRIM_400000_NS6detail17trampoline_kernelINS0_14default_configENS1_27lower_bound_config_selectorIflEEZNS1_14transform_implILb0ES3_S5_N6thrust23THRUST_200600_302600_NS6detail15normal_iteratorINS8_7pointerIfNS8_11hip_rocprim5par_tENS8_11use_defaultESE_EEEENSA_INSB_IlSD_SE_SE_EEEEZNS1_13binary_searchIS3_S5_PfSG_SI_NS1_21lower_bound_search_opENS9_16wrapped_functionINS8_6system6detail7generic6detail18binary_search_lessEbEEEE10hipError_tPvRmT1_T2_T3_mmT4_T5_P12ihipStream_tbEUlRKfE_EEST_SX_SY_mSZ_S12_bEUlT_E_NS1_11comp_targetILNS1_3genE9ELNS1_11target_archE1100ELNS1_3gpuE3ELNS1_3repE0EEENS1_30default_config_static_selectorELNS0_4arch9wavefront6targetE1EEEvSW_
    .private_segment_fixed_size: 0
    .sgpr_count:     4
    .sgpr_spill_count: 0
    .symbol:         _ZN7rocprim17ROCPRIM_400000_NS6detail17trampoline_kernelINS0_14default_configENS1_27lower_bound_config_selectorIflEEZNS1_14transform_implILb0ES3_S5_N6thrust23THRUST_200600_302600_NS6detail15normal_iteratorINS8_7pointerIfNS8_11hip_rocprim5par_tENS8_11use_defaultESE_EEEENSA_INSB_IlSD_SE_SE_EEEEZNS1_13binary_searchIS3_S5_PfSG_SI_NS1_21lower_bound_search_opENS9_16wrapped_functionINS8_6system6detail7generic6detail18binary_search_lessEbEEEE10hipError_tPvRmT1_T2_T3_mmT4_T5_P12ihipStream_tbEUlRKfE_EEST_SX_SY_mSZ_S12_bEUlT_E_NS1_11comp_targetILNS1_3genE9ELNS1_11target_archE1100ELNS1_3gpuE3ELNS1_3repE0EEENS1_30default_config_static_selectorELNS0_4arch9wavefront6targetE1EEEvSW_.kd
    .uniform_work_group_size: 1
    .uses_dynamic_stack: false
    .vgpr_count:     0
    .vgpr_spill_count: 0
    .wavefront_size: 64
  - .args:
      - .offset:         0
        .size:           56
        .value_kind:     by_value
    .group_segment_fixed_size: 0
    .kernarg_segment_align: 8
    .kernarg_segment_size: 56
    .language:       OpenCL C
    .language_version:
      - 2
      - 0
    .max_flat_workgroup_size: 256
    .name:           _ZN7rocprim17ROCPRIM_400000_NS6detail17trampoline_kernelINS0_14default_configENS1_27lower_bound_config_selectorIflEEZNS1_14transform_implILb0ES3_S5_N6thrust23THRUST_200600_302600_NS6detail15normal_iteratorINS8_7pointerIfNS8_11hip_rocprim5par_tENS8_11use_defaultESE_EEEENSA_INSB_IlSD_SE_SE_EEEEZNS1_13binary_searchIS3_S5_PfSG_SI_NS1_21lower_bound_search_opENS9_16wrapped_functionINS8_6system6detail7generic6detail18binary_search_lessEbEEEE10hipError_tPvRmT1_T2_T3_mmT4_T5_P12ihipStream_tbEUlRKfE_EEST_SX_SY_mSZ_S12_bEUlT_E_NS1_11comp_targetILNS1_3genE8ELNS1_11target_archE1030ELNS1_3gpuE2ELNS1_3repE0EEENS1_30default_config_static_selectorELNS0_4arch9wavefront6targetE1EEEvSW_
    .private_segment_fixed_size: 0
    .sgpr_count:     4
    .sgpr_spill_count: 0
    .symbol:         _ZN7rocprim17ROCPRIM_400000_NS6detail17trampoline_kernelINS0_14default_configENS1_27lower_bound_config_selectorIflEEZNS1_14transform_implILb0ES3_S5_N6thrust23THRUST_200600_302600_NS6detail15normal_iteratorINS8_7pointerIfNS8_11hip_rocprim5par_tENS8_11use_defaultESE_EEEENSA_INSB_IlSD_SE_SE_EEEEZNS1_13binary_searchIS3_S5_PfSG_SI_NS1_21lower_bound_search_opENS9_16wrapped_functionINS8_6system6detail7generic6detail18binary_search_lessEbEEEE10hipError_tPvRmT1_T2_T3_mmT4_T5_P12ihipStream_tbEUlRKfE_EEST_SX_SY_mSZ_S12_bEUlT_E_NS1_11comp_targetILNS1_3genE8ELNS1_11target_archE1030ELNS1_3gpuE2ELNS1_3repE0EEENS1_30default_config_static_selectorELNS0_4arch9wavefront6targetE1EEEvSW_.kd
    .uniform_work_group_size: 1
    .uses_dynamic_stack: false
    .vgpr_count:     0
    .vgpr_spill_count: 0
    .wavefront_size: 64
  - .args:
      - .offset:         0
        .size:           16
        .value_kind:     by_value
      - .offset:         16
        .size:           8
        .value_kind:     by_value
      - .offset:         24
        .size:           8
        .value_kind:     by_value
    .group_segment_fixed_size: 0
    .kernarg_segment_align: 8
    .kernarg_segment_size: 32
    .language:       OpenCL C
    .language_version:
      - 2
      - 0
    .max_flat_workgroup_size: 256
    .name:           _ZN6thrust23THRUST_200600_302600_NS11hip_rocprim14__parallel_for6kernelILj256ENS1_20__uninitialized_fill7functorINS0_10device_ptrIyEEyEEmLj1EEEvT0_T1_SA_
    .private_segment_fixed_size: 0
    .sgpr_count:     20
    .sgpr_spill_count: 0
    .symbol:         _ZN6thrust23THRUST_200600_302600_NS11hip_rocprim14__parallel_for6kernelILj256ENS1_20__uninitialized_fill7functorINS0_10device_ptrIyEEyEEmLj1EEEvT0_T1_SA_.kd
    .uniform_work_group_size: 1
    .uses_dynamic_stack: false
    .vgpr_count:     5
    .vgpr_spill_count: 0
    .wavefront_size: 64
  - .args:
      - .offset:         0
        .size:           8
        .value_kind:     by_value
      - .address_space:  global
        .offset:         8
        .size:           8
        .value_kind:     global_buffer
      - .address_space:  global
        .offset:         16
        .size:           8
        .value_kind:     global_buffer
    .group_segment_fixed_size: 0
    .kernarg_segment_align: 8
    .kernarg_segment_size: 24
    .language:       OpenCL C
    .language_version:
      - 2
      - 0
    .max_flat_workgroup_size: 256
    .name:           _Z18lower_bound_kernelIyEvmPT_Pl
    .private_segment_fixed_size: 0
    .sgpr_count:     22
    .sgpr_spill_count: 0
    .symbol:         _Z18lower_bound_kernelIyEvmPT_Pl.kd
    .uniform_work_group_size: 1
    .uses_dynamic_stack: false
    .vgpr_count:     4
    .vgpr_spill_count: 0
    .wavefront_size: 64
  - .args:
      - .offset:         0
        .size:           56
        .value_kind:     by_value
    .group_segment_fixed_size: 0
    .kernarg_segment_align: 8
    .kernarg_segment_size: 56
    .language:       OpenCL C
    .language_version:
      - 2
      - 0
    .max_flat_workgroup_size: 128
    .name:           _ZN7rocprim17ROCPRIM_400000_NS6detail17trampoline_kernelINS0_14default_configENS1_27lower_bound_config_selectorIylEEZNS1_14transform_implILb0ES3_S5_N6thrust23THRUST_200600_302600_NS6detail15normal_iteratorINS8_7pointerIyNS8_11hip_rocprim5par_tENS8_11use_defaultESE_EEEENSA_INSB_IlSD_SE_SE_EEEEZNS1_13binary_searchIS3_S5_PySG_SI_NS1_21lower_bound_search_opENS9_16wrapped_functionI11custom_lessbEEEE10hipError_tPvRmT1_T2_T3_mmT4_T5_P12ihipStream_tbEUlRKyE_EESP_ST_SU_mSV_SY_bEUlT_E_NS1_11comp_targetILNS1_3genE0ELNS1_11target_archE4294967295ELNS1_3gpuE0ELNS1_3repE0EEENS1_30default_config_static_selectorELNS0_4arch9wavefront6targetE1EEEvSS_
    .private_segment_fixed_size: 0
    .sgpr_count:     4
    .sgpr_spill_count: 0
    .symbol:         _ZN7rocprim17ROCPRIM_400000_NS6detail17trampoline_kernelINS0_14default_configENS1_27lower_bound_config_selectorIylEEZNS1_14transform_implILb0ES3_S5_N6thrust23THRUST_200600_302600_NS6detail15normal_iteratorINS8_7pointerIyNS8_11hip_rocprim5par_tENS8_11use_defaultESE_EEEENSA_INSB_IlSD_SE_SE_EEEEZNS1_13binary_searchIS3_S5_PySG_SI_NS1_21lower_bound_search_opENS9_16wrapped_functionI11custom_lessbEEEE10hipError_tPvRmT1_T2_T3_mmT4_T5_P12ihipStream_tbEUlRKyE_EESP_ST_SU_mSV_SY_bEUlT_E_NS1_11comp_targetILNS1_3genE0ELNS1_11target_archE4294967295ELNS1_3gpuE0ELNS1_3repE0EEENS1_30default_config_static_selectorELNS0_4arch9wavefront6targetE1EEEvSS_.kd
    .uniform_work_group_size: 1
    .uses_dynamic_stack: false
    .vgpr_count:     0
    .vgpr_spill_count: 0
    .wavefront_size: 64
  - .args:
      - .offset:         0
        .size:           56
        .value_kind:     by_value
    .group_segment_fixed_size: 0
    .kernarg_segment_align: 8
    .kernarg_segment_size: 56
    .language:       OpenCL C
    .language_version:
      - 2
      - 0
    .max_flat_workgroup_size: 64
    .name:           _ZN7rocprim17ROCPRIM_400000_NS6detail17trampoline_kernelINS0_14default_configENS1_27lower_bound_config_selectorIylEEZNS1_14transform_implILb0ES3_S5_N6thrust23THRUST_200600_302600_NS6detail15normal_iteratorINS8_7pointerIyNS8_11hip_rocprim5par_tENS8_11use_defaultESE_EEEENSA_INSB_IlSD_SE_SE_EEEEZNS1_13binary_searchIS3_S5_PySG_SI_NS1_21lower_bound_search_opENS9_16wrapped_functionI11custom_lessbEEEE10hipError_tPvRmT1_T2_T3_mmT4_T5_P12ihipStream_tbEUlRKyE_EESP_ST_SU_mSV_SY_bEUlT_E_NS1_11comp_targetILNS1_3genE5ELNS1_11target_archE942ELNS1_3gpuE9ELNS1_3repE0EEENS1_30default_config_static_selectorELNS0_4arch9wavefront6targetE1EEEvSS_
    .private_segment_fixed_size: 0
    .sgpr_count:     4
    .sgpr_spill_count: 0
    .symbol:         _ZN7rocprim17ROCPRIM_400000_NS6detail17trampoline_kernelINS0_14default_configENS1_27lower_bound_config_selectorIylEEZNS1_14transform_implILb0ES3_S5_N6thrust23THRUST_200600_302600_NS6detail15normal_iteratorINS8_7pointerIyNS8_11hip_rocprim5par_tENS8_11use_defaultESE_EEEENSA_INSB_IlSD_SE_SE_EEEEZNS1_13binary_searchIS3_S5_PySG_SI_NS1_21lower_bound_search_opENS9_16wrapped_functionI11custom_lessbEEEE10hipError_tPvRmT1_T2_T3_mmT4_T5_P12ihipStream_tbEUlRKyE_EESP_ST_SU_mSV_SY_bEUlT_E_NS1_11comp_targetILNS1_3genE5ELNS1_11target_archE942ELNS1_3gpuE9ELNS1_3repE0EEENS1_30default_config_static_selectorELNS0_4arch9wavefront6targetE1EEEvSS_.kd
    .uniform_work_group_size: 1
    .uses_dynamic_stack: false
    .vgpr_count:     0
    .vgpr_spill_count: 0
    .wavefront_size: 64
  - .args:
      - .offset:         0
        .size:           56
        .value_kind:     by_value
    .group_segment_fixed_size: 0
    .kernarg_segment_align: 8
    .kernarg_segment_size: 56
    .language:       OpenCL C
    .language_version:
      - 2
      - 0
    .max_flat_workgroup_size: 64
    .name:           _ZN7rocprim17ROCPRIM_400000_NS6detail17trampoline_kernelINS0_14default_configENS1_27lower_bound_config_selectorIylEEZNS1_14transform_implILb0ES3_S5_N6thrust23THRUST_200600_302600_NS6detail15normal_iteratorINS8_7pointerIyNS8_11hip_rocprim5par_tENS8_11use_defaultESE_EEEENSA_INSB_IlSD_SE_SE_EEEEZNS1_13binary_searchIS3_S5_PySG_SI_NS1_21lower_bound_search_opENS9_16wrapped_functionI11custom_lessbEEEE10hipError_tPvRmT1_T2_T3_mmT4_T5_P12ihipStream_tbEUlRKyE_EESP_ST_SU_mSV_SY_bEUlT_E_NS1_11comp_targetILNS1_3genE4ELNS1_11target_archE910ELNS1_3gpuE8ELNS1_3repE0EEENS1_30default_config_static_selectorELNS0_4arch9wavefront6targetE1EEEvSS_
    .private_segment_fixed_size: 0
    .sgpr_count:     4
    .sgpr_spill_count: 0
    .symbol:         _ZN7rocprim17ROCPRIM_400000_NS6detail17trampoline_kernelINS0_14default_configENS1_27lower_bound_config_selectorIylEEZNS1_14transform_implILb0ES3_S5_N6thrust23THRUST_200600_302600_NS6detail15normal_iteratorINS8_7pointerIyNS8_11hip_rocprim5par_tENS8_11use_defaultESE_EEEENSA_INSB_IlSD_SE_SE_EEEEZNS1_13binary_searchIS3_S5_PySG_SI_NS1_21lower_bound_search_opENS9_16wrapped_functionI11custom_lessbEEEE10hipError_tPvRmT1_T2_T3_mmT4_T5_P12ihipStream_tbEUlRKyE_EESP_ST_SU_mSV_SY_bEUlT_E_NS1_11comp_targetILNS1_3genE4ELNS1_11target_archE910ELNS1_3gpuE8ELNS1_3repE0EEENS1_30default_config_static_selectorELNS0_4arch9wavefront6targetE1EEEvSS_.kd
    .uniform_work_group_size: 1
    .uses_dynamic_stack: false
    .vgpr_count:     0
    .vgpr_spill_count: 0
    .wavefront_size: 64
  - .args:
      - .offset:         0
        .size:           56
        .value_kind:     by_value
    .group_segment_fixed_size: 0
    .kernarg_segment_align: 8
    .kernarg_segment_size: 56
    .language:       OpenCL C
    .language_version:
      - 2
      - 0
    .max_flat_workgroup_size: 128
    .name:           _ZN7rocprim17ROCPRIM_400000_NS6detail17trampoline_kernelINS0_14default_configENS1_27lower_bound_config_selectorIylEEZNS1_14transform_implILb0ES3_S5_N6thrust23THRUST_200600_302600_NS6detail15normal_iteratorINS8_7pointerIyNS8_11hip_rocprim5par_tENS8_11use_defaultESE_EEEENSA_INSB_IlSD_SE_SE_EEEEZNS1_13binary_searchIS3_S5_PySG_SI_NS1_21lower_bound_search_opENS9_16wrapped_functionI11custom_lessbEEEE10hipError_tPvRmT1_T2_T3_mmT4_T5_P12ihipStream_tbEUlRKyE_EESP_ST_SU_mSV_SY_bEUlT_E_NS1_11comp_targetILNS1_3genE3ELNS1_11target_archE908ELNS1_3gpuE7ELNS1_3repE0EEENS1_30default_config_static_selectorELNS0_4arch9wavefront6targetE1EEEvSS_
    .private_segment_fixed_size: 0
    .sgpr_count:     4
    .sgpr_spill_count: 0
    .symbol:         _ZN7rocprim17ROCPRIM_400000_NS6detail17trampoline_kernelINS0_14default_configENS1_27lower_bound_config_selectorIylEEZNS1_14transform_implILb0ES3_S5_N6thrust23THRUST_200600_302600_NS6detail15normal_iteratorINS8_7pointerIyNS8_11hip_rocprim5par_tENS8_11use_defaultESE_EEEENSA_INSB_IlSD_SE_SE_EEEEZNS1_13binary_searchIS3_S5_PySG_SI_NS1_21lower_bound_search_opENS9_16wrapped_functionI11custom_lessbEEEE10hipError_tPvRmT1_T2_T3_mmT4_T5_P12ihipStream_tbEUlRKyE_EESP_ST_SU_mSV_SY_bEUlT_E_NS1_11comp_targetILNS1_3genE3ELNS1_11target_archE908ELNS1_3gpuE7ELNS1_3repE0EEENS1_30default_config_static_selectorELNS0_4arch9wavefront6targetE1EEEvSS_.kd
    .uniform_work_group_size: 1
    .uses_dynamic_stack: false
    .vgpr_count:     0
    .vgpr_spill_count: 0
    .wavefront_size: 64
  - .args:
      - .offset:         0
        .size:           56
        .value_kind:     by_value
      - .offset:         56
        .size:           4
        .value_kind:     hidden_block_count_x
      - .offset:         60
        .size:           4
        .value_kind:     hidden_block_count_y
      - .offset:         64
        .size:           4
        .value_kind:     hidden_block_count_z
      - .offset:         68
        .size:           2
        .value_kind:     hidden_group_size_x
      - .offset:         70
        .size:           2
        .value_kind:     hidden_group_size_y
      - .offset:         72
        .size:           2
        .value_kind:     hidden_group_size_z
      - .offset:         74
        .size:           2
        .value_kind:     hidden_remainder_x
      - .offset:         76
        .size:           2
        .value_kind:     hidden_remainder_y
      - .offset:         78
        .size:           2
        .value_kind:     hidden_remainder_z
      - .offset:         96
        .size:           8
        .value_kind:     hidden_global_offset_x
      - .offset:         104
        .size:           8
        .value_kind:     hidden_global_offset_y
      - .offset:         112
        .size:           8
        .value_kind:     hidden_global_offset_z
      - .offset:         120
        .size:           2
        .value_kind:     hidden_grid_dims
    .group_segment_fixed_size: 0
    .kernarg_segment_align: 8
    .kernarg_segment_size: 312
    .language:       OpenCL C
    .language_version:
      - 2
      - 0
    .max_flat_workgroup_size: 256
    .name:           _ZN7rocprim17ROCPRIM_400000_NS6detail17trampoline_kernelINS0_14default_configENS1_27lower_bound_config_selectorIylEEZNS1_14transform_implILb0ES3_S5_N6thrust23THRUST_200600_302600_NS6detail15normal_iteratorINS8_7pointerIyNS8_11hip_rocprim5par_tENS8_11use_defaultESE_EEEENSA_INSB_IlSD_SE_SE_EEEEZNS1_13binary_searchIS3_S5_PySG_SI_NS1_21lower_bound_search_opENS9_16wrapped_functionI11custom_lessbEEEE10hipError_tPvRmT1_T2_T3_mmT4_T5_P12ihipStream_tbEUlRKyE_EESP_ST_SU_mSV_SY_bEUlT_E_NS1_11comp_targetILNS1_3genE2ELNS1_11target_archE906ELNS1_3gpuE6ELNS1_3repE0EEENS1_30default_config_static_selectorELNS0_4arch9wavefront6targetE1EEEvSS_
    .private_segment_fixed_size: 0
    .sgpr_count:     22
    .sgpr_spill_count: 0
    .symbol:         _ZN7rocprim17ROCPRIM_400000_NS6detail17trampoline_kernelINS0_14default_configENS1_27lower_bound_config_selectorIylEEZNS1_14transform_implILb0ES3_S5_N6thrust23THRUST_200600_302600_NS6detail15normal_iteratorINS8_7pointerIyNS8_11hip_rocprim5par_tENS8_11use_defaultESE_EEEENSA_INSB_IlSD_SE_SE_EEEEZNS1_13binary_searchIS3_S5_PySG_SI_NS1_21lower_bound_search_opENS9_16wrapped_functionI11custom_lessbEEEE10hipError_tPvRmT1_T2_T3_mmT4_T5_P12ihipStream_tbEUlRKyE_EESP_ST_SU_mSV_SY_bEUlT_E_NS1_11comp_targetILNS1_3genE2ELNS1_11target_archE906ELNS1_3gpuE6ELNS1_3repE0EEENS1_30default_config_static_selectorELNS0_4arch9wavefront6targetE1EEEvSS_.kd
    .uniform_work_group_size: 1
    .uses_dynamic_stack: false
    .vgpr_count:     14
    .vgpr_spill_count: 0
    .wavefront_size: 64
  - .args:
      - .offset:         0
        .size:           56
        .value_kind:     by_value
    .group_segment_fixed_size: 0
    .kernarg_segment_align: 8
    .kernarg_segment_size: 56
    .language:       OpenCL C
    .language_version:
      - 2
      - 0
    .max_flat_workgroup_size: 128
    .name:           _ZN7rocprim17ROCPRIM_400000_NS6detail17trampoline_kernelINS0_14default_configENS1_27lower_bound_config_selectorIylEEZNS1_14transform_implILb0ES3_S5_N6thrust23THRUST_200600_302600_NS6detail15normal_iteratorINS8_7pointerIyNS8_11hip_rocprim5par_tENS8_11use_defaultESE_EEEENSA_INSB_IlSD_SE_SE_EEEEZNS1_13binary_searchIS3_S5_PySG_SI_NS1_21lower_bound_search_opENS9_16wrapped_functionI11custom_lessbEEEE10hipError_tPvRmT1_T2_T3_mmT4_T5_P12ihipStream_tbEUlRKyE_EESP_ST_SU_mSV_SY_bEUlT_E_NS1_11comp_targetILNS1_3genE10ELNS1_11target_archE1201ELNS1_3gpuE5ELNS1_3repE0EEENS1_30default_config_static_selectorELNS0_4arch9wavefront6targetE1EEEvSS_
    .private_segment_fixed_size: 0
    .sgpr_count:     4
    .sgpr_spill_count: 0
    .symbol:         _ZN7rocprim17ROCPRIM_400000_NS6detail17trampoline_kernelINS0_14default_configENS1_27lower_bound_config_selectorIylEEZNS1_14transform_implILb0ES3_S5_N6thrust23THRUST_200600_302600_NS6detail15normal_iteratorINS8_7pointerIyNS8_11hip_rocprim5par_tENS8_11use_defaultESE_EEEENSA_INSB_IlSD_SE_SE_EEEEZNS1_13binary_searchIS3_S5_PySG_SI_NS1_21lower_bound_search_opENS9_16wrapped_functionI11custom_lessbEEEE10hipError_tPvRmT1_T2_T3_mmT4_T5_P12ihipStream_tbEUlRKyE_EESP_ST_SU_mSV_SY_bEUlT_E_NS1_11comp_targetILNS1_3genE10ELNS1_11target_archE1201ELNS1_3gpuE5ELNS1_3repE0EEENS1_30default_config_static_selectorELNS0_4arch9wavefront6targetE1EEEvSS_.kd
    .uniform_work_group_size: 1
    .uses_dynamic_stack: false
    .vgpr_count:     0
    .vgpr_spill_count: 0
    .wavefront_size: 64
  - .args:
      - .offset:         0
        .size:           56
        .value_kind:     by_value
    .group_segment_fixed_size: 0
    .kernarg_segment_align: 8
    .kernarg_segment_size: 56
    .language:       OpenCL C
    .language_version:
      - 2
      - 0
    .max_flat_workgroup_size: 128
    .name:           _ZN7rocprim17ROCPRIM_400000_NS6detail17trampoline_kernelINS0_14default_configENS1_27lower_bound_config_selectorIylEEZNS1_14transform_implILb0ES3_S5_N6thrust23THRUST_200600_302600_NS6detail15normal_iteratorINS8_7pointerIyNS8_11hip_rocprim5par_tENS8_11use_defaultESE_EEEENSA_INSB_IlSD_SE_SE_EEEEZNS1_13binary_searchIS3_S5_PySG_SI_NS1_21lower_bound_search_opENS9_16wrapped_functionI11custom_lessbEEEE10hipError_tPvRmT1_T2_T3_mmT4_T5_P12ihipStream_tbEUlRKyE_EESP_ST_SU_mSV_SY_bEUlT_E_NS1_11comp_targetILNS1_3genE10ELNS1_11target_archE1200ELNS1_3gpuE4ELNS1_3repE0EEENS1_30default_config_static_selectorELNS0_4arch9wavefront6targetE1EEEvSS_
    .private_segment_fixed_size: 0
    .sgpr_count:     4
    .sgpr_spill_count: 0
    .symbol:         _ZN7rocprim17ROCPRIM_400000_NS6detail17trampoline_kernelINS0_14default_configENS1_27lower_bound_config_selectorIylEEZNS1_14transform_implILb0ES3_S5_N6thrust23THRUST_200600_302600_NS6detail15normal_iteratorINS8_7pointerIyNS8_11hip_rocprim5par_tENS8_11use_defaultESE_EEEENSA_INSB_IlSD_SE_SE_EEEEZNS1_13binary_searchIS3_S5_PySG_SI_NS1_21lower_bound_search_opENS9_16wrapped_functionI11custom_lessbEEEE10hipError_tPvRmT1_T2_T3_mmT4_T5_P12ihipStream_tbEUlRKyE_EESP_ST_SU_mSV_SY_bEUlT_E_NS1_11comp_targetILNS1_3genE10ELNS1_11target_archE1200ELNS1_3gpuE4ELNS1_3repE0EEENS1_30default_config_static_selectorELNS0_4arch9wavefront6targetE1EEEvSS_.kd
    .uniform_work_group_size: 1
    .uses_dynamic_stack: false
    .vgpr_count:     0
    .vgpr_spill_count: 0
    .wavefront_size: 64
  - .args:
      - .offset:         0
        .size:           56
        .value_kind:     by_value
    .group_segment_fixed_size: 0
    .kernarg_segment_align: 8
    .kernarg_segment_size: 56
    .language:       OpenCL C
    .language_version:
      - 2
      - 0
    .max_flat_workgroup_size: 256
    .name:           _ZN7rocprim17ROCPRIM_400000_NS6detail17trampoline_kernelINS0_14default_configENS1_27lower_bound_config_selectorIylEEZNS1_14transform_implILb0ES3_S5_N6thrust23THRUST_200600_302600_NS6detail15normal_iteratorINS8_7pointerIyNS8_11hip_rocprim5par_tENS8_11use_defaultESE_EEEENSA_INSB_IlSD_SE_SE_EEEEZNS1_13binary_searchIS3_S5_PySG_SI_NS1_21lower_bound_search_opENS9_16wrapped_functionI11custom_lessbEEEE10hipError_tPvRmT1_T2_T3_mmT4_T5_P12ihipStream_tbEUlRKyE_EESP_ST_SU_mSV_SY_bEUlT_E_NS1_11comp_targetILNS1_3genE9ELNS1_11target_archE1100ELNS1_3gpuE3ELNS1_3repE0EEENS1_30default_config_static_selectorELNS0_4arch9wavefront6targetE1EEEvSS_
    .private_segment_fixed_size: 0
    .sgpr_count:     4
    .sgpr_spill_count: 0
    .symbol:         _ZN7rocprim17ROCPRIM_400000_NS6detail17trampoline_kernelINS0_14default_configENS1_27lower_bound_config_selectorIylEEZNS1_14transform_implILb0ES3_S5_N6thrust23THRUST_200600_302600_NS6detail15normal_iteratorINS8_7pointerIyNS8_11hip_rocprim5par_tENS8_11use_defaultESE_EEEENSA_INSB_IlSD_SE_SE_EEEEZNS1_13binary_searchIS3_S5_PySG_SI_NS1_21lower_bound_search_opENS9_16wrapped_functionI11custom_lessbEEEE10hipError_tPvRmT1_T2_T3_mmT4_T5_P12ihipStream_tbEUlRKyE_EESP_ST_SU_mSV_SY_bEUlT_E_NS1_11comp_targetILNS1_3genE9ELNS1_11target_archE1100ELNS1_3gpuE3ELNS1_3repE0EEENS1_30default_config_static_selectorELNS0_4arch9wavefront6targetE1EEEvSS_.kd
    .uniform_work_group_size: 1
    .uses_dynamic_stack: false
    .vgpr_count:     0
    .vgpr_spill_count: 0
    .wavefront_size: 64
  - .args:
      - .offset:         0
        .size:           56
        .value_kind:     by_value
    .group_segment_fixed_size: 0
    .kernarg_segment_align: 8
    .kernarg_segment_size: 56
    .language:       OpenCL C
    .language_version:
      - 2
      - 0
    .max_flat_workgroup_size: 256
    .name:           _ZN7rocprim17ROCPRIM_400000_NS6detail17trampoline_kernelINS0_14default_configENS1_27lower_bound_config_selectorIylEEZNS1_14transform_implILb0ES3_S5_N6thrust23THRUST_200600_302600_NS6detail15normal_iteratorINS8_7pointerIyNS8_11hip_rocprim5par_tENS8_11use_defaultESE_EEEENSA_INSB_IlSD_SE_SE_EEEEZNS1_13binary_searchIS3_S5_PySG_SI_NS1_21lower_bound_search_opENS9_16wrapped_functionI11custom_lessbEEEE10hipError_tPvRmT1_T2_T3_mmT4_T5_P12ihipStream_tbEUlRKyE_EESP_ST_SU_mSV_SY_bEUlT_E_NS1_11comp_targetILNS1_3genE8ELNS1_11target_archE1030ELNS1_3gpuE2ELNS1_3repE0EEENS1_30default_config_static_selectorELNS0_4arch9wavefront6targetE1EEEvSS_
    .private_segment_fixed_size: 0
    .sgpr_count:     4
    .sgpr_spill_count: 0
    .symbol:         _ZN7rocprim17ROCPRIM_400000_NS6detail17trampoline_kernelINS0_14default_configENS1_27lower_bound_config_selectorIylEEZNS1_14transform_implILb0ES3_S5_N6thrust23THRUST_200600_302600_NS6detail15normal_iteratorINS8_7pointerIyNS8_11hip_rocprim5par_tENS8_11use_defaultESE_EEEENSA_INSB_IlSD_SE_SE_EEEEZNS1_13binary_searchIS3_S5_PySG_SI_NS1_21lower_bound_search_opENS9_16wrapped_functionI11custom_lessbEEEE10hipError_tPvRmT1_T2_T3_mmT4_T5_P12ihipStream_tbEUlRKyE_EESP_ST_SU_mSV_SY_bEUlT_E_NS1_11comp_targetILNS1_3genE8ELNS1_11target_archE1030ELNS1_3gpuE2ELNS1_3repE0EEENS1_30default_config_static_selectorELNS0_4arch9wavefront6targetE1EEEvSS_.kd
    .uniform_work_group_size: 1
    .uses_dynamic_stack: false
    .vgpr_count:     0
    .vgpr_spill_count: 0
    .wavefront_size: 64
  - .args:
      - .offset:         0
        .size:           56
        .value_kind:     by_value
    .group_segment_fixed_size: 0
    .kernarg_segment_align: 8
    .kernarg_segment_size: 56
    .language:       OpenCL C
    .language_version:
      - 2
      - 0
    .max_flat_workgroup_size: 128
    .name:           _ZN7rocprim17ROCPRIM_400000_NS6detail17trampoline_kernelINS0_14default_configENS1_27lower_bound_config_selectorIylEEZNS1_14transform_implILb0ES3_S5_N6thrust23THRUST_200600_302600_NS6detail15normal_iteratorINS8_7pointerIyNS8_11hip_rocprim5par_tENS8_11use_defaultESE_EEEENSA_INSB_IlSD_SE_SE_EEEEZNS1_13binary_searchIS3_S5_PySG_SI_NS1_21lower_bound_search_opENS9_16wrapped_functionINS8_6system6detail7generic6detail18binary_search_lessEbEEEE10hipError_tPvRmT1_T2_T3_mmT4_T5_P12ihipStream_tbEUlRKyE_EEST_SX_SY_mSZ_S12_bEUlT_E_NS1_11comp_targetILNS1_3genE0ELNS1_11target_archE4294967295ELNS1_3gpuE0ELNS1_3repE0EEENS1_30default_config_static_selectorELNS0_4arch9wavefront6targetE1EEEvSW_
    .private_segment_fixed_size: 0
    .sgpr_count:     4
    .sgpr_spill_count: 0
    .symbol:         _ZN7rocprim17ROCPRIM_400000_NS6detail17trampoline_kernelINS0_14default_configENS1_27lower_bound_config_selectorIylEEZNS1_14transform_implILb0ES3_S5_N6thrust23THRUST_200600_302600_NS6detail15normal_iteratorINS8_7pointerIyNS8_11hip_rocprim5par_tENS8_11use_defaultESE_EEEENSA_INSB_IlSD_SE_SE_EEEEZNS1_13binary_searchIS3_S5_PySG_SI_NS1_21lower_bound_search_opENS9_16wrapped_functionINS8_6system6detail7generic6detail18binary_search_lessEbEEEE10hipError_tPvRmT1_T2_T3_mmT4_T5_P12ihipStream_tbEUlRKyE_EEST_SX_SY_mSZ_S12_bEUlT_E_NS1_11comp_targetILNS1_3genE0ELNS1_11target_archE4294967295ELNS1_3gpuE0ELNS1_3repE0EEENS1_30default_config_static_selectorELNS0_4arch9wavefront6targetE1EEEvSW_.kd
    .uniform_work_group_size: 1
    .uses_dynamic_stack: false
    .vgpr_count:     0
    .vgpr_spill_count: 0
    .wavefront_size: 64
  - .args:
      - .offset:         0
        .size:           56
        .value_kind:     by_value
    .group_segment_fixed_size: 0
    .kernarg_segment_align: 8
    .kernarg_segment_size: 56
    .language:       OpenCL C
    .language_version:
      - 2
      - 0
    .max_flat_workgroup_size: 64
    .name:           _ZN7rocprim17ROCPRIM_400000_NS6detail17trampoline_kernelINS0_14default_configENS1_27lower_bound_config_selectorIylEEZNS1_14transform_implILb0ES3_S5_N6thrust23THRUST_200600_302600_NS6detail15normal_iteratorINS8_7pointerIyNS8_11hip_rocprim5par_tENS8_11use_defaultESE_EEEENSA_INSB_IlSD_SE_SE_EEEEZNS1_13binary_searchIS3_S5_PySG_SI_NS1_21lower_bound_search_opENS9_16wrapped_functionINS8_6system6detail7generic6detail18binary_search_lessEbEEEE10hipError_tPvRmT1_T2_T3_mmT4_T5_P12ihipStream_tbEUlRKyE_EEST_SX_SY_mSZ_S12_bEUlT_E_NS1_11comp_targetILNS1_3genE5ELNS1_11target_archE942ELNS1_3gpuE9ELNS1_3repE0EEENS1_30default_config_static_selectorELNS0_4arch9wavefront6targetE1EEEvSW_
    .private_segment_fixed_size: 0
    .sgpr_count:     4
    .sgpr_spill_count: 0
    .symbol:         _ZN7rocprim17ROCPRIM_400000_NS6detail17trampoline_kernelINS0_14default_configENS1_27lower_bound_config_selectorIylEEZNS1_14transform_implILb0ES3_S5_N6thrust23THRUST_200600_302600_NS6detail15normal_iteratorINS8_7pointerIyNS8_11hip_rocprim5par_tENS8_11use_defaultESE_EEEENSA_INSB_IlSD_SE_SE_EEEEZNS1_13binary_searchIS3_S5_PySG_SI_NS1_21lower_bound_search_opENS9_16wrapped_functionINS8_6system6detail7generic6detail18binary_search_lessEbEEEE10hipError_tPvRmT1_T2_T3_mmT4_T5_P12ihipStream_tbEUlRKyE_EEST_SX_SY_mSZ_S12_bEUlT_E_NS1_11comp_targetILNS1_3genE5ELNS1_11target_archE942ELNS1_3gpuE9ELNS1_3repE0EEENS1_30default_config_static_selectorELNS0_4arch9wavefront6targetE1EEEvSW_.kd
    .uniform_work_group_size: 1
    .uses_dynamic_stack: false
    .vgpr_count:     0
    .vgpr_spill_count: 0
    .wavefront_size: 64
  - .args:
      - .offset:         0
        .size:           56
        .value_kind:     by_value
    .group_segment_fixed_size: 0
    .kernarg_segment_align: 8
    .kernarg_segment_size: 56
    .language:       OpenCL C
    .language_version:
      - 2
      - 0
    .max_flat_workgroup_size: 64
    .name:           _ZN7rocprim17ROCPRIM_400000_NS6detail17trampoline_kernelINS0_14default_configENS1_27lower_bound_config_selectorIylEEZNS1_14transform_implILb0ES3_S5_N6thrust23THRUST_200600_302600_NS6detail15normal_iteratorINS8_7pointerIyNS8_11hip_rocprim5par_tENS8_11use_defaultESE_EEEENSA_INSB_IlSD_SE_SE_EEEEZNS1_13binary_searchIS3_S5_PySG_SI_NS1_21lower_bound_search_opENS9_16wrapped_functionINS8_6system6detail7generic6detail18binary_search_lessEbEEEE10hipError_tPvRmT1_T2_T3_mmT4_T5_P12ihipStream_tbEUlRKyE_EEST_SX_SY_mSZ_S12_bEUlT_E_NS1_11comp_targetILNS1_3genE4ELNS1_11target_archE910ELNS1_3gpuE8ELNS1_3repE0EEENS1_30default_config_static_selectorELNS0_4arch9wavefront6targetE1EEEvSW_
    .private_segment_fixed_size: 0
    .sgpr_count:     4
    .sgpr_spill_count: 0
    .symbol:         _ZN7rocprim17ROCPRIM_400000_NS6detail17trampoline_kernelINS0_14default_configENS1_27lower_bound_config_selectorIylEEZNS1_14transform_implILb0ES3_S5_N6thrust23THRUST_200600_302600_NS6detail15normal_iteratorINS8_7pointerIyNS8_11hip_rocprim5par_tENS8_11use_defaultESE_EEEENSA_INSB_IlSD_SE_SE_EEEEZNS1_13binary_searchIS3_S5_PySG_SI_NS1_21lower_bound_search_opENS9_16wrapped_functionINS8_6system6detail7generic6detail18binary_search_lessEbEEEE10hipError_tPvRmT1_T2_T3_mmT4_T5_P12ihipStream_tbEUlRKyE_EEST_SX_SY_mSZ_S12_bEUlT_E_NS1_11comp_targetILNS1_3genE4ELNS1_11target_archE910ELNS1_3gpuE8ELNS1_3repE0EEENS1_30default_config_static_selectorELNS0_4arch9wavefront6targetE1EEEvSW_.kd
    .uniform_work_group_size: 1
    .uses_dynamic_stack: false
    .vgpr_count:     0
    .vgpr_spill_count: 0
    .wavefront_size: 64
  - .args:
      - .offset:         0
        .size:           56
        .value_kind:     by_value
    .group_segment_fixed_size: 0
    .kernarg_segment_align: 8
    .kernarg_segment_size: 56
    .language:       OpenCL C
    .language_version:
      - 2
      - 0
    .max_flat_workgroup_size: 128
    .name:           _ZN7rocprim17ROCPRIM_400000_NS6detail17trampoline_kernelINS0_14default_configENS1_27lower_bound_config_selectorIylEEZNS1_14transform_implILb0ES3_S5_N6thrust23THRUST_200600_302600_NS6detail15normal_iteratorINS8_7pointerIyNS8_11hip_rocprim5par_tENS8_11use_defaultESE_EEEENSA_INSB_IlSD_SE_SE_EEEEZNS1_13binary_searchIS3_S5_PySG_SI_NS1_21lower_bound_search_opENS9_16wrapped_functionINS8_6system6detail7generic6detail18binary_search_lessEbEEEE10hipError_tPvRmT1_T2_T3_mmT4_T5_P12ihipStream_tbEUlRKyE_EEST_SX_SY_mSZ_S12_bEUlT_E_NS1_11comp_targetILNS1_3genE3ELNS1_11target_archE908ELNS1_3gpuE7ELNS1_3repE0EEENS1_30default_config_static_selectorELNS0_4arch9wavefront6targetE1EEEvSW_
    .private_segment_fixed_size: 0
    .sgpr_count:     4
    .sgpr_spill_count: 0
    .symbol:         _ZN7rocprim17ROCPRIM_400000_NS6detail17trampoline_kernelINS0_14default_configENS1_27lower_bound_config_selectorIylEEZNS1_14transform_implILb0ES3_S5_N6thrust23THRUST_200600_302600_NS6detail15normal_iteratorINS8_7pointerIyNS8_11hip_rocprim5par_tENS8_11use_defaultESE_EEEENSA_INSB_IlSD_SE_SE_EEEEZNS1_13binary_searchIS3_S5_PySG_SI_NS1_21lower_bound_search_opENS9_16wrapped_functionINS8_6system6detail7generic6detail18binary_search_lessEbEEEE10hipError_tPvRmT1_T2_T3_mmT4_T5_P12ihipStream_tbEUlRKyE_EEST_SX_SY_mSZ_S12_bEUlT_E_NS1_11comp_targetILNS1_3genE3ELNS1_11target_archE908ELNS1_3gpuE7ELNS1_3repE0EEENS1_30default_config_static_selectorELNS0_4arch9wavefront6targetE1EEEvSW_.kd
    .uniform_work_group_size: 1
    .uses_dynamic_stack: false
    .vgpr_count:     0
    .vgpr_spill_count: 0
    .wavefront_size: 64
  - .args:
      - .offset:         0
        .size:           56
        .value_kind:     by_value
      - .offset:         56
        .size:           4
        .value_kind:     hidden_block_count_x
      - .offset:         60
        .size:           4
        .value_kind:     hidden_block_count_y
      - .offset:         64
        .size:           4
        .value_kind:     hidden_block_count_z
      - .offset:         68
        .size:           2
        .value_kind:     hidden_group_size_x
      - .offset:         70
        .size:           2
        .value_kind:     hidden_group_size_y
      - .offset:         72
        .size:           2
        .value_kind:     hidden_group_size_z
      - .offset:         74
        .size:           2
        .value_kind:     hidden_remainder_x
      - .offset:         76
        .size:           2
        .value_kind:     hidden_remainder_y
      - .offset:         78
        .size:           2
        .value_kind:     hidden_remainder_z
      - .offset:         96
        .size:           8
        .value_kind:     hidden_global_offset_x
      - .offset:         104
        .size:           8
        .value_kind:     hidden_global_offset_y
      - .offset:         112
        .size:           8
        .value_kind:     hidden_global_offset_z
      - .offset:         120
        .size:           2
        .value_kind:     hidden_grid_dims
    .group_segment_fixed_size: 0
    .kernarg_segment_align: 8
    .kernarg_segment_size: 312
    .language:       OpenCL C
    .language_version:
      - 2
      - 0
    .max_flat_workgroup_size: 256
    .name:           _ZN7rocprim17ROCPRIM_400000_NS6detail17trampoline_kernelINS0_14default_configENS1_27lower_bound_config_selectorIylEEZNS1_14transform_implILb0ES3_S5_N6thrust23THRUST_200600_302600_NS6detail15normal_iteratorINS8_7pointerIyNS8_11hip_rocprim5par_tENS8_11use_defaultESE_EEEENSA_INSB_IlSD_SE_SE_EEEEZNS1_13binary_searchIS3_S5_PySG_SI_NS1_21lower_bound_search_opENS9_16wrapped_functionINS8_6system6detail7generic6detail18binary_search_lessEbEEEE10hipError_tPvRmT1_T2_T3_mmT4_T5_P12ihipStream_tbEUlRKyE_EEST_SX_SY_mSZ_S12_bEUlT_E_NS1_11comp_targetILNS1_3genE2ELNS1_11target_archE906ELNS1_3gpuE6ELNS1_3repE0EEENS1_30default_config_static_selectorELNS0_4arch9wavefront6targetE1EEEvSW_
    .private_segment_fixed_size: 0
    .sgpr_count:     22
    .sgpr_spill_count: 0
    .symbol:         _ZN7rocprim17ROCPRIM_400000_NS6detail17trampoline_kernelINS0_14default_configENS1_27lower_bound_config_selectorIylEEZNS1_14transform_implILb0ES3_S5_N6thrust23THRUST_200600_302600_NS6detail15normal_iteratorINS8_7pointerIyNS8_11hip_rocprim5par_tENS8_11use_defaultESE_EEEENSA_INSB_IlSD_SE_SE_EEEEZNS1_13binary_searchIS3_S5_PySG_SI_NS1_21lower_bound_search_opENS9_16wrapped_functionINS8_6system6detail7generic6detail18binary_search_lessEbEEEE10hipError_tPvRmT1_T2_T3_mmT4_T5_P12ihipStream_tbEUlRKyE_EEST_SX_SY_mSZ_S12_bEUlT_E_NS1_11comp_targetILNS1_3genE2ELNS1_11target_archE906ELNS1_3gpuE6ELNS1_3repE0EEENS1_30default_config_static_selectorELNS0_4arch9wavefront6targetE1EEEvSW_.kd
    .uniform_work_group_size: 1
    .uses_dynamic_stack: false
    .vgpr_count:     14
    .vgpr_spill_count: 0
    .wavefront_size: 64
  - .args:
      - .offset:         0
        .size:           56
        .value_kind:     by_value
    .group_segment_fixed_size: 0
    .kernarg_segment_align: 8
    .kernarg_segment_size: 56
    .language:       OpenCL C
    .language_version:
      - 2
      - 0
    .max_flat_workgroup_size: 128
    .name:           _ZN7rocprim17ROCPRIM_400000_NS6detail17trampoline_kernelINS0_14default_configENS1_27lower_bound_config_selectorIylEEZNS1_14transform_implILb0ES3_S5_N6thrust23THRUST_200600_302600_NS6detail15normal_iteratorINS8_7pointerIyNS8_11hip_rocprim5par_tENS8_11use_defaultESE_EEEENSA_INSB_IlSD_SE_SE_EEEEZNS1_13binary_searchIS3_S5_PySG_SI_NS1_21lower_bound_search_opENS9_16wrapped_functionINS8_6system6detail7generic6detail18binary_search_lessEbEEEE10hipError_tPvRmT1_T2_T3_mmT4_T5_P12ihipStream_tbEUlRKyE_EEST_SX_SY_mSZ_S12_bEUlT_E_NS1_11comp_targetILNS1_3genE10ELNS1_11target_archE1201ELNS1_3gpuE5ELNS1_3repE0EEENS1_30default_config_static_selectorELNS0_4arch9wavefront6targetE1EEEvSW_
    .private_segment_fixed_size: 0
    .sgpr_count:     4
    .sgpr_spill_count: 0
    .symbol:         _ZN7rocprim17ROCPRIM_400000_NS6detail17trampoline_kernelINS0_14default_configENS1_27lower_bound_config_selectorIylEEZNS1_14transform_implILb0ES3_S5_N6thrust23THRUST_200600_302600_NS6detail15normal_iteratorINS8_7pointerIyNS8_11hip_rocprim5par_tENS8_11use_defaultESE_EEEENSA_INSB_IlSD_SE_SE_EEEEZNS1_13binary_searchIS3_S5_PySG_SI_NS1_21lower_bound_search_opENS9_16wrapped_functionINS8_6system6detail7generic6detail18binary_search_lessEbEEEE10hipError_tPvRmT1_T2_T3_mmT4_T5_P12ihipStream_tbEUlRKyE_EEST_SX_SY_mSZ_S12_bEUlT_E_NS1_11comp_targetILNS1_3genE10ELNS1_11target_archE1201ELNS1_3gpuE5ELNS1_3repE0EEENS1_30default_config_static_selectorELNS0_4arch9wavefront6targetE1EEEvSW_.kd
    .uniform_work_group_size: 1
    .uses_dynamic_stack: false
    .vgpr_count:     0
    .vgpr_spill_count: 0
    .wavefront_size: 64
  - .args:
      - .offset:         0
        .size:           56
        .value_kind:     by_value
    .group_segment_fixed_size: 0
    .kernarg_segment_align: 8
    .kernarg_segment_size: 56
    .language:       OpenCL C
    .language_version:
      - 2
      - 0
    .max_flat_workgroup_size: 128
    .name:           _ZN7rocprim17ROCPRIM_400000_NS6detail17trampoline_kernelINS0_14default_configENS1_27lower_bound_config_selectorIylEEZNS1_14transform_implILb0ES3_S5_N6thrust23THRUST_200600_302600_NS6detail15normal_iteratorINS8_7pointerIyNS8_11hip_rocprim5par_tENS8_11use_defaultESE_EEEENSA_INSB_IlSD_SE_SE_EEEEZNS1_13binary_searchIS3_S5_PySG_SI_NS1_21lower_bound_search_opENS9_16wrapped_functionINS8_6system6detail7generic6detail18binary_search_lessEbEEEE10hipError_tPvRmT1_T2_T3_mmT4_T5_P12ihipStream_tbEUlRKyE_EEST_SX_SY_mSZ_S12_bEUlT_E_NS1_11comp_targetILNS1_3genE10ELNS1_11target_archE1200ELNS1_3gpuE4ELNS1_3repE0EEENS1_30default_config_static_selectorELNS0_4arch9wavefront6targetE1EEEvSW_
    .private_segment_fixed_size: 0
    .sgpr_count:     4
    .sgpr_spill_count: 0
    .symbol:         _ZN7rocprim17ROCPRIM_400000_NS6detail17trampoline_kernelINS0_14default_configENS1_27lower_bound_config_selectorIylEEZNS1_14transform_implILb0ES3_S5_N6thrust23THRUST_200600_302600_NS6detail15normal_iteratorINS8_7pointerIyNS8_11hip_rocprim5par_tENS8_11use_defaultESE_EEEENSA_INSB_IlSD_SE_SE_EEEEZNS1_13binary_searchIS3_S5_PySG_SI_NS1_21lower_bound_search_opENS9_16wrapped_functionINS8_6system6detail7generic6detail18binary_search_lessEbEEEE10hipError_tPvRmT1_T2_T3_mmT4_T5_P12ihipStream_tbEUlRKyE_EEST_SX_SY_mSZ_S12_bEUlT_E_NS1_11comp_targetILNS1_3genE10ELNS1_11target_archE1200ELNS1_3gpuE4ELNS1_3repE0EEENS1_30default_config_static_selectorELNS0_4arch9wavefront6targetE1EEEvSW_.kd
    .uniform_work_group_size: 1
    .uses_dynamic_stack: false
    .vgpr_count:     0
    .vgpr_spill_count: 0
    .wavefront_size: 64
  - .args:
      - .offset:         0
        .size:           56
        .value_kind:     by_value
    .group_segment_fixed_size: 0
    .kernarg_segment_align: 8
    .kernarg_segment_size: 56
    .language:       OpenCL C
    .language_version:
      - 2
      - 0
    .max_flat_workgroup_size: 256
    .name:           _ZN7rocprim17ROCPRIM_400000_NS6detail17trampoline_kernelINS0_14default_configENS1_27lower_bound_config_selectorIylEEZNS1_14transform_implILb0ES3_S5_N6thrust23THRUST_200600_302600_NS6detail15normal_iteratorINS8_7pointerIyNS8_11hip_rocprim5par_tENS8_11use_defaultESE_EEEENSA_INSB_IlSD_SE_SE_EEEEZNS1_13binary_searchIS3_S5_PySG_SI_NS1_21lower_bound_search_opENS9_16wrapped_functionINS8_6system6detail7generic6detail18binary_search_lessEbEEEE10hipError_tPvRmT1_T2_T3_mmT4_T5_P12ihipStream_tbEUlRKyE_EEST_SX_SY_mSZ_S12_bEUlT_E_NS1_11comp_targetILNS1_3genE9ELNS1_11target_archE1100ELNS1_3gpuE3ELNS1_3repE0EEENS1_30default_config_static_selectorELNS0_4arch9wavefront6targetE1EEEvSW_
    .private_segment_fixed_size: 0
    .sgpr_count:     4
    .sgpr_spill_count: 0
    .symbol:         _ZN7rocprim17ROCPRIM_400000_NS6detail17trampoline_kernelINS0_14default_configENS1_27lower_bound_config_selectorIylEEZNS1_14transform_implILb0ES3_S5_N6thrust23THRUST_200600_302600_NS6detail15normal_iteratorINS8_7pointerIyNS8_11hip_rocprim5par_tENS8_11use_defaultESE_EEEENSA_INSB_IlSD_SE_SE_EEEEZNS1_13binary_searchIS3_S5_PySG_SI_NS1_21lower_bound_search_opENS9_16wrapped_functionINS8_6system6detail7generic6detail18binary_search_lessEbEEEE10hipError_tPvRmT1_T2_T3_mmT4_T5_P12ihipStream_tbEUlRKyE_EEST_SX_SY_mSZ_S12_bEUlT_E_NS1_11comp_targetILNS1_3genE9ELNS1_11target_archE1100ELNS1_3gpuE3ELNS1_3repE0EEENS1_30default_config_static_selectorELNS0_4arch9wavefront6targetE1EEEvSW_.kd
    .uniform_work_group_size: 1
    .uses_dynamic_stack: false
    .vgpr_count:     0
    .vgpr_spill_count: 0
    .wavefront_size: 64
  - .args:
      - .offset:         0
        .size:           56
        .value_kind:     by_value
    .group_segment_fixed_size: 0
    .kernarg_segment_align: 8
    .kernarg_segment_size: 56
    .language:       OpenCL C
    .language_version:
      - 2
      - 0
    .max_flat_workgroup_size: 256
    .name:           _ZN7rocprim17ROCPRIM_400000_NS6detail17trampoline_kernelINS0_14default_configENS1_27lower_bound_config_selectorIylEEZNS1_14transform_implILb0ES3_S5_N6thrust23THRUST_200600_302600_NS6detail15normal_iteratorINS8_7pointerIyNS8_11hip_rocprim5par_tENS8_11use_defaultESE_EEEENSA_INSB_IlSD_SE_SE_EEEEZNS1_13binary_searchIS3_S5_PySG_SI_NS1_21lower_bound_search_opENS9_16wrapped_functionINS8_6system6detail7generic6detail18binary_search_lessEbEEEE10hipError_tPvRmT1_T2_T3_mmT4_T5_P12ihipStream_tbEUlRKyE_EEST_SX_SY_mSZ_S12_bEUlT_E_NS1_11comp_targetILNS1_3genE8ELNS1_11target_archE1030ELNS1_3gpuE2ELNS1_3repE0EEENS1_30default_config_static_selectorELNS0_4arch9wavefront6targetE1EEEvSW_
    .private_segment_fixed_size: 0
    .sgpr_count:     4
    .sgpr_spill_count: 0
    .symbol:         _ZN7rocprim17ROCPRIM_400000_NS6detail17trampoline_kernelINS0_14default_configENS1_27lower_bound_config_selectorIylEEZNS1_14transform_implILb0ES3_S5_N6thrust23THRUST_200600_302600_NS6detail15normal_iteratorINS8_7pointerIyNS8_11hip_rocprim5par_tENS8_11use_defaultESE_EEEENSA_INSB_IlSD_SE_SE_EEEEZNS1_13binary_searchIS3_S5_PySG_SI_NS1_21lower_bound_search_opENS9_16wrapped_functionINS8_6system6detail7generic6detail18binary_search_lessEbEEEE10hipError_tPvRmT1_T2_T3_mmT4_T5_P12ihipStream_tbEUlRKyE_EEST_SX_SY_mSZ_S12_bEUlT_E_NS1_11comp_targetILNS1_3genE8ELNS1_11target_archE1030ELNS1_3gpuE2ELNS1_3repE0EEENS1_30default_config_static_selectorELNS0_4arch9wavefront6targetE1EEEvSW_.kd
    .uniform_work_group_size: 1
    .uses_dynamic_stack: false
    .vgpr_count:     0
    .vgpr_spill_count: 0
    .wavefront_size: 64
  - .args:
      - .offset:         0
        .size:           16
        .value_kind:     by_value
      - .offset:         16
        .size:           8
        .value_kind:     by_value
      - .offset:         24
        .size:           8
        .value_kind:     by_value
    .group_segment_fixed_size: 0
    .kernarg_segment_align: 8
    .kernarg_segment_size: 32
    .language:       OpenCL C
    .language_version:
      - 2
      - 0
    .max_flat_workgroup_size: 256
    .name:           _ZN6thrust23THRUST_200600_302600_NS11hip_rocprim14__parallel_for6kernelILj256ENS1_20__uninitialized_fill7functorINS0_10device_ptrIjEEjEEmLj1EEEvT0_T1_SA_
    .private_segment_fixed_size: 0
    .sgpr_count:     20
    .sgpr_spill_count: 0
    .symbol:         _ZN6thrust23THRUST_200600_302600_NS11hip_rocprim14__parallel_for6kernelILj256ENS1_20__uninitialized_fill7functorINS0_10device_ptrIjEEjEEmLj1EEEvT0_T1_SA_.kd
    .uniform_work_group_size: 1
    .uses_dynamic_stack: false
    .vgpr_count:     4
    .vgpr_spill_count: 0
    .wavefront_size: 64
  - .args:
      - .offset:         0
        .size:           8
        .value_kind:     by_value
      - .address_space:  global
        .offset:         8
        .size:           8
        .value_kind:     global_buffer
      - .address_space:  global
        .offset:         16
        .size:           8
        .value_kind:     global_buffer
    .group_segment_fixed_size: 0
    .kernarg_segment_align: 8
    .kernarg_segment_size: 24
    .language:       OpenCL C
    .language_version:
      - 2
      - 0
    .max_flat_workgroup_size: 256
    .name:           _Z18lower_bound_kernelIjEvmPT_Pl
    .private_segment_fixed_size: 0
    .sgpr_count:     21
    .sgpr_spill_count: 0
    .symbol:         _Z18lower_bound_kernelIjEvmPT_Pl.kd
    .uniform_work_group_size: 1
    .uses_dynamic_stack: false
    .vgpr_count:     4
    .vgpr_spill_count: 0
    .wavefront_size: 64
  - .args:
      - .offset:         0
        .size:           56
        .value_kind:     by_value
    .group_segment_fixed_size: 0
    .kernarg_segment_align: 8
    .kernarg_segment_size: 56
    .language:       OpenCL C
    .language_version:
      - 2
      - 0
    .max_flat_workgroup_size: 256
    .name:           _ZN7rocprim17ROCPRIM_400000_NS6detail17trampoline_kernelINS0_14default_configENS1_27lower_bound_config_selectorIjlEEZNS1_14transform_implILb0ES3_S5_N6thrust23THRUST_200600_302600_NS6detail15normal_iteratorINS8_7pointerIjNS8_11hip_rocprim5par_tENS8_11use_defaultESE_EEEENSA_INSB_IlSD_SE_SE_EEEEZNS1_13binary_searchIS3_S5_PjSG_SI_NS1_21lower_bound_search_opENS9_16wrapped_functionI11custom_lessbEEEE10hipError_tPvRmT1_T2_T3_mmT4_T5_P12ihipStream_tbEUlRKjE_EESP_ST_SU_mSV_SY_bEUlT_E_NS1_11comp_targetILNS1_3genE0ELNS1_11target_archE4294967295ELNS1_3gpuE0ELNS1_3repE0EEENS1_30default_config_static_selectorELNS0_4arch9wavefront6targetE1EEEvSS_
    .private_segment_fixed_size: 0
    .sgpr_count:     4
    .sgpr_spill_count: 0
    .symbol:         _ZN7rocprim17ROCPRIM_400000_NS6detail17trampoline_kernelINS0_14default_configENS1_27lower_bound_config_selectorIjlEEZNS1_14transform_implILb0ES3_S5_N6thrust23THRUST_200600_302600_NS6detail15normal_iteratorINS8_7pointerIjNS8_11hip_rocprim5par_tENS8_11use_defaultESE_EEEENSA_INSB_IlSD_SE_SE_EEEEZNS1_13binary_searchIS3_S5_PjSG_SI_NS1_21lower_bound_search_opENS9_16wrapped_functionI11custom_lessbEEEE10hipError_tPvRmT1_T2_T3_mmT4_T5_P12ihipStream_tbEUlRKjE_EESP_ST_SU_mSV_SY_bEUlT_E_NS1_11comp_targetILNS1_3genE0ELNS1_11target_archE4294967295ELNS1_3gpuE0ELNS1_3repE0EEENS1_30default_config_static_selectorELNS0_4arch9wavefront6targetE1EEEvSS_.kd
    .uniform_work_group_size: 1
    .uses_dynamic_stack: false
    .vgpr_count:     0
    .vgpr_spill_count: 0
    .wavefront_size: 64
  - .args:
      - .offset:         0
        .size:           56
        .value_kind:     by_value
    .group_segment_fixed_size: 0
    .kernarg_segment_align: 8
    .kernarg_segment_size: 56
    .language:       OpenCL C
    .language_version:
      - 2
      - 0
    .max_flat_workgroup_size: 256
    .name:           _ZN7rocprim17ROCPRIM_400000_NS6detail17trampoline_kernelINS0_14default_configENS1_27lower_bound_config_selectorIjlEEZNS1_14transform_implILb0ES3_S5_N6thrust23THRUST_200600_302600_NS6detail15normal_iteratorINS8_7pointerIjNS8_11hip_rocprim5par_tENS8_11use_defaultESE_EEEENSA_INSB_IlSD_SE_SE_EEEEZNS1_13binary_searchIS3_S5_PjSG_SI_NS1_21lower_bound_search_opENS9_16wrapped_functionI11custom_lessbEEEE10hipError_tPvRmT1_T2_T3_mmT4_T5_P12ihipStream_tbEUlRKjE_EESP_ST_SU_mSV_SY_bEUlT_E_NS1_11comp_targetILNS1_3genE5ELNS1_11target_archE942ELNS1_3gpuE9ELNS1_3repE0EEENS1_30default_config_static_selectorELNS0_4arch9wavefront6targetE1EEEvSS_
    .private_segment_fixed_size: 0
    .sgpr_count:     4
    .sgpr_spill_count: 0
    .symbol:         _ZN7rocprim17ROCPRIM_400000_NS6detail17trampoline_kernelINS0_14default_configENS1_27lower_bound_config_selectorIjlEEZNS1_14transform_implILb0ES3_S5_N6thrust23THRUST_200600_302600_NS6detail15normal_iteratorINS8_7pointerIjNS8_11hip_rocprim5par_tENS8_11use_defaultESE_EEEENSA_INSB_IlSD_SE_SE_EEEEZNS1_13binary_searchIS3_S5_PjSG_SI_NS1_21lower_bound_search_opENS9_16wrapped_functionI11custom_lessbEEEE10hipError_tPvRmT1_T2_T3_mmT4_T5_P12ihipStream_tbEUlRKjE_EESP_ST_SU_mSV_SY_bEUlT_E_NS1_11comp_targetILNS1_3genE5ELNS1_11target_archE942ELNS1_3gpuE9ELNS1_3repE0EEENS1_30default_config_static_selectorELNS0_4arch9wavefront6targetE1EEEvSS_.kd
    .uniform_work_group_size: 1
    .uses_dynamic_stack: false
    .vgpr_count:     0
    .vgpr_spill_count: 0
    .wavefront_size: 64
  - .args:
      - .offset:         0
        .size:           56
        .value_kind:     by_value
    .group_segment_fixed_size: 0
    .kernarg_segment_align: 8
    .kernarg_segment_size: 56
    .language:       OpenCL C
    .language_version:
      - 2
      - 0
    .max_flat_workgroup_size: 256
    .name:           _ZN7rocprim17ROCPRIM_400000_NS6detail17trampoline_kernelINS0_14default_configENS1_27lower_bound_config_selectorIjlEEZNS1_14transform_implILb0ES3_S5_N6thrust23THRUST_200600_302600_NS6detail15normal_iteratorINS8_7pointerIjNS8_11hip_rocprim5par_tENS8_11use_defaultESE_EEEENSA_INSB_IlSD_SE_SE_EEEEZNS1_13binary_searchIS3_S5_PjSG_SI_NS1_21lower_bound_search_opENS9_16wrapped_functionI11custom_lessbEEEE10hipError_tPvRmT1_T2_T3_mmT4_T5_P12ihipStream_tbEUlRKjE_EESP_ST_SU_mSV_SY_bEUlT_E_NS1_11comp_targetILNS1_3genE4ELNS1_11target_archE910ELNS1_3gpuE8ELNS1_3repE0EEENS1_30default_config_static_selectorELNS0_4arch9wavefront6targetE1EEEvSS_
    .private_segment_fixed_size: 0
    .sgpr_count:     4
    .sgpr_spill_count: 0
    .symbol:         _ZN7rocprim17ROCPRIM_400000_NS6detail17trampoline_kernelINS0_14default_configENS1_27lower_bound_config_selectorIjlEEZNS1_14transform_implILb0ES3_S5_N6thrust23THRUST_200600_302600_NS6detail15normal_iteratorINS8_7pointerIjNS8_11hip_rocprim5par_tENS8_11use_defaultESE_EEEENSA_INSB_IlSD_SE_SE_EEEEZNS1_13binary_searchIS3_S5_PjSG_SI_NS1_21lower_bound_search_opENS9_16wrapped_functionI11custom_lessbEEEE10hipError_tPvRmT1_T2_T3_mmT4_T5_P12ihipStream_tbEUlRKjE_EESP_ST_SU_mSV_SY_bEUlT_E_NS1_11comp_targetILNS1_3genE4ELNS1_11target_archE910ELNS1_3gpuE8ELNS1_3repE0EEENS1_30default_config_static_selectorELNS0_4arch9wavefront6targetE1EEEvSS_.kd
    .uniform_work_group_size: 1
    .uses_dynamic_stack: false
    .vgpr_count:     0
    .vgpr_spill_count: 0
    .wavefront_size: 64
  - .args:
      - .offset:         0
        .size:           56
        .value_kind:     by_value
    .group_segment_fixed_size: 0
    .kernarg_segment_align: 8
    .kernarg_segment_size: 56
    .language:       OpenCL C
    .language_version:
      - 2
      - 0
    .max_flat_workgroup_size: 256
    .name:           _ZN7rocprim17ROCPRIM_400000_NS6detail17trampoline_kernelINS0_14default_configENS1_27lower_bound_config_selectorIjlEEZNS1_14transform_implILb0ES3_S5_N6thrust23THRUST_200600_302600_NS6detail15normal_iteratorINS8_7pointerIjNS8_11hip_rocprim5par_tENS8_11use_defaultESE_EEEENSA_INSB_IlSD_SE_SE_EEEEZNS1_13binary_searchIS3_S5_PjSG_SI_NS1_21lower_bound_search_opENS9_16wrapped_functionI11custom_lessbEEEE10hipError_tPvRmT1_T2_T3_mmT4_T5_P12ihipStream_tbEUlRKjE_EESP_ST_SU_mSV_SY_bEUlT_E_NS1_11comp_targetILNS1_3genE3ELNS1_11target_archE908ELNS1_3gpuE7ELNS1_3repE0EEENS1_30default_config_static_selectorELNS0_4arch9wavefront6targetE1EEEvSS_
    .private_segment_fixed_size: 0
    .sgpr_count:     4
    .sgpr_spill_count: 0
    .symbol:         _ZN7rocprim17ROCPRIM_400000_NS6detail17trampoline_kernelINS0_14default_configENS1_27lower_bound_config_selectorIjlEEZNS1_14transform_implILb0ES3_S5_N6thrust23THRUST_200600_302600_NS6detail15normal_iteratorINS8_7pointerIjNS8_11hip_rocprim5par_tENS8_11use_defaultESE_EEEENSA_INSB_IlSD_SE_SE_EEEEZNS1_13binary_searchIS3_S5_PjSG_SI_NS1_21lower_bound_search_opENS9_16wrapped_functionI11custom_lessbEEEE10hipError_tPvRmT1_T2_T3_mmT4_T5_P12ihipStream_tbEUlRKjE_EESP_ST_SU_mSV_SY_bEUlT_E_NS1_11comp_targetILNS1_3genE3ELNS1_11target_archE908ELNS1_3gpuE7ELNS1_3repE0EEENS1_30default_config_static_selectorELNS0_4arch9wavefront6targetE1EEEvSS_.kd
    .uniform_work_group_size: 1
    .uses_dynamic_stack: false
    .vgpr_count:     0
    .vgpr_spill_count: 0
    .wavefront_size: 64
  - .args:
      - .offset:         0
        .size:           56
        .value_kind:     by_value
      - .offset:         56
        .size:           4
        .value_kind:     hidden_block_count_x
      - .offset:         60
        .size:           4
        .value_kind:     hidden_block_count_y
      - .offset:         64
        .size:           4
        .value_kind:     hidden_block_count_z
      - .offset:         68
        .size:           2
        .value_kind:     hidden_group_size_x
      - .offset:         70
        .size:           2
        .value_kind:     hidden_group_size_y
      - .offset:         72
        .size:           2
        .value_kind:     hidden_group_size_z
      - .offset:         74
        .size:           2
        .value_kind:     hidden_remainder_x
      - .offset:         76
        .size:           2
        .value_kind:     hidden_remainder_y
      - .offset:         78
        .size:           2
        .value_kind:     hidden_remainder_z
      - .offset:         96
        .size:           8
        .value_kind:     hidden_global_offset_x
      - .offset:         104
        .size:           8
        .value_kind:     hidden_global_offset_y
      - .offset:         112
        .size:           8
        .value_kind:     hidden_global_offset_z
      - .offset:         120
        .size:           2
        .value_kind:     hidden_grid_dims
    .group_segment_fixed_size: 0
    .kernarg_segment_align: 8
    .kernarg_segment_size: 312
    .language:       OpenCL C
    .language_version:
      - 2
      - 0
    .max_flat_workgroup_size: 256
    .name:           _ZN7rocprim17ROCPRIM_400000_NS6detail17trampoline_kernelINS0_14default_configENS1_27lower_bound_config_selectorIjlEEZNS1_14transform_implILb0ES3_S5_N6thrust23THRUST_200600_302600_NS6detail15normal_iteratorINS8_7pointerIjNS8_11hip_rocprim5par_tENS8_11use_defaultESE_EEEENSA_INSB_IlSD_SE_SE_EEEEZNS1_13binary_searchIS3_S5_PjSG_SI_NS1_21lower_bound_search_opENS9_16wrapped_functionI11custom_lessbEEEE10hipError_tPvRmT1_T2_T3_mmT4_T5_P12ihipStream_tbEUlRKjE_EESP_ST_SU_mSV_SY_bEUlT_E_NS1_11comp_targetILNS1_3genE2ELNS1_11target_archE906ELNS1_3gpuE6ELNS1_3repE0EEENS1_30default_config_static_selectorELNS0_4arch9wavefront6targetE1EEEvSS_
    .private_segment_fixed_size: 0
    .sgpr_count:     24
    .sgpr_spill_count: 0
    .symbol:         _ZN7rocprim17ROCPRIM_400000_NS6detail17trampoline_kernelINS0_14default_configENS1_27lower_bound_config_selectorIjlEEZNS1_14transform_implILb0ES3_S5_N6thrust23THRUST_200600_302600_NS6detail15normal_iteratorINS8_7pointerIjNS8_11hip_rocprim5par_tENS8_11use_defaultESE_EEEENSA_INSB_IlSD_SE_SE_EEEEZNS1_13binary_searchIS3_S5_PjSG_SI_NS1_21lower_bound_search_opENS9_16wrapped_functionI11custom_lessbEEEE10hipError_tPvRmT1_T2_T3_mmT4_T5_P12ihipStream_tbEUlRKjE_EESP_ST_SU_mSV_SY_bEUlT_E_NS1_11comp_targetILNS1_3genE2ELNS1_11target_archE906ELNS1_3gpuE6ELNS1_3repE0EEENS1_30default_config_static_selectorELNS0_4arch9wavefront6targetE1EEEvSS_.kd
    .uniform_work_group_size: 1
    .uses_dynamic_stack: false
    .vgpr_count:     12
    .vgpr_spill_count: 0
    .wavefront_size: 64
  - .args:
      - .offset:         0
        .size:           56
        .value_kind:     by_value
    .group_segment_fixed_size: 0
    .kernarg_segment_align: 8
    .kernarg_segment_size: 56
    .language:       OpenCL C
    .language_version:
      - 2
      - 0
    .max_flat_workgroup_size: 128
    .name:           _ZN7rocprim17ROCPRIM_400000_NS6detail17trampoline_kernelINS0_14default_configENS1_27lower_bound_config_selectorIjlEEZNS1_14transform_implILb0ES3_S5_N6thrust23THRUST_200600_302600_NS6detail15normal_iteratorINS8_7pointerIjNS8_11hip_rocprim5par_tENS8_11use_defaultESE_EEEENSA_INSB_IlSD_SE_SE_EEEEZNS1_13binary_searchIS3_S5_PjSG_SI_NS1_21lower_bound_search_opENS9_16wrapped_functionI11custom_lessbEEEE10hipError_tPvRmT1_T2_T3_mmT4_T5_P12ihipStream_tbEUlRKjE_EESP_ST_SU_mSV_SY_bEUlT_E_NS1_11comp_targetILNS1_3genE10ELNS1_11target_archE1201ELNS1_3gpuE5ELNS1_3repE0EEENS1_30default_config_static_selectorELNS0_4arch9wavefront6targetE1EEEvSS_
    .private_segment_fixed_size: 0
    .sgpr_count:     4
    .sgpr_spill_count: 0
    .symbol:         _ZN7rocprim17ROCPRIM_400000_NS6detail17trampoline_kernelINS0_14default_configENS1_27lower_bound_config_selectorIjlEEZNS1_14transform_implILb0ES3_S5_N6thrust23THRUST_200600_302600_NS6detail15normal_iteratorINS8_7pointerIjNS8_11hip_rocprim5par_tENS8_11use_defaultESE_EEEENSA_INSB_IlSD_SE_SE_EEEEZNS1_13binary_searchIS3_S5_PjSG_SI_NS1_21lower_bound_search_opENS9_16wrapped_functionI11custom_lessbEEEE10hipError_tPvRmT1_T2_T3_mmT4_T5_P12ihipStream_tbEUlRKjE_EESP_ST_SU_mSV_SY_bEUlT_E_NS1_11comp_targetILNS1_3genE10ELNS1_11target_archE1201ELNS1_3gpuE5ELNS1_3repE0EEENS1_30default_config_static_selectorELNS0_4arch9wavefront6targetE1EEEvSS_.kd
    .uniform_work_group_size: 1
    .uses_dynamic_stack: false
    .vgpr_count:     0
    .vgpr_spill_count: 0
    .wavefront_size: 64
  - .args:
      - .offset:         0
        .size:           56
        .value_kind:     by_value
    .group_segment_fixed_size: 0
    .kernarg_segment_align: 8
    .kernarg_segment_size: 56
    .language:       OpenCL C
    .language_version:
      - 2
      - 0
    .max_flat_workgroup_size: 128
    .name:           _ZN7rocprim17ROCPRIM_400000_NS6detail17trampoline_kernelINS0_14default_configENS1_27lower_bound_config_selectorIjlEEZNS1_14transform_implILb0ES3_S5_N6thrust23THRUST_200600_302600_NS6detail15normal_iteratorINS8_7pointerIjNS8_11hip_rocprim5par_tENS8_11use_defaultESE_EEEENSA_INSB_IlSD_SE_SE_EEEEZNS1_13binary_searchIS3_S5_PjSG_SI_NS1_21lower_bound_search_opENS9_16wrapped_functionI11custom_lessbEEEE10hipError_tPvRmT1_T2_T3_mmT4_T5_P12ihipStream_tbEUlRKjE_EESP_ST_SU_mSV_SY_bEUlT_E_NS1_11comp_targetILNS1_3genE10ELNS1_11target_archE1200ELNS1_3gpuE4ELNS1_3repE0EEENS1_30default_config_static_selectorELNS0_4arch9wavefront6targetE1EEEvSS_
    .private_segment_fixed_size: 0
    .sgpr_count:     4
    .sgpr_spill_count: 0
    .symbol:         _ZN7rocprim17ROCPRIM_400000_NS6detail17trampoline_kernelINS0_14default_configENS1_27lower_bound_config_selectorIjlEEZNS1_14transform_implILb0ES3_S5_N6thrust23THRUST_200600_302600_NS6detail15normal_iteratorINS8_7pointerIjNS8_11hip_rocprim5par_tENS8_11use_defaultESE_EEEENSA_INSB_IlSD_SE_SE_EEEEZNS1_13binary_searchIS3_S5_PjSG_SI_NS1_21lower_bound_search_opENS9_16wrapped_functionI11custom_lessbEEEE10hipError_tPvRmT1_T2_T3_mmT4_T5_P12ihipStream_tbEUlRKjE_EESP_ST_SU_mSV_SY_bEUlT_E_NS1_11comp_targetILNS1_3genE10ELNS1_11target_archE1200ELNS1_3gpuE4ELNS1_3repE0EEENS1_30default_config_static_selectorELNS0_4arch9wavefront6targetE1EEEvSS_.kd
    .uniform_work_group_size: 1
    .uses_dynamic_stack: false
    .vgpr_count:     0
    .vgpr_spill_count: 0
    .wavefront_size: 64
  - .args:
      - .offset:         0
        .size:           56
        .value_kind:     by_value
    .group_segment_fixed_size: 0
    .kernarg_segment_align: 8
    .kernarg_segment_size: 56
    .language:       OpenCL C
    .language_version:
      - 2
      - 0
    .max_flat_workgroup_size: 256
    .name:           _ZN7rocprim17ROCPRIM_400000_NS6detail17trampoline_kernelINS0_14default_configENS1_27lower_bound_config_selectorIjlEEZNS1_14transform_implILb0ES3_S5_N6thrust23THRUST_200600_302600_NS6detail15normal_iteratorINS8_7pointerIjNS8_11hip_rocprim5par_tENS8_11use_defaultESE_EEEENSA_INSB_IlSD_SE_SE_EEEEZNS1_13binary_searchIS3_S5_PjSG_SI_NS1_21lower_bound_search_opENS9_16wrapped_functionI11custom_lessbEEEE10hipError_tPvRmT1_T2_T3_mmT4_T5_P12ihipStream_tbEUlRKjE_EESP_ST_SU_mSV_SY_bEUlT_E_NS1_11comp_targetILNS1_3genE9ELNS1_11target_archE1100ELNS1_3gpuE3ELNS1_3repE0EEENS1_30default_config_static_selectorELNS0_4arch9wavefront6targetE1EEEvSS_
    .private_segment_fixed_size: 0
    .sgpr_count:     4
    .sgpr_spill_count: 0
    .symbol:         _ZN7rocprim17ROCPRIM_400000_NS6detail17trampoline_kernelINS0_14default_configENS1_27lower_bound_config_selectorIjlEEZNS1_14transform_implILb0ES3_S5_N6thrust23THRUST_200600_302600_NS6detail15normal_iteratorINS8_7pointerIjNS8_11hip_rocprim5par_tENS8_11use_defaultESE_EEEENSA_INSB_IlSD_SE_SE_EEEEZNS1_13binary_searchIS3_S5_PjSG_SI_NS1_21lower_bound_search_opENS9_16wrapped_functionI11custom_lessbEEEE10hipError_tPvRmT1_T2_T3_mmT4_T5_P12ihipStream_tbEUlRKjE_EESP_ST_SU_mSV_SY_bEUlT_E_NS1_11comp_targetILNS1_3genE9ELNS1_11target_archE1100ELNS1_3gpuE3ELNS1_3repE0EEENS1_30default_config_static_selectorELNS0_4arch9wavefront6targetE1EEEvSS_.kd
    .uniform_work_group_size: 1
    .uses_dynamic_stack: false
    .vgpr_count:     0
    .vgpr_spill_count: 0
    .wavefront_size: 64
  - .args:
      - .offset:         0
        .size:           56
        .value_kind:     by_value
    .group_segment_fixed_size: 0
    .kernarg_segment_align: 8
    .kernarg_segment_size: 56
    .language:       OpenCL C
    .language_version:
      - 2
      - 0
    .max_flat_workgroup_size: 256
    .name:           _ZN7rocprim17ROCPRIM_400000_NS6detail17trampoline_kernelINS0_14default_configENS1_27lower_bound_config_selectorIjlEEZNS1_14transform_implILb0ES3_S5_N6thrust23THRUST_200600_302600_NS6detail15normal_iteratorINS8_7pointerIjNS8_11hip_rocprim5par_tENS8_11use_defaultESE_EEEENSA_INSB_IlSD_SE_SE_EEEEZNS1_13binary_searchIS3_S5_PjSG_SI_NS1_21lower_bound_search_opENS9_16wrapped_functionI11custom_lessbEEEE10hipError_tPvRmT1_T2_T3_mmT4_T5_P12ihipStream_tbEUlRKjE_EESP_ST_SU_mSV_SY_bEUlT_E_NS1_11comp_targetILNS1_3genE8ELNS1_11target_archE1030ELNS1_3gpuE2ELNS1_3repE0EEENS1_30default_config_static_selectorELNS0_4arch9wavefront6targetE1EEEvSS_
    .private_segment_fixed_size: 0
    .sgpr_count:     4
    .sgpr_spill_count: 0
    .symbol:         _ZN7rocprim17ROCPRIM_400000_NS6detail17trampoline_kernelINS0_14default_configENS1_27lower_bound_config_selectorIjlEEZNS1_14transform_implILb0ES3_S5_N6thrust23THRUST_200600_302600_NS6detail15normal_iteratorINS8_7pointerIjNS8_11hip_rocprim5par_tENS8_11use_defaultESE_EEEENSA_INSB_IlSD_SE_SE_EEEEZNS1_13binary_searchIS3_S5_PjSG_SI_NS1_21lower_bound_search_opENS9_16wrapped_functionI11custom_lessbEEEE10hipError_tPvRmT1_T2_T3_mmT4_T5_P12ihipStream_tbEUlRKjE_EESP_ST_SU_mSV_SY_bEUlT_E_NS1_11comp_targetILNS1_3genE8ELNS1_11target_archE1030ELNS1_3gpuE2ELNS1_3repE0EEENS1_30default_config_static_selectorELNS0_4arch9wavefront6targetE1EEEvSS_.kd
    .uniform_work_group_size: 1
    .uses_dynamic_stack: false
    .vgpr_count:     0
    .vgpr_spill_count: 0
    .wavefront_size: 64
  - .args:
      - .offset:         0
        .size:           56
        .value_kind:     by_value
    .group_segment_fixed_size: 0
    .kernarg_segment_align: 8
    .kernarg_segment_size: 56
    .language:       OpenCL C
    .language_version:
      - 2
      - 0
    .max_flat_workgroup_size: 256
    .name:           _ZN7rocprim17ROCPRIM_400000_NS6detail17trampoline_kernelINS0_14default_configENS1_27lower_bound_config_selectorIjlEEZNS1_14transform_implILb0ES3_S5_N6thrust23THRUST_200600_302600_NS6detail15normal_iteratorINS8_7pointerIjNS8_11hip_rocprim5par_tENS8_11use_defaultESE_EEEENSA_INSB_IlSD_SE_SE_EEEEZNS1_13binary_searchIS3_S5_PjSG_SI_NS1_21lower_bound_search_opENS9_16wrapped_functionINS8_6system6detail7generic6detail18binary_search_lessEbEEEE10hipError_tPvRmT1_T2_T3_mmT4_T5_P12ihipStream_tbEUlRKjE_EEST_SX_SY_mSZ_S12_bEUlT_E_NS1_11comp_targetILNS1_3genE0ELNS1_11target_archE4294967295ELNS1_3gpuE0ELNS1_3repE0EEENS1_30default_config_static_selectorELNS0_4arch9wavefront6targetE1EEEvSW_
    .private_segment_fixed_size: 0
    .sgpr_count:     4
    .sgpr_spill_count: 0
    .symbol:         _ZN7rocprim17ROCPRIM_400000_NS6detail17trampoline_kernelINS0_14default_configENS1_27lower_bound_config_selectorIjlEEZNS1_14transform_implILb0ES3_S5_N6thrust23THRUST_200600_302600_NS6detail15normal_iteratorINS8_7pointerIjNS8_11hip_rocprim5par_tENS8_11use_defaultESE_EEEENSA_INSB_IlSD_SE_SE_EEEEZNS1_13binary_searchIS3_S5_PjSG_SI_NS1_21lower_bound_search_opENS9_16wrapped_functionINS8_6system6detail7generic6detail18binary_search_lessEbEEEE10hipError_tPvRmT1_T2_T3_mmT4_T5_P12ihipStream_tbEUlRKjE_EEST_SX_SY_mSZ_S12_bEUlT_E_NS1_11comp_targetILNS1_3genE0ELNS1_11target_archE4294967295ELNS1_3gpuE0ELNS1_3repE0EEENS1_30default_config_static_selectorELNS0_4arch9wavefront6targetE1EEEvSW_.kd
    .uniform_work_group_size: 1
    .uses_dynamic_stack: false
    .vgpr_count:     0
    .vgpr_spill_count: 0
    .wavefront_size: 64
  - .args:
      - .offset:         0
        .size:           56
        .value_kind:     by_value
    .group_segment_fixed_size: 0
    .kernarg_segment_align: 8
    .kernarg_segment_size: 56
    .language:       OpenCL C
    .language_version:
      - 2
      - 0
    .max_flat_workgroup_size: 256
    .name:           _ZN7rocprim17ROCPRIM_400000_NS6detail17trampoline_kernelINS0_14default_configENS1_27lower_bound_config_selectorIjlEEZNS1_14transform_implILb0ES3_S5_N6thrust23THRUST_200600_302600_NS6detail15normal_iteratorINS8_7pointerIjNS8_11hip_rocprim5par_tENS8_11use_defaultESE_EEEENSA_INSB_IlSD_SE_SE_EEEEZNS1_13binary_searchIS3_S5_PjSG_SI_NS1_21lower_bound_search_opENS9_16wrapped_functionINS8_6system6detail7generic6detail18binary_search_lessEbEEEE10hipError_tPvRmT1_T2_T3_mmT4_T5_P12ihipStream_tbEUlRKjE_EEST_SX_SY_mSZ_S12_bEUlT_E_NS1_11comp_targetILNS1_3genE5ELNS1_11target_archE942ELNS1_3gpuE9ELNS1_3repE0EEENS1_30default_config_static_selectorELNS0_4arch9wavefront6targetE1EEEvSW_
    .private_segment_fixed_size: 0
    .sgpr_count:     4
    .sgpr_spill_count: 0
    .symbol:         _ZN7rocprim17ROCPRIM_400000_NS6detail17trampoline_kernelINS0_14default_configENS1_27lower_bound_config_selectorIjlEEZNS1_14transform_implILb0ES3_S5_N6thrust23THRUST_200600_302600_NS6detail15normal_iteratorINS8_7pointerIjNS8_11hip_rocprim5par_tENS8_11use_defaultESE_EEEENSA_INSB_IlSD_SE_SE_EEEEZNS1_13binary_searchIS3_S5_PjSG_SI_NS1_21lower_bound_search_opENS9_16wrapped_functionINS8_6system6detail7generic6detail18binary_search_lessEbEEEE10hipError_tPvRmT1_T2_T3_mmT4_T5_P12ihipStream_tbEUlRKjE_EEST_SX_SY_mSZ_S12_bEUlT_E_NS1_11comp_targetILNS1_3genE5ELNS1_11target_archE942ELNS1_3gpuE9ELNS1_3repE0EEENS1_30default_config_static_selectorELNS0_4arch9wavefront6targetE1EEEvSW_.kd
    .uniform_work_group_size: 1
    .uses_dynamic_stack: false
    .vgpr_count:     0
    .vgpr_spill_count: 0
    .wavefront_size: 64
  - .args:
      - .offset:         0
        .size:           56
        .value_kind:     by_value
    .group_segment_fixed_size: 0
    .kernarg_segment_align: 8
    .kernarg_segment_size: 56
    .language:       OpenCL C
    .language_version:
      - 2
      - 0
    .max_flat_workgroup_size: 256
    .name:           _ZN7rocprim17ROCPRIM_400000_NS6detail17trampoline_kernelINS0_14default_configENS1_27lower_bound_config_selectorIjlEEZNS1_14transform_implILb0ES3_S5_N6thrust23THRUST_200600_302600_NS6detail15normal_iteratorINS8_7pointerIjNS8_11hip_rocprim5par_tENS8_11use_defaultESE_EEEENSA_INSB_IlSD_SE_SE_EEEEZNS1_13binary_searchIS3_S5_PjSG_SI_NS1_21lower_bound_search_opENS9_16wrapped_functionINS8_6system6detail7generic6detail18binary_search_lessEbEEEE10hipError_tPvRmT1_T2_T3_mmT4_T5_P12ihipStream_tbEUlRKjE_EEST_SX_SY_mSZ_S12_bEUlT_E_NS1_11comp_targetILNS1_3genE4ELNS1_11target_archE910ELNS1_3gpuE8ELNS1_3repE0EEENS1_30default_config_static_selectorELNS0_4arch9wavefront6targetE1EEEvSW_
    .private_segment_fixed_size: 0
    .sgpr_count:     4
    .sgpr_spill_count: 0
    .symbol:         _ZN7rocprim17ROCPRIM_400000_NS6detail17trampoline_kernelINS0_14default_configENS1_27lower_bound_config_selectorIjlEEZNS1_14transform_implILb0ES3_S5_N6thrust23THRUST_200600_302600_NS6detail15normal_iteratorINS8_7pointerIjNS8_11hip_rocprim5par_tENS8_11use_defaultESE_EEEENSA_INSB_IlSD_SE_SE_EEEEZNS1_13binary_searchIS3_S5_PjSG_SI_NS1_21lower_bound_search_opENS9_16wrapped_functionINS8_6system6detail7generic6detail18binary_search_lessEbEEEE10hipError_tPvRmT1_T2_T3_mmT4_T5_P12ihipStream_tbEUlRKjE_EEST_SX_SY_mSZ_S12_bEUlT_E_NS1_11comp_targetILNS1_3genE4ELNS1_11target_archE910ELNS1_3gpuE8ELNS1_3repE0EEENS1_30default_config_static_selectorELNS0_4arch9wavefront6targetE1EEEvSW_.kd
    .uniform_work_group_size: 1
    .uses_dynamic_stack: false
    .vgpr_count:     0
    .vgpr_spill_count: 0
    .wavefront_size: 64
  - .args:
      - .offset:         0
        .size:           56
        .value_kind:     by_value
    .group_segment_fixed_size: 0
    .kernarg_segment_align: 8
    .kernarg_segment_size: 56
    .language:       OpenCL C
    .language_version:
      - 2
      - 0
    .max_flat_workgroup_size: 256
    .name:           _ZN7rocprim17ROCPRIM_400000_NS6detail17trampoline_kernelINS0_14default_configENS1_27lower_bound_config_selectorIjlEEZNS1_14transform_implILb0ES3_S5_N6thrust23THRUST_200600_302600_NS6detail15normal_iteratorINS8_7pointerIjNS8_11hip_rocprim5par_tENS8_11use_defaultESE_EEEENSA_INSB_IlSD_SE_SE_EEEEZNS1_13binary_searchIS3_S5_PjSG_SI_NS1_21lower_bound_search_opENS9_16wrapped_functionINS8_6system6detail7generic6detail18binary_search_lessEbEEEE10hipError_tPvRmT1_T2_T3_mmT4_T5_P12ihipStream_tbEUlRKjE_EEST_SX_SY_mSZ_S12_bEUlT_E_NS1_11comp_targetILNS1_3genE3ELNS1_11target_archE908ELNS1_3gpuE7ELNS1_3repE0EEENS1_30default_config_static_selectorELNS0_4arch9wavefront6targetE1EEEvSW_
    .private_segment_fixed_size: 0
    .sgpr_count:     4
    .sgpr_spill_count: 0
    .symbol:         _ZN7rocprim17ROCPRIM_400000_NS6detail17trampoline_kernelINS0_14default_configENS1_27lower_bound_config_selectorIjlEEZNS1_14transform_implILb0ES3_S5_N6thrust23THRUST_200600_302600_NS6detail15normal_iteratorINS8_7pointerIjNS8_11hip_rocprim5par_tENS8_11use_defaultESE_EEEENSA_INSB_IlSD_SE_SE_EEEEZNS1_13binary_searchIS3_S5_PjSG_SI_NS1_21lower_bound_search_opENS9_16wrapped_functionINS8_6system6detail7generic6detail18binary_search_lessEbEEEE10hipError_tPvRmT1_T2_T3_mmT4_T5_P12ihipStream_tbEUlRKjE_EEST_SX_SY_mSZ_S12_bEUlT_E_NS1_11comp_targetILNS1_3genE3ELNS1_11target_archE908ELNS1_3gpuE7ELNS1_3repE0EEENS1_30default_config_static_selectorELNS0_4arch9wavefront6targetE1EEEvSW_.kd
    .uniform_work_group_size: 1
    .uses_dynamic_stack: false
    .vgpr_count:     0
    .vgpr_spill_count: 0
    .wavefront_size: 64
  - .args:
      - .offset:         0
        .size:           56
        .value_kind:     by_value
      - .offset:         56
        .size:           4
        .value_kind:     hidden_block_count_x
      - .offset:         60
        .size:           4
        .value_kind:     hidden_block_count_y
      - .offset:         64
        .size:           4
        .value_kind:     hidden_block_count_z
      - .offset:         68
        .size:           2
        .value_kind:     hidden_group_size_x
      - .offset:         70
        .size:           2
        .value_kind:     hidden_group_size_y
      - .offset:         72
        .size:           2
        .value_kind:     hidden_group_size_z
      - .offset:         74
        .size:           2
        .value_kind:     hidden_remainder_x
      - .offset:         76
        .size:           2
        .value_kind:     hidden_remainder_y
      - .offset:         78
        .size:           2
        .value_kind:     hidden_remainder_z
      - .offset:         96
        .size:           8
        .value_kind:     hidden_global_offset_x
      - .offset:         104
        .size:           8
        .value_kind:     hidden_global_offset_y
      - .offset:         112
        .size:           8
        .value_kind:     hidden_global_offset_z
      - .offset:         120
        .size:           2
        .value_kind:     hidden_grid_dims
    .group_segment_fixed_size: 0
    .kernarg_segment_align: 8
    .kernarg_segment_size: 312
    .language:       OpenCL C
    .language_version:
      - 2
      - 0
    .max_flat_workgroup_size: 256
    .name:           _ZN7rocprim17ROCPRIM_400000_NS6detail17trampoline_kernelINS0_14default_configENS1_27lower_bound_config_selectorIjlEEZNS1_14transform_implILb0ES3_S5_N6thrust23THRUST_200600_302600_NS6detail15normal_iteratorINS8_7pointerIjNS8_11hip_rocprim5par_tENS8_11use_defaultESE_EEEENSA_INSB_IlSD_SE_SE_EEEEZNS1_13binary_searchIS3_S5_PjSG_SI_NS1_21lower_bound_search_opENS9_16wrapped_functionINS8_6system6detail7generic6detail18binary_search_lessEbEEEE10hipError_tPvRmT1_T2_T3_mmT4_T5_P12ihipStream_tbEUlRKjE_EEST_SX_SY_mSZ_S12_bEUlT_E_NS1_11comp_targetILNS1_3genE2ELNS1_11target_archE906ELNS1_3gpuE6ELNS1_3repE0EEENS1_30default_config_static_selectorELNS0_4arch9wavefront6targetE1EEEvSW_
    .private_segment_fixed_size: 0
    .sgpr_count:     24
    .sgpr_spill_count: 0
    .symbol:         _ZN7rocprim17ROCPRIM_400000_NS6detail17trampoline_kernelINS0_14default_configENS1_27lower_bound_config_selectorIjlEEZNS1_14transform_implILb0ES3_S5_N6thrust23THRUST_200600_302600_NS6detail15normal_iteratorINS8_7pointerIjNS8_11hip_rocprim5par_tENS8_11use_defaultESE_EEEENSA_INSB_IlSD_SE_SE_EEEEZNS1_13binary_searchIS3_S5_PjSG_SI_NS1_21lower_bound_search_opENS9_16wrapped_functionINS8_6system6detail7generic6detail18binary_search_lessEbEEEE10hipError_tPvRmT1_T2_T3_mmT4_T5_P12ihipStream_tbEUlRKjE_EEST_SX_SY_mSZ_S12_bEUlT_E_NS1_11comp_targetILNS1_3genE2ELNS1_11target_archE906ELNS1_3gpuE6ELNS1_3repE0EEENS1_30default_config_static_selectorELNS0_4arch9wavefront6targetE1EEEvSW_.kd
    .uniform_work_group_size: 1
    .uses_dynamic_stack: false
    .vgpr_count:     12
    .vgpr_spill_count: 0
    .wavefront_size: 64
  - .args:
      - .offset:         0
        .size:           56
        .value_kind:     by_value
    .group_segment_fixed_size: 0
    .kernarg_segment_align: 8
    .kernarg_segment_size: 56
    .language:       OpenCL C
    .language_version:
      - 2
      - 0
    .max_flat_workgroup_size: 128
    .name:           _ZN7rocprim17ROCPRIM_400000_NS6detail17trampoline_kernelINS0_14default_configENS1_27lower_bound_config_selectorIjlEEZNS1_14transform_implILb0ES3_S5_N6thrust23THRUST_200600_302600_NS6detail15normal_iteratorINS8_7pointerIjNS8_11hip_rocprim5par_tENS8_11use_defaultESE_EEEENSA_INSB_IlSD_SE_SE_EEEEZNS1_13binary_searchIS3_S5_PjSG_SI_NS1_21lower_bound_search_opENS9_16wrapped_functionINS8_6system6detail7generic6detail18binary_search_lessEbEEEE10hipError_tPvRmT1_T2_T3_mmT4_T5_P12ihipStream_tbEUlRKjE_EEST_SX_SY_mSZ_S12_bEUlT_E_NS1_11comp_targetILNS1_3genE10ELNS1_11target_archE1201ELNS1_3gpuE5ELNS1_3repE0EEENS1_30default_config_static_selectorELNS0_4arch9wavefront6targetE1EEEvSW_
    .private_segment_fixed_size: 0
    .sgpr_count:     4
    .sgpr_spill_count: 0
    .symbol:         _ZN7rocprim17ROCPRIM_400000_NS6detail17trampoline_kernelINS0_14default_configENS1_27lower_bound_config_selectorIjlEEZNS1_14transform_implILb0ES3_S5_N6thrust23THRUST_200600_302600_NS6detail15normal_iteratorINS8_7pointerIjNS8_11hip_rocprim5par_tENS8_11use_defaultESE_EEEENSA_INSB_IlSD_SE_SE_EEEEZNS1_13binary_searchIS3_S5_PjSG_SI_NS1_21lower_bound_search_opENS9_16wrapped_functionINS8_6system6detail7generic6detail18binary_search_lessEbEEEE10hipError_tPvRmT1_T2_T3_mmT4_T5_P12ihipStream_tbEUlRKjE_EEST_SX_SY_mSZ_S12_bEUlT_E_NS1_11comp_targetILNS1_3genE10ELNS1_11target_archE1201ELNS1_3gpuE5ELNS1_3repE0EEENS1_30default_config_static_selectorELNS0_4arch9wavefront6targetE1EEEvSW_.kd
    .uniform_work_group_size: 1
    .uses_dynamic_stack: false
    .vgpr_count:     0
    .vgpr_spill_count: 0
    .wavefront_size: 64
  - .args:
      - .offset:         0
        .size:           56
        .value_kind:     by_value
    .group_segment_fixed_size: 0
    .kernarg_segment_align: 8
    .kernarg_segment_size: 56
    .language:       OpenCL C
    .language_version:
      - 2
      - 0
    .max_flat_workgroup_size: 128
    .name:           _ZN7rocprim17ROCPRIM_400000_NS6detail17trampoline_kernelINS0_14default_configENS1_27lower_bound_config_selectorIjlEEZNS1_14transform_implILb0ES3_S5_N6thrust23THRUST_200600_302600_NS6detail15normal_iteratorINS8_7pointerIjNS8_11hip_rocprim5par_tENS8_11use_defaultESE_EEEENSA_INSB_IlSD_SE_SE_EEEEZNS1_13binary_searchIS3_S5_PjSG_SI_NS1_21lower_bound_search_opENS9_16wrapped_functionINS8_6system6detail7generic6detail18binary_search_lessEbEEEE10hipError_tPvRmT1_T2_T3_mmT4_T5_P12ihipStream_tbEUlRKjE_EEST_SX_SY_mSZ_S12_bEUlT_E_NS1_11comp_targetILNS1_3genE10ELNS1_11target_archE1200ELNS1_3gpuE4ELNS1_3repE0EEENS1_30default_config_static_selectorELNS0_4arch9wavefront6targetE1EEEvSW_
    .private_segment_fixed_size: 0
    .sgpr_count:     4
    .sgpr_spill_count: 0
    .symbol:         _ZN7rocprim17ROCPRIM_400000_NS6detail17trampoline_kernelINS0_14default_configENS1_27lower_bound_config_selectorIjlEEZNS1_14transform_implILb0ES3_S5_N6thrust23THRUST_200600_302600_NS6detail15normal_iteratorINS8_7pointerIjNS8_11hip_rocprim5par_tENS8_11use_defaultESE_EEEENSA_INSB_IlSD_SE_SE_EEEEZNS1_13binary_searchIS3_S5_PjSG_SI_NS1_21lower_bound_search_opENS9_16wrapped_functionINS8_6system6detail7generic6detail18binary_search_lessEbEEEE10hipError_tPvRmT1_T2_T3_mmT4_T5_P12ihipStream_tbEUlRKjE_EEST_SX_SY_mSZ_S12_bEUlT_E_NS1_11comp_targetILNS1_3genE10ELNS1_11target_archE1200ELNS1_3gpuE4ELNS1_3repE0EEENS1_30default_config_static_selectorELNS0_4arch9wavefront6targetE1EEEvSW_.kd
    .uniform_work_group_size: 1
    .uses_dynamic_stack: false
    .vgpr_count:     0
    .vgpr_spill_count: 0
    .wavefront_size: 64
  - .args:
      - .offset:         0
        .size:           56
        .value_kind:     by_value
    .group_segment_fixed_size: 0
    .kernarg_segment_align: 8
    .kernarg_segment_size: 56
    .language:       OpenCL C
    .language_version:
      - 2
      - 0
    .max_flat_workgroup_size: 256
    .name:           _ZN7rocprim17ROCPRIM_400000_NS6detail17trampoline_kernelINS0_14default_configENS1_27lower_bound_config_selectorIjlEEZNS1_14transform_implILb0ES3_S5_N6thrust23THRUST_200600_302600_NS6detail15normal_iteratorINS8_7pointerIjNS8_11hip_rocprim5par_tENS8_11use_defaultESE_EEEENSA_INSB_IlSD_SE_SE_EEEEZNS1_13binary_searchIS3_S5_PjSG_SI_NS1_21lower_bound_search_opENS9_16wrapped_functionINS8_6system6detail7generic6detail18binary_search_lessEbEEEE10hipError_tPvRmT1_T2_T3_mmT4_T5_P12ihipStream_tbEUlRKjE_EEST_SX_SY_mSZ_S12_bEUlT_E_NS1_11comp_targetILNS1_3genE9ELNS1_11target_archE1100ELNS1_3gpuE3ELNS1_3repE0EEENS1_30default_config_static_selectorELNS0_4arch9wavefront6targetE1EEEvSW_
    .private_segment_fixed_size: 0
    .sgpr_count:     4
    .sgpr_spill_count: 0
    .symbol:         _ZN7rocprim17ROCPRIM_400000_NS6detail17trampoline_kernelINS0_14default_configENS1_27lower_bound_config_selectorIjlEEZNS1_14transform_implILb0ES3_S5_N6thrust23THRUST_200600_302600_NS6detail15normal_iteratorINS8_7pointerIjNS8_11hip_rocprim5par_tENS8_11use_defaultESE_EEEENSA_INSB_IlSD_SE_SE_EEEEZNS1_13binary_searchIS3_S5_PjSG_SI_NS1_21lower_bound_search_opENS9_16wrapped_functionINS8_6system6detail7generic6detail18binary_search_lessEbEEEE10hipError_tPvRmT1_T2_T3_mmT4_T5_P12ihipStream_tbEUlRKjE_EEST_SX_SY_mSZ_S12_bEUlT_E_NS1_11comp_targetILNS1_3genE9ELNS1_11target_archE1100ELNS1_3gpuE3ELNS1_3repE0EEENS1_30default_config_static_selectorELNS0_4arch9wavefront6targetE1EEEvSW_.kd
    .uniform_work_group_size: 1
    .uses_dynamic_stack: false
    .vgpr_count:     0
    .vgpr_spill_count: 0
    .wavefront_size: 64
  - .args:
      - .offset:         0
        .size:           56
        .value_kind:     by_value
    .group_segment_fixed_size: 0
    .kernarg_segment_align: 8
    .kernarg_segment_size: 56
    .language:       OpenCL C
    .language_version:
      - 2
      - 0
    .max_flat_workgroup_size: 256
    .name:           _ZN7rocprim17ROCPRIM_400000_NS6detail17trampoline_kernelINS0_14default_configENS1_27lower_bound_config_selectorIjlEEZNS1_14transform_implILb0ES3_S5_N6thrust23THRUST_200600_302600_NS6detail15normal_iteratorINS8_7pointerIjNS8_11hip_rocprim5par_tENS8_11use_defaultESE_EEEENSA_INSB_IlSD_SE_SE_EEEEZNS1_13binary_searchIS3_S5_PjSG_SI_NS1_21lower_bound_search_opENS9_16wrapped_functionINS8_6system6detail7generic6detail18binary_search_lessEbEEEE10hipError_tPvRmT1_T2_T3_mmT4_T5_P12ihipStream_tbEUlRKjE_EEST_SX_SY_mSZ_S12_bEUlT_E_NS1_11comp_targetILNS1_3genE8ELNS1_11target_archE1030ELNS1_3gpuE2ELNS1_3repE0EEENS1_30default_config_static_selectorELNS0_4arch9wavefront6targetE1EEEvSW_
    .private_segment_fixed_size: 0
    .sgpr_count:     4
    .sgpr_spill_count: 0
    .symbol:         _ZN7rocprim17ROCPRIM_400000_NS6detail17trampoline_kernelINS0_14default_configENS1_27lower_bound_config_selectorIjlEEZNS1_14transform_implILb0ES3_S5_N6thrust23THRUST_200600_302600_NS6detail15normal_iteratorINS8_7pointerIjNS8_11hip_rocprim5par_tENS8_11use_defaultESE_EEEENSA_INSB_IlSD_SE_SE_EEEEZNS1_13binary_searchIS3_S5_PjSG_SI_NS1_21lower_bound_search_opENS9_16wrapped_functionINS8_6system6detail7generic6detail18binary_search_lessEbEEEE10hipError_tPvRmT1_T2_T3_mmT4_T5_P12ihipStream_tbEUlRKjE_EEST_SX_SY_mSZ_S12_bEUlT_E_NS1_11comp_targetILNS1_3genE8ELNS1_11target_archE1030ELNS1_3gpuE2ELNS1_3repE0EEENS1_30default_config_static_selectorELNS0_4arch9wavefront6targetE1EEEvSW_.kd
    .uniform_work_group_size: 1
    .uses_dynamic_stack: false
    .vgpr_count:     0
    .vgpr_spill_count: 0
    .wavefront_size: 64
  - .args:
      - .offset:         0
        .size:           16
        .value_kind:     by_value
      - .offset:         16
        .size:           8
        .value_kind:     by_value
      - .offset:         24
        .size:           8
        .value_kind:     by_value
    .group_segment_fixed_size: 0
    .kernarg_segment_align: 8
    .kernarg_segment_size: 32
    .language:       OpenCL C
    .language_version:
      - 2
      - 0
    .max_flat_workgroup_size: 256
    .name:           _ZN6thrust23THRUST_200600_302600_NS11hip_rocprim14__parallel_for6kernelILj256ENS1_20__uninitialized_fill7functorINS0_10device_ptrItEEtEEmLj1EEEvT0_T1_SA_
    .private_segment_fixed_size: 0
    .sgpr_count:     20
    .sgpr_spill_count: 0
    .symbol:         _ZN6thrust23THRUST_200600_302600_NS11hip_rocprim14__parallel_for6kernelILj256ENS1_20__uninitialized_fill7functorINS0_10device_ptrItEEtEEmLj1EEEvT0_T1_SA_.kd
    .uniform_work_group_size: 1
    .uses_dynamic_stack: false
    .vgpr_count:     4
    .vgpr_spill_count: 0
    .wavefront_size: 64
  - .args:
      - .offset:         0
        .size:           8
        .value_kind:     by_value
      - .address_space:  global
        .offset:         8
        .size:           8
        .value_kind:     global_buffer
      - .address_space:  global
        .offset:         16
        .size:           8
        .value_kind:     global_buffer
    .group_segment_fixed_size: 0
    .kernarg_segment_align: 8
    .kernarg_segment_size: 24
    .language:       OpenCL C
    .language_version:
      - 2
      - 0
    .max_flat_workgroup_size: 256
    .name:           _Z18lower_bound_kernelItEvmPT_Pl
    .private_segment_fixed_size: 0
    .sgpr_count:     21
    .sgpr_spill_count: 0
    .symbol:         _Z18lower_bound_kernelItEvmPT_Pl.kd
    .uniform_work_group_size: 1
    .uses_dynamic_stack: false
    .vgpr_count:     4
    .vgpr_spill_count: 0
    .wavefront_size: 64
  - .args:
      - .offset:         0
        .size:           56
        .value_kind:     by_value
    .group_segment_fixed_size: 0
    .kernarg_segment_align: 8
    .kernarg_segment_size: 56
    .language:       OpenCL C
    .language_version:
      - 2
      - 0
    .max_flat_workgroup_size: 256
    .name:           _ZN7rocprim17ROCPRIM_400000_NS6detail17trampoline_kernelINS0_14default_configENS1_27lower_bound_config_selectorItlEEZNS1_14transform_implILb0ES3_S5_N6thrust23THRUST_200600_302600_NS6detail15normal_iteratorINS8_7pointerItNS8_11hip_rocprim5par_tENS8_11use_defaultESE_EEEENSA_INSB_IlSD_SE_SE_EEEEZNS1_13binary_searchIS3_S5_PtSG_SI_NS1_21lower_bound_search_opENS9_16wrapped_functionI11custom_lessbEEEE10hipError_tPvRmT1_T2_T3_mmT4_T5_P12ihipStream_tbEUlRKtE_EESP_ST_SU_mSV_SY_bEUlT_E_NS1_11comp_targetILNS1_3genE0ELNS1_11target_archE4294967295ELNS1_3gpuE0ELNS1_3repE0EEENS1_30default_config_static_selectorELNS0_4arch9wavefront6targetE1EEEvSS_
    .private_segment_fixed_size: 0
    .sgpr_count:     4
    .sgpr_spill_count: 0
    .symbol:         _ZN7rocprim17ROCPRIM_400000_NS6detail17trampoline_kernelINS0_14default_configENS1_27lower_bound_config_selectorItlEEZNS1_14transform_implILb0ES3_S5_N6thrust23THRUST_200600_302600_NS6detail15normal_iteratorINS8_7pointerItNS8_11hip_rocprim5par_tENS8_11use_defaultESE_EEEENSA_INSB_IlSD_SE_SE_EEEEZNS1_13binary_searchIS3_S5_PtSG_SI_NS1_21lower_bound_search_opENS9_16wrapped_functionI11custom_lessbEEEE10hipError_tPvRmT1_T2_T3_mmT4_T5_P12ihipStream_tbEUlRKtE_EESP_ST_SU_mSV_SY_bEUlT_E_NS1_11comp_targetILNS1_3genE0ELNS1_11target_archE4294967295ELNS1_3gpuE0ELNS1_3repE0EEENS1_30default_config_static_selectorELNS0_4arch9wavefront6targetE1EEEvSS_.kd
    .uniform_work_group_size: 1
    .uses_dynamic_stack: false
    .vgpr_count:     0
    .vgpr_spill_count: 0
    .wavefront_size: 64
  - .args:
      - .offset:         0
        .size:           56
        .value_kind:     by_value
    .group_segment_fixed_size: 0
    .kernarg_segment_align: 8
    .kernarg_segment_size: 56
    .language:       OpenCL C
    .language_version:
      - 2
      - 0
    .max_flat_workgroup_size: 256
    .name:           _ZN7rocprim17ROCPRIM_400000_NS6detail17trampoline_kernelINS0_14default_configENS1_27lower_bound_config_selectorItlEEZNS1_14transform_implILb0ES3_S5_N6thrust23THRUST_200600_302600_NS6detail15normal_iteratorINS8_7pointerItNS8_11hip_rocprim5par_tENS8_11use_defaultESE_EEEENSA_INSB_IlSD_SE_SE_EEEEZNS1_13binary_searchIS3_S5_PtSG_SI_NS1_21lower_bound_search_opENS9_16wrapped_functionI11custom_lessbEEEE10hipError_tPvRmT1_T2_T3_mmT4_T5_P12ihipStream_tbEUlRKtE_EESP_ST_SU_mSV_SY_bEUlT_E_NS1_11comp_targetILNS1_3genE5ELNS1_11target_archE942ELNS1_3gpuE9ELNS1_3repE0EEENS1_30default_config_static_selectorELNS0_4arch9wavefront6targetE1EEEvSS_
    .private_segment_fixed_size: 0
    .sgpr_count:     4
    .sgpr_spill_count: 0
    .symbol:         _ZN7rocprim17ROCPRIM_400000_NS6detail17trampoline_kernelINS0_14default_configENS1_27lower_bound_config_selectorItlEEZNS1_14transform_implILb0ES3_S5_N6thrust23THRUST_200600_302600_NS6detail15normal_iteratorINS8_7pointerItNS8_11hip_rocprim5par_tENS8_11use_defaultESE_EEEENSA_INSB_IlSD_SE_SE_EEEEZNS1_13binary_searchIS3_S5_PtSG_SI_NS1_21lower_bound_search_opENS9_16wrapped_functionI11custom_lessbEEEE10hipError_tPvRmT1_T2_T3_mmT4_T5_P12ihipStream_tbEUlRKtE_EESP_ST_SU_mSV_SY_bEUlT_E_NS1_11comp_targetILNS1_3genE5ELNS1_11target_archE942ELNS1_3gpuE9ELNS1_3repE0EEENS1_30default_config_static_selectorELNS0_4arch9wavefront6targetE1EEEvSS_.kd
    .uniform_work_group_size: 1
    .uses_dynamic_stack: false
    .vgpr_count:     0
    .vgpr_spill_count: 0
    .wavefront_size: 64
  - .args:
      - .offset:         0
        .size:           56
        .value_kind:     by_value
    .group_segment_fixed_size: 0
    .kernarg_segment_align: 8
    .kernarg_segment_size: 56
    .language:       OpenCL C
    .language_version:
      - 2
      - 0
    .max_flat_workgroup_size: 256
    .name:           _ZN7rocprim17ROCPRIM_400000_NS6detail17trampoline_kernelINS0_14default_configENS1_27lower_bound_config_selectorItlEEZNS1_14transform_implILb0ES3_S5_N6thrust23THRUST_200600_302600_NS6detail15normal_iteratorINS8_7pointerItNS8_11hip_rocprim5par_tENS8_11use_defaultESE_EEEENSA_INSB_IlSD_SE_SE_EEEEZNS1_13binary_searchIS3_S5_PtSG_SI_NS1_21lower_bound_search_opENS9_16wrapped_functionI11custom_lessbEEEE10hipError_tPvRmT1_T2_T3_mmT4_T5_P12ihipStream_tbEUlRKtE_EESP_ST_SU_mSV_SY_bEUlT_E_NS1_11comp_targetILNS1_3genE4ELNS1_11target_archE910ELNS1_3gpuE8ELNS1_3repE0EEENS1_30default_config_static_selectorELNS0_4arch9wavefront6targetE1EEEvSS_
    .private_segment_fixed_size: 0
    .sgpr_count:     4
    .sgpr_spill_count: 0
    .symbol:         _ZN7rocprim17ROCPRIM_400000_NS6detail17trampoline_kernelINS0_14default_configENS1_27lower_bound_config_selectorItlEEZNS1_14transform_implILb0ES3_S5_N6thrust23THRUST_200600_302600_NS6detail15normal_iteratorINS8_7pointerItNS8_11hip_rocprim5par_tENS8_11use_defaultESE_EEEENSA_INSB_IlSD_SE_SE_EEEEZNS1_13binary_searchIS3_S5_PtSG_SI_NS1_21lower_bound_search_opENS9_16wrapped_functionI11custom_lessbEEEE10hipError_tPvRmT1_T2_T3_mmT4_T5_P12ihipStream_tbEUlRKtE_EESP_ST_SU_mSV_SY_bEUlT_E_NS1_11comp_targetILNS1_3genE4ELNS1_11target_archE910ELNS1_3gpuE8ELNS1_3repE0EEENS1_30default_config_static_selectorELNS0_4arch9wavefront6targetE1EEEvSS_.kd
    .uniform_work_group_size: 1
    .uses_dynamic_stack: false
    .vgpr_count:     0
    .vgpr_spill_count: 0
    .wavefront_size: 64
  - .args:
      - .offset:         0
        .size:           56
        .value_kind:     by_value
    .group_segment_fixed_size: 0
    .kernarg_segment_align: 8
    .kernarg_segment_size: 56
    .language:       OpenCL C
    .language_version:
      - 2
      - 0
    .max_flat_workgroup_size: 256
    .name:           _ZN7rocprim17ROCPRIM_400000_NS6detail17trampoline_kernelINS0_14default_configENS1_27lower_bound_config_selectorItlEEZNS1_14transform_implILb0ES3_S5_N6thrust23THRUST_200600_302600_NS6detail15normal_iteratorINS8_7pointerItNS8_11hip_rocprim5par_tENS8_11use_defaultESE_EEEENSA_INSB_IlSD_SE_SE_EEEEZNS1_13binary_searchIS3_S5_PtSG_SI_NS1_21lower_bound_search_opENS9_16wrapped_functionI11custom_lessbEEEE10hipError_tPvRmT1_T2_T3_mmT4_T5_P12ihipStream_tbEUlRKtE_EESP_ST_SU_mSV_SY_bEUlT_E_NS1_11comp_targetILNS1_3genE3ELNS1_11target_archE908ELNS1_3gpuE7ELNS1_3repE0EEENS1_30default_config_static_selectorELNS0_4arch9wavefront6targetE1EEEvSS_
    .private_segment_fixed_size: 0
    .sgpr_count:     4
    .sgpr_spill_count: 0
    .symbol:         _ZN7rocprim17ROCPRIM_400000_NS6detail17trampoline_kernelINS0_14default_configENS1_27lower_bound_config_selectorItlEEZNS1_14transform_implILb0ES3_S5_N6thrust23THRUST_200600_302600_NS6detail15normal_iteratorINS8_7pointerItNS8_11hip_rocprim5par_tENS8_11use_defaultESE_EEEENSA_INSB_IlSD_SE_SE_EEEEZNS1_13binary_searchIS3_S5_PtSG_SI_NS1_21lower_bound_search_opENS9_16wrapped_functionI11custom_lessbEEEE10hipError_tPvRmT1_T2_T3_mmT4_T5_P12ihipStream_tbEUlRKtE_EESP_ST_SU_mSV_SY_bEUlT_E_NS1_11comp_targetILNS1_3genE3ELNS1_11target_archE908ELNS1_3gpuE7ELNS1_3repE0EEENS1_30default_config_static_selectorELNS0_4arch9wavefront6targetE1EEEvSS_.kd
    .uniform_work_group_size: 1
    .uses_dynamic_stack: false
    .vgpr_count:     0
    .vgpr_spill_count: 0
    .wavefront_size: 64
  - .args:
      - .offset:         0
        .size:           56
        .value_kind:     by_value
      - .offset:         56
        .size:           4
        .value_kind:     hidden_block_count_x
      - .offset:         60
        .size:           4
        .value_kind:     hidden_block_count_y
      - .offset:         64
        .size:           4
        .value_kind:     hidden_block_count_z
      - .offset:         68
        .size:           2
        .value_kind:     hidden_group_size_x
      - .offset:         70
        .size:           2
        .value_kind:     hidden_group_size_y
      - .offset:         72
        .size:           2
        .value_kind:     hidden_group_size_z
      - .offset:         74
        .size:           2
        .value_kind:     hidden_remainder_x
      - .offset:         76
        .size:           2
        .value_kind:     hidden_remainder_y
      - .offset:         78
        .size:           2
        .value_kind:     hidden_remainder_z
      - .offset:         96
        .size:           8
        .value_kind:     hidden_global_offset_x
      - .offset:         104
        .size:           8
        .value_kind:     hidden_global_offset_y
      - .offset:         112
        .size:           8
        .value_kind:     hidden_global_offset_z
      - .offset:         120
        .size:           2
        .value_kind:     hidden_grid_dims
    .group_segment_fixed_size: 0
    .kernarg_segment_align: 8
    .kernarg_segment_size: 312
    .language:       OpenCL C
    .language_version:
      - 2
      - 0
    .max_flat_workgroup_size: 256
    .name:           _ZN7rocprim17ROCPRIM_400000_NS6detail17trampoline_kernelINS0_14default_configENS1_27lower_bound_config_selectorItlEEZNS1_14transform_implILb0ES3_S5_N6thrust23THRUST_200600_302600_NS6detail15normal_iteratorINS8_7pointerItNS8_11hip_rocprim5par_tENS8_11use_defaultESE_EEEENSA_INSB_IlSD_SE_SE_EEEEZNS1_13binary_searchIS3_S5_PtSG_SI_NS1_21lower_bound_search_opENS9_16wrapped_functionI11custom_lessbEEEE10hipError_tPvRmT1_T2_T3_mmT4_T5_P12ihipStream_tbEUlRKtE_EESP_ST_SU_mSV_SY_bEUlT_E_NS1_11comp_targetILNS1_3genE2ELNS1_11target_archE906ELNS1_3gpuE6ELNS1_3repE0EEENS1_30default_config_static_selectorELNS0_4arch9wavefront6targetE1EEEvSS_
    .private_segment_fixed_size: 0
    .sgpr_count:     26
    .sgpr_spill_count: 0
    .symbol:         _ZN7rocprim17ROCPRIM_400000_NS6detail17trampoline_kernelINS0_14default_configENS1_27lower_bound_config_selectorItlEEZNS1_14transform_implILb0ES3_S5_N6thrust23THRUST_200600_302600_NS6detail15normal_iteratorINS8_7pointerItNS8_11hip_rocprim5par_tENS8_11use_defaultESE_EEEENSA_INSB_IlSD_SE_SE_EEEEZNS1_13binary_searchIS3_S5_PtSG_SI_NS1_21lower_bound_search_opENS9_16wrapped_functionI11custom_lessbEEEE10hipError_tPvRmT1_T2_T3_mmT4_T5_P12ihipStream_tbEUlRKtE_EESP_ST_SU_mSV_SY_bEUlT_E_NS1_11comp_targetILNS1_3genE2ELNS1_11target_archE906ELNS1_3gpuE6ELNS1_3repE0EEENS1_30default_config_static_selectorELNS0_4arch9wavefront6targetE1EEEvSS_.kd
    .uniform_work_group_size: 1
    .uses_dynamic_stack: false
    .vgpr_count:     18
    .vgpr_spill_count: 0
    .wavefront_size: 64
  - .args:
      - .offset:         0
        .size:           56
        .value_kind:     by_value
    .group_segment_fixed_size: 0
    .kernarg_segment_align: 8
    .kernarg_segment_size: 56
    .language:       OpenCL C
    .language_version:
      - 2
      - 0
    .max_flat_workgroup_size: 256
    .name:           _ZN7rocprim17ROCPRIM_400000_NS6detail17trampoline_kernelINS0_14default_configENS1_27lower_bound_config_selectorItlEEZNS1_14transform_implILb0ES3_S5_N6thrust23THRUST_200600_302600_NS6detail15normal_iteratorINS8_7pointerItNS8_11hip_rocprim5par_tENS8_11use_defaultESE_EEEENSA_INSB_IlSD_SE_SE_EEEEZNS1_13binary_searchIS3_S5_PtSG_SI_NS1_21lower_bound_search_opENS9_16wrapped_functionI11custom_lessbEEEE10hipError_tPvRmT1_T2_T3_mmT4_T5_P12ihipStream_tbEUlRKtE_EESP_ST_SU_mSV_SY_bEUlT_E_NS1_11comp_targetILNS1_3genE10ELNS1_11target_archE1201ELNS1_3gpuE5ELNS1_3repE0EEENS1_30default_config_static_selectorELNS0_4arch9wavefront6targetE1EEEvSS_
    .private_segment_fixed_size: 0
    .sgpr_count:     4
    .sgpr_spill_count: 0
    .symbol:         _ZN7rocprim17ROCPRIM_400000_NS6detail17trampoline_kernelINS0_14default_configENS1_27lower_bound_config_selectorItlEEZNS1_14transform_implILb0ES3_S5_N6thrust23THRUST_200600_302600_NS6detail15normal_iteratorINS8_7pointerItNS8_11hip_rocprim5par_tENS8_11use_defaultESE_EEEENSA_INSB_IlSD_SE_SE_EEEEZNS1_13binary_searchIS3_S5_PtSG_SI_NS1_21lower_bound_search_opENS9_16wrapped_functionI11custom_lessbEEEE10hipError_tPvRmT1_T2_T3_mmT4_T5_P12ihipStream_tbEUlRKtE_EESP_ST_SU_mSV_SY_bEUlT_E_NS1_11comp_targetILNS1_3genE10ELNS1_11target_archE1201ELNS1_3gpuE5ELNS1_3repE0EEENS1_30default_config_static_selectorELNS0_4arch9wavefront6targetE1EEEvSS_.kd
    .uniform_work_group_size: 1
    .uses_dynamic_stack: false
    .vgpr_count:     0
    .vgpr_spill_count: 0
    .wavefront_size: 64
  - .args:
      - .offset:         0
        .size:           56
        .value_kind:     by_value
    .group_segment_fixed_size: 0
    .kernarg_segment_align: 8
    .kernarg_segment_size: 56
    .language:       OpenCL C
    .language_version:
      - 2
      - 0
    .max_flat_workgroup_size: 256
    .name:           _ZN7rocprim17ROCPRIM_400000_NS6detail17trampoline_kernelINS0_14default_configENS1_27lower_bound_config_selectorItlEEZNS1_14transform_implILb0ES3_S5_N6thrust23THRUST_200600_302600_NS6detail15normal_iteratorINS8_7pointerItNS8_11hip_rocprim5par_tENS8_11use_defaultESE_EEEENSA_INSB_IlSD_SE_SE_EEEEZNS1_13binary_searchIS3_S5_PtSG_SI_NS1_21lower_bound_search_opENS9_16wrapped_functionI11custom_lessbEEEE10hipError_tPvRmT1_T2_T3_mmT4_T5_P12ihipStream_tbEUlRKtE_EESP_ST_SU_mSV_SY_bEUlT_E_NS1_11comp_targetILNS1_3genE10ELNS1_11target_archE1200ELNS1_3gpuE4ELNS1_3repE0EEENS1_30default_config_static_selectorELNS0_4arch9wavefront6targetE1EEEvSS_
    .private_segment_fixed_size: 0
    .sgpr_count:     4
    .sgpr_spill_count: 0
    .symbol:         _ZN7rocprim17ROCPRIM_400000_NS6detail17trampoline_kernelINS0_14default_configENS1_27lower_bound_config_selectorItlEEZNS1_14transform_implILb0ES3_S5_N6thrust23THRUST_200600_302600_NS6detail15normal_iteratorINS8_7pointerItNS8_11hip_rocprim5par_tENS8_11use_defaultESE_EEEENSA_INSB_IlSD_SE_SE_EEEEZNS1_13binary_searchIS3_S5_PtSG_SI_NS1_21lower_bound_search_opENS9_16wrapped_functionI11custom_lessbEEEE10hipError_tPvRmT1_T2_T3_mmT4_T5_P12ihipStream_tbEUlRKtE_EESP_ST_SU_mSV_SY_bEUlT_E_NS1_11comp_targetILNS1_3genE10ELNS1_11target_archE1200ELNS1_3gpuE4ELNS1_3repE0EEENS1_30default_config_static_selectorELNS0_4arch9wavefront6targetE1EEEvSS_.kd
    .uniform_work_group_size: 1
    .uses_dynamic_stack: false
    .vgpr_count:     0
    .vgpr_spill_count: 0
    .wavefront_size: 64
  - .args:
      - .offset:         0
        .size:           56
        .value_kind:     by_value
    .group_segment_fixed_size: 0
    .kernarg_segment_align: 8
    .kernarg_segment_size: 56
    .language:       OpenCL C
    .language_version:
      - 2
      - 0
    .max_flat_workgroup_size: 64
    .name:           _ZN7rocprim17ROCPRIM_400000_NS6detail17trampoline_kernelINS0_14default_configENS1_27lower_bound_config_selectorItlEEZNS1_14transform_implILb0ES3_S5_N6thrust23THRUST_200600_302600_NS6detail15normal_iteratorINS8_7pointerItNS8_11hip_rocprim5par_tENS8_11use_defaultESE_EEEENSA_INSB_IlSD_SE_SE_EEEEZNS1_13binary_searchIS3_S5_PtSG_SI_NS1_21lower_bound_search_opENS9_16wrapped_functionI11custom_lessbEEEE10hipError_tPvRmT1_T2_T3_mmT4_T5_P12ihipStream_tbEUlRKtE_EESP_ST_SU_mSV_SY_bEUlT_E_NS1_11comp_targetILNS1_3genE9ELNS1_11target_archE1100ELNS1_3gpuE3ELNS1_3repE0EEENS1_30default_config_static_selectorELNS0_4arch9wavefront6targetE1EEEvSS_
    .private_segment_fixed_size: 0
    .sgpr_count:     4
    .sgpr_spill_count: 0
    .symbol:         _ZN7rocprim17ROCPRIM_400000_NS6detail17trampoline_kernelINS0_14default_configENS1_27lower_bound_config_selectorItlEEZNS1_14transform_implILb0ES3_S5_N6thrust23THRUST_200600_302600_NS6detail15normal_iteratorINS8_7pointerItNS8_11hip_rocprim5par_tENS8_11use_defaultESE_EEEENSA_INSB_IlSD_SE_SE_EEEEZNS1_13binary_searchIS3_S5_PtSG_SI_NS1_21lower_bound_search_opENS9_16wrapped_functionI11custom_lessbEEEE10hipError_tPvRmT1_T2_T3_mmT4_T5_P12ihipStream_tbEUlRKtE_EESP_ST_SU_mSV_SY_bEUlT_E_NS1_11comp_targetILNS1_3genE9ELNS1_11target_archE1100ELNS1_3gpuE3ELNS1_3repE0EEENS1_30default_config_static_selectorELNS0_4arch9wavefront6targetE1EEEvSS_.kd
    .uniform_work_group_size: 1
    .uses_dynamic_stack: false
    .vgpr_count:     0
    .vgpr_spill_count: 0
    .wavefront_size: 64
  - .args:
      - .offset:         0
        .size:           56
        .value_kind:     by_value
    .group_segment_fixed_size: 0
    .kernarg_segment_align: 8
    .kernarg_segment_size: 56
    .language:       OpenCL C
    .language_version:
      - 2
      - 0
    .max_flat_workgroup_size: 128
    .name:           _ZN7rocprim17ROCPRIM_400000_NS6detail17trampoline_kernelINS0_14default_configENS1_27lower_bound_config_selectorItlEEZNS1_14transform_implILb0ES3_S5_N6thrust23THRUST_200600_302600_NS6detail15normal_iteratorINS8_7pointerItNS8_11hip_rocprim5par_tENS8_11use_defaultESE_EEEENSA_INSB_IlSD_SE_SE_EEEEZNS1_13binary_searchIS3_S5_PtSG_SI_NS1_21lower_bound_search_opENS9_16wrapped_functionI11custom_lessbEEEE10hipError_tPvRmT1_T2_T3_mmT4_T5_P12ihipStream_tbEUlRKtE_EESP_ST_SU_mSV_SY_bEUlT_E_NS1_11comp_targetILNS1_3genE8ELNS1_11target_archE1030ELNS1_3gpuE2ELNS1_3repE0EEENS1_30default_config_static_selectorELNS0_4arch9wavefront6targetE1EEEvSS_
    .private_segment_fixed_size: 0
    .sgpr_count:     4
    .sgpr_spill_count: 0
    .symbol:         _ZN7rocprim17ROCPRIM_400000_NS6detail17trampoline_kernelINS0_14default_configENS1_27lower_bound_config_selectorItlEEZNS1_14transform_implILb0ES3_S5_N6thrust23THRUST_200600_302600_NS6detail15normal_iteratorINS8_7pointerItNS8_11hip_rocprim5par_tENS8_11use_defaultESE_EEEENSA_INSB_IlSD_SE_SE_EEEEZNS1_13binary_searchIS3_S5_PtSG_SI_NS1_21lower_bound_search_opENS9_16wrapped_functionI11custom_lessbEEEE10hipError_tPvRmT1_T2_T3_mmT4_T5_P12ihipStream_tbEUlRKtE_EESP_ST_SU_mSV_SY_bEUlT_E_NS1_11comp_targetILNS1_3genE8ELNS1_11target_archE1030ELNS1_3gpuE2ELNS1_3repE0EEENS1_30default_config_static_selectorELNS0_4arch9wavefront6targetE1EEEvSS_.kd
    .uniform_work_group_size: 1
    .uses_dynamic_stack: false
    .vgpr_count:     0
    .vgpr_spill_count: 0
    .wavefront_size: 64
  - .args:
      - .offset:         0
        .size:           56
        .value_kind:     by_value
    .group_segment_fixed_size: 0
    .kernarg_segment_align: 8
    .kernarg_segment_size: 56
    .language:       OpenCL C
    .language_version:
      - 2
      - 0
    .max_flat_workgroup_size: 256
    .name:           _ZN7rocprim17ROCPRIM_400000_NS6detail17trampoline_kernelINS0_14default_configENS1_27lower_bound_config_selectorItlEEZNS1_14transform_implILb0ES3_S5_N6thrust23THRUST_200600_302600_NS6detail15normal_iteratorINS8_7pointerItNS8_11hip_rocprim5par_tENS8_11use_defaultESE_EEEENSA_INSB_IlSD_SE_SE_EEEEZNS1_13binary_searchIS3_S5_PtSG_SI_NS1_21lower_bound_search_opENS9_16wrapped_functionINS8_6system6detail7generic6detail18binary_search_lessEbEEEE10hipError_tPvRmT1_T2_T3_mmT4_T5_P12ihipStream_tbEUlRKtE_EEST_SX_SY_mSZ_S12_bEUlT_E_NS1_11comp_targetILNS1_3genE0ELNS1_11target_archE4294967295ELNS1_3gpuE0ELNS1_3repE0EEENS1_30default_config_static_selectorELNS0_4arch9wavefront6targetE1EEEvSW_
    .private_segment_fixed_size: 0
    .sgpr_count:     4
    .sgpr_spill_count: 0
    .symbol:         _ZN7rocprim17ROCPRIM_400000_NS6detail17trampoline_kernelINS0_14default_configENS1_27lower_bound_config_selectorItlEEZNS1_14transform_implILb0ES3_S5_N6thrust23THRUST_200600_302600_NS6detail15normal_iteratorINS8_7pointerItNS8_11hip_rocprim5par_tENS8_11use_defaultESE_EEEENSA_INSB_IlSD_SE_SE_EEEEZNS1_13binary_searchIS3_S5_PtSG_SI_NS1_21lower_bound_search_opENS9_16wrapped_functionINS8_6system6detail7generic6detail18binary_search_lessEbEEEE10hipError_tPvRmT1_T2_T3_mmT4_T5_P12ihipStream_tbEUlRKtE_EEST_SX_SY_mSZ_S12_bEUlT_E_NS1_11comp_targetILNS1_3genE0ELNS1_11target_archE4294967295ELNS1_3gpuE0ELNS1_3repE0EEENS1_30default_config_static_selectorELNS0_4arch9wavefront6targetE1EEEvSW_.kd
    .uniform_work_group_size: 1
    .uses_dynamic_stack: false
    .vgpr_count:     0
    .vgpr_spill_count: 0
    .wavefront_size: 64
  - .args:
      - .offset:         0
        .size:           56
        .value_kind:     by_value
    .group_segment_fixed_size: 0
    .kernarg_segment_align: 8
    .kernarg_segment_size: 56
    .language:       OpenCL C
    .language_version:
      - 2
      - 0
    .max_flat_workgroup_size: 256
    .name:           _ZN7rocprim17ROCPRIM_400000_NS6detail17trampoline_kernelINS0_14default_configENS1_27lower_bound_config_selectorItlEEZNS1_14transform_implILb0ES3_S5_N6thrust23THRUST_200600_302600_NS6detail15normal_iteratorINS8_7pointerItNS8_11hip_rocprim5par_tENS8_11use_defaultESE_EEEENSA_INSB_IlSD_SE_SE_EEEEZNS1_13binary_searchIS3_S5_PtSG_SI_NS1_21lower_bound_search_opENS9_16wrapped_functionINS8_6system6detail7generic6detail18binary_search_lessEbEEEE10hipError_tPvRmT1_T2_T3_mmT4_T5_P12ihipStream_tbEUlRKtE_EEST_SX_SY_mSZ_S12_bEUlT_E_NS1_11comp_targetILNS1_3genE5ELNS1_11target_archE942ELNS1_3gpuE9ELNS1_3repE0EEENS1_30default_config_static_selectorELNS0_4arch9wavefront6targetE1EEEvSW_
    .private_segment_fixed_size: 0
    .sgpr_count:     4
    .sgpr_spill_count: 0
    .symbol:         _ZN7rocprim17ROCPRIM_400000_NS6detail17trampoline_kernelINS0_14default_configENS1_27lower_bound_config_selectorItlEEZNS1_14transform_implILb0ES3_S5_N6thrust23THRUST_200600_302600_NS6detail15normal_iteratorINS8_7pointerItNS8_11hip_rocprim5par_tENS8_11use_defaultESE_EEEENSA_INSB_IlSD_SE_SE_EEEEZNS1_13binary_searchIS3_S5_PtSG_SI_NS1_21lower_bound_search_opENS9_16wrapped_functionINS8_6system6detail7generic6detail18binary_search_lessEbEEEE10hipError_tPvRmT1_T2_T3_mmT4_T5_P12ihipStream_tbEUlRKtE_EEST_SX_SY_mSZ_S12_bEUlT_E_NS1_11comp_targetILNS1_3genE5ELNS1_11target_archE942ELNS1_3gpuE9ELNS1_3repE0EEENS1_30default_config_static_selectorELNS0_4arch9wavefront6targetE1EEEvSW_.kd
    .uniform_work_group_size: 1
    .uses_dynamic_stack: false
    .vgpr_count:     0
    .vgpr_spill_count: 0
    .wavefront_size: 64
  - .args:
      - .offset:         0
        .size:           56
        .value_kind:     by_value
    .group_segment_fixed_size: 0
    .kernarg_segment_align: 8
    .kernarg_segment_size: 56
    .language:       OpenCL C
    .language_version:
      - 2
      - 0
    .max_flat_workgroup_size: 256
    .name:           _ZN7rocprim17ROCPRIM_400000_NS6detail17trampoline_kernelINS0_14default_configENS1_27lower_bound_config_selectorItlEEZNS1_14transform_implILb0ES3_S5_N6thrust23THRUST_200600_302600_NS6detail15normal_iteratorINS8_7pointerItNS8_11hip_rocprim5par_tENS8_11use_defaultESE_EEEENSA_INSB_IlSD_SE_SE_EEEEZNS1_13binary_searchIS3_S5_PtSG_SI_NS1_21lower_bound_search_opENS9_16wrapped_functionINS8_6system6detail7generic6detail18binary_search_lessEbEEEE10hipError_tPvRmT1_T2_T3_mmT4_T5_P12ihipStream_tbEUlRKtE_EEST_SX_SY_mSZ_S12_bEUlT_E_NS1_11comp_targetILNS1_3genE4ELNS1_11target_archE910ELNS1_3gpuE8ELNS1_3repE0EEENS1_30default_config_static_selectorELNS0_4arch9wavefront6targetE1EEEvSW_
    .private_segment_fixed_size: 0
    .sgpr_count:     4
    .sgpr_spill_count: 0
    .symbol:         _ZN7rocprim17ROCPRIM_400000_NS6detail17trampoline_kernelINS0_14default_configENS1_27lower_bound_config_selectorItlEEZNS1_14transform_implILb0ES3_S5_N6thrust23THRUST_200600_302600_NS6detail15normal_iteratorINS8_7pointerItNS8_11hip_rocprim5par_tENS8_11use_defaultESE_EEEENSA_INSB_IlSD_SE_SE_EEEEZNS1_13binary_searchIS3_S5_PtSG_SI_NS1_21lower_bound_search_opENS9_16wrapped_functionINS8_6system6detail7generic6detail18binary_search_lessEbEEEE10hipError_tPvRmT1_T2_T3_mmT4_T5_P12ihipStream_tbEUlRKtE_EEST_SX_SY_mSZ_S12_bEUlT_E_NS1_11comp_targetILNS1_3genE4ELNS1_11target_archE910ELNS1_3gpuE8ELNS1_3repE0EEENS1_30default_config_static_selectorELNS0_4arch9wavefront6targetE1EEEvSW_.kd
    .uniform_work_group_size: 1
    .uses_dynamic_stack: false
    .vgpr_count:     0
    .vgpr_spill_count: 0
    .wavefront_size: 64
  - .args:
      - .offset:         0
        .size:           56
        .value_kind:     by_value
    .group_segment_fixed_size: 0
    .kernarg_segment_align: 8
    .kernarg_segment_size: 56
    .language:       OpenCL C
    .language_version:
      - 2
      - 0
    .max_flat_workgroup_size: 256
    .name:           _ZN7rocprim17ROCPRIM_400000_NS6detail17trampoline_kernelINS0_14default_configENS1_27lower_bound_config_selectorItlEEZNS1_14transform_implILb0ES3_S5_N6thrust23THRUST_200600_302600_NS6detail15normal_iteratorINS8_7pointerItNS8_11hip_rocprim5par_tENS8_11use_defaultESE_EEEENSA_INSB_IlSD_SE_SE_EEEEZNS1_13binary_searchIS3_S5_PtSG_SI_NS1_21lower_bound_search_opENS9_16wrapped_functionINS8_6system6detail7generic6detail18binary_search_lessEbEEEE10hipError_tPvRmT1_T2_T3_mmT4_T5_P12ihipStream_tbEUlRKtE_EEST_SX_SY_mSZ_S12_bEUlT_E_NS1_11comp_targetILNS1_3genE3ELNS1_11target_archE908ELNS1_3gpuE7ELNS1_3repE0EEENS1_30default_config_static_selectorELNS0_4arch9wavefront6targetE1EEEvSW_
    .private_segment_fixed_size: 0
    .sgpr_count:     4
    .sgpr_spill_count: 0
    .symbol:         _ZN7rocprim17ROCPRIM_400000_NS6detail17trampoline_kernelINS0_14default_configENS1_27lower_bound_config_selectorItlEEZNS1_14transform_implILb0ES3_S5_N6thrust23THRUST_200600_302600_NS6detail15normal_iteratorINS8_7pointerItNS8_11hip_rocprim5par_tENS8_11use_defaultESE_EEEENSA_INSB_IlSD_SE_SE_EEEEZNS1_13binary_searchIS3_S5_PtSG_SI_NS1_21lower_bound_search_opENS9_16wrapped_functionINS8_6system6detail7generic6detail18binary_search_lessEbEEEE10hipError_tPvRmT1_T2_T3_mmT4_T5_P12ihipStream_tbEUlRKtE_EEST_SX_SY_mSZ_S12_bEUlT_E_NS1_11comp_targetILNS1_3genE3ELNS1_11target_archE908ELNS1_3gpuE7ELNS1_3repE0EEENS1_30default_config_static_selectorELNS0_4arch9wavefront6targetE1EEEvSW_.kd
    .uniform_work_group_size: 1
    .uses_dynamic_stack: false
    .vgpr_count:     0
    .vgpr_spill_count: 0
    .wavefront_size: 64
  - .args:
      - .offset:         0
        .size:           56
        .value_kind:     by_value
      - .offset:         56
        .size:           4
        .value_kind:     hidden_block_count_x
      - .offset:         60
        .size:           4
        .value_kind:     hidden_block_count_y
      - .offset:         64
        .size:           4
        .value_kind:     hidden_block_count_z
      - .offset:         68
        .size:           2
        .value_kind:     hidden_group_size_x
      - .offset:         70
        .size:           2
        .value_kind:     hidden_group_size_y
      - .offset:         72
        .size:           2
        .value_kind:     hidden_group_size_z
      - .offset:         74
        .size:           2
        .value_kind:     hidden_remainder_x
      - .offset:         76
        .size:           2
        .value_kind:     hidden_remainder_y
      - .offset:         78
        .size:           2
        .value_kind:     hidden_remainder_z
      - .offset:         96
        .size:           8
        .value_kind:     hidden_global_offset_x
      - .offset:         104
        .size:           8
        .value_kind:     hidden_global_offset_y
      - .offset:         112
        .size:           8
        .value_kind:     hidden_global_offset_z
      - .offset:         120
        .size:           2
        .value_kind:     hidden_grid_dims
    .group_segment_fixed_size: 0
    .kernarg_segment_align: 8
    .kernarg_segment_size: 312
    .language:       OpenCL C
    .language_version:
      - 2
      - 0
    .max_flat_workgroup_size: 256
    .name:           _ZN7rocprim17ROCPRIM_400000_NS6detail17trampoline_kernelINS0_14default_configENS1_27lower_bound_config_selectorItlEEZNS1_14transform_implILb0ES3_S5_N6thrust23THRUST_200600_302600_NS6detail15normal_iteratorINS8_7pointerItNS8_11hip_rocprim5par_tENS8_11use_defaultESE_EEEENSA_INSB_IlSD_SE_SE_EEEEZNS1_13binary_searchIS3_S5_PtSG_SI_NS1_21lower_bound_search_opENS9_16wrapped_functionINS8_6system6detail7generic6detail18binary_search_lessEbEEEE10hipError_tPvRmT1_T2_T3_mmT4_T5_P12ihipStream_tbEUlRKtE_EEST_SX_SY_mSZ_S12_bEUlT_E_NS1_11comp_targetILNS1_3genE2ELNS1_11target_archE906ELNS1_3gpuE6ELNS1_3repE0EEENS1_30default_config_static_selectorELNS0_4arch9wavefront6targetE1EEEvSW_
    .private_segment_fixed_size: 0
    .sgpr_count:     26
    .sgpr_spill_count: 0
    .symbol:         _ZN7rocprim17ROCPRIM_400000_NS6detail17trampoline_kernelINS0_14default_configENS1_27lower_bound_config_selectorItlEEZNS1_14transform_implILb0ES3_S5_N6thrust23THRUST_200600_302600_NS6detail15normal_iteratorINS8_7pointerItNS8_11hip_rocprim5par_tENS8_11use_defaultESE_EEEENSA_INSB_IlSD_SE_SE_EEEEZNS1_13binary_searchIS3_S5_PtSG_SI_NS1_21lower_bound_search_opENS9_16wrapped_functionINS8_6system6detail7generic6detail18binary_search_lessEbEEEE10hipError_tPvRmT1_T2_T3_mmT4_T5_P12ihipStream_tbEUlRKtE_EEST_SX_SY_mSZ_S12_bEUlT_E_NS1_11comp_targetILNS1_3genE2ELNS1_11target_archE906ELNS1_3gpuE6ELNS1_3repE0EEENS1_30default_config_static_selectorELNS0_4arch9wavefront6targetE1EEEvSW_.kd
    .uniform_work_group_size: 1
    .uses_dynamic_stack: false
    .vgpr_count:     18
    .vgpr_spill_count: 0
    .wavefront_size: 64
  - .args:
      - .offset:         0
        .size:           56
        .value_kind:     by_value
    .group_segment_fixed_size: 0
    .kernarg_segment_align: 8
    .kernarg_segment_size: 56
    .language:       OpenCL C
    .language_version:
      - 2
      - 0
    .max_flat_workgroup_size: 256
    .name:           _ZN7rocprim17ROCPRIM_400000_NS6detail17trampoline_kernelINS0_14default_configENS1_27lower_bound_config_selectorItlEEZNS1_14transform_implILb0ES3_S5_N6thrust23THRUST_200600_302600_NS6detail15normal_iteratorINS8_7pointerItNS8_11hip_rocprim5par_tENS8_11use_defaultESE_EEEENSA_INSB_IlSD_SE_SE_EEEEZNS1_13binary_searchIS3_S5_PtSG_SI_NS1_21lower_bound_search_opENS9_16wrapped_functionINS8_6system6detail7generic6detail18binary_search_lessEbEEEE10hipError_tPvRmT1_T2_T3_mmT4_T5_P12ihipStream_tbEUlRKtE_EEST_SX_SY_mSZ_S12_bEUlT_E_NS1_11comp_targetILNS1_3genE10ELNS1_11target_archE1201ELNS1_3gpuE5ELNS1_3repE0EEENS1_30default_config_static_selectorELNS0_4arch9wavefront6targetE1EEEvSW_
    .private_segment_fixed_size: 0
    .sgpr_count:     4
    .sgpr_spill_count: 0
    .symbol:         _ZN7rocprim17ROCPRIM_400000_NS6detail17trampoline_kernelINS0_14default_configENS1_27lower_bound_config_selectorItlEEZNS1_14transform_implILb0ES3_S5_N6thrust23THRUST_200600_302600_NS6detail15normal_iteratorINS8_7pointerItNS8_11hip_rocprim5par_tENS8_11use_defaultESE_EEEENSA_INSB_IlSD_SE_SE_EEEEZNS1_13binary_searchIS3_S5_PtSG_SI_NS1_21lower_bound_search_opENS9_16wrapped_functionINS8_6system6detail7generic6detail18binary_search_lessEbEEEE10hipError_tPvRmT1_T2_T3_mmT4_T5_P12ihipStream_tbEUlRKtE_EEST_SX_SY_mSZ_S12_bEUlT_E_NS1_11comp_targetILNS1_3genE10ELNS1_11target_archE1201ELNS1_3gpuE5ELNS1_3repE0EEENS1_30default_config_static_selectorELNS0_4arch9wavefront6targetE1EEEvSW_.kd
    .uniform_work_group_size: 1
    .uses_dynamic_stack: false
    .vgpr_count:     0
    .vgpr_spill_count: 0
    .wavefront_size: 64
  - .args:
      - .offset:         0
        .size:           56
        .value_kind:     by_value
    .group_segment_fixed_size: 0
    .kernarg_segment_align: 8
    .kernarg_segment_size: 56
    .language:       OpenCL C
    .language_version:
      - 2
      - 0
    .max_flat_workgroup_size: 256
    .name:           _ZN7rocprim17ROCPRIM_400000_NS6detail17trampoline_kernelINS0_14default_configENS1_27lower_bound_config_selectorItlEEZNS1_14transform_implILb0ES3_S5_N6thrust23THRUST_200600_302600_NS6detail15normal_iteratorINS8_7pointerItNS8_11hip_rocprim5par_tENS8_11use_defaultESE_EEEENSA_INSB_IlSD_SE_SE_EEEEZNS1_13binary_searchIS3_S5_PtSG_SI_NS1_21lower_bound_search_opENS9_16wrapped_functionINS8_6system6detail7generic6detail18binary_search_lessEbEEEE10hipError_tPvRmT1_T2_T3_mmT4_T5_P12ihipStream_tbEUlRKtE_EEST_SX_SY_mSZ_S12_bEUlT_E_NS1_11comp_targetILNS1_3genE10ELNS1_11target_archE1200ELNS1_3gpuE4ELNS1_3repE0EEENS1_30default_config_static_selectorELNS0_4arch9wavefront6targetE1EEEvSW_
    .private_segment_fixed_size: 0
    .sgpr_count:     4
    .sgpr_spill_count: 0
    .symbol:         _ZN7rocprim17ROCPRIM_400000_NS6detail17trampoline_kernelINS0_14default_configENS1_27lower_bound_config_selectorItlEEZNS1_14transform_implILb0ES3_S5_N6thrust23THRUST_200600_302600_NS6detail15normal_iteratorINS8_7pointerItNS8_11hip_rocprim5par_tENS8_11use_defaultESE_EEEENSA_INSB_IlSD_SE_SE_EEEEZNS1_13binary_searchIS3_S5_PtSG_SI_NS1_21lower_bound_search_opENS9_16wrapped_functionINS8_6system6detail7generic6detail18binary_search_lessEbEEEE10hipError_tPvRmT1_T2_T3_mmT4_T5_P12ihipStream_tbEUlRKtE_EEST_SX_SY_mSZ_S12_bEUlT_E_NS1_11comp_targetILNS1_3genE10ELNS1_11target_archE1200ELNS1_3gpuE4ELNS1_3repE0EEENS1_30default_config_static_selectorELNS0_4arch9wavefront6targetE1EEEvSW_.kd
    .uniform_work_group_size: 1
    .uses_dynamic_stack: false
    .vgpr_count:     0
    .vgpr_spill_count: 0
    .wavefront_size: 64
  - .args:
      - .offset:         0
        .size:           56
        .value_kind:     by_value
    .group_segment_fixed_size: 0
    .kernarg_segment_align: 8
    .kernarg_segment_size: 56
    .language:       OpenCL C
    .language_version:
      - 2
      - 0
    .max_flat_workgroup_size: 64
    .name:           _ZN7rocprim17ROCPRIM_400000_NS6detail17trampoline_kernelINS0_14default_configENS1_27lower_bound_config_selectorItlEEZNS1_14transform_implILb0ES3_S5_N6thrust23THRUST_200600_302600_NS6detail15normal_iteratorINS8_7pointerItNS8_11hip_rocprim5par_tENS8_11use_defaultESE_EEEENSA_INSB_IlSD_SE_SE_EEEEZNS1_13binary_searchIS3_S5_PtSG_SI_NS1_21lower_bound_search_opENS9_16wrapped_functionINS8_6system6detail7generic6detail18binary_search_lessEbEEEE10hipError_tPvRmT1_T2_T3_mmT4_T5_P12ihipStream_tbEUlRKtE_EEST_SX_SY_mSZ_S12_bEUlT_E_NS1_11comp_targetILNS1_3genE9ELNS1_11target_archE1100ELNS1_3gpuE3ELNS1_3repE0EEENS1_30default_config_static_selectorELNS0_4arch9wavefront6targetE1EEEvSW_
    .private_segment_fixed_size: 0
    .sgpr_count:     4
    .sgpr_spill_count: 0
    .symbol:         _ZN7rocprim17ROCPRIM_400000_NS6detail17trampoline_kernelINS0_14default_configENS1_27lower_bound_config_selectorItlEEZNS1_14transform_implILb0ES3_S5_N6thrust23THRUST_200600_302600_NS6detail15normal_iteratorINS8_7pointerItNS8_11hip_rocprim5par_tENS8_11use_defaultESE_EEEENSA_INSB_IlSD_SE_SE_EEEEZNS1_13binary_searchIS3_S5_PtSG_SI_NS1_21lower_bound_search_opENS9_16wrapped_functionINS8_6system6detail7generic6detail18binary_search_lessEbEEEE10hipError_tPvRmT1_T2_T3_mmT4_T5_P12ihipStream_tbEUlRKtE_EEST_SX_SY_mSZ_S12_bEUlT_E_NS1_11comp_targetILNS1_3genE9ELNS1_11target_archE1100ELNS1_3gpuE3ELNS1_3repE0EEENS1_30default_config_static_selectorELNS0_4arch9wavefront6targetE1EEEvSW_.kd
    .uniform_work_group_size: 1
    .uses_dynamic_stack: false
    .vgpr_count:     0
    .vgpr_spill_count: 0
    .wavefront_size: 64
  - .args:
      - .offset:         0
        .size:           56
        .value_kind:     by_value
    .group_segment_fixed_size: 0
    .kernarg_segment_align: 8
    .kernarg_segment_size: 56
    .language:       OpenCL C
    .language_version:
      - 2
      - 0
    .max_flat_workgroup_size: 128
    .name:           _ZN7rocprim17ROCPRIM_400000_NS6detail17trampoline_kernelINS0_14default_configENS1_27lower_bound_config_selectorItlEEZNS1_14transform_implILb0ES3_S5_N6thrust23THRUST_200600_302600_NS6detail15normal_iteratorINS8_7pointerItNS8_11hip_rocprim5par_tENS8_11use_defaultESE_EEEENSA_INSB_IlSD_SE_SE_EEEEZNS1_13binary_searchIS3_S5_PtSG_SI_NS1_21lower_bound_search_opENS9_16wrapped_functionINS8_6system6detail7generic6detail18binary_search_lessEbEEEE10hipError_tPvRmT1_T2_T3_mmT4_T5_P12ihipStream_tbEUlRKtE_EEST_SX_SY_mSZ_S12_bEUlT_E_NS1_11comp_targetILNS1_3genE8ELNS1_11target_archE1030ELNS1_3gpuE2ELNS1_3repE0EEENS1_30default_config_static_selectorELNS0_4arch9wavefront6targetE1EEEvSW_
    .private_segment_fixed_size: 0
    .sgpr_count:     4
    .sgpr_spill_count: 0
    .symbol:         _ZN7rocprim17ROCPRIM_400000_NS6detail17trampoline_kernelINS0_14default_configENS1_27lower_bound_config_selectorItlEEZNS1_14transform_implILb0ES3_S5_N6thrust23THRUST_200600_302600_NS6detail15normal_iteratorINS8_7pointerItNS8_11hip_rocprim5par_tENS8_11use_defaultESE_EEEENSA_INSB_IlSD_SE_SE_EEEEZNS1_13binary_searchIS3_S5_PtSG_SI_NS1_21lower_bound_search_opENS9_16wrapped_functionINS8_6system6detail7generic6detail18binary_search_lessEbEEEE10hipError_tPvRmT1_T2_T3_mmT4_T5_P12ihipStream_tbEUlRKtE_EEST_SX_SY_mSZ_S12_bEUlT_E_NS1_11comp_targetILNS1_3genE8ELNS1_11target_archE1030ELNS1_3gpuE2ELNS1_3repE0EEENS1_30default_config_static_selectorELNS0_4arch9wavefront6targetE1EEEvSW_.kd
    .uniform_work_group_size: 1
    .uses_dynamic_stack: false
    .vgpr_count:     0
    .vgpr_spill_count: 0
    .wavefront_size: 64
  - .args:
      - .offset:         0
        .size:           16
        .value_kind:     by_value
      - .offset:         16
        .size:           8
        .value_kind:     by_value
      - .offset:         24
        .size:           8
        .value_kind:     by_value
    .group_segment_fixed_size: 0
    .kernarg_segment_align: 8
    .kernarg_segment_size: 32
    .language:       OpenCL C
    .language_version:
      - 2
      - 0
    .max_flat_workgroup_size: 256
    .name:           _ZN6thrust23THRUST_200600_302600_NS11hip_rocprim14__parallel_for6kernelILj256ENS1_20__uninitialized_fill7functorINS0_10device_ptrIxEExEEmLj1EEEvT0_T1_SA_
    .private_segment_fixed_size: 0
    .sgpr_count:     20
    .sgpr_spill_count: 0
    .symbol:         _ZN6thrust23THRUST_200600_302600_NS11hip_rocprim14__parallel_for6kernelILj256ENS1_20__uninitialized_fill7functorINS0_10device_ptrIxEExEEmLj1EEEvT0_T1_SA_.kd
    .uniform_work_group_size: 1
    .uses_dynamic_stack: false
    .vgpr_count:     5
    .vgpr_spill_count: 0
    .wavefront_size: 64
  - .args:
      - .offset:         0
        .size:           8
        .value_kind:     by_value
      - .address_space:  global
        .offset:         8
        .size:           8
        .value_kind:     global_buffer
      - .address_space:  global
        .offset:         16
        .size:           8
        .value_kind:     global_buffer
    .group_segment_fixed_size: 0
    .kernarg_segment_align: 8
    .kernarg_segment_size: 24
    .language:       OpenCL C
    .language_version:
      - 2
      - 0
    .max_flat_workgroup_size: 256
    .name:           _Z18lower_bound_kernelIxEvmPT_Pl
    .private_segment_fixed_size: 0
    .sgpr_count:     22
    .sgpr_spill_count: 0
    .symbol:         _Z18lower_bound_kernelIxEvmPT_Pl.kd
    .uniform_work_group_size: 1
    .uses_dynamic_stack: false
    .vgpr_count:     3
    .vgpr_spill_count: 0
    .wavefront_size: 64
  - .args:
      - .offset:         0
        .size:           56
        .value_kind:     by_value
    .group_segment_fixed_size: 0
    .kernarg_segment_align: 8
    .kernarg_segment_size: 56
    .language:       OpenCL C
    .language_version:
      - 2
      - 0
    .max_flat_workgroup_size: 128
    .name:           _ZN7rocprim17ROCPRIM_400000_NS6detail17trampoline_kernelINS0_14default_configENS1_27lower_bound_config_selectorIxlEEZNS1_14transform_implILb0ES3_S5_N6thrust23THRUST_200600_302600_NS6detail15normal_iteratorINS8_7pointerIxNS8_11hip_rocprim5par_tENS8_11use_defaultESE_EEEENSA_INSB_IlSD_SE_SE_EEEEZNS1_13binary_searchIS3_S5_PxSG_SI_NS1_21lower_bound_search_opENS9_16wrapped_functionI11custom_lessbEEEE10hipError_tPvRmT1_T2_T3_mmT4_T5_P12ihipStream_tbEUlRKxE_EESP_ST_SU_mSV_SY_bEUlT_E_NS1_11comp_targetILNS1_3genE0ELNS1_11target_archE4294967295ELNS1_3gpuE0ELNS1_3repE0EEENS1_30default_config_static_selectorELNS0_4arch9wavefront6targetE1EEEvSS_
    .private_segment_fixed_size: 0
    .sgpr_count:     4
    .sgpr_spill_count: 0
    .symbol:         _ZN7rocprim17ROCPRIM_400000_NS6detail17trampoline_kernelINS0_14default_configENS1_27lower_bound_config_selectorIxlEEZNS1_14transform_implILb0ES3_S5_N6thrust23THRUST_200600_302600_NS6detail15normal_iteratorINS8_7pointerIxNS8_11hip_rocprim5par_tENS8_11use_defaultESE_EEEENSA_INSB_IlSD_SE_SE_EEEEZNS1_13binary_searchIS3_S5_PxSG_SI_NS1_21lower_bound_search_opENS9_16wrapped_functionI11custom_lessbEEEE10hipError_tPvRmT1_T2_T3_mmT4_T5_P12ihipStream_tbEUlRKxE_EESP_ST_SU_mSV_SY_bEUlT_E_NS1_11comp_targetILNS1_3genE0ELNS1_11target_archE4294967295ELNS1_3gpuE0ELNS1_3repE0EEENS1_30default_config_static_selectorELNS0_4arch9wavefront6targetE1EEEvSS_.kd
    .uniform_work_group_size: 1
    .uses_dynamic_stack: false
    .vgpr_count:     0
    .vgpr_spill_count: 0
    .wavefront_size: 64
  - .args:
      - .offset:         0
        .size:           56
        .value_kind:     by_value
    .group_segment_fixed_size: 0
    .kernarg_segment_align: 8
    .kernarg_segment_size: 56
    .language:       OpenCL C
    .language_version:
      - 2
      - 0
    .max_flat_workgroup_size: 64
    .name:           _ZN7rocprim17ROCPRIM_400000_NS6detail17trampoline_kernelINS0_14default_configENS1_27lower_bound_config_selectorIxlEEZNS1_14transform_implILb0ES3_S5_N6thrust23THRUST_200600_302600_NS6detail15normal_iteratorINS8_7pointerIxNS8_11hip_rocprim5par_tENS8_11use_defaultESE_EEEENSA_INSB_IlSD_SE_SE_EEEEZNS1_13binary_searchIS3_S5_PxSG_SI_NS1_21lower_bound_search_opENS9_16wrapped_functionI11custom_lessbEEEE10hipError_tPvRmT1_T2_T3_mmT4_T5_P12ihipStream_tbEUlRKxE_EESP_ST_SU_mSV_SY_bEUlT_E_NS1_11comp_targetILNS1_3genE5ELNS1_11target_archE942ELNS1_3gpuE9ELNS1_3repE0EEENS1_30default_config_static_selectorELNS0_4arch9wavefront6targetE1EEEvSS_
    .private_segment_fixed_size: 0
    .sgpr_count:     4
    .sgpr_spill_count: 0
    .symbol:         _ZN7rocprim17ROCPRIM_400000_NS6detail17trampoline_kernelINS0_14default_configENS1_27lower_bound_config_selectorIxlEEZNS1_14transform_implILb0ES3_S5_N6thrust23THRUST_200600_302600_NS6detail15normal_iteratorINS8_7pointerIxNS8_11hip_rocprim5par_tENS8_11use_defaultESE_EEEENSA_INSB_IlSD_SE_SE_EEEEZNS1_13binary_searchIS3_S5_PxSG_SI_NS1_21lower_bound_search_opENS9_16wrapped_functionI11custom_lessbEEEE10hipError_tPvRmT1_T2_T3_mmT4_T5_P12ihipStream_tbEUlRKxE_EESP_ST_SU_mSV_SY_bEUlT_E_NS1_11comp_targetILNS1_3genE5ELNS1_11target_archE942ELNS1_3gpuE9ELNS1_3repE0EEENS1_30default_config_static_selectorELNS0_4arch9wavefront6targetE1EEEvSS_.kd
    .uniform_work_group_size: 1
    .uses_dynamic_stack: false
    .vgpr_count:     0
    .vgpr_spill_count: 0
    .wavefront_size: 64
  - .args:
      - .offset:         0
        .size:           56
        .value_kind:     by_value
    .group_segment_fixed_size: 0
    .kernarg_segment_align: 8
    .kernarg_segment_size: 56
    .language:       OpenCL C
    .language_version:
      - 2
      - 0
    .max_flat_workgroup_size: 64
    .name:           _ZN7rocprim17ROCPRIM_400000_NS6detail17trampoline_kernelINS0_14default_configENS1_27lower_bound_config_selectorIxlEEZNS1_14transform_implILb0ES3_S5_N6thrust23THRUST_200600_302600_NS6detail15normal_iteratorINS8_7pointerIxNS8_11hip_rocprim5par_tENS8_11use_defaultESE_EEEENSA_INSB_IlSD_SE_SE_EEEEZNS1_13binary_searchIS3_S5_PxSG_SI_NS1_21lower_bound_search_opENS9_16wrapped_functionI11custom_lessbEEEE10hipError_tPvRmT1_T2_T3_mmT4_T5_P12ihipStream_tbEUlRKxE_EESP_ST_SU_mSV_SY_bEUlT_E_NS1_11comp_targetILNS1_3genE4ELNS1_11target_archE910ELNS1_3gpuE8ELNS1_3repE0EEENS1_30default_config_static_selectorELNS0_4arch9wavefront6targetE1EEEvSS_
    .private_segment_fixed_size: 0
    .sgpr_count:     4
    .sgpr_spill_count: 0
    .symbol:         _ZN7rocprim17ROCPRIM_400000_NS6detail17trampoline_kernelINS0_14default_configENS1_27lower_bound_config_selectorIxlEEZNS1_14transform_implILb0ES3_S5_N6thrust23THRUST_200600_302600_NS6detail15normal_iteratorINS8_7pointerIxNS8_11hip_rocprim5par_tENS8_11use_defaultESE_EEEENSA_INSB_IlSD_SE_SE_EEEEZNS1_13binary_searchIS3_S5_PxSG_SI_NS1_21lower_bound_search_opENS9_16wrapped_functionI11custom_lessbEEEE10hipError_tPvRmT1_T2_T3_mmT4_T5_P12ihipStream_tbEUlRKxE_EESP_ST_SU_mSV_SY_bEUlT_E_NS1_11comp_targetILNS1_3genE4ELNS1_11target_archE910ELNS1_3gpuE8ELNS1_3repE0EEENS1_30default_config_static_selectorELNS0_4arch9wavefront6targetE1EEEvSS_.kd
    .uniform_work_group_size: 1
    .uses_dynamic_stack: false
    .vgpr_count:     0
    .vgpr_spill_count: 0
    .wavefront_size: 64
  - .args:
      - .offset:         0
        .size:           56
        .value_kind:     by_value
    .group_segment_fixed_size: 0
    .kernarg_segment_align: 8
    .kernarg_segment_size: 56
    .language:       OpenCL C
    .language_version:
      - 2
      - 0
    .max_flat_workgroup_size: 128
    .name:           _ZN7rocprim17ROCPRIM_400000_NS6detail17trampoline_kernelINS0_14default_configENS1_27lower_bound_config_selectorIxlEEZNS1_14transform_implILb0ES3_S5_N6thrust23THRUST_200600_302600_NS6detail15normal_iteratorINS8_7pointerIxNS8_11hip_rocprim5par_tENS8_11use_defaultESE_EEEENSA_INSB_IlSD_SE_SE_EEEEZNS1_13binary_searchIS3_S5_PxSG_SI_NS1_21lower_bound_search_opENS9_16wrapped_functionI11custom_lessbEEEE10hipError_tPvRmT1_T2_T3_mmT4_T5_P12ihipStream_tbEUlRKxE_EESP_ST_SU_mSV_SY_bEUlT_E_NS1_11comp_targetILNS1_3genE3ELNS1_11target_archE908ELNS1_3gpuE7ELNS1_3repE0EEENS1_30default_config_static_selectorELNS0_4arch9wavefront6targetE1EEEvSS_
    .private_segment_fixed_size: 0
    .sgpr_count:     4
    .sgpr_spill_count: 0
    .symbol:         _ZN7rocprim17ROCPRIM_400000_NS6detail17trampoline_kernelINS0_14default_configENS1_27lower_bound_config_selectorIxlEEZNS1_14transform_implILb0ES3_S5_N6thrust23THRUST_200600_302600_NS6detail15normal_iteratorINS8_7pointerIxNS8_11hip_rocprim5par_tENS8_11use_defaultESE_EEEENSA_INSB_IlSD_SE_SE_EEEEZNS1_13binary_searchIS3_S5_PxSG_SI_NS1_21lower_bound_search_opENS9_16wrapped_functionI11custom_lessbEEEE10hipError_tPvRmT1_T2_T3_mmT4_T5_P12ihipStream_tbEUlRKxE_EESP_ST_SU_mSV_SY_bEUlT_E_NS1_11comp_targetILNS1_3genE3ELNS1_11target_archE908ELNS1_3gpuE7ELNS1_3repE0EEENS1_30default_config_static_selectorELNS0_4arch9wavefront6targetE1EEEvSS_.kd
    .uniform_work_group_size: 1
    .uses_dynamic_stack: false
    .vgpr_count:     0
    .vgpr_spill_count: 0
    .wavefront_size: 64
  - .args:
      - .offset:         0
        .size:           56
        .value_kind:     by_value
      - .offset:         56
        .size:           4
        .value_kind:     hidden_block_count_x
      - .offset:         60
        .size:           4
        .value_kind:     hidden_block_count_y
      - .offset:         64
        .size:           4
        .value_kind:     hidden_block_count_z
      - .offset:         68
        .size:           2
        .value_kind:     hidden_group_size_x
      - .offset:         70
        .size:           2
        .value_kind:     hidden_group_size_y
      - .offset:         72
        .size:           2
        .value_kind:     hidden_group_size_z
      - .offset:         74
        .size:           2
        .value_kind:     hidden_remainder_x
      - .offset:         76
        .size:           2
        .value_kind:     hidden_remainder_y
      - .offset:         78
        .size:           2
        .value_kind:     hidden_remainder_z
      - .offset:         96
        .size:           8
        .value_kind:     hidden_global_offset_x
      - .offset:         104
        .size:           8
        .value_kind:     hidden_global_offset_y
      - .offset:         112
        .size:           8
        .value_kind:     hidden_global_offset_z
      - .offset:         120
        .size:           2
        .value_kind:     hidden_grid_dims
    .group_segment_fixed_size: 0
    .kernarg_segment_align: 8
    .kernarg_segment_size: 312
    .language:       OpenCL C
    .language_version:
      - 2
      - 0
    .max_flat_workgroup_size: 256
    .name:           _ZN7rocprim17ROCPRIM_400000_NS6detail17trampoline_kernelINS0_14default_configENS1_27lower_bound_config_selectorIxlEEZNS1_14transform_implILb0ES3_S5_N6thrust23THRUST_200600_302600_NS6detail15normal_iteratorINS8_7pointerIxNS8_11hip_rocprim5par_tENS8_11use_defaultESE_EEEENSA_INSB_IlSD_SE_SE_EEEEZNS1_13binary_searchIS3_S5_PxSG_SI_NS1_21lower_bound_search_opENS9_16wrapped_functionI11custom_lessbEEEE10hipError_tPvRmT1_T2_T3_mmT4_T5_P12ihipStream_tbEUlRKxE_EESP_ST_SU_mSV_SY_bEUlT_E_NS1_11comp_targetILNS1_3genE2ELNS1_11target_archE906ELNS1_3gpuE6ELNS1_3repE0EEENS1_30default_config_static_selectorELNS0_4arch9wavefront6targetE1EEEvSS_
    .private_segment_fixed_size: 0
    .sgpr_count:     22
    .sgpr_spill_count: 0
    .symbol:         _ZN7rocprim17ROCPRIM_400000_NS6detail17trampoline_kernelINS0_14default_configENS1_27lower_bound_config_selectorIxlEEZNS1_14transform_implILb0ES3_S5_N6thrust23THRUST_200600_302600_NS6detail15normal_iteratorINS8_7pointerIxNS8_11hip_rocprim5par_tENS8_11use_defaultESE_EEEENSA_INSB_IlSD_SE_SE_EEEEZNS1_13binary_searchIS3_S5_PxSG_SI_NS1_21lower_bound_search_opENS9_16wrapped_functionI11custom_lessbEEEE10hipError_tPvRmT1_T2_T3_mmT4_T5_P12ihipStream_tbEUlRKxE_EESP_ST_SU_mSV_SY_bEUlT_E_NS1_11comp_targetILNS1_3genE2ELNS1_11target_archE906ELNS1_3gpuE6ELNS1_3repE0EEENS1_30default_config_static_selectorELNS0_4arch9wavefront6targetE1EEEvSS_.kd
    .uniform_work_group_size: 1
    .uses_dynamic_stack: false
    .vgpr_count:     14
    .vgpr_spill_count: 0
    .wavefront_size: 64
  - .args:
      - .offset:         0
        .size:           56
        .value_kind:     by_value
    .group_segment_fixed_size: 0
    .kernarg_segment_align: 8
    .kernarg_segment_size: 56
    .language:       OpenCL C
    .language_version:
      - 2
      - 0
    .max_flat_workgroup_size: 128
    .name:           _ZN7rocprim17ROCPRIM_400000_NS6detail17trampoline_kernelINS0_14default_configENS1_27lower_bound_config_selectorIxlEEZNS1_14transform_implILb0ES3_S5_N6thrust23THRUST_200600_302600_NS6detail15normal_iteratorINS8_7pointerIxNS8_11hip_rocprim5par_tENS8_11use_defaultESE_EEEENSA_INSB_IlSD_SE_SE_EEEEZNS1_13binary_searchIS3_S5_PxSG_SI_NS1_21lower_bound_search_opENS9_16wrapped_functionI11custom_lessbEEEE10hipError_tPvRmT1_T2_T3_mmT4_T5_P12ihipStream_tbEUlRKxE_EESP_ST_SU_mSV_SY_bEUlT_E_NS1_11comp_targetILNS1_3genE10ELNS1_11target_archE1201ELNS1_3gpuE5ELNS1_3repE0EEENS1_30default_config_static_selectorELNS0_4arch9wavefront6targetE1EEEvSS_
    .private_segment_fixed_size: 0
    .sgpr_count:     4
    .sgpr_spill_count: 0
    .symbol:         _ZN7rocprim17ROCPRIM_400000_NS6detail17trampoline_kernelINS0_14default_configENS1_27lower_bound_config_selectorIxlEEZNS1_14transform_implILb0ES3_S5_N6thrust23THRUST_200600_302600_NS6detail15normal_iteratorINS8_7pointerIxNS8_11hip_rocprim5par_tENS8_11use_defaultESE_EEEENSA_INSB_IlSD_SE_SE_EEEEZNS1_13binary_searchIS3_S5_PxSG_SI_NS1_21lower_bound_search_opENS9_16wrapped_functionI11custom_lessbEEEE10hipError_tPvRmT1_T2_T3_mmT4_T5_P12ihipStream_tbEUlRKxE_EESP_ST_SU_mSV_SY_bEUlT_E_NS1_11comp_targetILNS1_3genE10ELNS1_11target_archE1201ELNS1_3gpuE5ELNS1_3repE0EEENS1_30default_config_static_selectorELNS0_4arch9wavefront6targetE1EEEvSS_.kd
    .uniform_work_group_size: 1
    .uses_dynamic_stack: false
    .vgpr_count:     0
    .vgpr_spill_count: 0
    .wavefront_size: 64
  - .args:
      - .offset:         0
        .size:           56
        .value_kind:     by_value
    .group_segment_fixed_size: 0
    .kernarg_segment_align: 8
    .kernarg_segment_size: 56
    .language:       OpenCL C
    .language_version:
      - 2
      - 0
    .max_flat_workgroup_size: 128
    .name:           _ZN7rocprim17ROCPRIM_400000_NS6detail17trampoline_kernelINS0_14default_configENS1_27lower_bound_config_selectorIxlEEZNS1_14transform_implILb0ES3_S5_N6thrust23THRUST_200600_302600_NS6detail15normal_iteratorINS8_7pointerIxNS8_11hip_rocprim5par_tENS8_11use_defaultESE_EEEENSA_INSB_IlSD_SE_SE_EEEEZNS1_13binary_searchIS3_S5_PxSG_SI_NS1_21lower_bound_search_opENS9_16wrapped_functionI11custom_lessbEEEE10hipError_tPvRmT1_T2_T3_mmT4_T5_P12ihipStream_tbEUlRKxE_EESP_ST_SU_mSV_SY_bEUlT_E_NS1_11comp_targetILNS1_3genE10ELNS1_11target_archE1200ELNS1_3gpuE4ELNS1_3repE0EEENS1_30default_config_static_selectorELNS0_4arch9wavefront6targetE1EEEvSS_
    .private_segment_fixed_size: 0
    .sgpr_count:     4
    .sgpr_spill_count: 0
    .symbol:         _ZN7rocprim17ROCPRIM_400000_NS6detail17trampoline_kernelINS0_14default_configENS1_27lower_bound_config_selectorIxlEEZNS1_14transform_implILb0ES3_S5_N6thrust23THRUST_200600_302600_NS6detail15normal_iteratorINS8_7pointerIxNS8_11hip_rocprim5par_tENS8_11use_defaultESE_EEEENSA_INSB_IlSD_SE_SE_EEEEZNS1_13binary_searchIS3_S5_PxSG_SI_NS1_21lower_bound_search_opENS9_16wrapped_functionI11custom_lessbEEEE10hipError_tPvRmT1_T2_T3_mmT4_T5_P12ihipStream_tbEUlRKxE_EESP_ST_SU_mSV_SY_bEUlT_E_NS1_11comp_targetILNS1_3genE10ELNS1_11target_archE1200ELNS1_3gpuE4ELNS1_3repE0EEENS1_30default_config_static_selectorELNS0_4arch9wavefront6targetE1EEEvSS_.kd
    .uniform_work_group_size: 1
    .uses_dynamic_stack: false
    .vgpr_count:     0
    .vgpr_spill_count: 0
    .wavefront_size: 64
  - .args:
      - .offset:         0
        .size:           56
        .value_kind:     by_value
    .group_segment_fixed_size: 0
    .kernarg_segment_align: 8
    .kernarg_segment_size: 56
    .language:       OpenCL C
    .language_version:
      - 2
      - 0
    .max_flat_workgroup_size: 256
    .name:           _ZN7rocprim17ROCPRIM_400000_NS6detail17trampoline_kernelINS0_14default_configENS1_27lower_bound_config_selectorIxlEEZNS1_14transform_implILb0ES3_S5_N6thrust23THRUST_200600_302600_NS6detail15normal_iteratorINS8_7pointerIxNS8_11hip_rocprim5par_tENS8_11use_defaultESE_EEEENSA_INSB_IlSD_SE_SE_EEEEZNS1_13binary_searchIS3_S5_PxSG_SI_NS1_21lower_bound_search_opENS9_16wrapped_functionI11custom_lessbEEEE10hipError_tPvRmT1_T2_T3_mmT4_T5_P12ihipStream_tbEUlRKxE_EESP_ST_SU_mSV_SY_bEUlT_E_NS1_11comp_targetILNS1_3genE9ELNS1_11target_archE1100ELNS1_3gpuE3ELNS1_3repE0EEENS1_30default_config_static_selectorELNS0_4arch9wavefront6targetE1EEEvSS_
    .private_segment_fixed_size: 0
    .sgpr_count:     4
    .sgpr_spill_count: 0
    .symbol:         _ZN7rocprim17ROCPRIM_400000_NS6detail17trampoline_kernelINS0_14default_configENS1_27lower_bound_config_selectorIxlEEZNS1_14transform_implILb0ES3_S5_N6thrust23THRUST_200600_302600_NS6detail15normal_iteratorINS8_7pointerIxNS8_11hip_rocprim5par_tENS8_11use_defaultESE_EEEENSA_INSB_IlSD_SE_SE_EEEEZNS1_13binary_searchIS3_S5_PxSG_SI_NS1_21lower_bound_search_opENS9_16wrapped_functionI11custom_lessbEEEE10hipError_tPvRmT1_T2_T3_mmT4_T5_P12ihipStream_tbEUlRKxE_EESP_ST_SU_mSV_SY_bEUlT_E_NS1_11comp_targetILNS1_3genE9ELNS1_11target_archE1100ELNS1_3gpuE3ELNS1_3repE0EEENS1_30default_config_static_selectorELNS0_4arch9wavefront6targetE1EEEvSS_.kd
    .uniform_work_group_size: 1
    .uses_dynamic_stack: false
    .vgpr_count:     0
    .vgpr_spill_count: 0
    .wavefront_size: 64
  - .args:
      - .offset:         0
        .size:           56
        .value_kind:     by_value
    .group_segment_fixed_size: 0
    .kernarg_segment_align: 8
    .kernarg_segment_size: 56
    .language:       OpenCL C
    .language_version:
      - 2
      - 0
    .max_flat_workgroup_size: 256
    .name:           _ZN7rocprim17ROCPRIM_400000_NS6detail17trampoline_kernelINS0_14default_configENS1_27lower_bound_config_selectorIxlEEZNS1_14transform_implILb0ES3_S5_N6thrust23THRUST_200600_302600_NS6detail15normal_iteratorINS8_7pointerIxNS8_11hip_rocprim5par_tENS8_11use_defaultESE_EEEENSA_INSB_IlSD_SE_SE_EEEEZNS1_13binary_searchIS3_S5_PxSG_SI_NS1_21lower_bound_search_opENS9_16wrapped_functionI11custom_lessbEEEE10hipError_tPvRmT1_T2_T3_mmT4_T5_P12ihipStream_tbEUlRKxE_EESP_ST_SU_mSV_SY_bEUlT_E_NS1_11comp_targetILNS1_3genE8ELNS1_11target_archE1030ELNS1_3gpuE2ELNS1_3repE0EEENS1_30default_config_static_selectorELNS0_4arch9wavefront6targetE1EEEvSS_
    .private_segment_fixed_size: 0
    .sgpr_count:     4
    .sgpr_spill_count: 0
    .symbol:         _ZN7rocprim17ROCPRIM_400000_NS6detail17trampoline_kernelINS0_14default_configENS1_27lower_bound_config_selectorIxlEEZNS1_14transform_implILb0ES3_S5_N6thrust23THRUST_200600_302600_NS6detail15normal_iteratorINS8_7pointerIxNS8_11hip_rocprim5par_tENS8_11use_defaultESE_EEEENSA_INSB_IlSD_SE_SE_EEEEZNS1_13binary_searchIS3_S5_PxSG_SI_NS1_21lower_bound_search_opENS9_16wrapped_functionI11custom_lessbEEEE10hipError_tPvRmT1_T2_T3_mmT4_T5_P12ihipStream_tbEUlRKxE_EESP_ST_SU_mSV_SY_bEUlT_E_NS1_11comp_targetILNS1_3genE8ELNS1_11target_archE1030ELNS1_3gpuE2ELNS1_3repE0EEENS1_30default_config_static_selectorELNS0_4arch9wavefront6targetE1EEEvSS_.kd
    .uniform_work_group_size: 1
    .uses_dynamic_stack: false
    .vgpr_count:     0
    .vgpr_spill_count: 0
    .wavefront_size: 64
  - .args:
      - .offset:         0
        .size:           56
        .value_kind:     by_value
    .group_segment_fixed_size: 0
    .kernarg_segment_align: 8
    .kernarg_segment_size: 56
    .language:       OpenCL C
    .language_version:
      - 2
      - 0
    .max_flat_workgroup_size: 128
    .name:           _ZN7rocprim17ROCPRIM_400000_NS6detail17trampoline_kernelINS0_14default_configENS1_27lower_bound_config_selectorIxlEEZNS1_14transform_implILb0ES3_S5_N6thrust23THRUST_200600_302600_NS6detail15normal_iteratorINS8_7pointerIxNS8_11hip_rocprim5par_tENS8_11use_defaultESE_EEEENSA_INSB_IlSD_SE_SE_EEEEZNS1_13binary_searchIS3_S5_PxSG_SI_NS1_21lower_bound_search_opENS9_16wrapped_functionINS8_6system6detail7generic6detail18binary_search_lessEbEEEE10hipError_tPvRmT1_T2_T3_mmT4_T5_P12ihipStream_tbEUlRKxE_EEST_SX_SY_mSZ_S12_bEUlT_E_NS1_11comp_targetILNS1_3genE0ELNS1_11target_archE4294967295ELNS1_3gpuE0ELNS1_3repE0EEENS1_30default_config_static_selectorELNS0_4arch9wavefront6targetE1EEEvSW_
    .private_segment_fixed_size: 0
    .sgpr_count:     4
    .sgpr_spill_count: 0
    .symbol:         _ZN7rocprim17ROCPRIM_400000_NS6detail17trampoline_kernelINS0_14default_configENS1_27lower_bound_config_selectorIxlEEZNS1_14transform_implILb0ES3_S5_N6thrust23THRUST_200600_302600_NS6detail15normal_iteratorINS8_7pointerIxNS8_11hip_rocprim5par_tENS8_11use_defaultESE_EEEENSA_INSB_IlSD_SE_SE_EEEEZNS1_13binary_searchIS3_S5_PxSG_SI_NS1_21lower_bound_search_opENS9_16wrapped_functionINS8_6system6detail7generic6detail18binary_search_lessEbEEEE10hipError_tPvRmT1_T2_T3_mmT4_T5_P12ihipStream_tbEUlRKxE_EEST_SX_SY_mSZ_S12_bEUlT_E_NS1_11comp_targetILNS1_3genE0ELNS1_11target_archE4294967295ELNS1_3gpuE0ELNS1_3repE0EEENS1_30default_config_static_selectorELNS0_4arch9wavefront6targetE1EEEvSW_.kd
    .uniform_work_group_size: 1
    .uses_dynamic_stack: false
    .vgpr_count:     0
    .vgpr_spill_count: 0
    .wavefront_size: 64
  - .args:
      - .offset:         0
        .size:           56
        .value_kind:     by_value
    .group_segment_fixed_size: 0
    .kernarg_segment_align: 8
    .kernarg_segment_size: 56
    .language:       OpenCL C
    .language_version:
      - 2
      - 0
    .max_flat_workgroup_size: 64
    .name:           _ZN7rocprim17ROCPRIM_400000_NS6detail17trampoline_kernelINS0_14default_configENS1_27lower_bound_config_selectorIxlEEZNS1_14transform_implILb0ES3_S5_N6thrust23THRUST_200600_302600_NS6detail15normal_iteratorINS8_7pointerIxNS8_11hip_rocprim5par_tENS8_11use_defaultESE_EEEENSA_INSB_IlSD_SE_SE_EEEEZNS1_13binary_searchIS3_S5_PxSG_SI_NS1_21lower_bound_search_opENS9_16wrapped_functionINS8_6system6detail7generic6detail18binary_search_lessEbEEEE10hipError_tPvRmT1_T2_T3_mmT4_T5_P12ihipStream_tbEUlRKxE_EEST_SX_SY_mSZ_S12_bEUlT_E_NS1_11comp_targetILNS1_3genE5ELNS1_11target_archE942ELNS1_3gpuE9ELNS1_3repE0EEENS1_30default_config_static_selectorELNS0_4arch9wavefront6targetE1EEEvSW_
    .private_segment_fixed_size: 0
    .sgpr_count:     4
    .sgpr_spill_count: 0
    .symbol:         _ZN7rocprim17ROCPRIM_400000_NS6detail17trampoline_kernelINS0_14default_configENS1_27lower_bound_config_selectorIxlEEZNS1_14transform_implILb0ES3_S5_N6thrust23THRUST_200600_302600_NS6detail15normal_iteratorINS8_7pointerIxNS8_11hip_rocprim5par_tENS8_11use_defaultESE_EEEENSA_INSB_IlSD_SE_SE_EEEEZNS1_13binary_searchIS3_S5_PxSG_SI_NS1_21lower_bound_search_opENS9_16wrapped_functionINS8_6system6detail7generic6detail18binary_search_lessEbEEEE10hipError_tPvRmT1_T2_T3_mmT4_T5_P12ihipStream_tbEUlRKxE_EEST_SX_SY_mSZ_S12_bEUlT_E_NS1_11comp_targetILNS1_3genE5ELNS1_11target_archE942ELNS1_3gpuE9ELNS1_3repE0EEENS1_30default_config_static_selectorELNS0_4arch9wavefront6targetE1EEEvSW_.kd
    .uniform_work_group_size: 1
    .uses_dynamic_stack: false
    .vgpr_count:     0
    .vgpr_spill_count: 0
    .wavefront_size: 64
  - .args:
      - .offset:         0
        .size:           56
        .value_kind:     by_value
    .group_segment_fixed_size: 0
    .kernarg_segment_align: 8
    .kernarg_segment_size: 56
    .language:       OpenCL C
    .language_version:
      - 2
      - 0
    .max_flat_workgroup_size: 64
    .name:           _ZN7rocprim17ROCPRIM_400000_NS6detail17trampoline_kernelINS0_14default_configENS1_27lower_bound_config_selectorIxlEEZNS1_14transform_implILb0ES3_S5_N6thrust23THRUST_200600_302600_NS6detail15normal_iteratorINS8_7pointerIxNS8_11hip_rocprim5par_tENS8_11use_defaultESE_EEEENSA_INSB_IlSD_SE_SE_EEEEZNS1_13binary_searchIS3_S5_PxSG_SI_NS1_21lower_bound_search_opENS9_16wrapped_functionINS8_6system6detail7generic6detail18binary_search_lessEbEEEE10hipError_tPvRmT1_T2_T3_mmT4_T5_P12ihipStream_tbEUlRKxE_EEST_SX_SY_mSZ_S12_bEUlT_E_NS1_11comp_targetILNS1_3genE4ELNS1_11target_archE910ELNS1_3gpuE8ELNS1_3repE0EEENS1_30default_config_static_selectorELNS0_4arch9wavefront6targetE1EEEvSW_
    .private_segment_fixed_size: 0
    .sgpr_count:     4
    .sgpr_spill_count: 0
    .symbol:         _ZN7rocprim17ROCPRIM_400000_NS6detail17trampoline_kernelINS0_14default_configENS1_27lower_bound_config_selectorIxlEEZNS1_14transform_implILb0ES3_S5_N6thrust23THRUST_200600_302600_NS6detail15normal_iteratorINS8_7pointerIxNS8_11hip_rocprim5par_tENS8_11use_defaultESE_EEEENSA_INSB_IlSD_SE_SE_EEEEZNS1_13binary_searchIS3_S5_PxSG_SI_NS1_21lower_bound_search_opENS9_16wrapped_functionINS8_6system6detail7generic6detail18binary_search_lessEbEEEE10hipError_tPvRmT1_T2_T3_mmT4_T5_P12ihipStream_tbEUlRKxE_EEST_SX_SY_mSZ_S12_bEUlT_E_NS1_11comp_targetILNS1_3genE4ELNS1_11target_archE910ELNS1_3gpuE8ELNS1_3repE0EEENS1_30default_config_static_selectorELNS0_4arch9wavefront6targetE1EEEvSW_.kd
    .uniform_work_group_size: 1
    .uses_dynamic_stack: false
    .vgpr_count:     0
    .vgpr_spill_count: 0
    .wavefront_size: 64
  - .args:
      - .offset:         0
        .size:           56
        .value_kind:     by_value
    .group_segment_fixed_size: 0
    .kernarg_segment_align: 8
    .kernarg_segment_size: 56
    .language:       OpenCL C
    .language_version:
      - 2
      - 0
    .max_flat_workgroup_size: 128
    .name:           _ZN7rocprim17ROCPRIM_400000_NS6detail17trampoline_kernelINS0_14default_configENS1_27lower_bound_config_selectorIxlEEZNS1_14transform_implILb0ES3_S5_N6thrust23THRUST_200600_302600_NS6detail15normal_iteratorINS8_7pointerIxNS8_11hip_rocprim5par_tENS8_11use_defaultESE_EEEENSA_INSB_IlSD_SE_SE_EEEEZNS1_13binary_searchIS3_S5_PxSG_SI_NS1_21lower_bound_search_opENS9_16wrapped_functionINS8_6system6detail7generic6detail18binary_search_lessEbEEEE10hipError_tPvRmT1_T2_T3_mmT4_T5_P12ihipStream_tbEUlRKxE_EEST_SX_SY_mSZ_S12_bEUlT_E_NS1_11comp_targetILNS1_3genE3ELNS1_11target_archE908ELNS1_3gpuE7ELNS1_3repE0EEENS1_30default_config_static_selectorELNS0_4arch9wavefront6targetE1EEEvSW_
    .private_segment_fixed_size: 0
    .sgpr_count:     4
    .sgpr_spill_count: 0
    .symbol:         _ZN7rocprim17ROCPRIM_400000_NS6detail17trampoline_kernelINS0_14default_configENS1_27lower_bound_config_selectorIxlEEZNS1_14transform_implILb0ES3_S5_N6thrust23THRUST_200600_302600_NS6detail15normal_iteratorINS8_7pointerIxNS8_11hip_rocprim5par_tENS8_11use_defaultESE_EEEENSA_INSB_IlSD_SE_SE_EEEEZNS1_13binary_searchIS3_S5_PxSG_SI_NS1_21lower_bound_search_opENS9_16wrapped_functionINS8_6system6detail7generic6detail18binary_search_lessEbEEEE10hipError_tPvRmT1_T2_T3_mmT4_T5_P12ihipStream_tbEUlRKxE_EEST_SX_SY_mSZ_S12_bEUlT_E_NS1_11comp_targetILNS1_3genE3ELNS1_11target_archE908ELNS1_3gpuE7ELNS1_3repE0EEENS1_30default_config_static_selectorELNS0_4arch9wavefront6targetE1EEEvSW_.kd
    .uniform_work_group_size: 1
    .uses_dynamic_stack: false
    .vgpr_count:     0
    .vgpr_spill_count: 0
    .wavefront_size: 64
  - .args:
      - .offset:         0
        .size:           56
        .value_kind:     by_value
      - .offset:         56
        .size:           4
        .value_kind:     hidden_block_count_x
      - .offset:         60
        .size:           4
        .value_kind:     hidden_block_count_y
      - .offset:         64
        .size:           4
        .value_kind:     hidden_block_count_z
      - .offset:         68
        .size:           2
        .value_kind:     hidden_group_size_x
      - .offset:         70
        .size:           2
        .value_kind:     hidden_group_size_y
      - .offset:         72
        .size:           2
        .value_kind:     hidden_group_size_z
      - .offset:         74
        .size:           2
        .value_kind:     hidden_remainder_x
      - .offset:         76
        .size:           2
        .value_kind:     hidden_remainder_y
      - .offset:         78
        .size:           2
        .value_kind:     hidden_remainder_z
      - .offset:         96
        .size:           8
        .value_kind:     hidden_global_offset_x
      - .offset:         104
        .size:           8
        .value_kind:     hidden_global_offset_y
      - .offset:         112
        .size:           8
        .value_kind:     hidden_global_offset_z
      - .offset:         120
        .size:           2
        .value_kind:     hidden_grid_dims
    .group_segment_fixed_size: 0
    .kernarg_segment_align: 8
    .kernarg_segment_size: 312
    .language:       OpenCL C
    .language_version:
      - 2
      - 0
    .max_flat_workgroup_size: 256
    .name:           _ZN7rocprim17ROCPRIM_400000_NS6detail17trampoline_kernelINS0_14default_configENS1_27lower_bound_config_selectorIxlEEZNS1_14transform_implILb0ES3_S5_N6thrust23THRUST_200600_302600_NS6detail15normal_iteratorINS8_7pointerIxNS8_11hip_rocprim5par_tENS8_11use_defaultESE_EEEENSA_INSB_IlSD_SE_SE_EEEEZNS1_13binary_searchIS3_S5_PxSG_SI_NS1_21lower_bound_search_opENS9_16wrapped_functionINS8_6system6detail7generic6detail18binary_search_lessEbEEEE10hipError_tPvRmT1_T2_T3_mmT4_T5_P12ihipStream_tbEUlRKxE_EEST_SX_SY_mSZ_S12_bEUlT_E_NS1_11comp_targetILNS1_3genE2ELNS1_11target_archE906ELNS1_3gpuE6ELNS1_3repE0EEENS1_30default_config_static_selectorELNS0_4arch9wavefront6targetE1EEEvSW_
    .private_segment_fixed_size: 0
    .sgpr_count:     22
    .sgpr_spill_count: 0
    .symbol:         _ZN7rocprim17ROCPRIM_400000_NS6detail17trampoline_kernelINS0_14default_configENS1_27lower_bound_config_selectorIxlEEZNS1_14transform_implILb0ES3_S5_N6thrust23THRUST_200600_302600_NS6detail15normal_iteratorINS8_7pointerIxNS8_11hip_rocprim5par_tENS8_11use_defaultESE_EEEENSA_INSB_IlSD_SE_SE_EEEEZNS1_13binary_searchIS3_S5_PxSG_SI_NS1_21lower_bound_search_opENS9_16wrapped_functionINS8_6system6detail7generic6detail18binary_search_lessEbEEEE10hipError_tPvRmT1_T2_T3_mmT4_T5_P12ihipStream_tbEUlRKxE_EEST_SX_SY_mSZ_S12_bEUlT_E_NS1_11comp_targetILNS1_3genE2ELNS1_11target_archE906ELNS1_3gpuE6ELNS1_3repE0EEENS1_30default_config_static_selectorELNS0_4arch9wavefront6targetE1EEEvSW_.kd
    .uniform_work_group_size: 1
    .uses_dynamic_stack: false
    .vgpr_count:     14
    .vgpr_spill_count: 0
    .wavefront_size: 64
  - .args:
      - .offset:         0
        .size:           56
        .value_kind:     by_value
    .group_segment_fixed_size: 0
    .kernarg_segment_align: 8
    .kernarg_segment_size: 56
    .language:       OpenCL C
    .language_version:
      - 2
      - 0
    .max_flat_workgroup_size: 128
    .name:           _ZN7rocprim17ROCPRIM_400000_NS6detail17trampoline_kernelINS0_14default_configENS1_27lower_bound_config_selectorIxlEEZNS1_14transform_implILb0ES3_S5_N6thrust23THRUST_200600_302600_NS6detail15normal_iteratorINS8_7pointerIxNS8_11hip_rocprim5par_tENS8_11use_defaultESE_EEEENSA_INSB_IlSD_SE_SE_EEEEZNS1_13binary_searchIS3_S5_PxSG_SI_NS1_21lower_bound_search_opENS9_16wrapped_functionINS8_6system6detail7generic6detail18binary_search_lessEbEEEE10hipError_tPvRmT1_T2_T3_mmT4_T5_P12ihipStream_tbEUlRKxE_EEST_SX_SY_mSZ_S12_bEUlT_E_NS1_11comp_targetILNS1_3genE10ELNS1_11target_archE1201ELNS1_3gpuE5ELNS1_3repE0EEENS1_30default_config_static_selectorELNS0_4arch9wavefront6targetE1EEEvSW_
    .private_segment_fixed_size: 0
    .sgpr_count:     4
    .sgpr_spill_count: 0
    .symbol:         _ZN7rocprim17ROCPRIM_400000_NS6detail17trampoline_kernelINS0_14default_configENS1_27lower_bound_config_selectorIxlEEZNS1_14transform_implILb0ES3_S5_N6thrust23THRUST_200600_302600_NS6detail15normal_iteratorINS8_7pointerIxNS8_11hip_rocprim5par_tENS8_11use_defaultESE_EEEENSA_INSB_IlSD_SE_SE_EEEEZNS1_13binary_searchIS3_S5_PxSG_SI_NS1_21lower_bound_search_opENS9_16wrapped_functionINS8_6system6detail7generic6detail18binary_search_lessEbEEEE10hipError_tPvRmT1_T2_T3_mmT4_T5_P12ihipStream_tbEUlRKxE_EEST_SX_SY_mSZ_S12_bEUlT_E_NS1_11comp_targetILNS1_3genE10ELNS1_11target_archE1201ELNS1_3gpuE5ELNS1_3repE0EEENS1_30default_config_static_selectorELNS0_4arch9wavefront6targetE1EEEvSW_.kd
    .uniform_work_group_size: 1
    .uses_dynamic_stack: false
    .vgpr_count:     0
    .vgpr_spill_count: 0
    .wavefront_size: 64
  - .args:
      - .offset:         0
        .size:           56
        .value_kind:     by_value
    .group_segment_fixed_size: 0
    .kernarg_segment_align: 8
    .kernarg_segment_size: 56
    .language:       OpenCL C
    .language_version:
      - 2
      - 0
    .max_flat_workgroup_size: 128
    .name:           _ZN7rocprim17ROCPRIM_400000_NS6detail17trampoline_kernelINS0_14default_configENS1_27lower_bound_config_selectorIxlEEZNS1_14transform_implILb0ES3_S5_N6thrust23THRUST_200600_302600_NS6detail15normal_iteratorINS8_7pointerIxNS8_11hip_rocprim5par_tENS8_11use_defaultESE_EEEENSA_INSB_IlSD_SE_SE_EEEEZNS1_13binary_searchIS3_S5_PxSG_SI_NS1_21lower_bound_search_opENS9_16wrapped_functionINS8_6system6detail7generic6detail18binary_search_lessEbEEEE10hipError_tPvRmT1_T2_T3_mmT4_T5_P12ihipStream_tbEUlRKxE_EEST_SX_SY_mSZ_S12_bEUlT_E_NS1_11comp_targetILNS1_3genE10ELNS1_11target_archE1200ELNS1_3gpuE4ELNS1_3repE0EEENS1_30default_config_static_selectorELNS0_4arch9wavefront6targetE1EEEvSW_
    .private_segment_fixed_size: 0
    .sgpr_count:     4
    .sgpr_spill_count: 0
    .symbol:         _ZN7rocprim17ROCPRIM_400000_NS6detail17trampoline_kernelINS0_14default_configENS1_27lower_bound_config_selectorIxlEEZNS1_14transform_implILb0ES3_S5_N6thrust23THRUST_200600_302600_NS6detail15normal_iteratorINS8_7pointerIxNS8_11hip_rocprim5par_tENS8_11use_defaultESE_EEEENSA_INSB_IlSD_SE_SE_EEEEZNS1_13binary_searchIS3_S5_PxSG_SI_NS1_21lower_bound_search_opENS9_16wrapped_functionINS8_6system6detail7generic6detail18binary_search_lessEbEEEE10hipError_tPvRmT1_T2_T3_mmT4_T5_P12ihipStream_tbEUlRKxE_EEST_SX_SY_mSZ_S12_bEUlT_E_NS1_11comp_targetILNS1_3genE10ELNS1_11target_archE1200ELNS1_3gpuE4ELNS1_3repE0EEENS1_30default_config_static_selectorELNS0_4arch9wavefront6targetE1EEEvSW_.kd
    .uniform_work_group_size: 1
    .uses_dynamic_stack: false
    .vgpr_count:     0
    .vgpr_spill_count: 0
    .wavefront_size: 64
  - .args:
      - .offset:         0
        .size:           56
        .value_kind:     by_value
    .group_segment_fixed_size: 0
    .kernarg_segment_align: 8
    .kernarg_segment_size: 56
    .language:       OpenCL C
    .language_version:
      - 2
      - 0
    .max_flat_workgroup_size: 256
    .name:           _ZN7rocprim17ROCPRIM_400000_NS6detail17trampoline_kernelINS0_14default_configENS1_27lower_bound_config_selectorIxlEEZNS1_14transform_implILb0ES3_S5_N6thrust23THRUST_200600_302600_NS6detail15normal_iteratorINS8_7pointerIxNS8_11hip_rocprim5par_tENS8_11use_defaultESE_EEEENSA_INSB_IlSD_SE_SE_EEEEZNS1_13binary_searchIS3_S5_PxSG_SI_NS1_21lower_bound_search_opENS9_16wrapped_functionINS8_6system6detail7generic6detail18binary_search_lessEbEEEE10hipError_tPvRmT1_T2_T3_mmT4_T5_P12ihipStream_tbEUlRKxE_EEST_SX_SY_mSZ_S12_bEUlT_E_NS1_11comp_targetILNS1_3genE9ELNS1_11target_archE1100ELNS1_3gpuE3ELNS1_3repE0EEENS1_30default_config_static_selectorELNS0_4arch9wavefront6targetE1EEEvSW_
    .private_segment_fixed_size: 0
    .sgpr_count:     4
    .sgpr_spill_count: 0
    .symbol:         _ZN7rocprim17ROCPRIM_400000_NS6detail17trampoline_kernelINS0_14default_configENS1_27lower_bound_config_selectorIxlEEZNS1_14transform_implILb0ES3_S5_N6thrust23THRUST_200600_302600_NS6detail15normal_iteratorINS8_7pointerIxNS8_11hip_rocprim5par_tENS8_11use_defaultESE_EEEENSA_INSB_IlSD_SE_SE_EEEEZNS1_13binary_searchIS3_S5_PxSG_SI_NS1_21lower_bound_search_opENS9_16wrapped_functionINS8_6system6detail7generic6detail18binary_search_lessEbEEEE10hipError_tPvRmT1_T2_T3_mmT4_T5_P12ihipStream_tbEUlRKxE_EEST_SX_SY_mSZ_S12_bEUlT_E_NS1_11comp_targetILNS1_3genE9ELNS1_11target_archE1100ELNS1_3gpuE3ELNS1_3repE0EEENS1_30default_config_static_selectorELNS0_4arch9wavefront6targetE1EEEvSW_.kd
    .uniform_work_group_size: 1
    .uses_dynamic_stack: false
    .vgpr_count:     0
    .vgpr_spill_count: 0
    .wavefront_size: 64
  - .args:
      - .offset:         0
        .size:           56
        .value_kind:     by_value
    .group_segment_fixed_size: 0
    .kernarg_segment_align: 8
    .kernarg_segment_size: 56
    .language:       OpenCL C
    .language_version:
      - 2
      - 0
    .max_flat_workgroup_size: 256
    .name:           _ZN7rocprim17ROCPRIM_400000_NS6detail17trampoline_kernelINS0_14default_configENS1_27lower_bound_config_selectorIxlEEZNS1_14transform_implILb0ES3_S5_N6thrust23THRUST_200600_302600_NS6detail15normal_iteratorINS8_7pointerIxNS8_11hip_rocprim5par_tENS8_11use_defaultESE_EEEENSA_INSB_IlSD_SE_SE_EEEEZNS1_13binary_searchIS3_S5_PxSG_SI_NS1_21lower_bound_search_opENS9_16wrapped_functionINS8_6system6detail7generic6detail18binary_search_lessEbEEEE10hipError_tPvRmT1_T2_T3_mmT4_T5_P12ihipStream_tbEUlRKxE_EEST_SX_SY_mSZ_S12_bEUlT_E_NS1_11comp_targetILNS1_3genE8ELNS1_11target_archE1030ELNS1_3gpuE2ELNS1_3repE0EEENS1_30default_config_static_selectorELNS0_4arch9wavefront6targetE1EEEvSW_
    .private_segment_fixed_size: 0
    .sgpr_count:     4
    .sgpr_spill_count: 0
    .symbol:         _ZN7rocprim17ROCPRIM_400000_NS6detail17trampoline_kernelINS0_14default_configENS1_27lower_bound_config_selectorIxlEEZNS1_14transform_implILb0ES3_S5_N6thrust23THRUST_200600_302600_NS6detail15normal_iteratorINS8_7pointerIxNS8_11hip_rocprim5par_tENS8_11use_defaultESE_EEEENSA_INSB_IlSD_SE_SE_EEEEZNS1_13binary_searchIS3_S5_PxSG_SI_NS1_21lower_bound_search_opENS9_16wrapped_functionINS8_6system6detail7generic6detail18binary_search_lessEbEEEE10hipError_tPvRmT1_T2_T3_mmT4_T5_P12ihipStream_tbEUlRKxE_EEST_SX_SY_mSZ_S12_bEUlT_E_NS1_11comp_targetILNS1_3genE8ELNS1_11target_archE1030ELNS1_3gpuE2ELNS1_3repE0EEENS1_30default_config_static_selectorELNS0_4arch9wavefront6targetE1EEEvSW_.kd
    .uniform_work_group_size: 1
    .uses_dynamic_stack: false
    .vgpr_count:     0
    .vgpr_spill_count: 0
    .wavefront_size: 64
  - .args:
      - .offset:         0
        .size:           8
        .value_kind:     by_value
      - .address_space:  global
        .offset:         8
        .size:           8
        .value_kind:     global_buffer
      - .address_space:  global
        .offset:         16
        .size:           8
        .value_kind:     global_buffer
    .group_segment_fixed_size: 0
    .kernarg_segment_align: 8
    .kernarg_segment_size: 24
    .language:       OpenCL C
    .language_version:
      - 2
      - 0
    .max_flat_workgroup_size: 256
    .name:           _Z18lower_bound_kernelIiEvmPT_Pl
    .private_segment_fixed_size: 0
    .sgpr_count:     21
    .sgpr_spill_count: 0
    .symbol:         _Z18lower_bound_kernelIiEvmPT_Pl.kd
    .uniform_work_group_size: 1
    .uses_dynamic_stack: false
    .vgpr_count:     3
    .vgpr_spill_count: 0
    .wavefront_size: 64
  - .args:
      - .offset:         0
        .size:           56
        .value_kind:     by_value
    .group_segment_fixed_size: 0
    .kernarg_segment_align: 8
    .kernarg_segment_size: 56
    .language:       OpenCL C
    .language_version:
      - 2
      - 0
    .max_flat_workgroup_size: 256
    .name:           _ZN7rocprim17ROCPRIM_400000_NS6detail17trampoline_kernelINS0_14default_configENS1_27lower_bound_config_selectorIilEEZNS1_14transform_implILb0ES3_S5_N6thrust23THRUST_200600_302600_NS6detail15normal_iteratorINS8_7pointerIiNS8_11hip_rocprim5par_tENS8_11use_defaultESE_EEEENSA_INSB_IlSD_SE_SE_EEEEZNS1_13binary_searchIS3_S5_PiSG_SI_NS1_21lower_bound_search_opENS9_16wrapped_functionI11custom_lessbEEEE10hipError_tPvRmT1_T2_T3_mmT4_T5_P12ihipStream_tbEUlRKiE_EESP_ST_SU_mSV_SY_bEUlT_E_NS1_11comp_targetILNS1_3genE0ELNS1_11target_archE4294967295ELNS1_3gpuE0ELNS1_3repE0EEENS1_30default_config_static_selectorELNS0_4arch9wavefront6targetE1EEEvSS_
    .private_segment_fixed_size: 0
    .sgpr_count:     4
    .sgpr_spill_count: 0
    .symbol:         _ZN7rocprim17ROCPRIM_400000_NS6detail17trampoline_kernelINS0_14default_configENS1_27lower_bound_config_selectorIilEEZNS1_14transform_implILb0ES3_S5_N6thrust23THRUST_200600_302600_NS6detail15normal_iteratorINS8_7pointerIiNS8_11hip_rocprim5par_tENS8_11use_defaultESE_EEEENSA_INSB_IlSD_SE_SE_EEEEZNS1_13binary_searchIS3_S5_PiSG_SI_NS1_21lower_bound_search_opENS9_16wrapped_functionI11custom_lessbEEEE10hipError_tPvRmT1_T2_T3_mmT4_T5_P12ihipStream_tbEUlRKiE_EESP_ST_SU_mSV_SY_bEUlT_E_NS1_11comp_targetILNS1_3genE0ELNS1_11target_archE4294967295ELNS1_3gpuE0ELNS1_3repE0EEENS1_30default_config_static_selectorELNS0_4arch9wavefront6targetE1EEEvSS_.kd
    .uniform_work_group_size: 1
    .uses_dynamic_stack: false
    .vgpr_count:     0
    .vgpr_spill_count: 0
    .wavefront_size: 64
  - .args:
      - .offset:         0
        .size:           56
        .value_kind:     by_value
    .group_segment_fixed_size: 0
    .kernarg_segment_align: 8
    .kernarg_segment_size: 56
    .language:       OpenCL C
    .language_version:
      - 2
      - 0
    .max_flat_workgroup_size: 256
    .name:           _ZN7rocprim17ROCPRIM_400000_NS6detail17trampoline_kernelINS0_14default_configENS1_27lower_bound_config_selectorIilEEZNS1_14transform_implILb0ES3_S5_N6thrust23THRUST_200600_302600_NS6detail15normal_iteratorINS8_7pointerIiNS8_11hip_rocprim5par_tENS8_11use_defaultESE_EEEENSA_INSB_IlSD_SE_SE_EEEEZNS1_13binary_searchIS3_S5_PiSG_SI_NS1_21lower_bound_search_opENS9_16wrapped_functionI11custom_lessbEEEE10hipError_tPvRmT1_T2_T3_mmT4_T5_P12ihipStream_tbEUlRKiE_EESP_ST_SU_mSV_SY_bEUlT_E_NS1_11comp_targetILNS1_3genE5ELNS1_11target_archE942ELNS1_3gpuE9ELNS1_3repE0EEENS1_30default_config_static_selectorELNS0_4arch9wavefront6targetE1EEEvSS_
    .private_segment_fixed_size: 0
    .sgpr_count:     4
    .sgpr_spill_count: 0
    .symbol:         _ZN7rocprim17ROCPRIM_400000_NS6detail17trampoline_kernelINS0_14default_configENS1_27lower_bound_config_selectorIilEEZNS1_14transform_implILb0ES3_S5_N6thrust23THRUST_200600_302600_NS6detail15normal_iteratorINS8_7pointerIiNS8_11hip_rocprim5par_tENS8_11use_defaultESE_EEEENSA_INSB_IlSD_SE_SE_EEEEZNS1_13binary_searchIS3_S5_PiSG_SI_NS1_21lower_bound_search_opENS9_16wrapped_functionI11custom_lessbEEEE10hipError_tPvRmT1_T2_T3_mmT4_T5_P12ihipStream_tbEUlRKiE_EESP_ST_SU_mSV_SY_bEUlT_E_NS1_11comp_targetILNS1_3genE5ELNS1_11target_archE942ELNS1_3gpuE9ELNS1_3repE0EEENS1_30default_config_static_selectorELNS0_4arch9wavefront6targetE1EEEvSS_.kd
    .uniform_work_group_size: 1
    .uses_dynamic_stack: false
    .vgpr_count:     0
    .vgpr_spill_count: 0
    .wavefront_size: 64
  - .args:
      - .offset:         0
        .size:           56
        .value_kind:     by_value
    .group_segment_fixed_size: 0
    .kernarg_segment_align: 8
    .kernarg_segment_size: 56
    .language:       OpenCL C
    .language_version:
      - 2
      - 0
    .max_flat_workgroup_size: 256
    .name:           _ZN7rocprim17ROCPRIM_400000_NS6detail17trampoline_kernelINS0_14default_configENS1_27lower_bound_config_selectorIilEEZNS1_14transform_implILb0ES3_S5_N6thrust23THRUST_200600_302600_NS6detail15normal_iteratorINS8_7pointerIiNS8_11hip_rocprim5par_tENS8_11use_defaultESE_EEEENSA_INSB_IlSD_SE_SE_EEEEZNS1_13binary_searchIS3_S5_PiSG_SI_NS1_21lower_bound_search_opENS9_16wrapped_functionI11custom_lessbEEEE10hipError_tPvRmT1_T2_T3_mmT4_T5_P12ihipStream_tbEUlRKiE_EESP_ST_SU_mSV_SY_bEUlT_E_NS1_11comp_targetILNS1_3genE4ELNS1_11target_archE910ELNS1_3gpuE8ELNS1_3repE0EEENS1_30default_config_static_selectorELNS0_4arch9wavefront6targetE1EEEvSS_
    .private_segment_fixed_size: 0
    .sgpr_count:     4
    .sgpr_spill_count: 0
    .symbol:         _ZN7rocprim17ROCPRIM_400000_NS6detail17trampoline_kernelINS0_14default_configENS1_27lower_bound_config_selectorIilEEZNS1_14transform_implILb0ES3_S5_N6thrust23THRUST_200600_302600_NS6detail15normal_iteratorINS8_7pointerIiNS8_11hip_rocprim5par_tENS8_11use_defaultESE_EEEENSA_INSB_IlSD_SE_SE_EEEEZNS1_13binary_searchIS3_S5_PiSG_SI_NS1_21lower_bound_search_opENS9_16wrapped_functionI11custom_lessbEEEE10hipError_tPvRmT1_T2_T3_mmT4_T5_P12ihipStream_tbEUlRKiE_EESP_ST_SU_mSV_SY_bEUlT_E_NS1_11comp_targetILNS1_3genE4ELNS1_11target_archE910ELNS1_3gpuE8ELNS1_3repE0EEENS1_30default_config_static_selectorELNS0_4arch9wavefront6targetE1EEEvSS_.kd
    .uniform_work_group_size: 1
    .uses_dynamic_stack: false
    .vgpr_count:     0
    .vgpr_spill_count: 0
    .wavefront_size: 64
  - .args:
      - .offset:         0
        .size:           56
        .value_kind:     by_value
    .group_segment_fixed_size: 0
    .kernarg_segment_align: 8
    .kernarg_segment_size: 56
    .language:       OpenCL C
    .language_version:
      - 2
      - 0
    .max_flat_workgroup_size: 256
    .name:           _ZN7rocprim17ROCPRIM_400000_NS6detail17trampoline_kernelINS0_14default_configENS1_27lower_bound_config_selectorIilEEZNS1_14transform_implILb0ES3_S5_N6thrust23THRUST_200600_302600_NS6detail15normal_iteratorINS8_7pointerIiNS8_11hip_rocprim5par_tENS8_11use_defaultESE_EEEENSA_INSB_IlSD_SE_SE_EEEEZNS1_13binary_searchIS3_S5_PiSG_SI_NS1_21lower_bound_search_opENS9_16wrapped_functionI11custom_lessbEEEE10hipError_tPvRmT1_T2_T3_mmT4_T5_P12ihipStream_tbEUlRKiE_EESP_ST_SU_mSV_SY_bEUlT_E_NS1_11comp_targetILNS1_3genE3ELNS1_11target_archE908ELNS1_3gpuE7ELNS1_3repE0EEENS1_30default_config_static_selectorELNS0_4arch9wavefront6targetE1EEEvSS_
    .private_segment_fixed_size: 0
    .sgpr_count:     4
    .sgpr_spill_count: 0
    .symbol:         _ZN7rocprim17ROCPRIM_400000_NS6detail17trampoline_kernelINS0_14default_configENS1_27lower_bound_config_selectorIilEEZNS1_14transform_implILb0ES3_S5_N6thrust23THRUST_200600_302600_NS6detail15normal_iteratorINS8_7pointerIiNS8_11hip_rocprim5par_tENS8_11use_defaultESE_EEEENSA_INSB_IlSD_SE_SE_EEEEZNS1_13binary_searchIS3_S5_PiSG_SI_NS1_21lower_bound_search_opENS9_16wrapped_functionI11custom_lessbEEEE10hipError_tPvRmT1_T2_T3_mmT4_T5_P12ihipStream_tbEUlRKiE_EESP_ST_SU_mSV_SY_bEUlT_E_NS1_11comp_targetILNS1_3genE3ELNS1_11target_archE908ELNS1_3gpuE7ELNS1_3repE0EEENS1_30default_config_static_selectorELNS0_4arch9wavefront6targetE1EEEvSS_.kd
    .uniform_work_group_size: 1
    .uses_dynamic_stack: false
    .vgpr_count:     0
    .vgpr_spill_count: 0
    .wavefront_size: 64
  - .args:
      - .offset:         0
        .size:           56
        .value_kind:     by_value
      - .offset:         56
        .size:           4
        .value_kind:     hidden_block_count_x
      - .offset:         60
        .size:           4
        .value_kind:     hidden_block_count_y
      - .offset:         64
        .size:           4
        .value_kind:     hidden_block_count_z
      - .offset:         68
        .size:           2
        .value_kind:     hidden_group_size_x
      - .offset:         70
        .size:           2
        .value_kind:     hidden_group_size_y
      - .offset:         72
        .size:           2
        .value_kind:     hidden_group_size_z
      - .offset:         74
        .size:           2
        .value_kind:     hidden_remainder_x
      - .offset:         76
        .size:           2
        .value_kind:     hidden_remainder_y
      - .offset:         78
        .size:           2
        .value_kind:     hidden_remainder_z
      - .offset:         96
        .size:           8
        .value_kind:     hidden_global_offset_x
      - .offset:         104
        .size:           8
        .value_kind:     hidden_global_offset_y
      - .offset:         112
        .size:           8
        .value_kind:     hidden_global_offset_z
      - .offset:         120
        .size:           2
        .value_kind:     hidden_grid_dims
    .group_segment_fixed_size: 0
    .kernarg_segment_align: 8
    .kernarg_segment_size: 312
    .language:       OpenCL C
    .language_version:
      - 2
      - 0
    .max_flat_workgroup_size: 256
    .name:           _ZN7rocprim17ROCPRIM_400000_NS6detail17trampoline_kernelINS0_14default_configENS1_27lower_bound_config_selectorIilEEZNS1_14transform_implILb0ES3_S5_N6thrust23THRUST_200600_302600_NS6detail15normal_iteratorINS8_7pointerIiNS8_11hip_rocprim5par_tENS8_11use_defaultESE_EEEENSA_INSB_IlSD_SE_SE_EEEEZNS1_13binary_searchIS3_S5_PiSG_SI_NS1_21lower_bound_search_opENS9_16wrapped_functionI11custom_lessbEEEE10hipError_tPvRmT1_T2_T3_mmT4_T5_P12ihipStream_tbEUlRKiE_EESP_ST_SU_mSV_SY_bEUlT_E_NS1_11comp_targetILNS1_3genE2ELNS1_11target_archE906ELNS1_3gpuE6ELNS1_3repE0EEENS1_30default_config_static_selectorELNS0_4arch9wavefront6targetE1EEEvSS_
    .private_segment_fixed_size: 0
    .sgpr_count:     24
    .sgpr_spill_count: 0
    .symbol:         _ZN7rocprim17ROCPRIM_400000_NS6detail17trampoline_kernelINS0_14default_configENS1_27lower_bound_config_selectorIilEEZNS1_14transform_implILb0ES3_S5_N6thrust23THRUST_200600_302600_NS6detail15normal_iteratorINS8_7pointerIiNS8_11hip_rocprim5par_tENS8_11use_defaultESE_EEEENSA_INSB_IlSD_SE_SE_EEEEZNS1_13binary_searchIS3_S5_PiSG_SI_NS1_21lower_bound_search_opENS9_16wrapped_functionI11custom_lessbEEEE10hipError_tPvRmT1_T2_T3_mmT4_T5_P12ihipStream_tbEUlRKiE_EESP_ST_SU_mSV_SY_bEUlT_E_NS1_11comp_targetILNS1_3genE2ELNS1_11target_archE906ELNS1_3gpuE6ELNS1_3repE0EEENS1_30default_config_static_selectorELNS0_4arch9wavefront6targetE1EEEvSS_.kd
    .uniform_work_group_size: 1
    .uses_dynamic_stack: false
    .vgpr_count:     12
    .vgpr_spill_count: 0
    .wavefront_size: 64
  - .args:
      - .offset:         0
        .size:           56
        .value_kind:     by_value
    .group_segment_fixed_size: 0
    .kernarg_segment_align: 8
    .kernarg_segment_size: 56
    .language:       OpenCL C
    .language_version:
      - 2
      - 0
    .max_flat_workgroup_size: 128
    .name:           _ZN7rocprim17ROCPRIM_400000_NS6detail17trampoline_kernelINS0_14default_configENS1_27lower_bound_config_selectorIilEEZNS1_14transform_implILb0ES3_S5_N6thrust23THRUST_200600_302600_NS6detail15normal_iteratorINS8_7pointerIiNS8_11hip_rocprim5par_tENS8_11use_defaultESE_EEEENSA_INSB_IlSD_SE_SE_EEEEZNS1_13binary_searchIS3_S5_PiSG_SI_NS1_21lower_bound_search_opENS9_16wrapped_functionI11custom_lessbEEEE10hipError_tPvRmT1_T2_T3_mmT4_T5_P12ihipStream_tbEUlRKiE_EESP_ST_SU_mSV_SY_bEUlT_E_NS1_11comp_targetILNS1_3genE10ELNS1_11target_archE1201ELNS1_3gpuE5ELNS1_3repE0EEENS1_30default_config_static_selectorELNS0_4arch9wavefront6targetE1EEEvSS_
    .private_segment_fixed_size: 0
    .sgpr_count:     4
    .sgpr_spill_count: 0
    .symbol:         _ZN7rocprim17ROCPRIM_400000_NS6detail17trampoline_kernelINS0_14default_configENS1_27lower_bound_config_selectorIilEEZNS1_14transform_implILb0ES3_S5_N6thrust23THRUST_200600_302600_NS6detail15normal_iteratorINS8_7pointerIiNS8_11hip_rocprim5par_tENS8_11use_defaultESE_EEEENSA_INSB_IlSD_SE_SE_EEEEZNS1_13binary_searchIS3_S5_PiSG_SI_NS1_21lower_bound_search_opENS9_16wrapped_functionI11custom_lessbEEEE10hipError_tPvRmT1_T2_T3_mmT4_T5_P12ihipStream_tbEUlRKiE_EESP_ST_SU_mSV_SY_bEUlT_E_NS1_11comp_targetILNS1_3genE10ELNS1_11target_archE1201ELNS1_3gpuE5ELNS1_3repE0EEENS1_30default_config_static_selectorELNS0_4arch9wavefront6targetE1EEEvSS_.kd
    .uniform_work_group_size: 1
    .uses_dynamic_stack: false
    .vgpr_count:     0
    .vgpr_spill_count: 0
    .wavefront_size: 64
  - .args:
      - .offset:         0
        .size:           56
        .value_kind:     by_value
    .group_segment_fixed_size: 0
    .kernarg_segment_align: 8
    .kernarg_segment_size: 56
    .language:       OpenCL C
    .language_version:
      - 2
      - 0
    .max_flat_workgroup_size: 128
    .name:           _ZN7rocprim17ROCPRIM_400000_NS6detail17trampoline_kernelINS0_14default_configENS1_27lower_bound_config_selectorIilEEZNS1_14transform_implILb0ES3_S5_N6thrust23THRUST_200600_302600_NS6detail15normal_iteratorINS8_7pointerIiNS8_11hip_rocprim5par_tENS8_11use_defaultESE_EEEENSA_INSB_IlSD_SE_SE_EEEEZNS1_13binary_searchIS3_S5_PiSG_SI_NS1_21lower_bound_search_opENS9_16wrapped_functionI11custom_lessbEEEE10hipError_tPvRmT1_T2_T3_mmT4_T5_P12ihipStream_tbEUlRKiE_EESP_ST_SU_mSV_SY_bEUlT_E_NS1_11comp_targetILNS1_3genE10ELNS1_11target_archE1200ELNS1_3gpuE4ELNS1_3repE0EEENS1_30default_config_static_selectorELNS0_4arch9wavefront6targetE1EEEvSS_
    .private_segment_fixed_size: 0
    .sgpr_count:     4
    .sgpr_spill_count: 0
    .symbol:         _ZN7rocprim17ROCPRIM_400000_NS6detail17trampoline_kernelINS0_14default_configENS1_27lower_bound_config_selectorIilEEZNS1_14transform_implILb0ES3_S5_N6thrust23THRUST_200600_302600_NS6detail15normal_iteratorINS8_7pointerIiNS8_11hip_rocprim5par_tENS8_11use_defaultESE_EEEENSA_INSB_IlSD_SE_SE_EEEEZNS1_13binary_searchIS3_S5_PiSG_SI_NS1_21lower_bound_search_opENS9_16wrapped_functionI11custom_lessbEEEE10hipError_tPvRmT1_T2_T3_mmT4_T5_P12ihipStream_tbEUlRKiE_EESP_ST_SU_mSV_SY_bEUlT_E_NS1_11comp_targetILNS1_3genE10ELNS1_11target_archE1200ELNS1_3gpuE4ELNS1_3repE0EEENS1_30default_config_static_selectorELNS0_4arch9wavefront6targetE1EEEvSS_.kd
    .uniform_work_group_size: 1
    .uses_dynamic_stack: false
    .vgpr_count:     0
    .vgpr_spill_count: 0
    .wavefront_size: 64
  - .args:
      - .offset:         0
        .size:           56
        .value_kind:     by_value
    .group_segment_fixed_size: 0
    .kernarg_segment_align: 8
    .kernarg_segment_size: 56
    .language:       OpenCL C
    .language_version:
      - 2
      - 0
    .max_flat_workgroup_size: 256
    .name:           _ZN7rocprim17ROCPRIM_400000_NS6detail17trampoline_kernelINS0_14default_configENS1_27lower_bound_config_selectorIilEEZNS1_14transform_implILb0ES3_S5_N6thrust23THRUST_200600_302600_NS6detail15normal_iteratorINS8_7pointerIiNS8_11hip_rocprim5par_tENS8_11use_defaultESE_EEEENSA_INSB_IlSD_SE_SE_EEEEZNS1_13binary_searchIS3_S5_PiSG_SI_NS1_21lower_bound_search_opENS9_16wrapped_functionI11custom_lessbEEEE10hipError_tPvRmT1_T2_T3_mmT4_T5_P12ihipStream_tbEUlRKiE_EESP_ST_SU_mSV_SY_bEUlT_E_NS1_11comp_targetILNS1_3genE9ELNS1_11target_archE1100ELNS1_3gpuE3ELNS1_3repE0EEENS1_30default_config_static_selectorELNS0_4arch9wavefront6targetE1EEEvSS_
    .private_segment_fixed_size: 0
    .sgpr_count:     4
    .sgpr_spill_count: 0
    .symbol:         _ZN7rocprim17ROCPRIM_400000_NS6detail17trampoline_kernelINS0_14default_configENS1_27lower_bound_config_selectorIilEEZNS1_14transform_implILb0ES3_S5_N6thrust23THRUST_200600_302600_NS6detail15normal_iteratorINS8_7pointerIiNS8_11hip_rocprim5par_tENS8_11use_defaultESE_EEEENSA_INSB_IlSD_SE_SE_EEEEZNS1_13binary_searchIS3_S5_PiSG_SI_NS1_21lower_bound_search_opENS9_16wrapped_functionI11custom_lessbEEEE10hipError_tPvRmT1_T2_T3_mmT4_T5_P12ihipStream_tbEUlRKiE_EESP_ST_SU_mSV_SY_bEUlT_E_NS1_11comp_targetILNS1_3genE9ELNS1_11target_archE1100ELNS1_3gpuE3ELNS1_3repE0EEENS1_30default_config_static_selectorELNS0_4arch9wavefront6targetE1EEEvSS_.kd
    .uniform_work_group_size: 1
    .uses_dynamic_stack: false
    .vgpr_count:     0
    .vgpr_spill_count: 0
    .wavefront_size: 64
  - .args:
      - .offset:         0
        .size:           56
        .value_kind:     by_value
    .group_segment_fixed_size: 0
    .kernarg_segment_align: 8
    .kernarg_segment_size: 56
    .language:       OpenCL C
    .language_version:
      - 2
      - 0
    .max_flat_workgroup_size: 256
    .name:           _ZN7rocprim17ROCPRIM_400000_NS6detail17trampoline_kernelINS0_14default_configENS1_27lower_bound_config_selectorIilEEZNS1_14transform_implILb0ES3_S5_N6thrust23THRUST_200600_302600_NS6detail15normal_iteratorINS8_7pointerIiNS8_11hip_rocprim5par_tENS8_11use_defaultESE_EEEENSA_INSB_IlSD_SE_SE_EEEEZNS1_13binary_searchIS3_S5_PiSG_SI_NS1_21lower_bound_search_opENS9_16wrapped_functionI11custom_lessbEEEE10hipError_tPvRmT1_T2_T3_mmT4_T5_P12ihipStream_tbEUlRKiE_EESP_ST_SU_mSV_SY_bEUlT_E_NS1_11comp_targetILNS1_3genE8ELNS1_11target_archE1030ELNS1_3gpuE2ELNS1_3repE0EEENS1_30default_config_static_selectorELNS0_4arch9wavefront6targetE1EEEvSS_
    .private_segment_fixed_size: 0
    .sgpr_count:     4
    .sgpr_spill_count: 0
    .symbol:         _ZN7rocprim17ROCPRIM_400000_NS6detail17trampoline_kernelINS0_14default_configENS1_27lower_bound_config_selectorIilEEZNS1_14transform_implILb0ES3_S5_N6thrust23THRUST_200600_302600_NS6detail15normal_iteratorINS8_7pointerIiNS8_11hip_rocprim5par_tENS8_11use_defaultESE_EEEENSA_INSB_IlSD_SE_SE_EEEEZNS1_13binary_searchIS3_S5_PiSG_SI_NS1_21lower_bound_search_opENS9_16wrapped_functionI11custom_lessbEEEE10hipError_tPvRmT1_T2_T3_mmT4_T5_P12ihipStream_tbEUlRKiE_EESP_ST_SU_mSV_SY_bEUlT_E_NS1_11comp_targetILNS1_3genE8ELNS1_11target_archE1030ELNS1_3gpuE2ELNS1_3repE0EEENS1_30default_config_static_selectorELNS0_4arch9wavefront6targetE1EEEvSS_.kd
    .uniform_work_group_size: 1
    .uses_dynamic_stack: false
    .vgpr_count:     0
    .vgpr_spill_count: 0
    .wavefront_size: 64
  - .args:
      - .offset:         0
        .size:           56
        .value_kind:     by_value
    .group_segment_fixed_size: 0
    .kernarg_segment_align: 8
    .kernarg_segment_size: 56
    .language:       OpenCL C
    .language_version:
      - 2
      - 0
    .max_flat_workgroup_size: 256
    .name:           _ZN7rocprim17ROCPRIM_400000_NS6detail17trampoline_kernelINS0_14default_configENS1_27lower_bound_config_selectorIilEEZNS1_14transform_implILb0ES3_S5_N6thrust23THRUST_200600_302600_NS6detail15normal_iteratorINS8_7pointerIiNS8_11hip_rocprim5par_tENS8_11use_defaultESE_EEEENSA_INSB_IlSD_SE_SE_EEEEZNS1_13binary_searchIS3_S5_PiSG_SI_NS1_21lower_bound_search_opENS9_16wrapped_functionINS8_6system6detail7generic6detail18binary_search_lessEbEEEE10hipError_tPvRmT1_T2_T3_mmT4_T5_P12ihipStream_tbEUlRKiE_EEST_SX_SY_mSZ_S12_bEUlT_E_NS1_11comp_targetILNS1_3genE0ELNS1_11target_archE4294967295ELNS1_3gpuE0ELNS1_3repE0EEENS1_30default_config_static_selectorELNS0_4arch9wavefront6targetE1EEEvSW_
    .private_segment_fixed_size: 0
    .sgpr_count:     4
    .sgpr_spill_count: 0
    .symbol:         _ZN7rocprim17ROCPRIM_400000_NS6detail17trampoline_kernelINS0_14default_configENS1_27lower_bound_config_selectorIilEEZNS1_14transform_implILb0ES3_S5_N6thrust23THRUST_200600_302600_NS6detail15normal_iteratorINS8_7pointerIiNS8_11hip_rocprim5par_tENS8_11use_defaultESE_EEEENSA_INSB_IlSD_SE_SE_EEEEZNS1_13binary_searchIS3_S5_PiSG_SI_NS1_21lower_bound_search_opENS9_16wrapped_functionINS8_6system6detail7generic6detail18binary_search_lessEbEEEE10hipError_tPvRmT1_T2_T3_mmT4_T5_P12ihipStream_tbEUlRKiE_EEST_SX_SY_mSZ_S12_bEUlT_E_NS1_11comp_targetILNS1_3genE0ELNS1_11target_archE4294967295ELNS1_3gpuE0ELNS1_3repE0EEENS1_30default_config_static_selectorELNS0_4arch9wavefront6targetE1EEEvSW_.kd
    .uniform_work_group_size: 1
    .uses_dynamic_stack: false
    .vgpr_count:     0
    .vgpr_spill_count: 0
    .wavefront_size: 64
  - .args:
      - .offset:         0
        .size:           56
        .value_kind:     by_value
    .group_segment_fixed_size: 0
    .kernarg_segment_align: 8
    .kernarg_segment_size: 56
    .language:       OpenCL C
    .language_version:
      - 2
      - 0
    .max_flat_workgroup_size: 256
    .name:           _ZN7rocprim17ROCPRIM_400000_NS6detail17trampoline_kernelINS0_14default_configENS1_27lower_bound_config_selectorIilEEZNS1_14transform_implILb0ES3_S5_N6thrust23THRUST_200600_302600_NS6detail15normal_iteratorINS8_7pointerIiNS8_11hip_rocprim5par_tENS8_11use_defaultESE_EEEENSA_INSB_IlSD_SE_SE_EEEEZNS1_13binary_searchIS3_S5_PiSG_SI_NS1_21lower_bound_search_opENS9_16wrapped_functionINS8_6system6detail7generic6detail18binary_search_lessEbEEEE10hipError_tPvRmT1_T2_T3_mmT4_T5_P12ihipStream_tbEUlRKiE_EEST_SX_SY_mSZ_S12_bEUlT_E_NS1_11comp_targetILNS1_3genE5ELNS1_11target_archE942ELNS1_3gpuE9ELNS1_3repE0EEENS1_30default_config_static_selectorELNS0_4arch9wavefront6targetE1EEEvSW_
    .private_segment_fixed_size: 0
    .sgpr_count:     4
    .sgpr_spill_count: 0
    .symbol:         _ZN7rocprim17ROCPRIM_400000_NS6detail17trampoline_kernelINS0_14default_configENS1_27lower_bound_config_selectorIilEEZNS1_14transform_implILb0ES3_S5_N6thrust23THRUST_200600_302600_NS6detail15normal_iteratorINS8_7pointerIiNS8_11hip_rocprim5par_tENS8_11use_defaultESE_EEEENSA_INSB_IlSD_SE_SE_EEEEZNS1_13binary_searchIS3_S5_PiSG_SI_NS1_21lower_bound_search_opENS9_16wrapped_functionINS8_6system6detail7generic6detail18binary_search_lessEbEEEE10hipError_tPvRmT1_T2_T3_mmT4_T5_P12ihipStream_tbEUlRKiE_EEST_SX_SY_mSZ_S12_bEUlT_E_NS1_11comp_targetILNS1_3genE5ELNS1_11target_archE942ELNS1_3gpuE9ELNS1_3repE0EEENS1_30default_config_static_selectorELNS0_4arch9wavefront6targetE1EEEvSW_.kd
    .uniform_work_group_size: 1
    .uses_dynamic_stack: false
    .vgpr_count:     0
    .vgpr_spill_count: 0
    .wavefront_size: 64
  - .args:
      - .offset:         0
        .size:           56
        .value_kind:     by_value
    .group_segment_fixed_size: 0
    .kernarg_segment_align: 8
    .kernarg_segment_size: 56
    .language:       OpenCL C
    .language_version:
      - 2
      - 0
    .max_flat_workgroup_size: 256
    .name:           _ZN7rocprim17ROCPRIM_400000_NS6detail17trampoline_kernelINS0_14default_configENS1_27lower_bound_config_selectorIilEEZNS1_14transform_implILb0ES3_S5_N6thrust23THRUST_200600_302600_NS6detail15normal_iteratorINS8_7pointerIiNS8_11hip_rocprim5par_tENS8_11use_defaultESE_EEEENSA_INSB_IlSD_SE_SE_EEEEZNS1_13binary_searchIS3_S5_PiSG_SI_NS1_21lower_bound_search_opENS9_16wrapped_functionINS8_6system6detail7generic6detail18binary_search_lessEbEEEE10hipError_tPvRmT1_T2_T3_mmT4_T5_P12ihipStream_tbEUlRKiE_EEST_SX_SY_mSZ_S12_bEUlT_E_NS1_11comp_targetILNS1_3genE4ELNS1_11target_archE910ELNS1_3gpuE8ELNS1_3repE0EEENS1_30default_config_static_selectorELNS0_4arch9wavefront6targetE1EEEvSW_
    .private_segment_fixed_size: 0
    .sgpr_count:     4
    .sgpr_spill_count: 0
    .symbol:         _ZN7rocprim17ROCPRIM_400000_NS6detail17trampoline_kernelINS0_14default_configENS1_27lower_bound_config_selectorIilEEZNS1_14transform_implILb0ES3_S5_N6thrust23THRUST_200600_302600_NS6detail15normal_iteratorINS8_7pointerIiNS8_11hip_rocprim5par_tENS8_11use_defaultESE_EEEENSA_INSB_IlSD_SE_SE_EEEEZNS1_13binary_searchIS3_S5_PiSG_SI_NS1_21lower_bound_search_opENS9_16wrapped_functionINS8_6system6detail7generic6detail18binary_search_lessEbEEEE10hipError_tPvRmT1_T2_T3_mmT4_T5_P12ihipStream_tbEUlRKiE_EEST_SX_SY_mSZ_S12_bEUlT_E_NS1_11comp_targetILNS1_3genE4ELNS1_11target_archE910ELNS1_3gpuE8ELNS1_3repE0EEENS1_30default_config_static_selectorELNS0_4arch9wavefront6targetE1EEEvSW_.kd
    .uniform_work_group_size: 1
    .uses_dynamic_stack: false
    .vgpr_count:     0
    .vgpr_spill_count: 0
    .wavefront_size: 64
  - .args:
      - .offset:         0
        .size:           56
        .value_kind:     by_value
    .group_segment_fixed_size: 0
    .kernarg_segment_align: 8
    .kernarg_segment_size: 56
    .language:       OpenCL C
    .language_version:
      - 2
      - 0
    .max_flat_workgroup_size: 256
    .name:           _ZN7rocprim17ROCPRIM_400000_NS6detail17trampoline_kernelINS0_14default_configENS1_27lower_bound_config_selectorIilEEZNS1_14transform_implILb0ES3_S5_N6thrust23THRUST_200600_302600_NS6detail15normal_iteratorINS8_7pointerIiNS8_11hip_rocprim5par_tENS8_11use_defaultESE_EEEENSA_INSB_IlSD_SE_SE_EEEEZNS1_13binary_searchIS3_S5_PiSG_SI_NS1_21lower_bound_search_opENS9_16wrapped_functionINS8_6system6detail7generic6detail18binary_search_lessEbEEEE10hipError_tPvRmT1_T2_T3_mmT4_T5_P12ihipStream_tbEUlRKiE_EEST_SX_SY_mSZ_S12_bEUlT_E_NS1_11comp_targetILNS1_3genE3ELNS1_11target_archE908ELNS1_3gpuE7ELNS1_3repE0EEENS1_30default_config_static_selectorELNS0_4arch9wavefront6targetE1EEEvSW_
    .private_segment_fixed_size: 0
    .sgpr_count:     4
    .sgpr_spill_count: 0
    .symbol:         _ZN7rocprim17ROCPRIM_400000_NS6detail17trampoline_kernelINS0_14default_configENS1_27lower_bound_config_selectorIilEEZNS1_14transform_implILb0ES3_S5_N6thrust23THRUST_200600_302600_NS6detail15normal_iteratorINS8_7pointerIiNS8_11hip_rocprim5par_tENS8_11use_defaultESE_EEEENSA_INSB_IlSD_SE_SE_EEEEZNS1_13binary_searchIS3_S5_PiSG_SI_NS1_21lower_bound_search_opENS9_16wrapped_functionINS8_6system6detail7generic6detail18binary_search_lessEbEEEE10hipError_tPvRmT1_T2_T3_mmT4_T5_P12ihipStream_tbEUlRKiE_EEST_SX_SY_mSZ_S12_bEUlT_E_NS1_11comp_targetILNS1_3genE3ELNS1_11target_archE908ELNS1_3gpuE7ELNS1_3repE0EEENS1_30default_config_static_selectorELNS0_4arch9wavefront6targetE1EEEvSW_.kd
    .uniform_work_group_size: 1
    .uses_dynamic_stack: false
    .vgpr_count:     0
    .vgpr_spill_count: 0
    .wavefront_size: 64
  - .args:
      - .offset:         0
        .size:           56
        .value_kind:     by_value
      - .offset:         56
        .size:           4
        .value_kind:     hidden_block_count_x
      - .offset:         60
        .size:           4
        .value_kind:     hidden_block_count_y
      - .offset:         64
        .size:           4
        .value_kind:     hidden_block_count_z
      - .offset:         68
        .size:           2
        .value_kind:     hidden_group_size_x
      - .offset:         70
        .size:           2
        .value_kind:     hidden_group_size_y
      - .offset:         72
        .size:           2
        .value_kind:     hidden_group_size_z
      - .offset:         74
        .size:           2
        .value_kind:     hidden_remainder_x
      - .offset:         76
        .size:           2
        .value_kind:     hidden_remainder_y
      - .offset:         78
        .size:           2
        .value_kind:     hidden_remainder_z
      - .offset:         96
        .size:           8
        .value_kind:     hidden_global_offset_x
      - .offset:         104
        .size:           8
        .value_kind:     hidden_global_offset_y
      - .offset:         112
        .size:           8
        .value_kind:     hidden_global_offset_z
      - .offset:         120
        .size:           2
        .value_kind:     hidden_grid_dims
    .group_segment_fixed_size: 0
    .kernarg_segment_align: 8
    .kernarg_segment_size: 312
    .language:       OpenCL C
    .language_version:
      - 2
      - 0
    .max_flat_workgroup_size: 256
    .name:           _ZN7rocprim17ROCPRIM_400000_NS6detail17trampoline_kernelINS0_14default_configENS1_27lower_bound_config_selectorIilEEZNS1_14transform_implILb0ES3_S5_N6thrust23THRUST_200600_302600_NS6detail15normal_iteratorINS8_7pointerIiNS8_11hip_rocprim5par_tENS8_11use_defaultESE_EEEENSA_INSB_IlSD_SE_SE_EEEEZNS1_13binary_searchIS3_S5_PiSG_SI_NS1_21lower_bound_search_opENS9_16wrapped_functionINS8_6system6detail7generic6detail18binary_search_lessEbEEEE10hipError_tPvRmT1_T2_T3_mmT4_T5_P12ihipStream_tbEUlRKiE_EEST_SX_SY_mSZ_S12_bEUlT_E_NS1_11comp_targetILNS1_3genE2ELNS1_11target_archE906ELNS1_3gpuE6ELNS1_3repE0EEENS1_30default_config_static_selectorELNS0_4arch9wavefront6targetE1EEEvSW_
    .private_segment_fixed_size: 0
    .sgpr_count:     24
    .sgpr_spill_count: 0
    .symbol:         _ZN7rocprim17ROCPRIM_400000_NS6detail17trampoline_kernelINS0_14default_configENS1_27lower_bound_config_selectorIilEEZNS1_14transform_implILb0ES3_S5_N6thrust23THRUST_200600_302600_NS6detail15normal_iteratorINS8_7pointerIiNS8_11hip_rocprim5par_tENS8_11use_defaultESE_EEEENSA_INSB_IlSD_SE_SE_EEEEZNS1_13binary_searchIS3_S5_PiSG_SI_NS1_21lower_bound_search_opENS9_16wrapped_functionINS8_6system6detail7generic6detail18binary_search_lessEbEEEE10hipError_tPvRmT1_T2_T3_mmT4_T5_P12ihipStream_tbEUlRKiE_EEST_SX_SY_mSZ_S12_bEUlT_E_NS1_11comp_targetILNS1_3genE2ELNS1_11target_archE906ELNS1_3gpuE6ELNS1_3repE0EEENS1_30default_config_static_selectorELNS0_4arch9wavefront6targetE1EEEvSW_.kd
    .uniform_work_group_size: 1
    .uses_dynamic_stack: false
    .vgpr_count:     12
    .vgpr_spill_count: 0
    .wavefront_size: 64
  - .args:
      - .offset:         0
        .size:           56
        .value_kind:     by_value
    .group_segment_fixed_size: 0
    .kernarg_segment_align: 8
    .kernarg_segment_size: 56
    .language:       OpenCL C
    .language_version:
      - 2
      - 0
    .max_flat_workgroup_size: 128
    .name:           _ZN7rocprim17ROCPRIM_400000_NS6detail17trampoline_kernelINS0_14default_configENS1_27lower_bound_config_selectorIilEEZNS1_14transform_implILb0ES3_S5_N6thrust23THRUST_200600_302600_NS6detail15normal_iteratorINS8_7pointerIiNS8_11hip_rocprim5par_tENS8_11use_defaultESE_EEEENSA_INSB_IlSD_SE_SE_EEEEZNS1_13binary_searchIS3_S5_PiSG_SI_NS1_21lower_bound_search_opENS9_16wrapped_functionINS8_6system6detail7generic6detail18binary_search_lessEbEEEE10hipError_tPvRmT1_T2_T3_mmT4_T5_P12ihipStream_tbEUlRKiE_EEST_SX_SY_mSZ_S12_bEUlT_E_NS1_11comp_targetILNS1_3genE10ELNS1_11target_archE1201ELNS1_3gpuE5ELNS1_3repE0EEENS1_30default_config_static_selectorELNS0_4arch9wavefront6targetE1EEEvSW_
    .private_segment_fixed_size: 0
    .sgpr_count:     4
    .sgpr_spill_count: 0
    .symbol:         _ZN7rocprim17ROCPRIM_400000_NS6detail17trampoline_kernelINS0_14default_configENS1_27lower_bound_config_selectorIilEEZNS1_14transform_implILb0ES3_S5_N6thrust23THRUST_200600_302600_NS6detail15normal_iteratorINS8_7pointerIiNS8_11hip_rocprim5par_tENS8_11use_defaultESE_EEEENSA_INSB_IlSD_SE_SE_EEEEZNS1_13binary_searchIS3_S5_PiSG_SI_NS1_21lower_bound_search_opENS9_16wrapped_functionINS8_6system6detail7generic6detail18binary_search_lessEbEEEE10hipError_tPvRmT1_T2_T3_mmT4_T5_P12ihipStream_tbEUlRKiE_EEST_SX_SY_mSZ_S12_bEUlT_E_NS1_11comp_targetILNS1_3genE10ELNS1_11target_archE1201ELNS1_3gpuE5ELNS1_3repE0EEENS1_30default_config_static_selectorELNS0_4arch9wavefront6targetE1EEEvSW_.kd
    .uniform_work_group_size: 1
    .uses_dynamic_stack: false
    .vgpr_count:     0
    .vgpr_spill_count: 0
    .wavefront_size: 64
  - .args:
      - .offset:         0
        .size:           56
        .value_kind:     by_value
    .group_segment_fixed_size: 0
    .kernarg_segment_align: 8
    .kernarg_segment_size: 56
    .language:       OpenCL C
    .language_version:
      - 2
      - 0
    .max_flat_workgroup_size: 128
    .name:           _ZN7rocprim17ROCPRIM_400000_NS6detail17trampoline_kernelINS0_14default_configENS1_27lower_bound_config_selectorIilEEZNS1_14transform_implILb0ES3_S5_N6thrust23THRUST_200600_302600_NS6detail15normal_iteratorINS8_7pointerIiNS8_11hip_rocprim5par_tENS8_11use_defaultESE_EEEENSA_INSB_IlSD_SE_SE_EEEEZNS1_13binary_searchIS3_S5_PiSG_SI_NS1_21lower_bound_search_opENS9_16wrapped_functionINS8_6system6detail7generic6detail18binary_search_lessEbEEEE10hipError_tPvRmT1_T2_T3_mmT4_T5_P12ihipStream_tbEUlRKiE_EEST_SX_SY_mSZ_S12_bEUlT_E_NS1_11comp_targetILNS1_3genE10ELNS1_11target_archE1200ELNS1_3gpuE4ELNS1_3repE0EEENS1_30default_config_static_selectorELNS0_4arch9wavefront6targetE1EEEvSW_
    .private_segment_fixed_size: 0
    .sgpr_count:     4
    .sgpr_spill_count: 0
    .symbol:         _ZN7rocprim17ROCPRIM_400000_NS6detail17trampoline_kernelINS0_14default_configENS1_27lower_bound_config_selectorIilEEZNS1_14transform_implILb0ES3_S5_N6thrust23THRUST_200600_302600_NS6detail15normal_iteratorINS8_7pointerIiNS8_11hip_rocprim5par_tENS8_11use_defaultESE_EEEENSA_INSB_IlSD_SE_SE_EEEEZNS1_13binary_searchIS3_S5_PiSG_SI_NS1_21lower_bound_search_opENS9_16wrapped_functionINS8_6system6detail7generic6detail18binary_search_lessEbEEEE10hipError_tPvRmT1_T2_T3_mmT4_T5_P12ihipStream_tbEUlRKiE_EEST_SX_SY_mSZ_S12_bEUlT_E_NS1_11comp_targetILNS1_3genE10ELNS1_11target_archE1200ELNS1_3gpuE4ELNS1_3repE0EEENS1_30default_config_static_selectorELNS0_4arch9wavefront6targetE1EEEvSW_.kd
    .uniform_work_group_size: 1
    .uses_dynamic_stack: false
    .vgpr_count:     0
    .vgpr_spill_count: 0
    .wavefront_size: 64
  - .args:
      - .offset:         0
        .size:           56
        .value_kind:     by_value
    .group_segment_fixed_size: 0
    .kernarg_segment_align: 8
    .kernarg_segment_size: 56
    .language:       OpenCL C
    .language_version:
      - 2
      - 0
    .max_flat_workgroup_size: 256
    .name:           _ZN7rocprim17ROCPRIM_400000_NS6detail17trampoline_kernelINS0_14default_configENS1_27lower_bound_config_selectorIilEEZNS1_14transform_implILb0ES3_S5_N6thrust23THRUST_200600_302600_NS6detail15normal_iteratorINS8_7pointerIiNS8_11hip_rocprim5par_tENS8_11use_defaultESE_EEEENSA_INSB_IlSD_SE_SE_EEEEZNS1_13binary_searchIS3_S5_PiSG_SI_NS1_21lower_bound_search_opENS9_16wrapped_functionINS8_6system6detail7generic6detail18binary_search_lessEbEEEE10hipError_tPvRmT1_T2_T3_mmT4_T5_P12ihipStream_tbEUlRKiE_EEST_SX_SY_mSZ_S12_bEUlT_E_NS1_11comp_targetILNS1_3genE9ELNS1_11target_archE1100ELNS1_3gpuE3ELNS1_3repE0EEENS1_30default_config_static_selectorELNS0_4arch9wavefront6targetE1EEEvSW_
    .private_segment_fixed_size: 0
    .sgpr_count:     4
    .sgpr_spill_count: 0
    .symbol:         _ZN7rocprim17ROCPRIM_400000_NS6detail17trampoline_kernelINS0_14default_configENS1_27lower_bound_config_selectorIilEEZNS1_14transform_implILb0ES3_S5_N6thrust23THRUST_200600_302600_NS6detail15normal_iteratorINS8_7pointerIiNS8_11hip_rocprim5par_tENS8_11use_defaultESE_EEEENSA_INSB_IlSD_SE_SE_EEEEZNS1_13binary_searchIS3_S5_PiSG_SI_NS1_21lower_bound_search_opENS9_16wrapped_functionINS8_6system6detail7generic6detail18binary_search_lessEbEEEE10hipError_tPvRmT1_T2_T3_mmT4_T5_P12ihipStream_tbEUlRKiE_EEST_SX_SY_mSZ_S12_bEUlT_E_NS1_11comp_targetILNS1_3genE9ELNS1_11target_archE1100ELNS1_3gpuE3ELNS1_3repE0EEENS1_30default_config_static_selectorELNS0_4arch9wavefront6targetE1EEEvSW_.kd
    .uniform_work_group_size: 1
    .uses_dynamic_stack: false
    .vgpr_count:     0
    .vgpr_spill_count: 0
    .wavefront_size: 64
  - .args:
      - .offset:         0
        .size:           56
        .value_kind:     by_value
    .group_segment_fixed_size: 0
    .kernarg_segment_align: 8
    .kernarg_segment_size: 56
    .language:       OpenCL C
    .language_version:
      - 2
      - 0
    .max_flat_workgroup_size: 256
    .name:           _ZN7rocprim17ROCPRIM_400000_NS6detail17trampoline_kernelINS0_14default_configENS1_27lower_bound_config_selectorIilEEZNS1_14transform_implILb0ES3_S5_N6thrust23THRUST_200600_302600_NS6detail15normal_iteratorINS8_7pointerIiNS8_11hip_rocprim5par_tENS8_11use_defaultESE_EEEENSA_INSB_IlSD_SE_SE_EEEEZNS1_13binary_searchIS3_S5_PiSG_SI_NS1_21lower_bound_search_opENS9_16wrapped_functionINS8_6system6detail7generic6detail18binary_search_lessEbEEEE10hipError_tPvRmT1_T2_T3_mmT4_T5_P12ihipStream_tbEUlRKiE_EEST_SX_SY_mSZ_S12_bEUlT_E_NS1_11comp_targetILNS1_3genE8ELNS1_11target_archE1030ELNS1_3gpuE2ELNS1_3repE0EEENS1_30default_config_static_selectorELNS0_4arch9wavefront6targetE1EEEvSW_
    .private_segment_fixed_size: 0
    .sgpr_count:     4
    .sgpr_spill_count: 0
    .symbol:         _ZN7rocprim17ROCPRIM_400000_NS6detail17trampoline_kernelINS0_14default_configENS1_27lower_bound_config_selectorIilEEZNS1_14transform_implILb0ES3_S5_N6thrust23THRUST_200600_302600_NS6detail15normal_iteratorINS8_7pointerIiNS8_11hip_rocprim5par_tENS8_11use_defaultESE_EEEENSA_INSB_IlSD_SE_SE_EEEEZNS1_13binary_searchIS3_S5_PiSG_SI_NS1_21lower_bound_search_opENS9_16wrapped_functionINS8_6system6detail7generic6detail18binary_search_lessEbEEEE10hipError_tPvRmT1_T2_T3_mmT4_T5_P12ihipStream_tbEUlRKiE_EEST_SX_SY_mSZ_S12_bEUlT_E_NS1_11comp_targetILNS1_3genE8ELNS1_11target_archE1030ELNS1_3gpuE2ELNS1_3repE0EEENS1_30default_config_static_selectorELNS0_4arch9wavefront6targetE1EEEvSW_.kd
    .uniform_work_group_size: 1
    .uses_dynamic_stack: false
    .vgpr_count:     0
    .vgpr_spill_count: 0
    .wavefront_size: 64
  - .args:
      - .offset:         0
        .size:           16
        .value_kind:     by_value
      - .offset:         16
        .size:           8
        .value_kind:     by_value
      - .offset:         24
        .size:           8
        .value_kind:     by_value
    .group_segment_fixed_size: 0
    .kernarg_segment_align: 8
    .kernarg_segment_size: 32
    .language:       OpenCL C
    .language_version:
      - 2
      - 0
    .max_flat_workgroup_size: 256
    .name:           _ZN6thrust23THRUST_200600_302600_NS11hip_rocprim14__parallel_for6kernelILj256ENS1_20__uninitialized_fill7functorINS0_10device_ptrIsEEsEEmLj1EEEvT0_T1_SA_
    .private_segment_fixed_size: 0
    .sgpr_count:     20
    .sgpr_spill_count: 0
    .symbol:         _ZN6thrust23THRUST_200600_302600_NS11hip_rocprim14__parallel_for6kernelILj256ENS1_20__uninitialized_fill7functorINS0_10device_ptrIsEEsEEmLj1EEEvT0_T1_SA_.kd
    .uniform_work_group_size: 1
    .uses_dynamic_stack: false
    .vgpr_count:     4
    .vgpr_spill_count: 0
    .wavefront_size: 64
  - .args:
      - .offset:         0
        .size:           8
        .value_kind:     by_value
      - .address_space:  global
        .offset:         8
        .size:           8
        .value_kind:     global_buffer
      - .address_space:  global
        .offset:         16
        .size:           8
        .value_kind:     global_buffer
    .group_segment_fixed_size: 0
    .kernarg_segment_align: 8
    .kernarg_segment_size: 24
    .language:       OpenCL C
    .language_version:
      - 2
      - 0
    .max_flat_workgroup_size: 256
    .name:           _Z18lower_bound_kernelIsEvmPT_Pl
    .private_segment_fixed_size: 0
    .sgpr_count:     21
    .sgpr_spill_count: 0
    .symbol:         _Z18lower_bound_kernelIsEvmPT_Pl.kd
    .uniform_work_group_size: 1
    .uses_dynamic_stack: false
    .vgpr_count:     3
    .vgpr_spill_count: 0
    .wavefront_size: 64
  - .args:
      - .offset:         0
        .size:           56
        .value_kind:     by_value
    .group_segment_fixed_size: 0
    .kernarg_segment_align: 8
    .kernarg_segment_size: 56
    .language:       OpenCL C
    .language_version:
      - 2
      - 0
    .max_flat_workgroup_size: 256
    .name:           _ZN7rocprim17ROCPRIM_400000_NS6detail17trampoline_kernelINS0_14default_configENS1_27lower_bound_config_selectorIslEEZNS1_14transform_implILb0ES3_S5_N6thrust23THRUST_200600_302600_NS6detail15normal_iteratorINS8_7pointerIsNS8_11hip_rocprim5par_tENS8_11use_defaultESE_EEEENSA_INSB_IlSD_SE_SE_EEEEZNS1_13binary_searchIS3_S5_PsSG_SI_NS1_21lower_bound_search_opENS9_16wrapped_functionI11custom_lessbEEEE10hipError_tPvRmT1_T2_T3_mmT4_T5_P12ihipStream_tbEUlRKsE_EESP_ST_SU_mSV_SY_bEUlT_E_NS1_11comp_targetILNS1_3genE0ELNS1_11target_archE4294967295ELNS1_3gpuE0ELNS1_3repE0EEENS1_30default_config_static_selectorELNS0_4arch9wavefront6targetE1EEEvSS_
    .private_segment_fixed_size: 0
    .sgpr_count:     4
    .sgpr_spill_count: 0
    .symbol:         _ZN7rocprim17ROCPRIM_400000_NS6detail17trampoline_kernelINS0_14default_configENS1_27lower_bound_config_selectorIslEEZNS1_14transform_implILb0ES3_S5_N6thrust23THRUST_200600_302600_NS6detail15normal_iteratorINS8_7pointerIsNS8_11hip_rocprim5par_tENS8_11use_defaultESE_EEEENSA_INSB_IlSD_SE_SE_EEEEZNS1_13binary_searchIS3_S5_PsSG_SI_NS1_21lower_bound_search_opENS9_16wrapped_functionI11custom_lessbEEEE10hipError_tPvRmT1_T2_T3_mmT4_T5_P12ihipStream_tbEUlRKsE_EESP_ST_SU_mSV_SY_bEUlT_E_NS1_11comp_targetILNS1_3genE0ELNS1_11target_archE4294967295ELNS1_3gpuE0ELNS1_3repE0EEENS1_30default_config_static_selectorELNS0_4arch9wavefront6targetE1EEEvSS_.kd
    .uniform_work_group_size: 1
    .uses_dynamic_stack: false
    .vgpr_count:     0
    .vgpr_spill_count: 0
    .wavefront_size: 64
  - .args:
      - .offset:         0
        .size:           56
        .value_kind:     by_value
    .group_segment_fixed_size: 0
    .kernarg_segment_align: 8
    .kernarg_segment_size: 56
    .language:       OpenCL C
    .language_version:
      - 2
      - 0
    .max_flat_workgroup_size: 256
    .name:           _ZN7rocprim17ROCPRIM_400000_NS6detail17trampoline_kernelINS0_14default_configENS1_27lower_bound_config_selectorIslEEZNS1_14transform_implILb0ES3_S5_N6thrust23THRUST_200600_302600_NS6detail15normal_iteratorINS8_7pointerIsNS8_11hip_rocprim5par_tENS8_11use_defaultESE_EEEENSA_INSB_IlSD_SE_SE_EEEEZNS1_13binary_searchIS3_S5_PsSG_SI_NS1_21lower_bound_search_opENS9_16wrapped_functionI11custom_lessbEEEE10hipError_tPvRmT1_T2_T3_mmT4_T5_P12ihipStream_tbEUlRKsE_EESP_ST_SU_mSV_SY_bEUlT_E_NS1_11comp_targetILNS1_3genE5ELNS1_11target_archE942ELNS1_3gpuE9ELNS1_3repE0EEENS1_30default_config_static_selectorELNS0_4arch9wavefront6targetE1EEEvSS_
    .private_segment_fixed_size: 0
    .sgpr_count:     4
    .sgpr_spill_count: 0
    .symbol:         _ZN7rocprim17ROCPRIM_400000_NS6detail17trampoline_kernelINS0_14default_configENS1_27lower_bound_config_selectorIslEEZNS1_14transform_implILb0ES3_S5_N6thrust23THRUST_200600_302600_NS6detail15normal_iteratorINS8_7pointerIsNS8_11hip_rocprim5par_tENS8_11use_defaultESE_EEEENSA_INSB_IlSD_SE_SE_EEEEZNS1_13binary_searchIS3_S5_PsSG_SI_NS1_21lower_bound_search_opENS9_16wrapped_functionI11custom_lessbEEEE10hipError_tPvRmT1_T2_T3_mmT4_T5_P12ihipStream_tbEUlRKsE_EESP_ST_SU_mSV_SY_bEUlT_E_NS1_11comp_targetILNS1_3genE5ELNS1_11target_archE942ELNS1_3gpuE9ELNS1_3repE0EEENS1_30default_config_static_selectorELNS0_4arch9wavefront6targetE1EEEvSS_.kd
    .uniform_work_group_size: 1
    .uses_dynamic_stack: false
    .vgpr_count:     0
    .vgpr_spill_count: 0
    .wavefront_size: 64
  - .args:
      - .offset:         0
        .size:           56
        .value_kind:     by_value
    .group_segment_fixed_size: 0
    .kernarg_segment_align: 8
    .kernarg_segment_size: 56
    .language:       OpenCL C
    .language_version:
      - 2
      - 0
    .max_flat_workgroup_size: 256
    .name:           _ZN7rocprim17ROCPRIM_400000_NS6detail17trampoline_kernelINS0_14default_configENS1_27lower_bound_config_selectorIslEEZNS1_14transform_implILb0ES3_S5_N6thrust23THRUST_200600_302600_NS6detail15normal_iteratorINS8_7pointerIsNS8_11hip_rocprim5par_tENS8_11use_defaultESE_EEEENSA_INSB_IlSD_SE_SE_EEEEZNS1_13binary_searchIS3_S5_PsSG_SI_NS1_21lower_bound_search_opENS9_16wrapped_functionI11custom_lessbEEEE10hipError_tPvRmT1_T2_T3_mmT4_T5_P12ihipStream_tbEUlRKsE_EESP_ST_SU_mSV_SY_bEUlT_E_NS1_11comp_targetILNS1_3genE4ELNS1_11target_archE910ELNS1_3gpuE8ELNS1_3repE0EEENS1_30default_config_static_selectorELNS0_4arch9wavefront6targetE1EEEvSS_
    .private_segment_fixed_size: 0
    .sgpr_count:     4
    .sgpr_spill_count: 0
    .symbol:         _ZN7rocprim17ROCPRIM_400000_NS6detail17trampoline_kernelINS0_14default_configENS1_27lower_bound_config_selectorIslEEZNS1_14transform_implILb0ES3_S5_N6thrust23THRUST_200600_302600_NS6detail15normal_iteratorINS8_7pointerIsNS8_11hip_rocprim5par_tENS8_11use_defaultESE_EEEENSA_INSB_IlSD_SE_SE_EEEEZNS1_13binary_searchIS3_S5_PsSG_SI_NS1_21lower_bound_search_opENS9_16wrapped_functionI11custom_lessbEEEE10hipError_tPvRmT1_T2_T3_mmT4_T5_P12ihipStream_tbEUlRKsE_EESP_ST_SU_mSV_SY_bEUlT_E_NS1_11comp_targetILNS1_3genE4ELNS1_11target_archE910ELNS1_3gpuE8ELNS1_3repE0EEENS1_30default_config_static_selectorELNS0_4arch9wavefront6targetE1EEEvSS_.kd
    .uniform_work_group_size: 1
    .uses_dynamic_stack: false
    .vgpr_count:     0
    .vgpr_spill_count: 0
    .wavefront_size: 64
  - .args:
      - .offset:         0
        .size:           56
        .value_kind:     by_value
    .group_segment_fixed_size: 0
    .kernarg_segment_align: 8
    .kernarg_segment_size: 56
    .language:       OpenCL C
    .language_version:
      - 2
      - 0
    .max_flat_workgroup_size: 256
    .name:           _ZN7rocprim17ROCPRIM_400000_NS6detail17trampoline_kernelINS0_14default_configENS1_27lower_bound_config_selectorIslEEZNS1_14transform_implILb0ES3_S5_N6thrust23THRUST_200600_302600_NS6detail15normal_iteratorINS8_7pointerIsNS8_11hip_rocprim5par_tENS8_11use_defaultESE_EEEENSA_INSB_IlSD_SE_SE_EEEEZNS1_13binary_searchIS3_S5_PsSG_SI_NS1_21lower_bound_search_opENS9_16wrapped_functionI11custom_lessbEEEE10hipError_tPvRmT1_T2_T3_mmT4_T5_P12ihipStream_tbEUlRKsE_EESP_ST_SU_mSV_SY_bEUlT_E_NS1_11comp_targetILNS1_3genE3ELNS1_11target_archE908ELNS1_3gpuE7ELNS1_3repE0EEENS1_30default_config_static_selectorELNS0_4arch9wavefront6targetE1EEEvSS_
    .private_segment_fixed_size: 0
    .sgpr_count:     4
    .sgpr_spill_count: 0
    .symbol:         _ZN7rocprim17ROCPRIM_400000_NS6detail17trampoline_kernelINS0_14default_configENS1_27lower_bound_config_selectorIslEEZNS1_14transform_implILb0ES3_S5_N6thrust23THRUST_200600_302600_NS6detail15normal_iteratorINS8_7pointerIsNS8_11hip_rocprim5par_tENS8_11use_defaultESE_EEEENSA_INSB_IlSD_SE_SE_EEEEZNS1_13binary_searchIS3_S5_PsSG_SI_NS1_21lower_bound_search_opENS9_16wrapped_functionI11custom_lessbEEEE10hipError_tPvRmT1_T2_T3_mmT4_T5_P12ihipStream_tbEUlRKsE_EESP_ST_SU_mSV_SY_bEUlT_E_NS1_11comp_targetILNS1_3genE3ELNS1_11target_archE908ELNS1_3gpuE7ELNS1_3repE0EEENS1_30default_config_static_selectorELNS0_4arch9wavefront6targetE1EEEvSS_.kd
    .uniform_work_group_size: 1
    .uses_dynamic_stack: false
    .vgpr_count:     0
    .vgpr_spill_count: 0
    .wavefront_size: 64
  - .args:
      - .offset:         0
        .size:           56
        .value_kind:     by_value
      - .offset:         56
        .size:           4
        .value_kind:     hidden_block_count_x
      - .offset:         60
        .size:           4
        .value_kind:     hidden_block_count_y
      - .offset:         64
        .size:           4
        .value_kind:     hidden_block_count_z
      - .offset:         68
        .size:           2
        .value_kind:     hidden_group_size_x
      - .offset:         70
        .size:           2
        .value_kind:     hidden_group_size_y
      - .offset:         72
        .size:           2
        .value_kind:     hidden_group_size_z
      - .offset:         74
        .size:           2
        .value_kind:     hidden_remainder_x
      - .offset:         76
        .size:           2
        .value_kind:     hidden_remainder_y
      - .offset:         78
        .size:           2
        .value_kind:     hidden_remainder_z
      - .offset:         96
        .size:           8
        .value_kind:     hidden_global_offset_x
      - .offset:         104
        .size:           8
        .value_kind:     hidden_global_offset_y
      - .offset:         112
        .size:           8
        .value_kind:     hidden_global_offset_z
      - .offset:         120
        .size:           2
        .value_kind:     hidden_grid_dims
    .group_segment_fixed_size: 0
    .kernarg_segment_align: 8
    .kernarg_segment_size: 312
    .language:       OpenCL C
    .language_version:
      - 2
      - 0
    .max_flat_workgroup_size: 256
    .name:           _ZN7rocprim17ROCPRIM_400000_NS6detail17trampoline_kernelINS0_14default_configENS1_27lower_bound_config_selectorIslEEZNS1_14transform_implILb0ES3_S5_N6thrust23THRUST_200600_302600_NS6detail15normal_iteratorINS8_7pointerIsNS8_11hip_rocprim5par_tENS8_11use_defaultESE_EEEENSA_INSB_IlSD_SE_SE_EEEEZNS1_13binary_searchIS3_S5_PsSG_SI_NS1_21lower_bound_search_opENS9_16wrapped_functionI11custom_lessbEEEE10hipError_tPvRmT1_T2_T3_mmT4_T5_P12ihipStream_tbEUlRKsE_EESP_ST_SU_mSV_SY_bEUlT_E_NS1_11comp_targetILNS1_3genE2ELNS1_11target_archE906ELNS1_3gpuE6ELNS1_3repE0EEENS1_30default_config_static_selectorELNS0_4arch9wavefront6targetE1EEEvSS_
    .private_segment_fixed_size: 0
    .sgpr_count:     26
    .sgpr_spill_count: 0
    .symbol:         _ZN7rocprim17ROCPRIM_400000_NS6detail17trampoline_kernelINS0_14default_configENS1_27lower_bound_config_selectorIslEEZNS1_14transform_implILb0ES3_S5_N6thrust23THRUST_200600_302600_NS6detail15normal_iteratorINS8_7pointerIsNS8_11hip_rocprim5par_tENS8_11use_defaultESE_EEEENSA_INSB_IlSD_SE_SE_EEEEZNS1_13binary_searchIS3_S5_PsSG_SI_NS1_21lower_bound_search_opENS9_16wrapped_functionI11custom_lessbEEEE10hipError_tPvRmT1_T2_T3_mmT4_T5_P12ihipStream_tbEUlRKsE_EESP_ST_SU_mSV_SY_bEUlT_E_NS1_11comp_targetILNS1_3genE2ELNS1_11target_archE906ELNS1_3gpuE6ELNS1_3repE0EEENS1_30default_config_static_selectorELNS0_4arch9wavefront6targetE1EEEvSS_.kd
    .uniform_work_group_size: 1
    .uses_dynamic_stack: false
    .vgpr_count:     18
    .vgpr_spill_count: 0
    .wavefront_size: 64
  - .args:
      - .offset:         0
        .size:           56
        .value_kind:     by_value
    .group_segment_fixed_size: 0
    .kernarg_segment_align: 8
    .kernarg_segment_size: 56
    .language:       OpenCL C
    .language_version:
      - 2
      - 0
    .max_flat_workgroup_size: 256
    .name:           _ZN7rocprim17ROCPRIM_400000_NS6detail17trampoline_kernelINS0_14default_configENS1_27lower_bound_config_selectorIslEEZNS1_14transform_implILb0ES3_S5_N6thrust23THRUST_200600_302600_NS6detail15normal_iteratorINS8_7pointerIsNS8_11hip_rocprim5par_tENS8_11use_defaultESE_EEEENSA_INSB_IlSD_SE_SE_EEEEZNS1_13binary_searchIS3_S5_PsSG_SI_NS1_21lower_bound_search_opENS9_16wrapped_functionI11custom_lessbEEEE10hipError_tPvRmT1_T2_T3_mmT4_T5_P12ihipStream_tbEUlRKsE_EESP_ST_SU_mSV_SY_bEUlT_E_NS1_11comp_targetILNS1_3genE10ELNS1_11target_archE1201ELNS1_3gpuE5ELNS1_3repE0EEENS1_30default_config_static_selectorELNS0_4arch9wavefront6targetE1EEEvSS_
    .private_segment_fixed_size: 0
    .sgpr_count:     4
    .sgpr_spill_count: 0
    .symbol:         _ZN7rocprim17ROCPRIM_400000_NS6detail17trampoline_kernelINS0_14default_configENS1_27lower_bound_config_selectorIslEEZNS1_14transform_implILb0ES3_S5_N6thrust23THRUST_200600_302600_NS6detail15normal_iteratorINS8_7pointerIsNS8_11hip_rocprim5par_tENS8_11use_defaultESE_EEEENSA_INSB_IlSD_SE_SE_EEEEZNS1_13binary_searchIS3_S5_PsSG_SI_NS1_21lower_bound_search_opENS9_16wrapped_functionI11custom_lessbEEEE10hipError_tPvRmT1_T2_T3_mmT4_T5_P12ihipStream_tbEUlRKsE_EESP_ST_SU_mSV_SY_bEUlT_E_NS1_11comp_targetILNS1_3genE10ELNS1_11target_archE1201ELNS1_3gpuE5ELNS1_3repE0EEENS1_30default_config_static_selectorELNS0_4arch9wavefront6targetE1EEEvSS_.kd
    .uniform_work_group_size: 1
    .uses_dynamic_stack: false
    .vgpr_count:     0
    .vgpr_spill_count: 0
    .wavefront_size: 64
  - .args:
      - .offset:         0
        .size:           56
        .value_kind:     by_value
    .group_segment_fixed_size: 0
    .kernarg_segment_align: 8
    .kernarg_segment_size: 56
    .language:       OpenCL C
    .language_version:
      - 2
      - 0
    .max_flat_workgroup_size: 256
    .name:           _ZN7rocprim17ROCPRIM_400000_NS6detail17trampoline_kernelINS0_14default_configENS1_27lower_bound_config_selectorIslEEZNS1_14transform_implILb0ES3_S5_N6thrust23THRUST_200600_302600_NS6detail15normal_iteratorINS8_7pointerIsNS8_11hip_rocprim5par_tENS8_11use_defaultESE_EEEENSA_INSB_IlSD_SE_SE_EEEEZNS1_13binary_searchIS3_S5_PsSG_SI_NS1_21lower_bound_search_opENS9_16wrapped_functionI11custom_lessbEEEE10hipError_tPvRmT1_T2_T3_mmT4_T5_P12ihipStream_tbEUlRKsE_EESP_ST_SU_mSV_SY_bEUlT_E_NS1_11comp_targetILNS1_3genE10ELNS1_11target_archE1200ELNS1_3gpuE4ELNS1_3repE0EEENS1_30default_config_static_selectorELNS0_4arch9wavefront6targetE1EEEvSS_
    .private_segment_fixed_size: 0
    .sgpr_count:     4
    .sgpr_spill_count: 0
    .symbol:         _ZN7rocprim17ROCPRIM_400000_NS6detail17trampoline_kernelINS0_14default_configENS1_27lower_bound_config_selectorIslEEZNS1_14transform_implILb0ES3_S5_N6thrust23THRUST_200600_302600_NS6detail15normal_iteratorINS8_7pointerIsNS8_11hip_rocprim5par_tENS8_11use_defaultESE_EEEENSA_INSB_IlSD_SE_SE_EEEEZNS1_13binary_searchIS3_S5_PsSG_SI_NS1_21lower_bound_search_opENS9_16wrapped_functionI11custom_lessbEEEE10hipError_tPvRmT1_T2_T3_mmT4_T5_P12ihipStream_tbEUlRKsE_EESP_ST_SU_mSV_SY_bEUlT_E_NS1_11comp_targetILNS1_3genE10ELNS1_11target_archE1200ELNS1_3gpuE4ELNS1_3repE0EEENS1_30default_config_static_selectorELNS0_4arch9wavefront6targetE1EEEvSS_.kd
    .uniform_work_group_size: 1
    .uses_dynamic_stack: false
    .vgpr_count:     0
    .vgpr_spill_count: 0
    .wavefront_size: 64
  - .args:
      - .offset:         0
        .size:           56
        .value_kind:     by_value
    .group_segment_fixed_size: 0
    .kernarg_segment_align: 8
    .kernarg_segment_size: 56
    .language:       OpenCL C
    .language_version:
      - 2
      - 0
    .max_flat_workgroup_size: 64
    .name:           _ZN7rocprim17ROCPRIM_400000_NS6detail17trampoline_kernelINS0_14default_configENS1_27lower_bound_config_selectorIslEEZNS1_14transform_implILb0ES3_S5_N6thrust23THRUST_200600_302600_NS6detail15normal_iteratorINS8_7pointerIsNS8_11hip_rocprim5par_tENS8_11use_defaultESE_EEEENSA_INSB_IlSD_SE_SE_EEEEZNS1_13binary_searchIS3_S5_PsSG_SI_NS1_21lower_bound_search_opENS9_16wrapped_functionI11custom_lessbEEEE10hipError_tPvRmT1_T2_T3_mmT4_T5_P12ihipStream_tbEUlRKsE_EESP_ST_SU_mSV_SY_bEUlT_E_NS1_11comp_targetILNS1_3genE9ELNS1_11target_archE1100ELNS1_3gpuE3ELNS1_3repE0EEENS1_30default_config_static_selectorELNS0_4arch9wavefront6targetE1EEEvSS_
    .private_segment_fixed_size: 0
    .sgpr_count:     4
    .sgpr_spill_count: 0
    .symbol:         _ZN7rocprim17ROCPRIM_400000_NS6detail17trampoline_kernelINS0_14default_configENS1_27lower_bound_config_selectorIslEEZNS1_14transform_implILb0ES3_S5_N6thrust23THRUST_200600_302600_NS6detail15normal_iteratorINS8_7pointerIsNS8_11hip_rocprim5par_tENS8_11use_defaultESE_EEEENSA_INSB_IlSD_SE_SE_EEEEZNS1_13binary_searchIS3_S5_PsSG_SI_NS1_21lower_bound_search_opENS9_16wrapped_functionI11custom_lessbEEEE10hipError_tPvRmT1_T2_T3_mmT4_T5_P12ihipStream_tbEUlRKsE_EESP_ST_SU_mSV_SY_bEUlT_E_NS1_11comp_targetILNS1_3genE9ELNS1_11target_archE1100ELNS1_3gpuE3ELNS1_3repE0EEENS1_30default_config_static_selectorELNS0_4arch9wavefront6targetE1EEEvSS_.kd
    .uniform_work_group_size: 1
    .uses_dynamic_stack: false
    .vgpr_count:     0
    .vgpr_spill_count: 0
    .wavefront_size: 64
  - .args:
      - .offset:         0
        .size:           56
        .value_kind:     by_value
    .group_segment_fixed_size: 0
    .kernarg_segment_align: 8
    .kernarg_segment_size: 56
    .language:       OpenCL C
    .language_version:
      - 2
      - 0
    .max_flat_workgroup_size: 128
    .name:           _ZN7rocprim17ROCPRIM_400000_NS6detail17trampoline_kernelINS0_14default_configENS1_27lower_bound_config_selectorIslEEZNS1_14transform_implILb0ES3_S5_N6thrust23THRUST_200600_302600_NS6detail15normal_iteratorINS8_7pointerIsNS8_11hip_rocprim5par_tENS8_11use_defaultESE_EEEENSA_INSB_IlSD_SE_SE_EEEEZNS1_13binary_searchIS3_S5_PsSG_SI_NS1_21lower_bound_search_opENS9_16wrapped_functionI11custom_lessbEEEE10hipError_tPvRmT1_T2_T3_mmT4_T5_P12ihipStream_tbEUlRKsE_EESP_ST_SU_mSV_SY_bEUlT_E_NS1_11comp_targetILNS1_3genE8ELNS1_11target_archE1030ELNS1_3gpuE2ELNS1_3repE0EEENS1_30default_config_static_selectorELNS0_4arch9wavefront6targetE1EEEvSS_
    .private_segment_fixed_size: 0
    .sgpr_count:     4
    .sgpr_spill_count: 0
    .symbol:         _ZN7rocprim17ROCPRIM_400000_NS6detail17trampoline_kernelINS0_14default_configENS1_27lower_bound_config_selectorIslEEZNS1_14transform_implILb0ES3_S5_N6thrust23THRUST_200600_302600_NS6detail15normal_iteratorINS8_7pointerIsNS8_11hip_rocprim5par_tENS8_11use_defaultESE_EEEENSA_INSB_IlSD_SE_SE_EEEEZNS1_13binary_searchIS3_S5_PsSG_SI_NS1_21lower_bound_search_opENS9_16wrapped_functionI11custom_lessbEEEE10hipError_tPvRmT1_T2_T3_mmT4_T5_P12ihipStream_tbEUlRKsE_EESP_ST_SU_mSV_SY_bEUlT_E_NS1_11comp_targetILNS1_3genE8ELNS1_11target_archE1030ELNS1_3gpuE2ELNS1_3repE0EEENS1_30default_config_static_selectorELNS0_4arch9wavefront6targetE1EEEvSS_.kd
    .uniform_work_group_size: 1
    .uses_dynamic_stack: false
    .vgpr_count:     0
    .vgpr_spill_count: 0
    .wavefront_size: 64
  - .args:
      - .offset:         0
        .size:           56
        .value_kind:     by_value
    .group_segment_fixed_size: 0
    .kernarg_segment_align: 8
    .kernarg_segment_size: 56
    .language:       OpenCL C
    .language_version:
      - 2
      - 0
    .max_flat_workgroup_size: 256
    .name:           _ZN7rocprim17ROCPRIM_400000_NS6detail17trampoline_kernelINS0_14default_configENS1_27lower_bound_config_selectorIslEEZNS1_14transform_implILb0ES3_S5_N6thrust23THRUST_200600_302600_NS6detail15normal_iteratorINS8_7pointerIsNS8_11hip_rocprim5par_tENS8_11use_defaultESE_EEEENSA_INSB_IlSD_SE_SE_EEEEZNS1_13binary_searchIS3_S5_PsSG_SI_NS1_21lower_bound_search_opENS9_16wrapped_functionINS8_6system6detail7generic6detail18binary_search_lessEbEEEE10hipError_tPvRmT1_T2_T3_mmT4_T5_P12ihipStream_tbEUlRKsE_EEST_SX_SY_mSZ_S12_bEUlT_E_NS1_11comp_targetILNS1_3genE0ELNS1_11target_archE4294967295ELNS1_3gpuE0ELNS1_3repE0EEENS1_30default_config_static_selectorELNS0_4arch9wavefront6targetE1EEEvSW_
    .private_segment_fixed_size: 0
    .sgpr_count:     4
    .sgpr_spill_count: 0
    .symbol:         _ZN7rocprim17ROCPRIM_400000_NS6detail17trampoline_kernelINS0_14default_configENS1_27lower_bound_config_selectorIslEEZNS1_14transform_implILb0ES3_S5_N6thrust23THRUST_200600_302600_NS6detail15normal_iteratorINS8_7pointerIsNS8_11hip_rocprim5par_tENS8_11use_defaultESE_EEEENSA_INSB_IlSD_SE_SE_EEEEZNS1_13binary_searchIS3_S5_PsSG_SI_NS1_21lower_bound_search_opENS9_16wrapped_functionINS8_6system6detail7generic6detail18binary_search_lessEbEEEE10hipError_tPvRmT1_T2_T3_mmT4_T5_P12ihipStream_tbEUlRKsE_EEST_SX_SY_mSZ_S12_bEUlT_E_NS1_11comp_targetILNS1_3genE0ELNS1_11target_archE4294967295ELNS1_3gpuE0ELNS1_3repE0EEENS1_30default_config_static_selectorELNS0_4arch9wavefront6targetE1EEEvSW_.kd
    .uniform_work_group_size: 1
    .uses_dynamic_stack: false
    .vgpr_count:     0
    .vgpr_spill_count: 0
    .wavefront_size: 64
  - .args:
      - .offset:         0
        .size:           56
        .value_kind:     by_value
    .group_segment_fixed_size: 0
    .kernarg_segment_align: 8
    .kernarg_segment_size: 56
    .language:       OpenCL C
    .language_version:
      - 2
      - 0
    .max_flat_workgroup_size: 256
    .name:           _ZN7rocprim17ROCPRIM_400000_NS6detail17trampoline_kernelINS0_14default_configENS1_27lower_bound_config_selectorIslEEZNS1_14transform_implILb0ES3_S5_N6thrust23THRUST_200600_302600_NS6detail15normal_iteratorINS8_7pointerIsNS8_11hip_rocprim5par_tENS8_11use_defaultESE_EEEENSA_INSB_IlSD_SE_SE_EEEEZNS1_13binary_searchIS3_S5_PsSG_SI_NS1_21lower_bound_search_opENS9_16wrapped_functionINS8_6system6detail7generic6detail18binary_search_lessEbEEEE10hipError_tPvRmT1_T2_T3_mmT4_T5_P12ihipStream_tbEUlRKsE_EEST_SX_SY_mSZ_S12_bEUlT_E_NS1_11comp_targetILNS1_3genE5ELNS1_11target_archE942ELNS1_3gpuE9ELNS1_3repE0EEENS1_30default_config_static_selectorELNS0_4arch9wavefront6targetE1EEEvSW_
    .private_segment_fixed_size: 0
    .sgpr_count:     4
    .sgpr_spill_count: 0
    .symbol:         _ZN7rocprim17ROCPRIM_400000_NS6detail17trampoline_kernelINS0_14default_configENS1_27lower_bound_config_selectorIslEEZNS1_14transform_implILb0ES3_S5_N6thrust23THRUST_200600_302600_NS6detail15normal_iteratorINS8_7pointerIsNS8_11hip_rocprim5par_tENS8_11use_defaultESE_EEEENSA_INSB_IlSD_SE_SE_EEEEZNS1_13binary_searchIS3_S5_PsSG_SI_NS1_21lower_bound_search_opENS9_16wrapped_functionINS8_6system6detail7generic6detail18binary_search_lessEbEEEE10hipError_tPvRmT1_T2_T3_mmT4_T5_P12ihipStream_tbEUlRKsE_EEST_SX_SY_mSZ_S12_bEUlT_E_NS1_11comp_targetILNS1_3genE5ELNS1_11target_archE942ELNS1_3gpuE9ELNS1_3repE0EEENS1_30default_config_static_selectorELNS0_4arch9wavefront6targetE1EEEvSW_.kd
    .uniform_work_group_size: 1
    .uses_dynamic_stack: false
    .vgpr_count:     0
    .vgpr_spill_count: 0
    .wavefront_size: 64
  - .args:
      - .offset:         0
        .size:           56
        .value_kind:     by_value
    .group_segment_fixed_size: 0
    .kernarg_segment_align: 8
    .kernarg_segment_size: 56
    .language:       OpenCL C
    .language_version:
      - 2
      - 0
    .max_flat_workgroup_size: 256
    .name:           _ZN7rocprim17ROCPRIM_400000_NS6detail17trampoline_kernelINS0_14default_configENS1_27lower_bound_config_selectorIslEEZNS1_14transform_implILb0ES3_S5_N6thrust23THRUST_200600_302600_NS6detail15normal_iteratorINS8_7pointerIsNS8_11hip_rocprim5par_tENS8_11use_defaultESE_EEEENSA_INSB_IlSD_SE_SE_EEEEZNS1_13binary_searchIS3_S5_PsSG_SI_NS1_21lower_bound_search_opENS9_16wrapped_functionINS8_6system6detail7generic6detail18binary_search_lessEbEEEE10hipError_tPvRmT1_T2_T3_mmT4_T5_P12ihipStream_tbEUlRKsE_EEST_SX_SY_mSZ_S12_bEUlT_E_NS1_11comp_targetILNS1_3genE4ELNS1_11target_archE910ELNS1_3gpuE8ELNS1_3repE0EEENS1_30default_config_static_selectorELNS0_4arch9wavefront6targetE1EEEvSW_
    .private_segment_fixed_size: 0
    .sgpr_count:     4
    .sgpr_spill_count: 0
    .symbol:         _ZN7rocprim17ROCPRIM_400000_NS6detail17trampoline_kernelINS0_14default_configENS1_27lower_bound_config_selectorIslEEZNS1_14transform_implILb0ES3_S5_N6thrust23THRUST_200600_302600_NS6detail15normal_iteratorINS8_7pointerIsNS8_11hip_rocprim5par_tENS8_11use_defaultESE_EEEENSA_INSB_IlSD_SE_SE_EEEEZNS1_13binary_searchIS3_S5_PsSG_SI_NS1_21lower_bound_search_opENS9_16wrapped_functionINS8_6system6detail7generic6detail18binary_search_lessEbEEEE10hipError_tPvRmT1_T2_T3_mmT4_T5_P12ihipStream_tbEUlRKsE_EEST_SX_SY_mSZ_S12_bEUlT_E_NS1_11comp_targetILNS1_3genE4ELNS1_11target_archE910ELNS1_3gpuE8ELNS1_3repE0EEENS1_30default_config_static_selectorELNS0_4arch9wavefront6targetE1EEEvSW_.kd
    .uniform_work_group_size: 1
    .uses_dynamic_stack: false
    .vgpr_count:     0
    .vgpr_spill_count: 0
    .wavefront_size: 64
  - .args:
      - .offset:         0
        .size:           56
        .value_kind:     by_value
    .group_segment_fixed_size: 0
    .kernarg_segment_align: 8
    .kernarg_segment_size: 56
    .language:       OpenCL C
    .language_version:
      - 2
      - 0
    .max_flat_workgroup_size: 256
    .name:           _ZN7rocprim17ROCPRIM_400000_NS6detail17trampoline_kernelINS0_14default_configENS1_27lower_bound_config_selectorIslEEZNS1_14transform_implILb0ES3_S5_N6thrust23THRUST_200600_302600_NS6detail15normal_iteratorINS8_7pointerIsNS8_11hip_rocprim5par_tENS8_11use_defaultESE_EEEENSA_INSB_IlSD_SE_SE_EEEEZNS1_13binary_searchIS3_S5_PsSG_SI_NS1_21lower_bound_search_opENS9_16wrapped_functionINS8_6system6detail7generic6detail18binary_search_lessEbEEEE10hipError_tPvRmT1_T2_T3_mmT4_T5_P12ihipStream_tbEUlRKsE_EEST_SX_SY_mSZ_S12_bEUlT_E_NS1_11comp_targetILNS1_3genE3ELNS1_11target_archE908ELNS1_3gpuE7ELNS1_3repE0EEENS1_30default_config_static_selectorELNS0_4arch9wavefront6targetE1EEEvSW_
    .private_segment_fixed_size: 0
    .sgpr_count:     4
    .sgpr_spill_count: 0
    .symbol:         _ZN7rocprim17ROCPRIM_400000_NS6detail17trampoline_kernelINS0_14default_configENS1_27lower_bound_config_selectorIslEEZNS1_14transform_implILb0ES3_S5_N6thrust23THRUST_200600_302600_NS6detail15normal_iteratorINS8_7pointerIsNS8_11hip_rocprim5par_tENS8_11use_defaultESE_EEEENSA_INSB_IlSD_SE_SE_EEEEZNS1_13binary_searchIS3_S5_PsSG_SI_NS1_21lower_bound_search_opENS9_16wrapped_functionINS8_6system6detail7generic6detail18binary_search_lessEbEEEE10hipError_tPvRmT1_T2_T3_mmT4_T5_P12ihipStream_tbEUlRKsE_EEST_SX_SY_mSZ_S12_bEUlT_E_NS1_11comp_targetILNS1_3genE3ELNS1_11target_archE908ELNS1_3gpuE7ELNS1_3repE0EEENS1_30default_config_static_selectorELNS0_4arch9wavefront6targetE1EEEvSW_.kd
    .uniform_work_group_size: 1
    .uses_dynamic_stack: false
    .vgpr_count:     0
    .vgpr_spill_count: 0
    .wavefront_size: 64
  - .args:
      - .offset:         0
        .size:           56
        .value_kind:     by_value
      - .offset:         56
        .size:           4
        .value_kind:     hidden_block_count_x
      - .offset:         60
        .size:           4
        .value_kind:     hidden_block_count_y
      - .offset:         64
        .size:           4
        .value_kind:     hidden_block_count_z
      - .offset:         68
        .size:           2
        .value_kind:     hidden_group_size_x
      - .offset:         70
        .size:           2
        .value_kind:     hidden_group_size_y
      - .offset:         72
        .size:           2
        .value_kind:     hidden_group_size_z
      - .offset:         74
        .size:           2
        .value_kind:     hidden_remainder_x
      - .offset:         76
        .size:           2
        .value_kind:     hidden_remainder_y
      - .offset:         78
        .size:           2
        .value_kind:     hidden_remainder_z
      - .offset:         96
        .size:           8
        .value_kind:     hidden_global_offset_x
      - .offset:         104
        .size:           8
        .value_kind:     hidden_global_offset_y
      - .offset:         112
        .size:           8
        .value_kind:     hidden_global_offset_z
      - .offset:         120
        .size:           2
        .value_kind:     hidden_grid_dims
    .group_segment_fixed_size: 0
    .kernarg_segment_align: 8
    .kernarg_segment_size: 312
    .language:       OpenCL C
    .language_version:
      - 2
      - 0
    .max_flat_workgroup_size: 256
    .name:           _ZN7rocprim17ROCPRIM_400000_NS6detail17trampoline_kernelINS0_14default_configENS1_27lower_bound_config_selectorIslEEZNS1_14transform_implILb0ES3_S5_N6thrust23THRUST_200600_302600_NS6detail15normal_iteratorINS8_7pointerIsNS8_11hip_rocprim5par_tENS8_11use_defaultESE_EEEENSA_INSB_IlSD_SE_SE_EEEEZNS1_13binary_searchIS3_S5_PsSG_SI_NS1_21lower_bound_search_opENS9_16wrapped_functionINS8_6system6detail7generic6detail18binary_search_lessEbEEEE10hipError_tPvRmT1_T2_T3_mmT4_T5_P12ihipStream_tbEUlRKsE_EEST_SX_SY_mSZ_S12_bEUlT_E_NS1_11comp_targetILNS1_3genE2ELNS1_11target_archE906ELNS1_3gpuE6ELNS1_3repE0EEENS1_30default_config_static_selectorELNS0_4arch9wavefront6targetE1EEEvSW_
    .private_segment_fixed_size: 0
    .sgpr_count:     26
    .sgpr_spill_count: 0
    .symbol:         _ZN7rocprim17ROCPRIM_400000_NS6detail17trampoline_kernelINS0_14default_configENS1_27lower_bound_config_selectorIslEEZNS1_14transform_implILb0ES3_S5_N6thrust23THRUST_200600_302600_NS6detail15normal_iteratorINS8_7pointerIsNS8_11hip_rocprim5par_tENS8_11use_defaultESE_EEEENSA_INSB_IlSD_SE_SE_EEEEZNS1_13binary_searchIS3_S5_PsSG_SI_NS1_21lower_bound_search_opENS9_16wrapped_functionINS8_6system6detail7generic6detail18binary_search_lessEbEEEE10hipError_tPvRmT1_T2_T3_mmT4_T5_P12ihipStream_tbEUlRKsE_EEST_SX_SY_mSZ_S12_bEUlT_E_NS1_11comp_targetILNS1_3genE2ELNS1_11target_archE906ELNS1_3gpuE6ELNS1_3repE0EEENS1_30default_config_static_selectorELNS0_4arch9wavefront6targetE1EEEvSW_.kd
    .uniform_work_group_size: 1
    .uses_dynamic_stack: false
    .vgpr_count:     18
    .vgpr_spill_count: 0
    .wavefront_size: 64
  - .args:
      - .offset:         0
        .size:           56
        .value_kind:     by_value
    .group_segment_fixed_size: 0
    .kernarg_segment_align: 8
    .kernarg_segment_size: 56
    .language:       OpenCL C
    .language_version:
      - 2
      - 0
    .max_flat_workgroup_size: 256
    .name:           _ZN7rocprim17ROCPRIM_400000_NS6detail17trampoline_kernelINS0_14default_configENS1_27lower_bound_config_selectorIslEEZNS1_14transform_implILb0ES3_S5_N6thrust23THRUST_200600_302600_NS6detail15normal_iteratorINS8_7pointerIsNS8_11hip_rocprim5par_tENS8_11use_defaultESE_EEEENSA_INSB_IlSD_SE_SE_EEEEZNS1_13binary_searchIS3_S5_PsSG_SI_NS1_21lower_bound_search_opENS9_16wrapped_functionINS8_6system6detail7generic6detail18binary_search_lessEbEEEE10hipError_tPvRmT1_T2_T3_mmT4_T5_P12ihipStream_tbEUlRKsE_EEST_SX_SY_mSZ_S12_bEUlT_E_NS1_11comp_targetILNS1_3genE10ELNS1_11target_archE1201ELNS1_3gpuE5ELNS1_3repE0EEENS1_30default_config_static_selectorELNS0_4arch9wavefront6targetE1EEEvSW_
    .private_segment_fixed_size: 0
    .sgpr_count:     4
    .sgpr_spill_count: 0
    .symbol:         _ZN7rocprim17ROCPRIM_400000_NS6detail17trampoline_kernelINS0_14default_configENS1_27lower_bound_config_selectorIslEEZNS1_14transform_implILb0ES3_S5_N6thrust23THRUST_200600_302600_NS6detail15normal_iteratorINS8_7pointerIsNS8_11hip_rocprim5par_tENS8_11use_defaultESE_EEEENSA_INSB_IlSD_SE_SE_EEEEZNS1_13binary_searchIS3_S5_PsSG_SI_NS1_21lower_bound_search_opENS9_16wrapped_functionINS8_6system6detail7generic6detail18binary_search_lessEbEEEE10hipError_tPvRmT1_T2_T3_mmT4_T5_P12ihipStream_tbEUlRKsE_EEST_SX_SY_mSZ_S12_bEUlT_E_NS1_11comp_targetILNS1_3genE10ELNS1_11target_archE1201ELNS1_3gpuE5ELNS1_3repE0EEENS1_30default_config_static_selectorELNS0_4arch9wavefront6targetE1EEEvSW_.kd
    .uniform_work_group_size: 1
    .uses_dynamic_stack: false
    .vgpr_count:     0
    .vgpr_spill_count: 0
    .wavefront_size: 64
  - .args:
      - .offset:         0
        .size:           56
        .value_kind:     by_value
    .group_segment_fixed_size: 0
    .kernarg_segment_align: 8
    .kernarg_segment_size: 56
    .language:       OpenCL C
    .language_version:
      - 2
      - 0
    .max_flat_workgroup_size: 256
    .name:           _ZN7rocprim17ROCPRIM_400000_NS6detail17trampoline_kernelINS0_14default_configENS1_27lower_bound_config_selectorIslEEZNS1_14transform_implILb0ES3_S5_N6thrust23THRUST_200600_302600_NS6detail15normal_iteratorINS8_7pointerIsNS8_11hip_rocprim5par_tENS8_11use_defaultESE_EEEENSA_INSB_IlSD_SE_SE_EEEEZNS1_13binary_searchIS3_S5_PsSG_SI_NS1_21lower_bound_search_opENS9_16wrapped_functionINS8_6system6detail7generic6detail18binary_search_lessEbEEEE10hipError_tPvRmT1_T2_T3_mmT4_T5_P12ihipStream_tbEUlRKsE_EEST_SX_SY_mSZ_S12_bEUlT_E_NS1_11comp_targetILNS1_3genE10ELNS1_11target_archE1200ELNS1_3gpuE4ELNS1_3repE0EEENS1_30default_config_static_selectorELNS0_4arch9wavefront6targetE1EEEvSW_
    .private_segment_fixed_size: 0
    .sgpr_count:     4
    .sgpr_spill_count: 0
    .symbol:         _ZN7rocprim17ROCPRIM_400000_NS6detail17trampoline_kernelINS0_14default_configENS1_27lower_bound_config_selectorIslEEZNS1_14transform_implILb0ES3_S5_N6thrust23THRUST_200600_302600_NS6detail15normal_iteratorINS8_7pointerIsNS8_11hip_rocprim5par_tENS8_11use_defaultESE_EEEENSA_INSB_IlSD_SE_SE_EEEEZNS1_13binary_searchIS3_S5_PsSG_SI_NS1_21lower_bound_search_opENS9_16wrapped_functionINS8_6system6detail7generic6detail18binary_search_lessEbEEEE10hipError_tPvRmT1_T2_T3_mmT4_T5_P12ihipStream_tbEUlRKsE_EEST_SX_SY_mSZ_S12_bEUlT_E_NS1_11comp_targetILNS1_3genE10ELNS1_11target_archE1200ELNS1_3gpuE4ELNS1_3repE0EEENS1_30default_config_static_selectorELNS0_4arch9wavefront6targetE1EEEvSW_.kd
    .uniform_work_group_size: 1
    .uses_dynamic_stack: false
    .vgpr_count:     0
    .vgpr_spill_count: 0
    .wavefront_size: 64
  - .args:
      - .offset:         0
        .size:           56
        .value_kind:     by_value
    .group_segment_fixed_size: 0
    .kernarg_segment_align: 8
    .kernarg_segment_size: 56
    .language:       OpenCL C
    .language_version:
      - 2
      - 0
    .max_flat_workgroup_size: 64
    .name:           _ZN7rocprim17ROCPRIM_400000_NS6detail17trampoline_kernelINS0_14default_configENS1_27lower_bound_config_selectorIslEEZNS1_14transform_implILb0ES3_S5_N6thrust23THRUST_200600_302600_NS6detail15normal_iteratorINS8_7pointerIsNS8_11hip_rocprim5par_tENS8_11use_defaultESE_EEEENSA_INSB_IlSD_SE_SE_EEEEZNS1_13binary_searchIS3_S5_PsSG_SI_NS1_21lower_bound_search_opENS9_16wrapped_functionINS8_6system6detail7generic6detail18binary_search_lessEbEEEE10hipError_tPvRmT1_T2_T3_mmT4_T5_P12ihipStream_tbEUlRKsE_EEST_SX_SY_mSZ_S12_bEUlT_E_NS1_11comp_targetILNS1_3genE9ELNS1_11target_archE1100ELNS1_3gpuE3ELNS1_3repE0EEENS1_30default_config_static_selectorELNS0_4arch9wavefront6targetE1EEEvSW_
    .private_segment_fixed_size: 0
    .sgpr_count:     4
    .sgpr_spill_count: 0
    .symbol:         _ZN7rocprim17ROCPRIM_400000_NS6detail17trampoline_kernelINS0_14default_configENS1_27lower_bound_config_selectorIslEEZNS1_14transform_implILb0ES3_S5_N6thrust23THRUST_200600_302600_NS6detail15normal_iteratorINS8_7pointerIsNS8_11hip_rocprim5par_tENS8_11use_defaultESE_EEEENSA_INSB_IlSD_SE_SE_EEEEZNS1_13binary_searchIS3_S5_PsSG_SI_NS1_21lower_bound_search_opENS9_16wrapped_functionINS8_6system6detail7generic6detail18binary_search_lessEbEEEE10hipError_tPvRmT1_T2_T3_mmT4_T5_P12ihipStream_tbEUlRKsE_EEST_SX_SY_mSZ_S12_bEUlT_E_NS1_11comp_targetILNS1_3genE9ELNS1_11target_archE1100ELNS1_3gpuE3ELNS1_3repE0EEENS1_30default_config_static_selectorELNS0_4arch9wavefront6targetE1EEEvSW_.kd
    .uniform_work_group_size: 1
    .uses_dynamic_stack: false
    .vgpr_count:     0
    .vgpr_spill_count: 0
    .wavefront_size: 64
  - .args:
      - .offset:         0
        .size:           56
        .value_kind:     by_value
    .group_segment_fixed_size: 0
    .kernarg_segment_align: 8
    .kernarg_segment_size: 56
    .language:       OpenCL C
    .language_version:
      - 2
      - 0
    .max_flat_workgroup_size: 128
    .name:           _ZN7rocprim17ROCPRIM_400000_NS6detail17trampoline_kernelINS0_14default_configENS1_27lower_bound_config_selectorIslEEZNS1_14transform_implILb0ES3_S5_N6thrust23THRUST_200600_302600_NS6detail15normal_iteratorINS8_7pointerIsNS8_11hip_rocprim5par_tENS8_11use_defaultESE_EEEENSA_INSB_IlSD_SE_SE_EEEEZNS1_13binary_searchIS3_S5_PsSG_SI_NS1_21lower_bound_search_opENS9_16wrapped_functionINS8_6system6detail7generic6detail18binary_search_lessEbEEEE10hipError_tPvRmT1_T2_T3_mmT4_T5_P12ihipStream_tbEUlRKsE_EEST_SX_SY_mSZ_S12_bEUlT_E_NS1_11comp_targetILNS1_3genE8ELNS1_11target_archE1030ELNS1_3gpuE2ELNS1_3repE0EEENS1_30default_config_static_selectorELNS0_4arch9wavefront6targetE1EEEvSW_
    .private_segment_fixed_size: 0
    .sgpr_count:     4
    .sgpr_spill_count: 0
    .symbol:         _ZN7rocprim17ROCPRIM_400000_NS6detail17trampoline_kernelINS0_14default_configENS1_27lower_bound_config_selectorIslEEZNS1_14transform_implILb0ES3_S5_N6thrust23THRUST_200600_302600_NS6detail15normal_iteratorINS8_7pointerIsNS8_11hip_rocprim5par_tENS8_11use_defaultESE_EEEENSA_INSB_IlSD_SE_SE_EEEEZNS1_13binary_searchIS3_S5_PsSG_SI_NS1_21lower_bound_search_opENS9_16wrapped_functionINS8_6system6detail7generic6detail18binary_search_lessEbEEEE10hipError_tPvRmT1_T2_T3_mmT4_T5_P12ihipStream_tbEUlRKsE_EEST_SX_SY_mSZ_S12_bEUlT_E_NS1_11comp_targetILNS1_3genE8ELNS1_11target_archE1030ELNS1_3gpuE2ELNS1_3repE0EEENS1_30default_config_static_selectorELNS0_4arch9wavefront6targetE1EEEvSW_.kd
    .uniform_work_group_size: 1
    .uses_dynamic_stack: false
    .vgpr_count:     0
    .vgpr_spill_count: 0
    .wavefront_size: 64
  - .args:
      - .offset:         0
        .size:           8
        .value_kind:     by_value
      - .address_space:  global
        .offset:         8
        .size:           8
        .value_kind:     global_buffer
      - .address_space:  global
        .offset:         16
        .size:           8
        .value_kind:     global_buffer
    .group_segment_fixed_size: 0
    .kernarg_segment_align: 8
    .kernarg_segment_size: 24
    .language:       OpenCL C
    .language_version:
      - 2
      - 0
    .max_flat_workgroup_size: 256
    .name:           _Z18upper_bound_kernelIdEvmPT_Pl
    .private_segment_fixed_size: 0
    .sgpr_count:     22
    .sgpr_spill_count: 0
    .symbol:         _Z18upper_bound_kernelIdEvmPT_Pl.kd
    .uniform_work_group_size: 1
    .uses_dynamic_stack: false
    .vgpr_count:     4
    .vgpr_spill_count: 0
    .wavefront_size: 64
  - .args:
      - .offset:         0
        .size:           56
        .value_kind:     by_value
    .group_segment_fixed_size: 0
    .kernarg_segment_align: 8
    .kernarg_segment_size: 56
    .language:       OpenCL C
    .language_version:
      - 2
      - 0
    .max_flat_workgroup_size: 256
    .name:           _ZN7rocprim17ROCPRIM_400000_NS6detail17trampoline_kernelINS0_14default_configENS1_27upper_bound_config_selectorIdlEEZNS1_14transform_implILb0ES3_S5_N6thrust23THRUST_200600_302600_NS6detail15normal_iteratorINS8_7pointerIdNS8_11hip_rocprim5par_tENS8_11use_defaultESE_EEEENSA_INSB_IlSD_SE_SE_EEEEZNS1_13binary_searchIS3_S5_PdSG_SI_NS1_21upper_bound_search_opENS9_16wrapped_functionINS8_6system6detail7generic6detail18binary_search_lessEbEEEE10hipError_tPvRmT1_T2_T3_mmT4_T5_P12ihipStream_tbEUlRKdE_EEST_SX_SY_mSZ_S12_bEUlT_E_NS1_11comp_targetILNS1_3genE0ELNS1_11target_archE4294967295ELNS1_3gpuE0ELNS1_3repE0EEENS1_30default_config_static_selectorELNS0_4arch9wavefront6targetE1EEEvSW_
    .private_segment_fixed_size: 0
    .sgpr_count:     4
    .sgpr_spill_count: 0
    .symbol:         _ZN7rocprim17ROCPRIM_400000_NS6detail17trampoline_kernelINS0_14default_configENS1_27upper_bound_config_selectorIdlEEZNS1_14transform_implILb0ES3_S5_N6thrust23THRUST_200600_302600_NS6detail15normal_iteratorINS8_7pointerIdNS8_11hip_rocprim5par_tENS8_11use_defaultESE_EEEENSA_INSB_IlSD_SE_SE_EEEEZNS1_13binary_searchIS3_S5_PdSG_SI_NS1_21upper_bound_search_opENS9_16wrapped_functionINS8_6system6detail7generic6detail18binary_search_lessEbEEEE10hipError_tPvRmT1_T2_T3_mmT4_T5_P12ihipStream_tbEUlRKdE_EEST_SX_SY_mSZ_S12_bEUlT_E_NS1_11comp_targetILNS1_3genE0ELNS1_11target_archE4294967295ELNS1_3gpuE0ELNS1_3repE0EEENS1_30default_config_static_selectorELNS0_4arch9wavefront6targetE1EEEvSW_.kd
    .uniform_work_group_size: 1
    .uses_dynamic_stack: false
    .vgpr_count:     0
    .vgpr_spill_count: 0
    .wavefront_size: 64
  - .args:
      - .offset:         0
        .size:           56
        .value_kind:     by_value
    .group_segment_fixed_size: 0
    .kernarg_segment_align: 8
    .kernarg_segment_size: 56
    .language:       OpenCL C
    .language_version:
      - 2
      - 0
    .max_flat_workgroup_size: 64
    .name:           _ZN7rocprim17ROCPRIM_400000_NS6detail17trampoline_kernelINS0_14default_configENS1_27upper_bound_config_selectorIdlEEZNS1_14transform_implILb0ES3_S5_N6thrust23THRUST_200600_302600_NS6detail15normal_iteratorINS8_7pointerIdNS8_11hip_rocprim5par_tENS8_11use_defaultESE_EEEENSA_INSB_IlSD_SE_SE_EEEEZNS1_13binary_searchIS3_S5_PdSG_SI_NS1_21upper_bound_search_opENS9_16wrapped_functionINS8_6system6detail7generic6detail18binary_search_lessEbEEEE10hipError_tPvRmT1_T2_T3_mmT4_T5_P12ihipStream_tbEUlRKdE_EEST_SX_SY_mSZ_S12_bEUlT_E_NS1_11comp_targetILNS1_3genE5ELNS1_11target_archE942ELNS1_3gpuE9ELNS1_3repE0EEENS1_30default_config_static_selectorELNS0_4arch9wavefront6targetE1EEEvSW_
    .private_segment_fixed_size: 0
    .sgpr_count:     4
    .sgpr_spill_count: 0
    .symbol:         _ZN7rocprim17ROCPRIM_400000_NS6detail17trampoline_kernelINS0_14default_configENS1_27upper_bound_config_selectorIdlEEZNS1_14transform_implILb0ES3_S5_N6thrust23THRUST_200600_302600_NS6detail15normal_iteratorINS8_7pointerIdNS8_11hip_rocprim5par_tENS8_11use_defaultESE_EEEENSA_INSB_IlSD_SE_SE_EEEEZNS1_13binary_searchIS3_S5_PdSG_SI_NS1_21upper_bound_search_opENS9_16wrapped_functionINS8_6system6detail7generic6detail18binary_search_lessEbEEEE10hipError_tPvRmT1_T2_T3_mmT4_T5_P12ihipStream_tbEUlRKdE_EEST_SX_SY_mSZ_S12_bEUlT_E_NS1_11comp_targetILNS1_3genE5ELNS1_11target_archE942ELNS1_3gpuE9ELNS1_3repE0EEENS1_30default_config_static_selectorELNS0_4arch9wavefront6targetE1EEEvSW_.kd
    .uniform_work_group_size: 1
    .uses_dynamic_stack: false
    .vgpr_count:     0
    .vgpr_spill_count: 0
    .wavefront_size: 64
  - .args:
      - .offset:         0
        .size:           56
        .value_kind:     by_value
    .group_segment_fixed_size: 0
    .kernarg_segment_align: 8
    .kernarg_segment_size: 56
    .language:       OpenCL C
    .language_version:
      - 2
      - 0
    .max_flat_workgroup_size: 64
    .name:           _ZN7rocprim17ROCPRIM_400000_NS6detail17trampoline_kernelINS0_14default_configENS1_27upper_bound_config_selectorIdlEEZNS1_14transform_implILb0ES3_S5_N6thrust23THRUST_200600_302600_NS6detail15normal_iteratorINS8_7pointerIdNS8_11hip_rocprim5par_tENS8_11use_defaultESE_EEEENSA_INSB_IlSD_SE_SE_EEEEZNS1_13binary_searchIS3_S5_PdSG_SI_NS1_21upper_bound_search_opENS9_16wrapped_functionINS8_6system6detail7generic6detail18binary_search_lessEbEEEE10hipError_tPvRmT1_T2_T3_mmT4_T5_P12ihipStream_tbEUlRKdE_EEST_SX_SY_mSZ_S12_bEUlT_E_NS1_11comp_targetILNS1_3genE4ELNS1_11target_archE910ELNS1_3gpuE8ELNS1_3repE0EEENS1_30default_config_static_selectorELNS0_4arch9wavefront6targetE1EEEvSW_
    .private_segment_fixed_size: 0
    .sgpr_count:     4
    .sgpr_spill_count: 0
    .symbol:         _ZN7rocprim17ROCPRIM_400000_NS6detail17trampoline_kernelINS0_14default_configENS1_27upper_bound_config_selectorIdlEEZNS1_14transform_implILb0ES3_S5_N6thrust23THRUST_200600_302600_NS6detail15normal_iteratorINS8_7pointerIdNS8_11hip_rocprim5par_tENS8_11use_defaultESE_EEEENSA_INSB_IlSD_SE_SE_EEEEZNS1_13binary_searchIS3_S5_PdSG_SI_NS1_21upper_bound_search_opENS9_16wrapped_functionINS8_6system6detail7generic6detail18binary_search_lessEbEEEE10hipError_tPvRmT1_T2_T3_mmT4_T5_P12ihipStream_tbEUlRKdE_EEST_SX_SY_mSZ_S12_bEUlT_E_NS1_11comp_targetILNS1_3genE4ELNS1_11target_archE910ELNS1_3gpuE8ELNS1_3repE0EEENS1_30default_config_static_selectorELNS0_4arch9wavefront6targetE1EEEvSW_.kd
    .uniform_work_group_size: 1
    .uses_dynamic_stack: false
    .vgpr_count:     0
    .vgpr_spill_count: 0
    .wavefront_size: 64
  - .args:
      - .offset:         0
        .size:           56
        .value_kind:     by_value
    .group_segment_fixed_size: 0
    .kernarg_segment_align: 8
    .kernarg_segment_size: 56
    .language:       OpenCL C
    .language_version:
      - 2
      - 0
    .max_flat_workgroup_size: 256
    .name:           _ZN7rocprim17ROCPRIM_400000_NS6detail17trampoline_kernelINS0_14default_configENS1_27upper_bound_config_selectorIdlEEZNS1_14transform_implILb0ES3_S5_N6thrust23THRUST_200600_302600_NS6detail15normal_iteratorINS8_7pointerIdNS8_11hip_rocprim5par_tENS8_11use_defaultESE_EEEENSA_INSB_IlSD_SE_SE_EEEEZNS1_13binary_searchIS3_S5_PdSG_SI_NS1_21upper_bound_search_opENS9_16wrapped_functionINS8_6system6detail7generic6detail18binary_search_lessEbEEEE10hipError_tPvRmT1_T2_T3_mmT4_T5_P12ihipStream_tbEUlRKdE_EEST_SX_SY_mSZ_S12_bEUlT_E_NS1_11comp_targetILNS1_3genE3ELNS1_11target_archE908ELNS1_3gpuE7ELNS1_3repE0EEENS1_30default_config_static_selectorELNS0_4arch9wavefront6targetE1EEEvSW_
    .private_segment_fixed_size: 0
    .sgpr_count:     4
    .sgpr_spill_count: 0
    .symbol:         _ZN7rocprim17ROCPRIM_400000_NS6detail17trampoline_kernelINS0_14default_configENS1_27upper_bound_config_selectorIdlEEZNS1_14transform_implILb0ES3_S5_N6thrust23THRUST_200600_302600_NS6detail15normal_iteratorINS8_7pointerIdNS8_11hip_rocprim5par_tENS8_11use_defaultESE_EEEENSA_INSB_IlSD_SE_SE_EEEEZNS1_13binary_searchIS3_S5_PdSG_SI_NS1_21upper_bound_search_opENS9_16wrapped_functionINS8_6system6detail7generic6detail18binary_search_lessEbEEEE10hipError_tPvRmT1_T2_T3_mmT4_T5_P12ihipStream_tbEUlRKdE_EEST_SX_SY_mSZ_S12_bEUlT_E_NS1_11comp_targetILNS1_3genE3ELNS1_11target_archE908ELNS1_3gpuE7ELNS1_3repE0EEENS1_30default_config_static_selectorELNS0_4arch9wavefront6targetE1EEEvSW_.kd
    .uniform_work_group_size: 1
    .uses_dynamic_stack: false
    .vgpr_count:     0
    .vgpr_spill_count: 0
    .wavefront_size: 64
  - .args:
      - .offset:         0
        .size:           56
        .value_kind:     by_value
      - .offset:         56
        .size:           4
        .value_kind:     hidden_block_count_x
      - .offset:         60
        .size:           4
        .value_kind:     hidden_block_count_y
      - .offset:         64
        .size:           4
        .value_kind:     hidden_block_count_z
      - .offset:         68
        .size:           2
        .value_kind:     hidden_group_size_x
      - .offset:         70
        .size:           2
        .value_kind:     hidden_group_size_y
      - .offset:         72
        .size:           2
        .value_kind:     hidden_group_size_z
      - .offset:         74
        .size:           2
        .value_kind:     hidden_remainder_x
      - .offset:         76
        .size:           2
        .value_kind:     hidden_remainder_y
      - .offset:         78
        .size:           2
        .value_kind:     hidden_remainder_z
      - .offset:         96
        .size:           8
        .value_kind:     hidden_global_offset_x
      - .offset:         104
        .size:           8
        .value_kind:     hidden_global_offset_y
      - .offset:         112
        .size:           8
        .value_kind:     hidden_global_offset_z
      - .offset:         120
        .size:           2
        .value_kind:     hidden_grid_dims
    .group_segment_fixed_size: 0
    .kernarg_segment_align: 8
    .kernarg_segment_size: 312
    .language:       OpenCL C
    .language_version:
      - 2
      - 0
    .max_flat_workgroup_size: 256
    .name:           _ZN7rocprim17ROCPRIM_400000_NS6detail17trampoline_kernelINS0_14default_configENS1_27upper_bound_config_selectorIdlEEZNS1_14transform_implILb0ES3_S5_N6thrust23THRUST_200600_302600_NS6detail15normal_iteratorINS8_7pointerIdNS8_11hip_rocprim5par_tENS8_11use_defaultESE_EEEENSA_INSB_IlSD_SE_SE_EEEEZNS1_13binary_searchIS3_S5_PdSG_SI_NS1_21upper_bound_search_opENS9_16wrapped_functionINS8_6system6detail7generic6detail18binary_search_lessEbEEEE10hipError_tPvRmT1_T2_T3_mmT4_T5_P12ihipStream_tbEUlRKdE_EEST_SX_SY_mSZ_S12_bEUlT_E_NS1_11comp_targetILNS1_3genE2ELNS1_11target_archE906ELNS1_3gpuE6ELNS1_3repE0EEENS1_30default_config_static_selectorELNS0_4arch9wavefront6targetE1EEEvSW_
    .private_segment_fixed_size: 0
    .sgpr_count:     22
    .sgpr_spill_count: 0
    .symbol:         _ZN7rocprim17ROCPRIM_400000_NS6detail17trampoline_kernelINS0_14default_configENS1_27upper_bound_config_selectorIdlEEZNS1_14transform_implILb0ES3_S5_N6thrust23THRUST_200600_302600_NS6detail15normal_iteratorINS8_7pointerIdNS8_11hip_rocprim5par_tENS8_11use_defaultESE_EEEENSA_INSB_IlSD_SE_SE_EEEEZNS1_13binary_searchIS3_S5_PdSG_SI_NS1_21upper_bound_search_opENS9_16wrapped_functionINS8_6system6detail7generic6detail18binary_search_lessEbEEEE10hipError_tPvRmT1_T2_T3_mmT4_T5_P12ihipStream_tbEUlRKdE_EEST_SX_SY_mSZ_S12_bEUlT_E_NS1_11comp_targetILNS1_3genE2ELNS1_11target_archE906ELNS1_3gpuE6ELNS1_3repE0EEENS1_30default_config_static_selectorELNS0_4arch9wavefront6targetE1EEEvSW_.kd
    .uniform_work_group_size: 1
    .uses_dynamic_stack: false
    .vgpr_count:     12
    .vgpr_spill_count: 0
    .wavefront_size: 64
  - .args:
      - .offset:         0
        .size:           56
        .value_kind:     by_value
    .group_segment_fixed_size: 0
    .kernarg_segment_align: 8
    .kernarg_segment_size: 56
    .language:       OpenCL C
    .language_version:
      - 2
      - 0
    .max_flat_workgroup_size: 128
    .name:           _ZN7rocprim17ROCPRIM_400000_NS6detail17trampoline_kernelINS0_14default_configENS1_27upper_bound_config_selectorIdlEEZNS1_14transform_implILb0ES3_S5_N6thrust23THRUST_200600_302600_NS6detail15normal_iteratorINS8_7pointerIdNS8_11hip_rocprim5par_tENS8_11use_defaultESE_EEEENSA_INSB_IlSD_SE_SE_EEEEZNS1_13binary_searchIS3_S5_PdSG_SI_NS1_21upper_bound_search_opENS9_16wrapped_functionINS8_6system6detail7generic6detail18binary_search_lessEbEEEE10hipError_tPvRmT1_T2_T3_mmT4_T5_P12ihipStream_tbEUlRKdE_EEST_SX_SY_mSZ_S12_bEUlT_E_NS1_11comp_targetILNS1_3genE10ELNS1_11target_archE1201ELNS1_3gpuE5ELNS1_3repE0EEENS1_30default_config_static_selectorELNS0_4arch9wavefront6targetE1EEEvSW_
    .private_segment_fixed_size: 0
    .sgpr_count:     4
    .sgpr_spill_count: 0
    .symbol:         _ZN7rocprim17ROCPRIM_400000_NS6detail17trampoline_kernelINS0_14default_configENS1_27upper_bound_config_selectorIdlEEZNS1_14transform_implILb0ES3_S5_N6thrust23THRUST_200600_302600_NS6detail15normal_iteratorINS8_7pointerIdNS8_11hip_rocprim5par_tENS8_11use_defaultESE_EEEENSA_INSB_IlSD_SE_SE_EEEEZNS1_13binary_searchIS3_S5_PdSG_SI_NS1_21upper_bound_search_opENS9_16wrapped_functionINS8_6system6detail7generic6detail18binary_search_lessEbEEEE10hipError_tPvRmT1_T2_T3_mmT4_T5_P12ihipStream_tbEUlRKdE_EEST_SX_SY_mSZ_S12_bEUlT_E_NS1_11comp_targetILNS1_3genE10ELNS1_11target_archE1201ELNS1_3gpuE5ELNS1_3repE0EEENS1_30default_config_static_selectorELNS0_4arch9wavefront6targetE1EEEvSW_.kd
    .uniform_work_group_size: 1
    .uses_dynamic_stack: false
    .vgpr_count:     0
    .vgpr_spill_count: 0
    .wavefront_size: 64
  - .args:
      - .offset:         0
        .size:           56
        .value_kind:     by_value
    .group_segment_fixed_size: 0
    .kernarg_segment_align: 8
    .kernarg_segment_size: 56
    .language:       OpenCL C
    .language_version:
      - 2
      - 0
    .max_flat_workgroup_size: 128
    .name:           _ZN7rocprim17ROCPRIM_400000_NS6detail17trampoline_kernelINS0_14default_configENS1_27upper_bound_config_selectorIdlEEZNS1_14transform_implILb0ES3_S5_N6thrust23THRUST_200600_302600_NS6detail15normal_iteratorINS8_7pointerIdNS8_11hip_rocprim5par_tENS8_11use_defaultESE_EEEENSA_INSB_IlSD_SE_SE_EEEEZNS1_13binary_searchIS3_S5_PdSG_SI_NS1_21upper_bound_search_opENS9_16wrapped_functionINS8_6system6detail7generic6detail18binary_search_lessEbEEEE10hipError_tPvRmT1_T2_T3_mmT4_T5_P12ihipStream_tbEUlRKdE_EEST_SX_SY_mSZ_S12_bEUlT_E_NS1_11comp_targetILNS1_3genE10ELNS1_11target_archE1200ELNS1_3gpuE4ELNS1_3repE0EEENS1_30default_config_static_selectorELNS0_4arch9wavefront6targetE1EEEvSW_
    .private_segment_fixed_size: 0
    .sgpr_count:     4
    .sgpr_spill_count: 0
    .symbol:         _ZN7rocprim17ROCPRIM_400000_NS6detail17trampoline_kernelINS0_14default_configENS1_27upper_bound_config_selectorIdlEEZNS1_14transform_implILb0ES3_S5_N6thrust23THRUST_200600_302600_NS6detail15normal_iteratorINS8_7pointerIdNS8_11hip_rocprim5par_tENS8_11use_defaultESE_EEEENSA_INSB_IlSD_SE_SE_EEEEZNS1_13binary_searchIS3_S5_PdSG_SI_NS1_21upper_bound_search_opENS9_16wrapped_functionINS8_6system6detail7generic6detail18binary_search_lessEbEEEE10hipError_tPvRmT1_T2_T3_mmT4_T5_P12ihipStream_tbEUlRKdE_EEST_SX_SY_mSZ_S12_bEUlT_E_NS1_11comp_targetILNS1_3genE10ELNS1_11target_archE1200ELNS1_3gpuE4ELNS1_3repE0EEENS1_30default_config_static_selectorELNS0_4arch9wavefront6targetE1EEEvSW_.kd
    .uniform_work_group_size: 1
    .uses_dynamic_stack: false
    .vgpr_count:     0
    .vgpr_spill_count: 0
    .wavefront_size: 64
  - .args:
      - .offset:         0
        .size:           56
        .value_kind:     by_value
    .group_segment_fixed_size: 0
    .kernarg_segment_align: 8
    .kernarg_segment_size: 56
    .language:       OpenCL C
    .language_version:
      - 2
      - 0
    .max_flat_workgroup_size: 256
    .name:           _ZN7rocprim17ROCPRIM_400000_NS6detail17trampoline_kernelINS0_14default_configENS1_27upper_bound_config_selectorIdlEEZNS1_14transform_implILb0ES3_S5_N6thrust23THRUST_200600_302600_NS6detail15normal_iteratorINS8_7pointerIdNS8_11hip_rocprim5par_tENS8_11use_defaultESE_EEEENSA_INSB_IlSD_SE_SE_EEEEZNS1_13binary_searchIS3_S5_PdSG_SI_NS1_21upper_bound_search_opENS9_16wrapped_functionINS8_6system6detail7generic6detail18binary_search_lessEbEEEE10hipError_tPvRmT1_T2_T3_mmT4_T5_P12ihipStream_tbEUlRKdE_EEST_SX_SY_mSZ_S12_bEUlT_E_NS1_11comp_targetILNS1_3genE9ELNS1_11target_archE1100ELNS1_3gpuE3ELNS1_3repE0EEENS1_30default_config_static_selectorELNS0_4arch9wavefront6targetE1EEEvSW_
    .private_segment_fixed_size: 0
    .sgpr_count:     4
    .sgpr_spill_count: 0
    .symbol:         _ZN7rocprim17ROCPRIM_400000_NS6detail17trampoline_kernelINS0_14default_configENS1_27upper_bound_config_selectorIdlEEZNS1_14transform_implILb0ES3_S5_N6thrust23THRUST_200600_302600_NS6detail15normal_iteratorINS8_7pointerIdNS8_11hip_rocprim5par_tENS8_11use_defaultESE_EEEENSA_INSB_IlSD_SE_SE_EEEEZNS1_13binary_searchIS3_S5_PdSG_SI_NS1_21upper_bound_search_opENS9_16wrapped_functionINS8_6system6detail7generic6detail18binary_search_lessEbEEEE10hipError_tPvRmT1_T2_T3_mmT4_T5_P12ihipStream_tbEUlRKdE_EEST_SX_SY_mSZ_S12_bEUlT_E_NS1_11comp_targetILNS1_3genE9ELNS1_11target_archE1100ELNS1_3gpuE3ELNS1_3repE0EEENS1_30default_config_static_selectorELNS0_4arch9wavefront6targetE1EEEvSW_.kd
    .uniform_work_group_size: 1
    .uses_dynamic_stack: false
    .vgpr_count:     0
    .vgpr_spill_count: 0
    .wavefront_size: 64
  - .args:
      - .offset:         0
        .size:           56
        .value_kind:     by_value
    .group_segment_fixed_size: 0
    .kernarg_segment_align: 8
    .kernarg_segment_size: 56
    .language:       OpenCL C
    .language_version:
      - 2
      - 0
    .max_flat_workgroup_size: 256
    .name:           _ZN7rocprim17ROCPRIM_400000_NS6detail17trampoline_kernelINS0_14default_configENS1_27upper_bound_config_selectorIdlEEZNS1_14transform_implILb0ES3_S5_N6thrust23THRUST_200600_302600_NS6detail15normal_iteratorINS8_7pointerIdNS8_11hip_rocprim5par_tENS8_11use_defaultESE_EEEENSA_INSB_IlSD_SE_SE_EEEEZNS1_13binary_searchIS3_S5_PdSG_SI_NS1_21upper_bound_search_opENS9_16wrapped_functionINS8_6system6detail7generic6detail18binary_search_lessEbEEEE10hipError_tPvRmT1_T2_T3_mmT4_T5_P12ihipStream_tbEUlRKdE_EEST_SX_SY_mSZ_S12_bEUlT_E_NS1_11comp_targetILNS1_3genE8ELNS1_11target_archE1030ELNS1_3gpuE2ELNS1_3repE0EEENS1_30default_config_static_selectorELNS0_4arch9wavefront6targetE1EEEvSW_
    .private_segment_fixed_size: 0
    .sgpr_count:     4
    .sgpr_spill_count: 0
    .symbol:         _ZN7rocprim17ROCPRIM_400000_NS6detail17trampoline_kernelINS0_14default_configENS1_27upper_bound_config_selectorIdlEEZNS1_14transform_implILb0ES3_S5_N6thrust23THRUST_200600_302600_NS6detail15normal_iteratorINS8_7pointerIdNS8_11hip_rocprim5par_tENS8_11use_defaultESE_EEEENSA_INSB_IlSD_SE_SE_EEEEZNS1_13binary_searchIS3_S5_PdSG_SI_NS1_21upper_bound_search_opENS9_16wrapped_functionINS8_6system6detail7generic6detail18binary_search_lessEbEEEE10hipError_tPvRmT1_T2_T3_mmT4_T5_P12ihipStream_tbEUlRKdE_EEST_SX_SY_mSZ_S12_bEUlT_E_NS1_11comp_targetILNS1_3genE8ELNS1_11target_archE1030ELNS1_3gpuE2ELNS1_3repE0EEENS1_30default_config_static_selectorELNS0_4arch9wavefront6targetE1EEEvSW_.kd
    .uniform_work_group_size: 1
    .uses_dynamic_stack: false
    .vgpr_count:     0
    .vgpr_spill_count: 0
    .wavefront_size: 64
  - .args:
      - .offset:         0
        .size:           8
        .value_kind:     by_value
      - .address_space:  global
        .offset:         8
        .size:           8
        .value_kind:     global_buffer
      - .address_space:  global
        .offset:         16
        .size:           8
        .value_kind:     global_buffer
    .group_segment_fixed_size: 0
    .kernarg_segment_align: 8
    .kernarg_segment_size: 24
    .language:       OpenCL C
    .language_version:
      - 2
      - 0
    .max_flat_workgroup_size: 256
    .name:           _Z18upper_bound_kernelIfEvmPT_Pl
    .private_segment_fixed_size: 0
    .sgpr_count:     22
    .sgpr_spill_count: 0
    .symbol:         _Z18upper_bound_kernelIfEvmPT_Pl.kd
    .uniform_work_group_size: 1
    .uses_dynamic_stack: false
    .vgpr_count:     3
    .vgpr_spill_count: 0
    .wavefront_size: 64
  - .args:
      - .offset:         0
        .size:           56
        .value_kind:     by_value
    .group_segment_fixed_size: 0
    .kernarg_segment_align: 8
    .kernarg_segment_size: 56
    .language:       OpenCL C
    .language_version:
      - 2
      - 0
    .max_flat_workgroup_size: 256
    .name:           _ZN7rocprim17ROCPRIM_400000_NS6detail17trampoline_kernelINS0_14default_configENS1_27upper_bound_config_selectorIflEEZNS1_14transform_implILb0ES3_S5_N6thrust23THRUST_200600_302600_NS6detail15normal_iteratorINS8_7pointerIfNS8_11hip_rocprim5par_tENS8_11use_defaultESE_EEEENSA_INSB_IlSD_SE_SE_EEEEZNS1_13binary_searchIS3_S5_PfSG_SI_NS1_21upper_bound_search_opENS9_16wrapped_functionINS8_6system6detail7generic6detail18binary_search_lessEbEEEE10hipError_tPvRmT1_T2_T3_mmT4_T5_P12ihipStream_tbEUlRKfE_EEST_SX_SY_mSZ_S12_bEUlT_E_NS1_11comp_targetILNS1_3genE0ELNS1_11target_archE4294967295ELNS1_3gpuE0ELNS1_3repE0EEENS1_30default_config_static_selectorELNS0_4arch9wavefront6targetE1EEEvSW_
    .private_segment_fixed_size: 0
    .sgpr_count:     4
    .sgpr_spill_count: 0
    .symbol:         _ZN7rocprim17ROCPRIM_400000_NS6detail17trampoline_kernelINS0_14default_configENS1_27upper_bound_config_selectorIflEEZNS1_14transform_implILb0ES3_S5_N6thrust23THRUST_200600_302600_NS6detail15normal_iteratorINS8_7pointerIfNS8_11hip_rocprim5par_tENS8_11use_defaultESE_EEEENSA_INSB_IlSD_SE_SE_EEEEZNS1_13binary_searchIS3_S5_PfSG_SI_NS1_21upper_bound_search_opENS9_16wrapped_functionINS8_6system6detail7generic6detail18binary_search_lessEbEEEE10hipError_tPvRmT1_T2_T3_mmT4_T5_P12ihipStream_tbEUlRKfE_EEST_SX_SY_mSZ_S12_bEUlT_E_NS1_11comp_targetILNS1_3genE0ELNS1_11target_archE4294967295ELNS1_3gpuE0ELNS1_3repE0EEENS1_30default_config_static_selectorELNS0_4arch9wavefront6targetE1EEEvSW_.kd
    .uniform_work_group_size: 1
    .uses_dynamic_stack: false
    .vgpr_count:     0
    .vgpr_spill_count: 0
    .wavefront_size: 64
  - .args:
      - .offset:         0
        .size:           56
        .value_kind:     by_value
    .group_segment_fixed_size: 0
    .kernarg_segment_align: 8
    .kernarg_segment_size: 56
    .language:       OpenCL C
    .language_version:
      - 2
      - 0
    .max_flat_workgroup_size: 256
    .name:           _ZN7rocprim17ROCPRIM_400000_NS6detail17trampoline_kernelINS0_14default_configENS1_27upper_bound_config_selectorIflEEZNS1_14transform_implILb0ES3_S5_N6thrust23THRUST_200600_302600_NS6detail15normal_iteratorINS8_7pointerIfNS8_11hip_rocprim5par_tENS8_11use_defaultESE_EEEENSA_INSB_IlSD_SE_SE_EEEEZNS1_13binary_searchIS3_S5_PfSG_SI_NS1_21upper_bound_search_opENS9_16wrapped_functionINS8_6system6detail7generic6detail18binary_search_lessEbEEEE10hipError_tPvRmT1_T2_T3_mmT4_T5_P12ihipStream_tbEUlRKfE_EEST_SX_SY_mSZ_S12_bEUlT_E_NS1_11comp_targetILNS1_3genE5ELNS1_11target_archE942ELNS1_3gpuE9ELNS1_3repE0EEENS1_30default_config_static_selectorELNS0_4arch9wavefront6targetE1EEEvSW_
    .private_segment_fixed_size: 0
    .sgpr_count:     4
    .sgpr_spill_count: 0
    .symbol:         _ZN7rocprim17ROCPRIM_400000_NS6detail17trampoline_kernelINS0_14default_configENS1_27upper_bound_config_selectorIflEEZNS1_14transform_implILb0ES3_S5_N6thrust23THRUST_200600_302600_NS6detail15normal_iteratorINS8_7pointerIfNS8_11hip_rocprim5par_tENS8_11use_defaultESE_EEEENSA_INSB_IlSD_SE_SE_EEEEZNS1_13binary_searchIS3_S5_PfSG_SI_NS1_21upper_bound_search_opENS9_16wrapped_functionINS8_6system6detail7generic6detail18binary_search_lessEbEEEE10hipError_tPvRmT1_T2_T3_mmT4_T5_P12ihipStream_tbEUlRKfE_EEST_SX_SY_mSZ_S12_bEUlT_E_NS1_11comp_targetILNS1_3genE5ELNS1_11target_archE942ELNS1_3gpuE9ELNS1_3repE0EEENS1_30default_config_static_selectorELNS0_4arch9wavefront6targetE1EEEvSW_.kd
    .uniform_work_group_size: 1
    .uses_dynamic_stack: false
    .vgpr_count:     0
    .vgpr_spill_count: 0
    .wavefront_size: 64
  - .args:
      - .offset:         0
        .size:           56
        .value_kind:     by_value
    .group_segment_fixed_size: 0
    .kernarg_segment_align: 8
    .kernarg_segment_size: 56
    .language:       OpenCL C
    .language_version:
      - 2
      - 0
    .max_flat_workgroup_size: 256
    .name:           _ZN7rocprim17ROCPRIM_400000_NS6detail17trampoline_kernelINS0_14default_configENS1_27upper_bound_config_selectorIflEEZNS1_14transform_implILb0ES3_S5_N6thrust23THRUST_200600_302600_NS6detail15normal_iteratorINS8_7pointerIfNS8_11hip_rocprim5par_tENS8_11use_defaultESE_EEEENSA_INSB_IlSD_SE_SE_EEEEZNS1_13binary_searchIS3_S5_PfSG_SI_NS1_21upper_bound_search_opENS9_16wrapped_functionINS8_6system6detail7generic6detail18binary_search_lessEbEEEE10hipError_tPvRmT1_T2_T3_mmT4_T5_P12ihipStream_tbEUlRKfE_EEST_SX_SY_mSZ_S12_bEUlT_E_NS1_11comp_targetILNS1_3genE4ELNS1_11target_archE910ELNS1_3gpuE8ELNS1_3repE0EEENS1_30default_config_static_selectorELNS0_4arch9wavefront6targetE1EEEvSW_
    .private_segment_fixed_size: 0
    .sgpr_count:     4
    .sgpr_spill_count: 0
    .symbol:         _ZN7rocprim17ROCPRIM_400000_NS6detail17trampoline_kernelINS0_14default_configENS1_27upper_bound_config_selectorIflEEZNS1_14transform_implILb0ES3_S5_N6thrust23THRUST_200600_302600_NS6detail15normal_iteratorINS8_7pointerIfNS8_11hip_rocprim5par_tENS8_11use_defaultESE_EEEENSA_INSB_IlSD_SE_SE_EEEEZNS1_13binary_searchIS3_S5_PfSG_SI_NS1_21upper_bound_search_opENS9_16wrapped_functionINS8_6system6detail7generic6detail18binary_search_lessEbEEEE10hipError_tPvRmT1_T2_T3_mmT4_T5_P12ihipStream_tbEUlRKfE_EEST_SX_SY_mSZ_S12_bEUlT_E_NS1_11comp_targetILNS1_3genE4ELNS1_11target_archE910ELNS1_3gpuE8ELNS1_3repE0EEENS1_30default_config_static_selectorELNS0_4arch9wavefront6targetE1EEEvSW_.kd
    .uniform_work_group_size: 1
    .uses_dynamic_stack: false
    .vgpr_count:     0
    .vgpr_spill_count: 0
    .wavefront_size: 64
  - .args:
      - .offset:         0
        .size:           56
        .value_kind:     by_value
    .group_segment_fixed_size: 0
    .kernarg_segment_align: 8
    .kernarg_segment_size: 56
    .language:       OpenCL C
    .language_version:
      - 2
      - 0
    .max_flat_workgroup_size: 256
    .name:           _ZN7rocprim17ROCPRIM_400000_NS6detail17trampoline_kernelINS0_14default_configENS1_27upper_bound_config_selectorIflEEZNS1_14transform_implILb0ES3_S5_N6thrust23THRUST_200600_302600_NS6detail15normal_iteratorINS8_7pointerIfNS8_11hip_rocprim5par_tENS8_11use_defaultESE_EEEENSA_INSB_IlSD_SE_SE_EEEEZNS1_13binary_searchIS3_S5_PfSG_SI_NS1_21upper_bound_search_opENS9_16wrapped_functionINS8_6system6detail7generic6detail18binary_search_lessEbEEEE10hipError_tPvRmT1_T2_T3_mmT4_T5_P12ihipStream_tbEUlRKfE_EEST_SX_SY_mSZ_S12_bEUlT_E_NS1_11comp_targetILNS1_3genE3ELNS1_11target_archE908ELNS1_3gpuE7ELNS1_3repE0EEENS1_30default_config_static_selectorELNS0_4arch9wavefront6targetE1EEEvSW_
    .private_segment_fixed_size: 0
    .sgpr_count:     4
    .sgpr_spill_count: 0
    .symbol:         _ZN7rocprim17ROCPRIM_400000_NS6detail17trampoline_kernelINS0_14default_configENS1_27upper_bound_config_selectorIflEEZNS1_14transform_implILb0ES3_S5_N6thrust23THRUST_200600_302600_NS6detail15normal_iteratorINS8_7pointerIfNS8_11hip_rocprim5par_tENS8_11use_defaultESE_EEEENSA_INSB_IlSD_SE_SE_EEEEZNS1_13binary_searchIS3_S5_PfSG_SI_NS1_21upper_bound_search_opENS9_16wrapped_functionINS8_6system6detail7generic6detail18binary_search_lessEbEEEE10hipError_tPvRmT1_T2_T3_mmT4_T5_P12ihipStream_tbEUlRKfE_EEST_SX_SY_mSZ_S12_bEUlT_E_NS1_11comp_targetILNS1_3genE3ELNS1_11target_archE908ELNS1_3gpuE7ELNS1_3repE0EEENS1_30default_config_static_selectorELNS0_4arch9wavefront6targetE1EEEvSW_.kd
    .uniform_work_group_size: 1
    .uses_dynamic_stack: false
    .vgpr_count:     0
    .vgpr_spill_count: 0
    .wavefront_size: 64
  - .args:
      - .offset:         0
        .size:           56
        .value_kind:     by_value
      - .offset:         56
        .size:           4
        .value_kind:     hidden_block_count_x
      - .offset:         60
        .size:           4
        .value_kind:     hidden_block_count_y
      - .offset:         64
        .size:           4
        .value_kind:     hidden_block_count_z
      - .offset:         68
        .size:           2
        .value_kind:     hidden_group_size_x
      - .offset:         70
        .size:           2
        .value_kind:     hidden_group_size_y
      - .offset:         72
        .size:           2
        .value_kind:     hidden_group_size_z
      - .offset:         74
        .size:           2
        .value_kind:     hidden_remainder_x
      - .offset:         76
        .size:           2
        .value_kind:     hidden_remainder_y
      - .offset:         78
        .size:           2
        .value_kind:     hidden_remainder_z
      - .offset:         96
        .size:           8
        .value_kind:     hidden_global_offset_x
      - .offset:         104
        .size:           8
        .value_kind:     hidden_global_offset_y
      - .offset:         112
        .size:           8
        .value_kind:     hidden_global_offset_z
      - .offset:         120
        .size:           2
        .value_kind:     hidden_grid_dims
    .group_segment_fixed_size: 0
    .kernarg_segment_align: 8
    .kernarg_segment_size: 312
    .language:       OpenCL C
    .language_version:
      - 2
      - 0
    .max_flat_workgroup_size: 256
    .name:           _ZN7rocprim17ROCPRIM_400000_NS6detail17trampoline_kernelINS0_14default_configENS1_27upper_bound_config_selectorIflEEZNS1_14transform_implILb0ES3_S5_N6thrust23THRUST_200600_302600_NS6detail15normal_iteratorINS8_7pointerIfNS8_11hip_rocprim5par_tENS8_11use_defaultESE_EEEENSA_INSB_IlSD_SE_SE_EEEEZNS1_13binary_searchIS3_S5_PfSG_SI_NS1_21upper_bound_search_opENS9_16wrapped_functionINS8_6system6detail7generic6detail18binary_search_lessEbEEEE10hipError_tPvRmT1_T2_T3_mmT4_T5_P12ihipStream_tbEUlRKfE_EEST_SX_SY_mSZ_S12_bEUlT_E_NS1_11comp_targetILNS1_3genE2ELNS1_11target_archE906ELNS1_3gpuE6ELNS1_3repE0EEENS1_30default_config_static_selectorELNS0_4arch9wavefront6targetE1EEEvSW_
    .private_segment_fixed_size: 0
    .sgpr_count:     24
    .sgpr_spill_count: 0
    .symbol:         _ZN7rocprim17ROCPRIM_400000_NS6detail17trampoline_kernelINS0_14default_configENS1_27upper_bound_config_selectorIflEEZNS1_14transform_implILb0ES3_S5_N6thrust23THRUST_200600_302600_NS6detail15normal_iteratorINS8_7pointerIfNS8_11hip_rocprim5par_tENS8_11use_defaultESE_EEEENSA_INSB_IlSD_SE_SE_EEEEZNS1_13binary_searchIS3_S5_PfSG_SI_NS1_21upper_bound_search_opENS9_16wrapped_functionINS8_6system6detail7generic6detail18binary_search_lessEbEEEE10hipError_tPvRmT1_T2_T3_mmT4_T5_P12ihipStream_tbEUlRKfE_EEST_SX_SY_mSZ_S12_bEUlT_E_NS1_11comp_targetILNS1_3genE2ELNS1_11target_archE906ELNS1_3gpuE6ELNS1_3repE0EEENS1_30default_config_static_selectorELNS0_4arch9wavefront6targetE1EEEvSW_.kd
    .uniform_work_group_size: 1
    .uses_dynamic_stack: false
    .vgpr_count:     12
    .vgpr_spill_count: 0
    .wavefront_size: 64
  - .args:
      - .offset:         0
        .size:           56
        .value_kind:     by_value
    .group_segment_fixed_size: 0
    .kernarg_segment_align: 8
    .kernarg_segment_size: 56
    .language:       OpenCL C
    .language_version:
      - 2
      - 0
    .max_flat_workgroup_size: 128
    .name:           _ZN7rocprim17ROCPRIM_400000_NS6detail17trampoline_kernelINS0_14default_configENS1_27upper_bound_config_selectorIflEEZNS1_14transform_implILb0ES3_S5_N6thrust23THRUST_200600_302600_NS6detail15normal_iteratorINS8_7pointerIfNS8_11hip_rocprim5par_tENS8_11use_defaultESE_EEEENSA_INSB_IlSD_SE_SE_EEEEZNS1_13binary_searchIS3_S5_PfSG_SI_NS1_21upper_bound_search_opENS9_16wrapped_functionINS8_6system6detail7generic6detail18binary_search_lessEbEEEE10hipError_tPvRmT1_T2_T3_mmT4_T5_P12ihipStream_tbEUlRKfE_EEST_SX_SY_mSZ_S12_bEUlT_E_NS1_11comp_targetILNS1_3genE10ELNS1_11target_archE1201ELNS1_3gpuE5ELNS1_3repE0EEENS1_30default_config_static_selectorELNS0_4arch9wavefront6targetE1EEEvSW_
    .private_segment_fixed_size: 0
    .sgpr_count:     4
    .sgpr_spill_count: 0
    .symbol:         _ZN7rocprim17ROCPRIM_400000_NS6detail17trampoline_kernelINS0_14default_configENS1_27upper_bound_config_selectorIflEEZNS1_14transform_implILb0ES3_S5_N6thrust23THRUST_200600_302600_NS6detail15normal_iteratorINS8_7pointerIfNS8_11hip_rocprim5par_tENS8_11use_defaultESE_EEEENSA_INSB_IlSD_SE_SE_EEEEZNS1_13binary_searchIS3_S5_PfSG_SI_NS1_21upper_bound_search_opENS9_16wrapped_functionINS8_6system6detail7generic6detail18binary_search_lessEbEEEE10hipError_tPvRmT1_T2_T3_mmT4_T5_P12ihipStream_tbEUlRKfE_EEST_SX_SY_mSZ_S12_bEUlT_E_NS1_11comp_targetILNS1_3genE10ELNS1_11target_archE1201ELNS1_3gpuE5ELNS1_3repE0EEENS1_30default_config_static_selectorELNS0_4arch9wavefront6targetE1EEEvSW_.kd
    .uniform_work_group_size: 1
    .uses_dynamic_stack: false
    .vgpr_count:     0
    .vgpr_spill_count: 0
    .wavefront_size: 64
  - .args:
      - .offset:         0
        .size:           56
        .value_kind:     by_value
    .group_segment_fixed_size: 0
    .kernarg_segment_align: 8
    .kernarg_segment_size: 56
    .language:       OpenCL C
    .language_version:
      - 2
      - 0
    .max_flat_workgroup_size: 128
    .name:           _ZN7rocprim17ROCPRIM_400000_NS6detail17trampoline_kernelINS0_14default_configENS1_27upper_bound_config_selectorIflEEZNS1_14transform_implILb0ES3_S5_N6thrust23THRUST_200600_302600_NS6detail15normal_iteratorINS8_7pointerIfNS8_11hip_rocprim5par_tENS8_11use_defaultESE_EEEENSA_INSB_IlSD_SE_SE_EEEEZNS1_13binary_searchIS3_S5_PfSG_SI_NS1_21upper_bound_search_opENS9_16wrapped_functionINS8_6system6detail7generic6detail18binary_search_lessEbEEEE10hipError_tPvRmT1_T2_T3_mmT4_T5_P12ihipStream_tbEUlRKfE_EEST_SX_SY_mSZ_S12_bEUlT_E_NS1_11comp_targetILNS1_3genE10ELNS1_11target_archE1200ELNS1_3gpuE4ELNS1_3repE0EEENS1_30default_config_static_selectorELNS0_4arch9wavefront6targetE1EEEvSW_
    .private_segment_fixed_size: 0
    .sgpr_count:     4
    .sgpr_spill_count: 0
    .symbol:         _ZN7rocprim17ROCPRIM_400000_NS6detail17trampoline_kernelINS0_14default_configENS1_27upper_bound_config_selectorIflEEZNS1_14transform_implILb0ES3_S5_N6thrust23THRUST_200600_302600_NS6detail15normal_iteratorINS8_7pointerIfNS8_11hip_rocprim5par_tENS8_11use_defaultESE_EEEENSA_INSB_IlSD_SE_SE_EEEEZNS1_13binary_searchIS3_S5_PfSG_SI_NS1_21upper_bound_search_opENS9_16wrapped_functionINS8_6system6detail7generic6detail18binary_search_lessEbEEEE10hipError_tPvRmT1_T2_T3_mmT4_T5_P12ihipStream_tbEUlRKfE_EEST_SX_SY_mSZ_S12_bEUlT_E_NS1_11comp_targetILNS1_3genE10ELNS1_11target_archE1200ELNS1_3gpuE4ELNS1_3repE0EEENS1_30default_config_static_selectorELNS0_4arch9wavefront6targetE1EEEvSW_.kd
    .uniform_work_group_size: 1
    .uses_dynamic_stack: false
    .vgpr_count:     0
    .vgpr_spill_count: 0
    .wavefront_size: 64
  - .args:
      - .offset:         0
        .size:           56
        .value_kind:     by_value
    .group_segment_fixed_size: 0
    .kernarg_segment_align: 8
    .kernarg_segment_size: 56
    .language:       OpenCL C
    .language_version:
      - 2
      - 0
    .max_flat_workgroup_size: 256
    .name:           _ZN7rocprim17ROCPRIM_400000_NS6detail17trampoline_kernelINS0_14default_configENS1_27upper_bound_config_selectorIflEEZNS1_14transform_implILb0ES3_S5_N6thrust23THRUST_200600_302600_NS6detail15normal_iteratorINS8_7pointerIfNS8_11hip_rocprim5par_tENS8_11use_defaultESE_EEEENSA_INSB_IlSD_SE_SE_EEEEZNS1_13binary_searchIS3_S5_PfSG_SI_NS1_21upper_bound_search_opENS9_16wrapped_functionINS8_6system6detail7generic6detail18binary_search_lessEbEEEE10hipError_tPvRmT1_T2_T3_mmT4_T5_P12ihipStream_tbEUlRKfE_EEST_SX_SY_mSZ_S12_bEUlT_E_NS1_11comp_targetILNS1_3genE9ELNS1_11target_archE1100ELNS1_3gpuE3ELNS1_3repE0EEENS1_30default_config_static_selectorELNS0_4arch9wavefront6targetE1EEEvSW_
    .private_segment_fixed_size: 0
    .sgpr_count:     4
    .sgpr_spill_count: 0
    .symbol:         _ZN7rocprim17ROCPRIM_400000_NS6detail17trampoline_kernelINS0_14default_configENS1_27upper_bound_config_selectorIflEEZNS1_14transform_implILb0ES3_S5_N6thrust23THRUST_200600_302600_NS6detail15normal_iteratorINS8_7pointerIfNS8_11hip_rocprim5par_tENS8_11use_defaultESE_EEEENSA_INSB_IlSD_SE_SE_EEEEZNS1_13binary_searchIS3_S5_PfSG_SI_NS1_21upper_bound_search_opENS9_16wrapped_functionINS8_6system6detail7generic6detail18binary_search_lessEbEEEE10hipError_tPvRmT1_T2_T3_mmT4_T5_P12ihipStream_tbEUlRKfE_EEST_SX_SY_mSZ_S12_bEUlT_E_NS1_11comp_targetILNS1_3genE9ELNS1_11target_archE1100ELNS1_3gpuE3ELNS1_3repE0EEENS1_30default_config_static_selectorELNS0_4arch9wavefront6targetE1EEEvSW_.kd
    .uniform_work_group_size: 1
    .uses_dynamic_stack: false
    .vgpr_count:     0
    .vgpr_spill_count: 0
    .wavefront_size: 64
  - .args:
      - .offset:         0
        .size:           56
        .value_kind:     by_value
    .group_segment_fixed_size: 0
    .kernarg_segment_align: 8
    .kernarg_segment_size: 56
    .language:       OpenCL C
    .language_version:
      - 2
      - 0
    .max_flat_workgroup_size: 256
    .name:           _ZN7rocprim17ROCPRIM_400000_NS6detail17trampoline_kernelINS0_14default_configENS1_27upper_bound_config_selectorIflEEZNS1_14transform_implILb0ES3_S5_N6thrust23THRUST_200600_302600_NS6detail15normal_iteratorINS8_7pointerIfNS8_11hip_rocprim5par_tENS8_11use_defaultESE_EEEENSA_INSB_IlSD_SE_SE_EEEEZNS1_13binary_searchIS3_S5_PfSG_SI_NS1_21upper_bound_search_opENS9_16wrapped_functionINS8_6system6detail7generic6detail18binary_search_lessEbEEEE10hipError_tPvRmT1_T2_T3_mmT4_T5_P12ihipStream_tbEUlRKfE_EEST_SX_SY_mSZ_S12_bEUlT_E_NS1_11comp_targetILNS1_3genE8ELNS1_11target_archE1030ELNS1_3gpuE2ELNS1_3repE0EEENS1_30default_config_static_selectorELNS0_4arch9wavefront6targetE1EEEvSW_
    .private_segment_fixed_size: 0
    .sgpr_count:     4
    .sgpr_spill_count: 0
    .symbol:         _ZN7rocprim17ROCPRIM_400000_NS6detail17trampoline_kernelINS0_14default_configENS1_27upper_bound_config_selectorIflEEZNS1_14transform_implILb0ES3_S5_N6thrust23THRUST_200600_302600_NS6detail15normal_iteratorINS8_7pointerIfNS8_11hip_rocprim5par_tENS8_11use_defaultESE_EEEENSA_INSB_IlSD_SE_SE_EEEEZNS1_13binary_searchIS3_S5_PfSG_SI_NS1_21upper_bound_search_opENS9_16wrapped_functionINS8_6system6detail7generic6detail18binary_search_lessEbEEEE10hipError_tPvRmT1_T2_T3_mmT4_T5_P12ihipStream_tbEUlRKfE_EEST_SX_SY_mSZ_S12_bEUlT_E_NS1_11comp_targetILNS1_3genE8ELNS1_11target_archE1030ELNS1_3gpuE2ELNS1_3repE0EEENS1_30default_config_static_selectorELNS0_4arch9wavefront6targetE1EEEvSW_.kd
    .uniform_work_group_size: 1
    .uses_dynamic_stack: false
    .vgpr_count:     0
    .vgpr_spill_count: 0
    .wavefront_size: 64
  - .args:
      - .offset:         0
        .size:           8
        .value_kind:     by_value
      - .address_space:  global
        .offset:         8
        .size:           8
        .value_kind:     global_buffer
      - .address_space:  global
        .offset:         16
        .size:           8
        .value_kind:     global_buffer
    .group_segment_fixed_size: 0
    .kernarg_segment_align: 8
    .kernarg_segment_size: 24
    .language:       OpenCL C
    .language_version:
      - 2
      - 0
    .max_flat_workgroup_size: 256
    .name:           _Z18upper_bound_kernelIyEvmPT_Pl
    .private_segment_fixed_size: 0
    .sgpr_count:     22
    .sgpr_spill_count: 0
    .symbol:         _Z18upper_bound_kernelIyEvmPT_Pl.kd
    .uniform_work_group_size: 1
    .uses_dynamic_stack: false
    .vgpr_count:     3
    .vgpr_spill_count: 0
    .wavefront_size: 64
  - .args:
      - .offset:         0
        .size:           56
        .value_kind:     by_value
    .group_segment_fixed_size: 0
    .kernarg_segment_align: 8
    .kernarg_segment_size: 56
    .language:       OpenCL C
    .language_version:
      - 2
      - 0
    .max_flat_workgroup_size: 128
    .name:           _ZN7rocprim17ROCPRIM_400000_NS6detail17trampoline_kernelINS0_14default_configENS1_27upper_bound_config_selectorIylEEZNS1_14transform_implILb0ES3_S5_N6thrust23THRUST_200600_302600_NS6detail15normal_iteratorINS8_7pointerIyNS8_11hip_rocprim5par_tENS8_11use_defaultESE_EEEENSA_INSB_IlSD_SE_SE_EEEEZNS1_13binary_searchIS3_S5_PySG_SI_NS1_21upper_bound_search_opENS9_16wrapped_functionINS8_6system6detail7generic6detail18binary_search_lessEbEEEE10hipError_tPvRmT1_T2_T3_mmT4_T5_P12ihipStream_tbEUlRKyE_EEST_SX_SY_mSZ_S12_bEUlT_E_NS1_11comp_targetILNS1_3genE0ELNS1_11target_archE4294967295ELNS1_3gpuE0ELNS1_3repE0EEENS1_30default_config_static_selectorELNS0_4arch9wavefront6targetE1EEEvSW_
    .private_segment_fixed_size: 0
    .sgpr_count:     4
    .sgpr_spill_count: 0
    .symbol:         _ZN7rocprim17ROCPRIM_400000_NS6detail17trampoline_kernelINS0_14default_configENS1_27upper_bound_config_selectorIylEEZNS1_14transform_implILb0ES3_S5_N6thrust23THRUST_200600_302600_NS6detail15normal_iteratorINS8_7pointerIyNS8_11hip_rocprim5par_tENS8_11use_defaultESE_EEEENSA_INSB_IlSD_SE_SE_EEEEZNS1_13binary_searchIS3_S5_PySG_SI_NS1_21upper_bound_search_opENS9_16wrapped_functionINS8_6system6detail7generic6detail18binary_search_lessEbEEEE10hipError_tPvRmT1_T2_T3_mmT4_T5_P12ihipStream_tbEUlRKyE_EEST_SX_SY_mSZ_S12_bEUlT_E_NS1_11comp_targetILNS1_3genE0ELNS1_11target_archE4294967295ELNS1_3gpuE0ELNS1_3repE0EEENS1_30default_config_static_selectorELNS0_4arch9wavefront6targetE1EEEvSW_.kd
    .uniform_work_group_size: 1
    .uses_dynamic_stack: false
    .vgpr_count:     0
    .vgpr_spill_count: 0
    .wavefront_size: 64
  - .args:
      - .offset:         0
        .size:           56
        .value_kind:     by_value
    .group_segment_fixed_size: 0
    .kernarg_segment_align: 8
    .kernarg_segment_size: 56
    .language:       OpenCL C
    .language_version:
      - 2
      - 0
    .max_flat_workgroup_size: 64
    .name:           _ZN7rocprim17ROCPRIM_400000_NS6detail17trampoline_kernelINS0_14default_configENS1_27upper_bound_config_selectorIylEEZNS1_14transform_implILb0ES3_S5_N6thrust23THRUST_200600_302600_NS6detail15normal_iteratorINS8_7pointerIyNS8_11hip_rocprim5par_tENS8_11use_defaultESE_EEEENSA_INSB_IlSD_SE_SE_EEEEZNS1_13binary_searchIS3_S5_PySG_SI_NS1_21upper_bound_search_opENS9_16wrapped_functionINS8_6system6detail7generic6detail18binary_search_lessEbEEEE10hipError_tPvRmT1_T2_T3_mmT4_T5_P12ihipStream_tbEUlRKyE_EEST_SX_SY_mSZ_S12_bEUlT_E_NS1_11comp_targetILNS1_3genE5ELNS1_11target_archE942ELNS1_3gpuE9ELNS1_3repE0EEENS1_30default_config_static_selectorELNS0_4arch9wavefront6targetE1EEEvSW_
    .private_segment_fixed_size: 0
    .sgpr_count:     4
    .sgpr_spill_count: 0
    .symbol:         _ZN7rocprim17ROCPRIM_400000_NS6detail17trampoline_kernelINS0_14default_configENS1_27upper_bound_config_selectorIylEEZNS1_14transform_implILb0ES3_S5_N6thrust23THRUST_200600_302600_NS6detail15normal_iteratorINS8_7pointerIyNS8_11hip_rocprim5par_tENS8_11use_defaultESE_EEEENSA_INSB_IlSD_SE_SE_EEEEZNS1_13binary_searchIS3_S5_PySG_SI_NS1_21upper_bound_search_opENS9_16wrapped_functionINS8_6system6detail7generic6detail18binary_search_lessEbEEEE10hipError_tPvRmT1_T2_T3_mmT4_T5_P12ihipStream_tbEUlRKyE_EEST_SX_SY_mSZ_S12_bEUlT_E_NS1_11comp_targetILNS1_3genE5ELNS1_11target_archE942ELNS1_3gpuE9ELNS1_3repE0EEENS1_30default_config_static_selectorELNS0_4arch9wavefront6targetE1EEEvSW_.kd
    .uniform_work_group_size: 1
    .uses_dynamic_stack: false
    .vgpr_count:     0
    .vgpr_spill_count: 0
    .wavefront_size: 64
  - .args:
      - .offset:         0
        .size:           56
        .value_kind:     by_value
    .group_segment_fixed_size: 0
    .kernarg_segment_align: 8
    .kernarg_segment_size: 56
    .language:       OpenCL C
    .language_version:
      - 2
      - 0
    .max_flat_workgroup_size: 64
    .name:           _ZN7rocprim17ROCPRIM_400000_NS6detail17trampoline_kernelINS0_14default_configENS1_27upper_bound_config_selectorIylEEZNS1_14transform_implILb0ES3_S5_N6thrust23THRUST_200600_302600_NS6detail15normal_iteratorINS8_7pointerIyNS8_11hip_rocprim5par_tENS8_11use_defaultESE_EEEENSA_INSB_IlSD_SE_SE_EEEEZNS1_13binary_searchIS3_S5_PySG_SI_NS1_21upper_bound_search_opENS9_16wrapped_functionINS8_6system6detail7generic6detail18binary_search_lessEbEEEE10hipError_tPvRmT1_T2_T3_mmT4_T5_P12ihipStream_tbEUlRKyE_EEST_SX_SY_mSZ_S12_bEUlT_E_NS1_11comp_targetILNS1_3genE4ELNS1_11target_archE910ELNS1_3gpuE8ELNS1_3repE0EEENS1_30default_config_static_selectorELNS0_4arch9wavefront6targetE1EEEvSW_
    .private_segment_fixed_size: 0
    .sgpr_count:     4
    .sgpr_spill_count: 0
    .symbol:         _ZN7rocprim17ROCPRIM_400000_NS6detail17trampoline_kernelINS0_14default_configENS1_27upper_bound_config_selectorIylEEZNS1_14transform_implILb0ES3_S5_N6thrust23THRUST_200600_302600_NS6detail15normal_iteratorINS8_7pointerIyNS8_11hip_rocprim5par_tENS8_11use_defaultESE_EEEENSA_INSB_IlSD_SE_SE_EEEEZNS1_13binary_searchIS3_S5_PySG_SI_NS1_21upper_bound_search_opENS9_16wrapped_functionINS8_6system6detail7generic6detail18binary_search_lessEbEEEE10hipError_tPvRmT1_T2_T3_mmT4_T5_P12ihipStream_tbEUlRKyE_EEST_SX_SY_mSZ_S12_bEUlT_E_NS1_11comp_targetILNS1_3genE4ELNS1_11target_archE910ELNS1_3gpuE8ELNS1_3repE0EEENS1_30default_config_static_selectorELNS0_4arch9wavefront6targetE1EEEvSW_.kd
    .uniform_work_group_size: 1
    .uses_dynamic_stack: false
    .vgpr_count:     0
    .vgpr_spill_count: 0
    .wavefront_size: 64
  - .args:
      - .offset:         0
        .size:           56
        .value_kind:     by_value
    .group_segment_fixed_size: 0
    .kernarg_segment_align: 8
    .kernarg_segment_size: 56
    .language:       OpenCL C
    .language_version:
      - 2
      - 0
    .max_flat_workgroup_size: 128
    .name:           _ZN7rocprim17ROCPRIM_400000_NS6detail17trampoline_kernelINS0_14default_configENS1_27upper_bound_config_selectorIylEEZNS1_14transform_implILb0ES3_S5_N6thrust23THRUST_200600_302600_NS6detail15normal_iteratorINS8_7pointerIyNS8_11hip_rocprim5par_tENS8_11use_defaultESE_EEEENSA_INSB_IlSD_SE_SE_EEEEZNS1_13binary_searchIS3_S5_PySG_SI_NS1_21upper_bound_search_opENS9_16wrapped_functionINS8_6system6detail7generic6detail18binary_search_lessEbEEEE10hipError_tPvRmT1_T2_T3_mmT4_T5_P12ihipStream_tbEUlRKyE_EEST_SX_SY_mSZ_S12_bEUlT_E_NS1_11comp_targetILNS1_3genE3ELNS1_11target_archE908ELNS1_3gpuE7ELNS1_3repE0EEENS1_30default_config_static_selectorELNS0_4arch9wavefront6targetE1EEEvSW_
    .private_segment_fixed_size: 0
    .sgpr_count:     4
    .sgpr_spill_count: 0
    .symbol:         _ZN7rocprim17ROCPRIM_400000_NS6detail17trampoline_kernelINS0_14default_configENS1_27upper_bound_config_selectorIylEEZNS1_14transform_implILb0ES3_S5_N6thrust23THRUST_200600_302600_NS6detail15normal_iteratorINS8_7pointerIyNS8_11hip_rocprim5par_tENS8_11use_defaultESE_EEEENSA_INSB_IlSD_SE_SE_EEEEZNS1_13binary_searchIS3_S5_PySG_SI_NS1_21upper_bound_search_opENS9_16wrapped_functionINS8_6system6detail7generic6detail18binary_search_lessEbEEEE10hipError_tPvRmT1_T2_T3_mmT4_T5_P12ihipStream_tbEUlRKyE_EEST_SX_SY_mSZ_S12_bEUlT_E_NS1_11comp_targetILNS1_3genE3ELNS1_11target_archE908ELNS1_3gpuE7ELNS1_3repE0EEENS1_30default_config_static_selectorELNS0_4arch9wavefront6targetE1EEEvSW_.kd
    .uniform_work_group_size: 1
    .uses_dynamic_stack: false
    .vgpr_count:     0
    .vgpr_spill_count: 0
    .wavefront_size: 64
  - .args:
      - .offset:         0
        .size:           56
        .value_kind:     by_value
      - .offset:         56
        .size:           4
        .value_kind:     hidden_block_count_x
      - .offset:         60
        .size:           4
        .value_kind:     hidden_block_count_y
      - .offset:         64
        .size:           4
        .value_kind:     hidden_block_count_z
      - .offset:         68
        .size:           2
        .value_kind:     hidden_group_size_x
      - .offset:         70
        .size:           2
        .value_kind:     hidden_group_size_y
      - .offset:         72
        .size:           2
        .value_kind:     hidden_group_size_z
      - .offset:         74
        .size:           2
        .value_kind:     hidden_remainder_x
      - .offset:         76
        .size:           2
        .value_kind:     hidden_remainder_y
      - .offset:         78
        .size:           2
        .value_kind:     hidden_remainder_z
      - .offset:         96
        .size:           8
        .value_kind:     hidden_global_offset_x
      - .offset:         104
        .size:           8
        .value_kind:     hidden_global_offset_y
      - .offset:         112
        .size:           8
        .value_kind:     hidden_global_offset_z
      - .offset:         120
        .size:           2
        .value_kind:     hidden_grid_dims
    .group_segment_fixed_size: 0
    .kernarg_segment_align: 8
    .kernarg_segment_size: 312
    .language:       OpenCL C
    .language_version:
      - 2
      - 0
    .max_flat_workgroup_size: 256
    .name:           _ZN7rocprim17ROCPRIM_400000_NS6detail17trampoline_kernelINS0_14default_configENS1_27upper_bound_config_selectorIylEEZNS1_14transform_implILb0ES3_S5_N6thrust23THRUST_200600_302600_NS6detail15normal_iteratorINS8_7pointerIyNS8_11hip_rocprim5par_tENS8_11use_defaultESE_EEEENSA_INSB_IlSD_SE_SE_EEEEZNS1_13binary_searchIS3_S5_PySG_SI_NS1_21upper_bound_search_opENS9_16wrapped_functionINS8_6system6detail7generic6detail18binary_search_lessEbEEEE10hipError_tPvRmT1_T2_T3_mmT4_T5_P12ihipStream_tbEUlRKyE_EEST_SX_SY_mSZ_S12_bEUlT_E_NS1_11comp_targetILNS1_3genE2ELNS1_11target_archE906ELNS1_3gpuE6ELNS1_3repE0EEENS1_30default_config_static_selectorELNS0_4arch9wavefront6targetE1EEEvSW_
    .private_segment_fixed_size: 0
    .sgpr_count:     22
    .sgpr_spill_count: 0
    .symbol:         _ZN7rocprim17ROCPRIM_400000_NS6detail17trampoline_kernelINS0_14default_configENS1_27upper_bound_config_selectorIylEEZNS1_14transform_implILb0ES3_S5_N6thrust23THRUST_200600_302600_NS6detail15normal_iteratorINS8_7pointerIyNS8_11hip_rocprim5par_tENS8_11use_defaultESE_EEEENSA_INSB_IlSD_SE_SE_EEEEZNS1_13binary_searchIS3_S5_PySG_SI_NS1_21upper_bound_search_opENS9_16wrapped_functionINS8_6system6detail7generic6detail18binary_search_lessEbEEEE10hipError_tPvRmT1_T2_T3_mmT4_T5_P12ihipStream_tbEUlRKyE_EEST_SX_SY_mSZ_S12_bEUlT_E_NS1_11comp_targetILNS1_3genE2ELNS1_11target_archE906ELNS1_3gpuE6ELNS1_3repE0EEENS1_30default_config_static_selectorELNS0_4arch9wavefront6targetE1EEEvSW_.kd
    .uniform_work_group_size: 1
    .uses_dynamic_stack: false
    .vgpr_count:     14
    .vgpr_spill_count: 0
    .wavefront_size: 64
  - .args:
      - .offset:         0
        .size:           56
        .value_kind:     by_value
    .group_segment_fixed_size: 0
    .kernarg_segment_align: 8
    .kernarg_segment_size: 56
    .language:       OpenCL C
    .language_version:
      - 2
      - 0
    .max_flat_workgroup_size: 128
    .name:           _ZN7rocprim17ROCPRIM_400000_NS6detail17trampoline_kernelINS0_14default_configENS1_27upper_bound_config_selectorIylEEZNS1_14transform_implILb0ES3_S5_N6thrust23THRUST_200600_302600_NS6detail15normal_iteratorINS8_7pointerIyNS8_11hip_rocprim5par_tENS8_11use_defaultESE_EEEENSA_INSB_IlSD_SE_SE_EEEEZNS1_13binary_searchIS3_S5_PySG_SI_NS1_21upper_bound_search_opENS9_16wrapped_functionINS8_6system6detail7generic6detail18binary_search_lessEbEEEE10hipError_tPvRmT1_T2_T3_mmT4_T5_P12ihipStream_tbEUlRKyE_EEST_SX_SY_mSZ_S12_bEUlT_E_NS1_11comp_targetILNS1_3genE10ELNS1_11target_archE1201ELNS1_3gpuE5ELNS1_3repE0EEENS1_30default_config_static_selectorELNS0_4arch9wavefront6targetE1EEEvSW_
    .private_segment_fixed_size: 0
    .sgpr_count:     4
    .sgpr_spill_count: 0
    .symbol:         _ZN7rocprim17ROCPRIM_400000_NS6detail17trampoline_kernelINS0_14default_configENS1_27upper_bound_config_selectorIylEEZNS1_14transform_implILb0ES3_S5_N6thrust23THRUST_200600_302600_NS6detail15normal_iteratorINS8_7pointerIyNS8_11hip_rocprim5par_tENS8_11use_defaultESE_EEEENSA_INSB_IlSD_SE_SE_EEEEZNS1_13binary_searchIS3_S5_PySG_SI_NS1_21upper_bound_search_opENS9_16wrapped_functionINS8_6system6detail7generic6detail18binary_search_lessEbEEEE10hipError_tPvRmT1_T2_T3_mmT4_T5_P12ihipStream_tbEUlRKyE_EEST_SX_SY_mSZ_S12_bEUlT_E_NS1_11comp_targetILNS1_3genE10ELNS1_11target_archE1201ELNS1_3gpuE5ELNS1_3repE0EEENS1_30default_config_static_selectorELNS0_4arch9wavefront6targetE1EEEvSW_.kd
    .uniform_work_group_size: 1
    .uses_dynamic_stack: false
    .vgpr_count:     0
    .vgpr_spill_count: 0
    .wavefront_size: 64
  - .args:
      - .offset:         0
        .size:           56
        .value_kind:     by_value
    .group_segment_fixed_size: 0
    .kernarg_segment_align: 8
    .kernarg_segment_size: 56
    .language:       OpenCL C
    .language_version:
      - 2
      - 0
    .max_flat_workgroup_size: 128
    .name:           _ZN7rocprim17ROCPRIM_400000_NS6detail17trampoline_kernelINS0_14default_configENS1_27upper_bound_config_selectorIylEEZNS1_14transform_implILb0ES3_S5_N6thrust23THRUST_200600_302600_NS6detail15normal_iteratorINS8_7pointerIyNS8_11hip_rocprim5par_tENS8_11use_defaultESE_EEEENSA_INSB_IlSD_SE_SE_EEEEZNS1_13binary_searchIS3_S5_PySG_SI_NS1_21upper_bound_search_opENS9_16wrapped_functionINS8_6system6detail7generic6detail18binary_search_lessEbEEEE10hipError_tPvRmT1_T2_T3_mmT4_T5_P12ihipStream_tbEUlRKyE_EEST_SX_SY_mSZ_S12_bEUlT_E_NS1_11comp_targetILNS1_3genE10ELNS1_11target_archE1200ELNS1_3gpuE4ELNS1_3repE0EEENS1_30default_config_static_selectorELNS0_4arch9wavefront6targetE1EEEvSW_
    .private_segment_fixed_size: 0
    .sgpr_count:     4
    .sgpr_spill_count: 0
    .symbol:         _ZN7rocprim17ROCPRIM_400000_NS6detail17trampoline_kernelINS0_14default_configENS1_27upper_bound_config_selectorIylEEZNS1_14transform_implILb0ES3_S5_N6thrust23THRUST_200600_302600_NS6detail15normal_iteratorINS8_7pointerIyNS8_11hip_rocprim5par_tENS8_11use_defaultESE_EEEENSA_INSB_IlSD_SE_SE_EEEEZNS1_13binary_searchIS3_S5_PySG_SI_NS1_21upper_bound_search_opENS9_16wrapped_functionINS8_6system6detail7generic6detail18binary_search_lessEbEEEE10hipError_tPvRmT1_T2_T3_mmT4_T5_P12ihipStream_tbEUlRKyE_EEST_SX_SY_mSZ_S12_bEUlT_E_NS1_11comp_targetILNS1_3genE10ELNS1_11target_archE1200ELNS1_3gpuE4ELNS1_3repE0EEENS1_30default_config_static_selectorELNS0_4arch9wavefront6targetE1EEEvSW_.kd
    .uniform_work_group_size: 1
    .uses_dynamic_stack: false
    .vgpr_count:     0
    .vgpr_spill_count: 0
    .wavefront_size: 64
  - .args:
      - .offset:         0
        .size:           56
        .value_kind:     by_value
    .group_segment_fixed_size: 0
    .kernarg_segment_align: 8
    .kernarg_segment_size: 56
    .language:       OpenCL C
    .language_version:
      - 2
      - 0
    .max_flat_workgroup_size: 256
    .name:           _ZN7rocprim17ROCPRIM_400000_NS6detail17trampoline_kernelINS0_14default_configENS1_27upper_bound_config_selectorIylEEZNS1_14transform_implILb0ES3_S5_N6thrust23THRUST_200600_302600_NS6detail15normal_iteratorINS8_7pointerIyNS8_11hip_rocprim5par_tENS8_11use_defaultESE_EEEENSA_INSB_IlSD_SE_SE_EEEEZNS1_13binary_searchIS3_S5_PySG_SI_NS1_21upper_bound_search_opENS9_16wrapped_functionINS8_6system6detail7generic6detail18binary_search_lessEbEEEE10hipError_tPvRmT1_T2_T3_mmT4_T5_P12ihipStream_tbEUlRKyE_EEST_SX_SY_mSZ_S12_bEUlT_E_NS1_11comp_targetILNS1_3genE9ELNS1_11target_archE1100ELNS1_3gpuE3ELNS1_3repE0EEENS1_30default_config_static_selectorELNS0_4arch9wavefront6targetE1EEEvSW_
    .private_segment_fixed_size: 0
    .sgpr_count:     4
    .sgpr_spill_count: 0
    .symbol:         _ZN7rocprim17ROCPRIM_400000_NS6detail17trampoline_kernelINS0_14default_configENS1_27upper_bound_config_selectorIylEEZNS1_14transform_implILb0ES3_S5_N6thrust23THRUST_200600_302600_NS6detail15normal_iteratorINS8_7pointerIyNS8_11hip_rocprim5par_tENS8_11use_defaultESE_EEEENSA_INSB_IlSD_SE_SE_EEEEZNS1_13binary_searchIS3_S5_PySG_SI_NS1_21upper_bound_search_opENS9_16wrapped_functionINS8_6system6detail7generic6detail18binary_search_lessEbEEEE10hipError_tPvRmT1_T2_T3_mmT4_T5_P12ihipStream_tbEUlRKyE_EEST_SX_SY_mSZ_S12_bEUlT_E_NS1_11comp_targetILNS1_3genE9ELNS1_11target_archE1100ELNS1_3gpuE3ELNS1_3repE0EEENS1_30default_config_static_selectorELNS0_4arch9wavefront6targetE1EEEvSW_.kd
    .uniform_work_group_size: 1
    .uses_dynamic_stack: false
    .vgpr_count:     0
    .vgpr_spill_count: 0
    .wavefront_size: 64
  - .args:
      - .offset:         0
        .size:           56
        .value_kind:     by_value
    .group_segment_fixed_size: 0
    .kernarg_segment_align: 8
    .kernarg_segment_size: 56
    .language:       OpenCL C
    .language_version:
      - 2
      - 0
    .max_flat_workgroup_size: 256
    .name:           _ZN7rocprim17ROCPRIM_400000_NS6detail17trampoline_kernelINS0_14default_configENS1_27upper_bound_config_selectorIylEEZNS1_14transform_implILb0ES3_S5_N6thrust23THRUST_200600_302600_NS6detail15normal_iteratorINS8_7pointerIyNS8_11hip_rocprim5par_tENS8_11use_defaultESE_EEEENSA_INSB_IlSD_SE_SE_EEEEZNS1_13binary_searchIS3_S5_PySG_SI_NS1_21upper_bound_search_opENS9_16wrapped_functionINS8_6system6detail7generic6detail18binary_search_lessEbEEEE10hipError_tPvRmT1_T2_T3_mmT4_T5_P12ihipStream_tbEUlRKyE_EEST_SX_SY_mSZ_S12_bEUlT_E_NS1_11comp_targetILNS1_3genE8ELNS1_11target_archE1030ELNS1_3gpuE2ELNS1_3repE0EEENS1_30default_config_static_selectorELNS0_4arch9wavefront6targetE1EEEvSW_
    .private_segment_fixed_size: 0
    .sgpr_count:     4
    .sgpr_spill_count: 0
    .symbol:         _ZN7rocprim17ROCPRIM_400000_NS6detail17trampoline_kernelINS0_14default_configENS1_27upper_bound_config_selectorIylEEZNS1_14transform_implILb0ES3_S5_N6thrust23THRUST_200600_302600_NS6detail15normal_iteratorINS8_7pointerIyNS8_11hip_rocprim5par_tENS8_11use_defaultESE_EEEENSA_INSB_IlSD_SE_SE_EEEEZNS1_13binary_searchIS3_S5_PySG_SI_NS1_21upper_bound_search_opENS9_16wrapped_functionINS8_6system6detail7generic6detail18binary_search_lessEbEEEE10hipError_tPvRmT1_T2_T3_mmT4_T5_P12ihipStream_tbEUlRKyE_EEST_SX_SY_mSZ_S12_bEUlT_E_NS1_11comp_targetILNS1_3genE8ELNS1_11target_archE1030ELNS1_3gpuE2ELNS1_3repE0EEENS1_30default_config_static_selectorELNS0_4arch9wavefront6targetE1EEEvSW_.kd
    .uniform_work_group_size: 1
    .uses_dynamic_stack: false
    .vgpr_count:     0
    .vgpr_spill_count: 0
    .wavefront_size: 64
  - .args:
      - .offset:         0
        .size:           8
        .value_kind:     by_value
      - .address_space:  global
        .offset:         8
        .size:           8
        .value_kind:     global_buffer
      - .address_space:  global
        .offset:         16
        .size:           8
        .value_kind:     global_buffer
    .group_segment_fixed_size: 0
    .kernarg_segment_align: 8
    .kernarg_segment_size: 24
    .language:       OpenCL C
    .language_version:
      - 2
      - 0
    .max_flat_workgroup_size: 256
    .name:           _Z18upper_bound_kernelIjEvmPT_Pl
    .private_segment_fixed_size: 0
    .sgpr_count:     21
    .sgpr_spill_count: 0
    .symbol:         _Z18upper_bound_kernelIjEvmPT_Pl.kd
    .uniform_work_group_size: 1
    .uses_dynamic_stack: false
    .vgpr_count:     3
    .vgpr_spill_count: 0
    .wavefront_size: 64
  - .args:
      - .offset:         0
        .size:           56
        .value_kind:     by_value
    .group_segment_fixed_size: 0
    .kernarg_segment_align: 8
    .kernarg_segment_size: 56
    .language:       OpenCL C
    .language_version:
      - 2
      - 0
    .max_flat_workgroup_size: 256
    .name:           _ZN7rocprim17ROCPRIM_400000_NS6detail17trampoline_kernelINS0_14default_configENS1_27upper_bound_config_selectorIjlEEZNS1_14transform_implILb0ES3_S5_N6thrust23THRUST_200600_302600_NS6detail15normal_iteratorINS8_7pointerIjNS8_11hip_rocprim5par_tENS8_11use_defaultESE_EEEENSA_INSB_IlSD_SE_SE_EEEEZNS1_13binary_searchIS3_S5_PjSG_SI_NS1_21upper_bound_search_opENS9_16wrapped_functionINS8_6system6detail7generic6detail18binary_search_lessEbEEEE10hipError_tPvRmT1_T2_T3_mmT4_T5_P12ihipStream_tbEUlRKjE_EEST_SX_SY_mSZ_S12_bEUlT_E_NS1_11comp_targetILNS1_3genE0ELNS1_11target_archE4294967295ELNS1_3gpuE0ELNS1_3repE0EEENS1_30default_config_static_selectorELNS0_4arch9wavefront6targetE1EEEvSW_
    .private_segment_fixed_size: 0
    .sgpr_count:     4
    .sgpr_spill_count: 0
    .symbol:         _ZN7rocprim17ROCPRIM_400000_NS6detail17trampoline_kernelINS0_14default_configENS1_27upper_bound_config_selectorIjlEEZNS1_14transform_implILb0ES3_S5_N6thrust23THRUST_200600_302600_NS6detail15normal_iteratorINS8_7pointerIjNS8_11hip_rocprim5par_tENS8_11use_defaultESE_EEEENSA_INSB_IlSD_SE_SE_EEEEZNS1_13binary_searchIS3_S5_PjSG_SI_NS1_21upper_bound_search_opENS9_16wrapped_functionINS8_6system6detail7generic6detail18binary_search_lessEbEEEE10hipError_tPvRmT1_T2_T3_mmT4_T5_P12ihipStream_tbEUlRKjE_EEST_SX_SY_mSZ_S12_bEUlT_E_NS1_11comp_targetILNS1_3genE0ELNS1_11target_archE4294967295ELNS1_3gpuE0ELNS1_3repE0EEENS1_30default_config_static_selectorELNS0_4arch9wavefront6targetE1EEEvSW_.kd
    .uniform_work_group_size: 1
    .uses_dynamic_stack: false
    .vgpr_count:     0
    .vgpr_spill_count: 0
    .wavefront_size: 64
  - .args:
      - .offset:         0
        .size:           56
        .value_kind:     by_value
    .group_segment_fixed_size: 0
    .kernarg_segment_align: 8
    .kernarg_segment_size: 56
    .language:       OpenCL C
    .language_version:
      - 2
      - 0
    .max_flat_workgroup_size: 256
    .name:           _ZN7rocprim17ROCPRIM_400000_NS6detail17trampoline_kernelINS0_14default_configENS1_27upper_bound_config_selectorIjlEEZNS1_14transform_implILb0ES3_S5_N6thrust23THRUST_200600_302600_NS6detail15normal_iteratorINS8_7pointerIjNS8_11hip_rocprim5par_tENS8_11use_defaultESE_EEEENSA_INSB_IlSD_SE_SE_EEEEZNS1_13binary_searchIS3_S5_PjSG_SI_NS1_21upper_bound_search_opENS9_16wrapped_functionINS8_6system6detail7generic6detail18binary_search_lessEbEEEE10hipError_tPvRmT1_T2_T3_mmT4_T5_P12ihipStream_tbEUlRKjE_EEST_SX_SY_mSZ_S12_bEUlT_E_NS1_11comp_targetILNS1_3genE5ELNS1_11target_archE942ELNS1_3gpuE9ELNS1_3repE0EEENS1_30default_config_static_selectorELNS0_4arch9wavefront6targetE1EEEvSW_
    .private_segment_fixed_size: 0
    .sgpr_count:     4
    .sgpr_spill_count: 0
    .symbol:         _ZN7rocprim17ROCPRIM_400000_NS6detail17trampoline_kernelINS0_14default_configENS1_27upper_bound_config_selectorIjlEEZNS1_14transform_implILb0ES3_S5_N6thrust23THRUST_200600_302600_NS6detail15normal_iteratorINS8_7pointerIjNS8_11hip_rocprim5par_tENS8_11use_defaultESE_EEEENSA_INSB_IlSD_SE_SE_EEEEZNS1_13binary_searchIS3_S5_PjSG_SI_NS1_21upper_bound_search_opENS9_16wrapped_functionINS8_6system6detail7generic6detail18binary_search_lessEbEEEE10hipError_tPvRmT1_T2_T3_mmT4_T5_P12ihipStream_tbEUlRKjE_EEST_SX_SY_mSZ_S12_bEUlT_E_NS1_11comp_targetILNS1_3genE5ELNS1_11target_archE942ELNS1_3gpuE9ELNS1_3repE0EEENS1_30default_config_static_selectorELNS0_4arch9wavefront6targetE1EEEvSW_.kd
    .uniform_work_group_size: 1
    .uses_dynamic_stack: false
    .vgpr_count:     0
    .vgpr_spill_count: 0
    .wavefront_size: 64
  - .args:
      - .offset:         0
        .size:           56
        .value_kind:     by_value
    .group_segment_fixed_size: 0
    .kernarg_segment_align: 8
    .kernarg_segment_size: 56
    .language:       OpenCL C
    .language_version:
      - 2
      - 0
    .max_flat_workgroup_size: 256
    .name:           _ZN7rocprim17ROCPRIM_400000_NS6detail17trampoline_kernelINS0_14default_configENS1_27upper_bound_config_selectorIjlEEZNS1_14transform_implILb0ES3_S5_N6thrust23THRUST_200600_302600_NS6detail15normal_iteratorINS8_7pointerIjNS8_11hip_rocprim5par_tENS8_11use_defaultESE_EEEENSA_INSB_IlSD_SE_SE_EEEEZNS1_13binary_searchIS3_S5_PjSG_SI_NS1_21upper_bound_search_opENS9_16wrapped_functionINS8_6system6detail7generic6detail18binary_search_lessEbEEEE10hipError_tPvRmT1_T2_T3_mmT4_T5_P12ihipStream_tbEUlRKjE_EEST_SX_SY_mSZ_S12_bEUlT_E_NS1_11comp_targetILNS1_3genE4ELNS1_11target_archE910ELNS1_3gpuE8ELNS1_3repE0EEENS1_30default_config_static_selectorELNS0_4arch9wavefront6targetE1EEEvSW_
    .private_segment_fixed_size: 0
    .sgpr_count:     4
    .sgpr_spill_count: 0
    .symbol:         _ZN7rocprim17ROCPRIM_400000_NS6detail17trampoline_kernelINS0_14default_configENS1_27upper_bound_config_selectorIjlEEZNS1_14transform_implILb0ES3_S5_N6thrust23THRUST_200600_302600_NS6detail15normal_iteratorINS8_7pointerIjNS8_11hip_rocprim5par_tENS8_11use_defaultESE_EEEENSA_INSB_IlSD_SE_SE_EEEEZNS1_13binary_searchIS3_S5_PjSG_SI_NS1_21upper_bound_search_opENS9_16wrapped_functionINS8_6system6detail7generic6detail18binary_search_lessEbEEEE10hipError_tPvRmT1_T2_T3_mmT4_T5_P12ihipStream_tbEUlRKjE_EEST_SX_SY_mSZ_S12_bEUlT_E_NS1_11comp_targetILNS1_3genE4ELNS1_11target_archE910ELNS1_3gpuE8ELNS1_3repE0EEENS1_30default_config_static_selectorELNS0_4arch9wavefront6targetE1EEEvSW_.kd
    .uniform_work_group_size: 1
    .uses_dynamic_stack: false
    .vgpr_count:     0
    .vgpr_spill_count: 0
    .wavefront_size: 64
  - .args:
      - .offset:         0
        .size:           56
        .value_kind:     by_value
    .group_segment_fixed_size: 0
    .kernarg_segment_align: 8
    .kernarg_segment_size: 56
    .language:       OpenCL C
    .language_version:
      - 2
      - 0
    .max_flat_workgroup_size: 256
    .name:           _ZN7rocprim17ROCPRIM_400000_NS6detail17trampoline_kernelINS0_14default_configENS1_27upper_bound_config_selectorIjlEEZNS1_14transform_implILb0ES3_S5_N6thrust23THRUST_200600_302600_NS6detail15normal_iteratorINS8_7pointerIjNS8_11hip_rocprim5par_tENS8_11use_defaultESE_EEEENSA_INSB_IlSD_SE_SE_EEEEZNS1_13binary_searchIS3_S5_PjSG_SI_NS1_21upper_bound_search_opENS9_16wrapped_functionINS8_6system6detail7generic6detail18binary_search_lessEbEEEE10hipError_tPvRmT1_T2_T3_mmT4_T5_P12ihipStream_tbEUlRKjE_EEST_SX_SY_mSZ_S12_bEUlT_E_NS1_11comp_targetILNS1_3genE3ELNS1_11target_archE908ELNS1_3gpuE7ELNS1_3repE0EEENS1_30default_config_static_selectorELNS0_4arch9wavefront6targetE1EEEvSW_
    .private_segment_fixed_size: 0
    .sgpr_count:     4
    .sgpr_spill_count: 0
    .symbol:         _ZN7rocprim17ROCPRIM_400000_NS6detail17trampoline_kernelINS0_14default_configENS1_27upper_bound_config_selectorIjlEEZNS1_14transform_implILb0ES3_S5_N6thrust23THRUST_200600_302600_NS6detail15normal_iteratorINS8_7pointerIjNS8_11hip_rocprim5par_tENS8_11use_defaultESE_EEEENSA_INSB_IlSD_SE_SE_EEEEZNS1_13binary_searchIS3_S5_PjSG_SI_NS1_21upper_bound_search_opENS9_16wrapped_functionINS8_6system6detail7generic6detail18binary_search_lessEbEEEE10hipError_tPvRmT1_T2_T3_mmT4_T5_P12ihipStream_tbEUlRKjE_EEST_SX_SY_mSZ_S12_bEUlT_E_NS1_11comp_targetILNS1_3genE3ELNS1_11target_archE908ELNS1_3gpuE7ELNS1_3repE0EEENS1_30default_config_static_selectorELNS0_4arch9wavefront6targetE1EEEvSW_.kd
    .uniform_work_group_size: 1
    .uses_dynamic_stack: false
    .vgpr_count:     0
    .vgpr_spill_count: 0
    .wavefront_size: 64
  - .args:
      - .offset:         0
        .size:           56
        .value_kind:     by_value
      - .offset:         56
        .size:           4
        .value_kind:     hidden_block_count_x
      - .offset:         60
        .size:           4
        .value_kind:     hidden_block_count_y
      - .offset:         64
        .size:           4
        .value_kind:     hidden_block_count_z
      - .offset:         68
        .size:           2
        .value_kind:     hidden_group_size_x
      - .offset:         70
        .size:           2
        .value_kind:     hidden_group_size_y
      - .offset:         72
        .size:           2
        .value_kind:     hidden_group_size_z
      - .offset:         74
        .size:           2
        .value_kind:     hidden_remainder_x
      - .offset:         76
        .size:           2
        .value_kind:     hidden_remainder_y
      - .offset:         78
        .size:           2
        .value_kind:     hidden_remainder_z
      - .offset:         96
        .size:           8
        .value_kind:     hidden_global_offset_x
      - .offset:         104
        .size:           8
        .value_kind:     hidden_global_offset_y
      - .offset:         112
        .size:           8
        .value_kind:     hidden_global_offset_z
      - .offset:         120
        .size:           2
        .value_kind:     hidden_grid_dims
    .group_segment_fixed_size: 0
    .kernarg_segment_align: 8
    .kernarg_segment_size: 312
    .language:       OpenCL C
    .language_version:
      - 2
      - 0
    .max_flat_workgroup_size: 256
    .name:           _ZN7rocprim17ROCPRIM_400000_NS6detail17trampoline_kernelINS0_14default_configENS1_27upper_bound_config_selectorIjlEEZNS1_14transform_implILb0ES3_S5_N6thrust23THRUST_200600_302600_NS6detail15normal_iteratorINS8_7pointerIjNS8_11hip_rocprim5par_tENS8_11use_defaultESE_EEEENSA_INSB_IlSD_SE_SE_EEEEZNS1_13binary_searchIS3_S5_PjSG_SI_NS1_21upper_bound_search_opENS9_16wrapped_functionINS8_6system6detail7generic6detail18binary_search_lessEbEEEE10hipError_tPvRmT1_T2_T3_mmT4_T5_P12ihipStream_tbEUlRKjE_EEST_SX_SY_mSZ_S12_bEUlT_E_NS1_11comp_targetILNS1_3genE2ELNS1_11target_archE906ELNS1_3gpuE6ELNS1_3repE0EEENS1_30default_config_static_selectorELNS0_4arch9wavefront6targetE1EEEvSW_
    .private_segment_fixed_size: 0
    .sgpr_count:     24
    .sgpr_spill_count: 0
    .symbol:         _ZN7rocprim17ROCPRIM_400000_NS6detail17trampoline_kernelINS0_14default_configENS1_27upper_bound_config_selectorIjlEEZNS1_14transform_implILb0ES3_S5_N6thrust23THRUST_200600_302600_NS6detail15normal_iteratorINS8_7pointerIjNS8_11hip_rocprim5par_tENS8_11use_defaultESE_EEEENSA_INSB_IlSD_SE_SE_EEEEZNS1_13binary_searchIS3_S5_PjSG_SI_NS1_21upper_bound_search_opENS9_16wrapped_functionINS8_6system6detail7generic6detail18binary_search_lessEbEEEE10hipError_tPvRmT1_T2_T3_mmT4_T5_P12ihipStream_tbEUlRKjE_EEST_SX_SY_mSZ_S12_bEUlT_E_NS1_11comp_targetILNS1_3genE2ELNS1_11target_archE906ELNS1_3gpuE6ELNS1_3repE0EEENS1_30default_config_static_selectorELNS0_4arch9wavefront6targetE1EEEvSW_.kd
    .uniform_work_group_size: 1
    .uses_dynamic_stack: false
    .vgpr_count:     12
    .vgpr_spill_count: 0
    .wavefront_size: 64
  - .args:
      - .offset:         0
        .size:           56
        .value_kind:     by_value
    .group_segment_fixed_size: 0
    .kernarg_segment_align: 8
    .kernarg_segment_size: 56
    .language:       OpenCL C
    .language_version:
      - 2
      - 0
    .max_flat_workgroup_size: 128
    .name:           _ZN7rocprim17ROCPRIM_400000_NS6detail17trampoline_kernelINS0_14default_configENS1_27upper_bound_config_selectorIjlEEZNS1_14transform_implILb0ES3_S5_N6thrust23THRUST_200600_302600_NS6detail15normal_iteratorINS8_7pointerIjNS8_11hip_rocprim5par_tENS8_11use_defaultESE_EEEENSA_INSB_IlSD_SE_SE_EEEEZNS1_13binary_searchIS3_S5_PjSG_SI_NS1_21upper_bound_search_opENS9_16wrapped_functionINS8_6system6detail7generic6detail18binary_search_lessEbEEEE10hipError_tPvRmT1_T2_T3_mmT4_T5_P12ihipStream_tbEUlRKjE_EEST_SX_SY_mSZ_S12_bEUlT_E_NS1_11comp_targetILNS1_3genE10ELNS1_11target_archE1201ELNS1_3gpuE5ELNS1_3repE0EEENS1_30default_config_static_selectorELNS0_4arch9wavefront6targetE1EEEvSW_
    .private_segment_fixed_size: 0
    .sgpr_count:     4
    .sgpr_spill_count: 0
    .symbol:         _ZN7rocprim17ROCPRIM_400000_NS6detail17trampoline_kernelINS0_14default_configENS1_27upper_bound_config_selectorIjlEEZNS1_14transform_implILb0ES3_S5_N6thrust23THRUST_200600_302600_NS6detail15normal_iteratorINS8_7pointerIjNS8_11hip_rocprim5par_tENS8_11use_defaultESE_EEEENSA_INSB_IlSD_SE_SE_EEEEZNS1_13binary_searchIS3_S5_PjSG_SI_NS1_21upper_bound_search_opENS9_16wrapped_functionINS8_6system6detail7generic6detail18binary_search_lessEbEEEE10hipError_tPvRmT1_T2_T3_mmT4_T5_P12ihipStream_tbEUlRKjE_EEST_SX_SY_mSZ_S12_bEUlT_E_NS1_11comp_targetILNS1_3genE10ELNS1_11target_archE1201ELNS1_3gpuE5ELNS1_3repE0EEENS1_30default_config_static_selectorELNS0_4arch9wavefront6targetE1EEEvSW_.kd
    .uniform_work_group_size: 1
    .uses_dynamic_stack: false
    .vgpr_count:     0
    .vgpr_spill_count: 0
    .wavefront_size: 64
  - .args:
      - .offset:         0
        .size:           56
        .value_kind:     by_value
    .group_segment_fixed_size: 0
    .kernarg_segment_align: 8
    .kernarg_segment_size: 56
    .language:       OpenCL C
    .language_version:
      - 2
      - 0
    .max_flat_workgroup_size: 128
    .name:           _ZN7rocprim17ROCPRIM_400000_NS6detail17trampoline_kernelINS0_14default_configENS1_27upper_bound_config_selectorIjlEEZNS1_14transform_implILb0ES3_S5_N6thrust23THRUST_200600_302600_NS6detail15normal_iteratorINS8_7pointerIjNS8_11hip_rocprim5par_tENS8_11use_defaultESE_EEEENSA_INSB_IlSD_SE_SE_EEEEZNS1_13binary_searchIS3_S5_PjSG_SI_NS1_21upper_bound_search_opENS9_16wrapped_functionINS8_6system6detail7generic6detail18binary_search_lessEbEEEE10hipError_tPvRmT1_T2_T3_mmT4_T5_P12ihipStream_tbEUlRKjE_EEST_SX_SY_mSZ_S12_bEUlT_E_NS1_11comp_targetILNS1_3genE10ELNS1_11target_archE1200ELNS1_3gpuE4ELNS1_3repE0EEENS1_30default_config_static_selectorELNS0_4arch9wavefront6targetE1EEEvSW_
    .private_segment_fixed_size: 0
    .sgpr_count:     4
    .sgpr_spill_count: 0
    .symbol:         _ZN7rocprim17ROCPRIM_400000_NS6detail17trampoline_kernelINS0_14default_configENS1_27upper_bound_config_selectorIjlEEZNS1_14transform_implILb0ES3_S5_N6thrust23THRUST_200600_302600_NS6detail15normal_iteratorINS8_7pointerIjNS8_11hip_rocprim5par_tENS8_11use_defaultESE_EEEENSA_INSB_IlSD_SE_SE_EEEEZNS1_13binary_searchIS3_S5_PjSG_SI_NS1_21upper_bound_search_opENS9_16wrapped_functionINS8_6system6detail7generic6detail18binary_search_lessEbEEEE10hipError_tPvRmT1_T2_T3_mmT4_T5_P12ihipStream_tbEUlRKjE_EEST_SX_SY_mSZ_S12_bEUlT_E_NS1_11comp_targetILNS1_3genE10ELNS1_11target_archE1200ELNS1_3gpuE4ELNS1_3repE0EEENS1_30default_config_static_selectorELNS0_4arch9wavefront6targetE1EEEvSW_.kd
    .uniform_work_group_size: 1
    .uses_dynamic_stack: false
    .vgpr_count:     0
    .vgpr_spill_count: 0
    .wavefront_size: 64
  - .args:
      - .offset:         0
        .size:           56
        .value_kind:     by_value
    .group_segment_fixed_size: 0
    .kernarg_segment_align: 8
    .kernarg_segment_size: 56
    .language:       OpenCL C
    .language_version:
      - 2
      - 0
    .max_flat_workgroup_size: 256
    .name:           _ZN7rocprim17ROCPRIM_400000_NS6detail17trampoline_kernelINS0_14default_configENS1_27upper_bound_config_selectorIjlEEZNS1_14transform_implILb0ES3_S5_N6thrust23THRUST_200600_302600_NS6detail15normal_iteratorINS8_7pointerIjNS8_11hip_rocprim5par_tENS8_11use_defaultESE_EEEENSA_INSB_IlSD_SE_SE_EEEEZNS1_13binary_searchIS3_S5_PjSG_SI_NS1_21upper_bound_search_opENS9_16wrapped_functionINS8_6system6detail7generic6detail18binary_search_lessEbEEEE10hipError_tPvRmT1_T2_T3_mmT4_T5_P12ihipStream_tbEUlRKjE_EEST_SX_SY_mSZ_S12_bEUlT_E_NS1_11comp_targetILNS1_3genE9ELNS1_11target_archE1100ELNS1_3gpuE3ELNS1_3repE0EEENS1_30default_config_static_selectorELNS0_4arch9wavefront6targetE1EEEvSW_
    .private_segment_fixed_size: 0
    .sgpr_count:     4
    .sgpr_spill_count: 0
    .symbol:         _ZN7rocprim17ROCPRIM_400000_NS6detail17trampoline_kernelINS0_14default_configENS1_27upper_bound_config_selectorIjlEEZNS1_14transform_implILb0ES3_S5_N6thrust23THRUST_200600_302600_NS6detail15normal_iteratorINS8_7pointerIjNS8_11hip_rocprim5par_tENS8_11use_defaultESE_EEEENSA_INSB_IlSD_SE_SE_EEEEZNS1_13binary_searchIS3_S5_PjSG_SI_NS1_21upper_bound_search_opENS9_16wrapped_functionINS8_6system6detail7generic6detail18binary_search_lessEbEEEE10hipError_tPvRmT1_T2_T3_mmT4_T5_P12ihipStream_tbEUlRKjE_EEST_SX_SY_mSZ_S12_bEUlT_E_NS1_11comp_targetILNS1_3genE9ELNS1_11target_archE1100ELNS1_3gpuE3ELNS1_3repE0EEENS1_30default_config_static_selectorELNS0_4arch9wavefront6targetE1EEEvSW_.kd
    .uniform_work_group_size: 1
    .uses_dynamic_stack: false
    .vgpr_count:     0
    .vgpr_spill_count: 0
    .wavefront_size: 64
  - .args:
      - .offset:         0
        .size:           56
        .value_kind:     by_value
    .group_segment_fixed_size: 0
    .kernarg_segment_align: 8
    .kernarg_segment_size: 56
    .language:       OpenCL C
    .language_version:
      - 2
      - 0
    .max_flat_workgroup_size: 256
    .name:           _ZN7rocprim17ROCPRIM_400000_NS6detail17trampoline_kernelINS0_14default_configENS1_27upper_bound_config_selectorIjlEEZNS1_14transform_implILb0ES3_S5_N6thrust23THRUST_200600_302600_NS6detail15normal_iteratorINS8_7pointerIjNS8_11hip_rocprim5par_tENS8_11use_defaultESE_EEEENSA_INSB_IlSD_SE_SE_EEEEZNS1_13binary_searchIS3_S5_PjSG_SI_NS1_21upper_bound_search_opENS9_16wrapped_functionINS8_6system6detail7generic6detail18binary_search_lessEbEEEE10hipError_tPvRmT1_T2_T3_mmT4_T5_P12ihipStream_tbEUlRKjE_EEST_SX_SY_mSZ_S12_bEUlT_E_NS1_11comp_targetILNS1_3genE8ELNS1_11target_archE1030ELNS1_3gpuE2ELNS1_3repE0EEENS1_30default_config_static_selectorELNS0_4arch9wavefront6targetE1EEEvSW_
    .private_segment_fixed_size: 0
    .sgpr_count:     4
    .sgpr_spill_count: 0
    .symbol:         _ZN7rocprim17ROCPRIM_400000_NS6detail17trampoline_kernelINS0_14default_configENS1_27upper_bound_config_selectorIjlEEZNS1_14transform_implILb0ES3_S5_N6thrust23THRUST_200600_302600_NS6detail15normal_iteratorINS8_7pointerIjNS8_11hip_rocprim5par_tENS8_11use_defaultESE_EEEENSA_INSB_IlSD_SE_SE_EEEEZNS1_13binary_searchIS3_S5_PjSG_SI_NS1_21upper_bound_search_opENS9_16wrapped_functionINS8_6system6detail7generic6detail18binary_search_lessEbEEEE10hipError_tPvRmT1_T2_T3_mmT4_T5_P12ihipStream_tbEUlRKjE_EEST_SX_SY_mSZ_S12_bEUlT_E_NS1_11comp_targetILNS1_3genE8ELNS1_11target_archE1030ELNS1_3gpuE2ELNS1_3repE0EEENS1_30default_config_static_selectorELNS0_4arch9wavefront6targetE1EEEvSW_.kd
    .uniform_work_group_size: 1
    .uses_dynamic_stack: false
    .vgpr_count:     0
    .vgpr_spill_count: 0
    .wavefront_size: 64
  - .args:
      - .offset:         0
        .size:           8
        .value_kind:     by_value
      - .address_space:  global
        .offset:         8
        .size:           8
        .value_kind:     global_buffer
      - .address_space:  global
        .offset:         16
        .size:           8
        .value_kind:     global_buffer
    .group_segment_fixed_size: 0
    .kernarg_segment_align: 8
    .kernarg_segment_size: 24
    .language:       OpenCL C
    .language_version:
      - 2
      - 0
    .max_flat_workgroup_size: 256
    .name:           _Z18upper_bound_kernelItEvmPT_Pl
    .private_segment_fixed_size: 0
    .sgpr_count:     21
    .sgpr_spill_count: 0
    .symbol:         _Z18upper_bound_kernelItEvmPT_Pl.kd
    .uniform_work_group_size: 1
    .uses_dynamic_stack: false
    .vgpr_count:     3
    .vgpr_spill_count: 0
    .wavefront_size: 64
  - .args:
      - .offset:         0
        .size:           56
        .value_kind:     by_value
    .group_segment_fixed_size: 0
    .kernarg_segment_align: 8
    .kernarg_segment_size: 56
    .language:       OpenCL C
    .language_version:
      - 2
      - 0
    .max_flat_workgroup_size: 128
    .name:           _ZN7rocprim17ROCPRIM_400000_NS6detail17trampoline_kernelINS0_14default_configENS1_27upper_bound_config_selectorItlEEZNS1_14transform_implILb0ES3_S5_N6thrust23THRUST_200600_302600_NS6detail15normal_iteratorINS8_7pointerItNS8_11hip_rocprim5par_tENS8_11use_defaultESE_EEEENSA_INSB_IlSD_SE_SE_EEEEZNS1_13binary_searchIS3_S5_PtSG_SI_NS1_21upper_bound_search_opENS9_16wrapped_functionINS8_6system6detail7generic6detail18binary_search_lessEbEEEE10hipError_tPvRmT1_T2_T3_mmT4_T5_P12ihipStream_tbEUlRKtE_EEST_SX_SY_mSZ_S12_bEUlT_E_NS1_11comp_targetILNS1_3genE0ELNS1_11target_archE4294967295ELNS1_3gpuE0ELNS1_3repE0EEENS1_30default_config_static_selectorELNS0_4arch9wavefront6targetE1EEEvSW_
    .private_segment_fixed_size: 0
    .sgpr_count:     4
    .sgpr_spill_count: 0
    .symbol:         _ZN7rocprim17ROCPRIM_400000_NS6detail17trampoline_kernelINS0_14default_configENS1_27upper_bound_config_selectorItlEEZNS1_14transform_implILb0ES3_S5_N6thrust23THRUST_200600_302600_NS6detail15normal_iteratorINS8_7pointerItNS8_11hip_rocprim5par_tENS8_11use_defaultESE_EEEENSA_INSB_IlSD_SE_SE_EEEEZNS1_13binary_searchIS3_S5_PtSG_SI_NS1_21upper_bound_search_opENS9_16wrapped_functionINS8_6system6detail7generic6detail18binary_search_lessEbEEEE10hipError_tPvRmT1_T2_T3_mmT4_T5_P12ihipStream_tbEUlRKtE_EEST_SX_SY_mSZ_S12_bEUlT_E_NS1_11comp_targetILNS1_3genE0ELNS1_11target_archE4294967295ELNS1_3gpuE0ELNS1_3repE0EEENS1_30default_config_static_selectorELNS0_4arch9wavefront6targetE1EEEvSW_.kd
    .uniform_work_group_size: 1
    .uses_dynamic_stack: false
    .vgpr_count:     0
    .vgpr_spill_count: 0
    .wavefront_size: 64
  - .args:
      - .offset:         0
        .size:           56
        .value_kind:     by_value
    .group_segment_fixed_size: 0
    .kernarg_segment_align: 8
    .kernarg_segment_size: 56
    .language:       OpenCL C
    .language_version:
      - 2
      - 0
    .max_flat_workgroup_size: 256
    .name:           _ZN7rocprim17ROCPRIM_400000_NS6detail17trampoline_kernelINS0_14default_configENS1_27upper_bound_config_selectorItlEEZNS1_14transform_implILb0ES3_S5_N6thrust23THRUST_200600_302600_NS6detail15normal_iteratorINS8_7pointerItNS8_11hip_rocprim5par_tENS8_11use_defaultESE_EEEENSA_INSB_IlSD_SE_SE_EEEEZNS1_13binary_searchIS3_S5_PtSG_SI_NS1_21upper_bound_search_opENS9_16wrapped_functionINS8_6system6detail7generic6detail18binary_search_lessEbEEEE10hipError_tPvRmT1_T2_T3_mmT4_T5_P12ihipStream_tbEUlRKtE_EEST_SX_SY_mSZ_S12_bEUlT_E_NS1_11comp_targetILNS1_3genE5ELNS1_11target_archE942ELNS1_3gpuE9ELNS1_3repE0EEENS1_30default_config_static_selectorELNS0_4arch9wavefront6targetE1EEEvSW_
    .private_segment_fixed_size: 0
    .sgpr_count:     4
    .sgpr_spill_count: 0
    .symbol:         _ZN7rocprim17ROCPRIM_400000_NS6detail17trampoline_kernelINS0_14default_configENS1_27upper_bound_config_selectorItlEEZNS1_14transform_implILb0ES3_S5_N6thrust23THRUST_200600_302600_NS6detail15normal_iteratorINS8_7pointerItNS8_11hip_rocprim5par_tENS8_11use_defaultESE_EEEENSA_INSB_IlSD_SE_SE_EEEEZNS1_13binary_searchIS3_S5_PtSG_SI_NS1_21upper_bound_search_opENS9_16wrapped_functionINS8_6system6detail7generic6detail18binary_search_lessEbEEEE10hipError_tPvRmT1_T2_T3_mmT4_T5_P12ihipStream_tbEUlRKtE_EEST_SX_SY_mSZ_S12_bEUlT_E_NS1_11comp_targetILNS1_3genE5ELNS1_11target_archE942ELNS1_3gpuE9ELNS1_3repE0EEENS1_30default_config_static_selectorELNS0_4arch9wavefront6targetE1EEEvSW_.kd
    .uniform_work_group_size: 1
    .uses_dynamic_stack: false
    .vgpr_count:     0
    .vgpr_spill_count: 0
    .wavefront_size: 64
  - .args:
      - .offset:         0
        .size:           56
        .value_kind:     by_value
    .group_segment_fixed_size: 0
    .kernarg_segment_align: 8
    .kernarg_segment_size: 56
    .language:       OpenCL C
    .language_version:
      - 2
      - 0
    .max_flat_workgroup_size: 256
    .name:           _ZN7rocprim17ROCPRIM_400000_NS6detail17trampoline_kernelINS0_14default_configENS1_27upper_bound_config_selectorItlEEZNS1_14transform_implILb0ES3_S5_N6thrust23THRUST_200600_302600_NS6detail15normal_iteratorINS8_7pointerItNS8_11hip_rocprim5par_tENS8_11use_defaultESE_EEEENSA_INSB_IlSD_SE_SE_EEEEZNS1_13binary_searchIS3_S5_PtSG_SI_NS1_21upper_bound_search_opENS9_16wrapped_functionINS8_6system6detail7generic6detail18binary_search_lessEbEEEE10hipError_tPvRmT1_T2_T3_mmT4_T5_P12ihipStream_tbEUlRKtE_EEST_SX_SY_mSZ_S12_bEUlT_E_NS1_11comp_targetILNS1_3genE4ELNS1_11target_archE910ELNS1_3gpuE8ELNS1_3repE0EEENS1_30default_config_static_selectorELNS0_4arch9wavefront6targetE1EEEvSW_
    .private_segment_fixed_size: 0
    .sgpr_count:     4
    .sgpr_spill_count: 0
    .symbol:         _ZN7rocprim17ROCPRIM_400000_NS6detail17trampoline_kernelINS0_14default_configENS1_27upper_bound_config_selectorItlEEZNS1_14transform_implILb0ES3_S5_N6thrust23THRUST_200600_302600_NS6detail15normal_iteratorINS8_7pointerItNS8_11hip_rocprim5par_tENS8_11use_defaultESE_EEEENSA_INSB_IlSD_SE_SE_EEEEZNS1_13binary_searchIS3_S5_PtSG_SI_NS1_21upper_bound_search_opENS9_16wrapped_functionINS8_6system6detail7generic6detail18binary_search_lessEbEEEE10hipError_tPvRmT1_T2_T3_mmT4_T5_P12ihipStream_tbEUlRKtE_EEST_SX_SY_mSZ_S12_bEUlT_E_NS1_11comp_targetILNS1_3genE4ELNS1_11target_archE910ELNS1_3gpuE8ELNS1_3repE0EEENS1_30default_config_static_selectorELNS0_4arch9wavefront6targetE1EEEvSW_.kd
    .uniform_work_group_size: 1
    .uses_dynamic_stack: false
    .vgpr_count:     0
    .vgpr_spill_count: 0
    .wavefront_size: 64
  - .args:
      - .offset:         0
        .size:           56
        .value_kind:     by_value
    .group_segment_fixed_size: 0
    .kernarg_segment_align: 8
    .kernarg_segment_size: 56
    .language:       OpenCL C
    .language_version:
      - 2
      - 0
    .max_flat_workgroup_size: 128
    .name:           _ZN7rocprim17ROCPRIM_400000_NS6detail17trampoline_kernelINS0_14default_configENS1_27upper_bound_config_selectorItlEEZNS1_14transform_implILb0ES3_S5_N6thrust23THRUST_200600_302600_NS6detail15normal_iteratorINS8_7pointerItNS8_11hip_rocprim5par_tENS8_11use_defaultESE_EEEENSA_INSB_IlSD_SE_SE_EEEEZNS1_13binary_searchIS3_S5_PtSG_SI_NS1_21upper_bound_search_opENS9_16wrapped_functionINS8_6system6detail7generic6detail18binary_search_lessEbEEEE10hipError_tPvRmT1_T2_T3_mmT4_T5_P12ihipStream_tbEUlRKtE_EEST_SX_SY_mSZ_S12_bEUlT_E_NS1_11comp_targetILNS1_3genE3ELNS1_11target_archE908ELNS1_3gpuE7ELNS1_3repE0EEENS1_30default_config_static_selectorELNS0_4arch9wavefront6targetE1EEEvSW_
    .private_segment_fixed_size: 0
    .sgpr_count:     4
    .sgpr_spill_count: 0
    .symbol:         _ZN7rocprim17ROCPRIM_400000_NS6detail17trampoline_kernelINS0_14default_configENS1_27upper_bound_config_selectorItlEEZNS1_14transform_implILb0ES3_S5_N6thrust23THRUST_200600_302600_NS6detail15normal_iteratorINS8_7pointerItNS8_11hip_rocprim5par_tENS8_11use_defaultESE_EEEENSA_INSB_IlSD_SE_SE_EEEEZNS1_13binary_searchIS3_S5_PtSG_SI_NS1_21upper_bound_search_opENS9_16wrapped_functionINS8_6system6detail7generic6detail18binary_search_lessEbEEEE10hipError_tPvRmT1_T2_T3_mmT4_T5_P12ihipStream_tbEUlRKtE_EEST_SX_SY_mSZ_S12_bEUlT_E_NS1_11comp_targetILNS1_3genE3ELNS1_11target_archE908ELNS1_3gpuE7ELNS1_3repE0EEENS1_30default_config_static_selectorELNS0_4arch9wavefront6targetE1EEEvSW_.kd
    .uniform_work_group_size: 1
    .uses_dynamic_stack: false
    .vgpr_count:     0
    .vgpr_spill_count: 0
    .wavefront_size: 64
  - .args:
      - .offset:         0
        .size:           56
        .value_kind:     by_value
      - .offset:         56
        .size:           4
        .value_kind:     hidden_block_count_x
      - .offset:         60
        .size:           4
        .value_kind:     hidden_block_count_y
      - .offset:         64
        .size:           4
        .value_kind:     hidden_block_count_z
      - .offset:         68
        .size:           2
        .value_kind:     hidden_group_size_x
      - .offset:         70
        .size:           2
        .value_kind:     hidden_group_size_y
      - .offset:         72
        .size:           2
        .value_kind:     hidden_group_size_z
      - .offset:         74
        .size:           2
        .value_kind:     hidden_remainder_x
      - .offset:         76
        .size:           2
        .value_kind:     hidden_remainder_y
      - .offset:         78
        .size:           2
        .value_kind:     hidden_remainder_z
      - .offset:         96
        .size:           8
        .value_kind:     hidden_global_offset_x
      - .offset:         104
        .size:           8
        .value_kind:     hidden_global_offset_y
      - .offset:         112
        .size:           8
        .value_kind:     hidden_global_offset_z
      - .offset:         120
        .size:           2
        .value_kind:     hidden_grid_dims
    .group_segment_fixed_size: 0
    .kernarg_segment_align: 8
    .kernarg_segment_size: 312
    .language:       OpenCL C
    .language_version:
      - 2
      - 0
    .max_flat_workgroup_size: 256
    .name:           _ZN7rocprim17ROCPRIM_400000_NS6detail17trampoline_kernelINS0_14default_configENS1_27upper_bound_config_selectorItlEEZNS1_14transform_implILb0ES3_S5_N6thrust23THRUST_200600_302600_NS6detail15normal_iteratorINS8_7pointerItNS8_11hip_rocprim5par_tENS8_11use_defaultESE_EEEENSA_INSB_IlSD_SE_SE_EEEEZNS1_13binary_searchIS3_S5_PtSG_SI_NS1_21upper_bound_search_opENS9_16wrapped_functionINS8_6system6detail7generic6detail18binary_search_lessEbEEEE10hipError_tPvRmT1_T2_T3_mmT4_T5_P12ihipStream_tbEUlRKtE_EEST_SX_SY_mSZ_S12_bEUlT_E_NS1_11comp_targetILNS1_3genE2ELNS1_11target_archE906ELNS1_3gpuE6ELNS1_3repE0EEENS1_30default_config_static_selectorELNS0_4arch9wavefront6targetE1EEEvSW_
    .private_segment_fixed_size: 0
    .sgpr_count:     26
    .sgpr_spill_count: 0
    .symbol:         _ZN7rocprim17ROCPRIM_400000_NS6detail17trampoline_kernelINS0_14default_configENS1_27upper_bound_config_selectorItlEEZNS1_14transform_implILb0ES3_S5_N6thrust23THRUST_200600_302600_NS6detail15normal_iteratorINS8_7pointerItNS8_11hip_rocprim5par_tENS8_11use_defaultESE_EEEENSA_INSB_IlSD_SE_SE_EEEEZNS1_13binary_searchIS3_S5_PtSG_SI_NS1_21upper_bound_search_opENS9_16wrapped_functionINS8_6system6detail7generic6detail18binary_search_lessEbEEEE10hipError_tPvRmT1_T2_T3_mmT4_T5_P12ihipStream_tbEUlRKtE_EEST_SX_SY_mSZ_S12_bEUlT_E_NS1_11comp_targetILNS1_3genE2ELNS1_11target_archE906ELNS1_3gpuE6ELNS1_3repE0EEENS1_30default_config_static_selectorELNS0_4arch9wavefront6targetE1EEEvSW_.kd
    .uniform_work_group_size: 1
    .uses_dynamic_stack: false
    .vgpr_count:     18
    .vgpr_spill_count: 0
    .wavefront_size: 64
  - .args:
      - .offset:         0
        .size:           56
        .value_kind:     by_value
    .group_segment_fixed_size: 0
    .kernarg_segment_align: 8
    .kernarg_segment_size: 56
    .language:       OpenCL C
    .language_version:
      - 2
      - 0
    .max_flat_workgroup_size: 256
    .name:           _ZN7rocprim17ROCPRIM_400000_NS6detail17trampoline_kernelINS0_14default_configENS1_27upper_bound_config_selectorItlEEZNS1_14transform_implILb0ES3_S5_N6thrust23THRUST_200600_302600_NS6detail15normal_iteratorINS8_7pointerItNS8_11hip_rocprim5par_tENS8_11use_defaultESE_EEEENSA_INSB_IlSD_SE_SE_EEEEZNS1_13binary_searchIS3_S5_PtSG_SI_NS1_21upper_bound_search_opENS9_16wrapped_functionINS8_6system6detail7generic6detail18binary_search_lessEbEEEE10hipError_tPvRmT1_T2_T3_mmT4_T5_P12ihipStream_tbEUlRKtE_EEST_SX_SY_mSZ_S12_bEUlT_E_NS1_11comp_targetILNS1_3genE10ELNS1_11target_archE1201ELNS1_3gpuE5ELNS1_3repE0EEENS1_30default_config_static_selectorELNS0_4arch9wavefront6targetE1EEEvSW_
    .private_segment_fixed_size: 0
    .sgpr_count:     4
    .sgpr_spill_count: 0
    .symbol:         _ZN7rocprim17ROCPRIM_400000_NS6detail17trampoline_kernelINS0_14default_configENS1_27upper_bound_config_selectorItlEEZNS1_14transform_implILb0ES3_S5_N6thrust23THRUST_200600_302600_NS6detail15normal_iteratorINS8_7pointerItNS8_11hip_rocprim5par_tENS8_11use_defaultESE_EEEENSA_INSB_IlSD_SE_SE_EEEEZNS1_13binary_searchIS3_S5_PtSG_SI_NS1_21upper_bound_search_opENS9_16wrapped_functionINS8_6system6detail7generic6detail18binary_search_lessEbEEEE10hipError_tPvRmT1_T2_T3_mmT4_T5_P12ihipStream_tbEUlRKtE_EEST_SX_SY_mSZ_S12_bEUlT_E_NS1_11comp_targetILNS1_3genE10ELNS1_11target_archE1201ELNS1_3gpuE5ELNS1_3repE0EEENS1_30default_config_static_selectorELNS0_4arch9wavefront6targetE1EEEvSW_.kd
    .uniform_work_group_size: 1
    .uses_dynamic_stack: false
    .vgpr_count:     0
    .vgpr_spill_count: 0
    .wavefront_size: 64
  - .args:
      - .offset:         0
        .size:           56
        .value_kind:     by_value
    .group_segment_fixed_size: 0
    .kernarg_segment_align: 8
    .kernarg_segment_size: 56
    .language:       OpenCL C
    .language_version:
      - 2
      - 0
    .max_flat_workgroup_size: 256
    .name:           _ZN7rocprim17ROCPRIM_400000_NS6detail17trampoline_kernelINS0_14default_configENS1_27upper_bound_config_selectorItlEEZNS1_14transform_implILb0ES3_S5_N6thrust23THRUST_200600_302600_NS6detail15normal_iteratorINS8_7pointerItNS8_11hip_rocprim5par_tENS8_11use_defaultESE_EEEENSA_INSB_IlSD_SE_SE_EEEEZNS1_13binary_searchIS3_S5_PtSG_SI_NS1_21upper_bound_search_opENS9_16wrapped_functionINS8_6system6detail7generic6detail18binary_search_lessEbEEEE10hipError_tPvRmT1_T2_T3_mmT4_T5_P12ihipStream_tbEUlRKtE_EEST_SX_SY_mSZ_S12_bEUlT_E_NS1_11comp_targetILNS1_3genE10ELNS1_11target_archE1200ELNS1_3gpuE4ELNS1_3repE0EEENS1_30default_config_static_selectorELNS0_4arch9wavefront6targetE1EEEvSW_
    .private_segment_fixed_size: 0
    .sgpr_count:     4
    .sgpr_spill_count: 0
    .symbol:         _ZN7rocprim17ROCPRIM_400000_NS6detail17trampoline_kernelINS0_14default_configENS1_27upper_bound_config_selectorItlEEZNS1_14transform_implILb0ES3_S5_N6thrust23THRUST_200600_302600_NS6detail15normal_iteratorINS8_7pointerItNS8_11hip_rocprim5par_tENS8_11use_defaultESE_EEEENSA_INSB_IlSD_SE_SE_EEEEZNS1_13binary_searchIS3_S5_PtSG_SI_NS1_21upper_bound_search_opENS9_16wrapped_functionINS8_6system6detail7generic6detail18binary_search_lessEbEEEE10hipError_tPvRmT1_T2_T3_mmT4_T5_P12ihipStream_tbEUlRKtE_EEST_SX_SY_mSZ_S12_bEUlT_E_NS1_11comp_targetILNS1_3genE10ELNS1_11target_archE1200ELNS1_3gpuE4ELNS1_3repE0EEENS1_30default_config_static_selectorELNS0_4arch9wavefront6targetE1EEEvSW_.kd
    .uniform_work_group_size: 1
    .uses_dynamic_stack: false
    .vgpr_count:     0
    .vgpr_spill_count: 0
    .wavefront_size: 64
  - .args:
      - .offset:         0
        .size:           56
        .value_kind:     by_value
    .group_segment_fixed_size: 0
    .kernarg_segment_align: 8
    .kernarg_segment_size: 56
    .language:       OpenCL C
    .language_version:
      - 2
      - 0
    .max_flat_workgroup_size: 64
    .name:           _ZN7rocprim17ROCPRIM_400000_NS6detail17trampoline_kernelINS0_14default_configENS1_27upper_bound_config_selectorItlEEZNS1_14transform_implILb0ES3_S5_N6thrust23THRUST_200600_302600_NS6detail15normal_iteratorINS8_7pointerItNS8_11hip_rocprim5par_tENS8_11use_defaultESE_EEEENSA_INSB_IlSD_SE_SE_EEEEZNS1_13binary_searchIS3_S5_PtSG_SI_NS1_21upper_bound_search_opENS9_16wrapped_functionINS8_6system6detail7generic6detail18binary_search_lessEbEEEE10hipError_tPvRmT1_T2_T3_mmT4_T5_P12ihipStream_tbEUlRKtE_EEST_SX_SY_mSZ_S12_bEUlT_E_NS1_11comp_targetILNS1_3genE9ELNS1_11target_archE1100ELNS1_3gpuE3ELNS1_3repE0EEENS1_30default_config_static_selectorELNS0_4arch9wavefront6targetE1EEEvSW_
    .private_segment_fixed_size: 0
    .sgpr_count:     4
    .sgpr_spill_count: 0
    .symbol:         _ZN7rocprim17ROCPRIM_400000_NS6detail17trampoline_kernelINS0_14default_configENS1_27upper_bound_config_selectorItlEEZNS1_14transform_implILb0ES3_S5_N6thrust23THRUST_200600_302600_NS6detail15normal_iteratorINS8_7pointerItNS8_11hip_rocprim5par_tENS8_11use_defaultESE_EEEENSA_INSB_IlSD_SE_SE_EEEEZNS1_13binary_searchIS3_S5_PtSG_SI_NS1_21upper_bound_search_opENS9_16wrapped_functionINS8_6system6detail7generic6detail18binary_search_lessEbEEEE10hipError_tPvRmT1_T2_T3_mmT4_T5_P12ihipStream_tbEUlRKtE_EEST_SX_SY_mSZ_S12_bEUlT_E_NS1_11comp_targetILNS1_3genE9ELNS1_11target_archE1100ELNS1_3gpuE3ELNS1_3repE0EEENS1_30default_config_static_selectorELNS0_4arch9wavefront6targetE1EEEvSW_.kd
    .uniform_work_group_size: 1
    .uses_dynamic_stack: false
    .vgpr_count:     0
    .vgpr_spill_count: 0
    .wavefront_size: 64
  - .args:
      - .offset:         0
        .size:           56
        .value_kind:     by_value
    .group_segment_fixed_size: 0
    .kernarg_segment_align: 8
    .kernarg_segment_size: 56
    .language:       OpenCL C
    .language_version:
      - 2
      - 0
    .max_flat_workgroup_size: 128
    .name:           _ZN7rocprim17ROCPRIM_400000_NS6detail17trampoline_kernelINS0_14default_configENS1_27upper_bound_config_selectorItlEEZNS1_14transform_implILb0ES3_S5_N6thrust23THRUST_200600_302600_NS6detail15normal_iteratorINS8_7pointerItNS8_11hip_rocprim5par_tENS8_11use_defaultESE_EEEENSA_INSB_IlSD_SE_SE_EEEEZNS1_13binary_searchIS3_S5_PtSG_SI_NS1_21upper_bound_search_opENS9_16wrapped_functionINS8_6system6detail7generic6detail18binary_search_lessEbEEEE10hipError_tPvRmT1_T2_T3_mmT4_T5_P12ihipStream_tbEUlRKtE_EEST_SX_SY_mSZ_S12_bEUlT_E_NS1_11comp_targetILNS1_3genE8ELNS1_11target_archE1030ELNS1_3gpuE2ELNS1_3repE0EEENS1_30default_config_static_selectorELNS0_4arch9wavefront6targetE1EEEvSW_
    .private_segment_fixed_size: 0
    .sgpr_count:     4
    .sgpr_spill_count: 0
    .symbol:         _ZN7rocprim17ROCPRIM_400000_NS6detail17trampoline_kernelINS0_14default_configENS1_27upper_bound_config_selectorItlEEZNS1_14transform_implILb0ES3_S5_N6thrust23THRUST_200600_302600_NS6detail15normal_iteratorINS8_7pointerItNS8_11hip_rocprim5par_tENS8_11use_defaultESE_EEEENSA_INSB_IlSD_SE_SE_EEEEZNS1_13binary_searchIS3_S5_PtSG_SI_NS1_21upper_bound_search_opENS9_16wrapped_functionINS8_6system6detail7generic6detail18binary_search_lessEbEEEE10hipError_tPvRmT1_T2_T3_mmT4_T5_P12ihipStream_tbEUlRKtE_EEST_SX_SY_mSZ_S12_bEUlT_E_NS1_11comp_targetILNS1_3genE8ELNS1_11target_archE1030ELNS1_3gpuE2ELNS1_3repE0EEENS1_30default_config_static_selectorELNS0_4arch9wavefront6targetE1EEEvSW_.kd
    .uniform_work_group_size: 1
    .uses_dynamic_stack: false
    .vgpr_count:     0
    .vgpr_spill_count: 0
    .wavefront_size: 64
  - .args:
      - .offset:         0
        .size:           8
        .value_kind:     by_value
      - .address_space:  global
        .offset:         8
        .size:           8
        .value_kind:     global_buffer
      - .address_space:  global
        .offset:         16
        .size:           8
        .value_kind:     global_buffer
    .group_segment_fixed_size: 0
    .kernarg_segment_align: 8
    .kernarg_segment_size: 24
    .language:       OpenCL C
    .language_version:
      - 2
      - 0
    .max_flat_workgroup_size: 256
    .name:           _Z18upper_bound_kernelIxEvmPT_Pl
    .private_segment_fixed_size: 0
    .sgpr_count:     22
    .sgpr_spill_count: 0
    .symbol:         _Z18upper_bound_kernelIxEvmPT_Pl.kd
    .uniform_work_group_size: 1
    .uses_dynamic_stack: false
    .vgpr_count:     3
    .vgpr_spill_count: 0
    .wavefront_size: 64
  - .args:
      - .offset:         0
        .size:           56
        .value_kind:     by_value
    .group_segment_fixed_size: 0
    .kernarg_segment_align: 8
    .kernarg_segment_size: 56
    .language:       OpenCL C
    .language_version:
      - 2
      - 0
    .max_flat_workgroup_size: 128
    .name:           _ZN7rocprim17ROCPRIM_400000_NS6detail17trampoline_kernelINS0_14default_configENS1_27upper_bound_config_selectorIxlEEZNS1_14transform_implILb0ES3_S5_N6thrust23THRUST_200600_302600_NS6detail15normal_iteratorINS8_7pointerIxNS8_11hip_rocprim5par_tENS8_11use_defaultESE_EEEENSA_INSB_IlSD_SE_SE_EEEEZNS1_13binary_searchIS3_S5_PxSG_SI_NS1_21upper_bound_search_opENS9_16wrapped_functionINS8_6system6detail7generic6detail18binary_search_lessEbEEEE10hipError_tPvRmT1_T2_T3_mmT4_T5_P12ihipStream_tbEUlRKxE_EEST_SX_SY_mSZ_S12_bEUlT_E_NS1_11comp_targetILNS1_3genE0ELNS1_11target_archE4294967295ELNS1_3gpuE0ELNS1_3repE0EEENS1_30default_config_static_selectorELNS0_4arch9wavefront6targetE1EEEvSW_
    .private_segment_fixed_size: 0
    .sgpr_count:     4
    .sgpr_spill_count: 0
    .symbol:         _ZN7rocprim17ROCPRIM_400000_NS6detail17trampoline_kernelINS0_14default_configENS1_27upper_bound_config_selectorIxlEEZNS1_14transform_implILb0ES3_S5_N6thrust23THRUST_200600_302600_NS6detail15normal_iteratorINS8_7pointerIxNS8_11hip_rocprim5par_tENS8_11use_defaultESE_EEEENSA_INSB_IlSD_SE_SE_EEEEZNS1_13binary_searchIS3_S5_PxSG_SI_NS1_21upper_bound_search_opENS9_16wrapped_functionINS8_6system6detail7generic6detail18binary_search_lessEbEEEE10hipError_tPvRmT1_T2_T3_mmT4_T5_P12ihipStream_tbEUlRKxE_EEST_SX_SY_mSZ_S12_bEUlT_E_NS1_11comp_targetILNS1_3genE0ELNS1_11target_archE4294967295ELNS1_3gpuE0ELNS1_3repE0EEENS1_30default_config_static_selectorELNS0_4arch9wavefront6targetE1EEEvSW_.kd
    .uniform_work_group_size: 1
    .uses_dynamic_stack: false
    .vgpr_count:     0
    .vgpr_spill_count: 0
    .wavefront_size: 64
  - .args:
      - .offset:         0
        .size:           56
        .value_kind:     by_value
    .group_segment_fixed_size: 0
    .kernarg_segment_align: 8
    .kernarg_segment_size: 56
    .language:       OpenCL C
    .language_version:
      - 2
      - 0
    .max_flat_workgroup_size: 64
    .name:           _ZN7rocprim17ROCPRIM_400000_NS6detail17trampoline_kernelINS0_14default_configENS1_27upper_bound_config_selectorIxlEEZNS1_14transform_implILb0ES3_S5_N6thrust23THRUST_200600_302600_NS6detail15normal_iteratorINS8_7pointerIxNS8_11hip_rocprim5par_tENS8_11use_defaultESE_EEEENSA_INSB_IlSD_SE_SE_EEEEZNS1_13binary_searchIS3_S5_PxSG_SI_NS1_21upper_bound_search_opENS9_16wrapped_functionINS8_6system6detail7generic6detail18binary_search_lessEbEEEE10hipError_tPvRmT1_T2_T3_mmT4_T5_P12ihipStream_tbEUlRKxE_EEST_SX_SY_mSZ_S12_bEUlT_E_NS1_11comp_targetILNS1_3genE5ELNS1_11target_archE942ELNS1_3gpuE9ELNS1_3repE0EEENS1_30default_config_static_selectorELNS0_4arch9wavefront6targetE1EEEvSW_
    .private_segment_fixed_size: 0
    .sgpr_count:     4
    .sgpr_spill_count: 0
    .symbol:         _ZN7rocprim17ROCPRIM_400000_NS6detail17trampoline_kernelINS0_14default_configENS1_27upper_bound_config_selectorIxlEEZNS1_14transform_implILb0ES3_S5_N6thrust23THRUST_200600_302600_NS6detail15normal_iteratorINS8_7pointerIxNS8_11hip_rocprim5par_tENS8_11use_defaultESE_EEEENSA_INSB_IlSD_SE_SE_EEEEZNS1_13binary_searchIS3_S5_PxSG_SI_NS1_21upper_bound_search_opENS9_16wrapped_functionINS8_6system6detail7generic6detail18binary_search_lessEbEEEE10hipError_tPvRmT1_T2_T3_mmT4_T5_P12ihipStream_tbEUlRKxE_EEST_SX_SY_mSZ_S12_bEUlT_E_NS1_11comp_targetILNS1_3genE5ELNS1_11target_archE942ELNS1_3gpuE9ELNS1_3repE0EEENS1_30default_config_static_selectorELNS0_4arch9wavefront6targetE1EEEvSW_.kd
    .uniform_work_group_size: 1
    .uses_dynamic_stack: false
    .vgpr_count:     0
    .vgpr_spill_count: 0
    .wavefront_size: 64
  - .args:
      - .offset:         0
        .size:           56
        .value_kind:     by_value
    .group_segment_fixed_size: 0
    .kernarg_segment_align: 8
    .kernarg_segment_size: 56
    .language:       OpenCL C
    .language_version:
      - 2
      - 0
    .max_flat_workgroup_size: 64
    .name:           _ZN7rocprim17ROCPRIM_400000_NS6detail17trampoline_kernelINS0_14default_configENS1_27upper_bound_config_selectorIxlEEZNS1_14transform_implILb0ES3_S5_N6thrust23THRUST_200600_302600_NS6detail15normal_iteratorINS8_7pointerIxNS8_11hip_rocprim5par_tENS8_11use_defaultESE_EEEENSA_INSB_IlSD_SE_SE_EEEEZNS1_13binary_searchIS3_S5_PxSG_SI_NS1_21upper_bound_search_opENS9_16wrapped_functionINS8_6system6detail7generic6detail18binary_search_lessEbEEEE10hipError_tPvRmT1_T2_T3_mmT4_T5_P12ihipStream_tbEUlRKxE_EEST_SX_SY_mSZ_S12_bEUlT_E_NS1_11comp_targetILNS1_3genE4ELNS1_11target_archE910ELNS1_3gpuE8ELNS1_3repE0EEENS1_30default_config_static_selectorELNS0_4arch9wavefront6targetE1EEEvSW_
    .private_segment_fixed_size: 0
    .sgpr_count:     4
    .sgpr_spill_count: 0
    .symbol:         _ZN7rocprim17ROCPRIM_400000_NS6detail17trampoline_kernelINS0_14default_configENS1_27upper_bound_config_selectorIxlEEZNS1_14transform_implILb0ES3_S5_N6thrust23THRUST_200600_302600_NS6detail15normal_iteratorINS8_7pointerIxNS8_11hip_rocprim5par_tENS8_11use_defaultESE_EEEENSA_INSB_IlSD_SE_SE_EEEEZNS1_13binary_searchIS3_S5_PxSG_SI_NS1_21upper_bound_search_opENS9_16wrapped_functionINS8_6system6detail7generic6detail18binary_search_lessEbEEEE10hipError_tPvRmT1_T2_T3_mmT4_T5_P12ihipStream_tbEUlRKxE_EEST_SX_SY_mSZ_S12_bEUlT_E_NS1_11comp_targetILNS1_3genE4ELNS1_11target_archE910ELNS1_3gpuE8ELNS1_3repE0EEENS1_30default_config_static_selectorELNS0_4arch9wavefront6targetE1EEEvSW_.kd
    .uniform_work_group_size: 1
    .uses_dynamic_stack: false
    .vgpr_count:     0
    .vgpr_spill_count: 0
    .wavefront_size: 64
  - .args:
      - .offset:         0
        .size:           56
        .value_kind:     by_value
    .group_segment_fixed_size: 0
    .kernarg_segment_align: 8
    .kernarg_segment_size: 56
    .language:       OpenCL C
    .language_version:
      - 2
      - 0
    .max_flat_workgroup_size: 128
    .name:           _ZN7rocprim17ROCPRIM_400000_NS6detail17trampoline_kernelINS0_14default_configENS1_27upper_bound_config_selectorIxlEEZNS1_14transform_implILb0ES3_S5_N6thrust23THRUST_200600_302600_NS6detail15normal_iteratorINS8_7pointerIxNS8_11hip_rocprim5par_tENS8_11use_defaultESE_EEEENSA_INSB_IlSD_SE_SE_EEEEZNS1_13binary_searchIS3_S5_PxSG_SI_NS1_21upper_bound_search_opENS9_16wrapped_functionINS8_6system6detail7generic6detail18binary_search_lessEbEEEE10hipError_tPvRmT1_T2_T3_mmT4_T5_P12ihipStream_tbEUlRKxE_EEST_SX_SY_mSZ_S12_bEUlT_E_NS1_11comp_targetILNS1_3genE3ELNS1_11target_archE908ELNS1_3gpuE7ELNS1_3repE0EEENS1_30default_config_static_selectorELNS0_4arch9wavefront6targetE1EEEvSW_
    .private_segment_fixed_size: 0
    .sgpr_count:     4
    .sgpr_spill_count: 0
    .symbol:         _ZN7rocprim17ROCPRIM_400000_NS6detail17trampoline_kernelINS0_14default_configENS1_27upper_bound_config_selectorIxlEEZNS1_14transform_implILb0ES3_S5_N6thrust23THRUST_200600_302600_NS6detail15normal_iteratorINS8_7pointerIxNS8_11hip_rocprim5par_tENS8_11use_defaultESE_EEEENSA_INSB_IlSD_SE_SE_EEEEZNS1_13binary_searchIS3_S5_PxSG_SI_NS1_21upper_bound_search_opENS9_16wrapped_functionINS8_6system6detail7generic6detail18binary_search_lessEbEEEE10hipError_tPvRmT1_T2_T3_mmT4_T5_P12ihipStream_tbEUlRKxE_EEST_SX_SY_mSZ_S12_bEUlT_E_NS1_11comp_targetILNS1_3genE3ELNS1_11target_archE908ELNS1_3gpuE7ELNS1_3repE0EEENS1_30default_config_static_selectorELNS0_4arch9wavefront6targetE1EEEvSW_.kd
    .uniform_work_group_size: 1
    .uses_dynamic_stack: false
    .vgpr_count:     0
    .vgpr_spill_count: 0
    .wavefront_size: 64
  - .args:
      - .offset:         0
        .size:           56
        .value_kind:     by_value
      - .offset:         56
        .size:           4
        .value_kind:     hidden_block_count_x
      - .offset:         60
        .size:           4
        .value_kind:     hidden_block_count_y
      - .offset:         64
        .size:           4
        .value_kind:     hidden_block_count_z
      - .offset:         68
        .size:           2
        .value_kind:     hidden_group_size_x
      - .offset:         70
        .size:           2
        .value_kind:     hidden_group_size_y
      - .offset:         72
        .size:           2
        .value_kind:     hidden_group_size_z
      - .offset:         74
        .size:           2
        .value_kind:     hidden_remainder_x
      - .offset:         76
        .size:           2
        .value_kind:     hidden_remainder_y
      - .offset:         78
        .size:           2
        .value_kind:     hidden_remainder_z
      - .offset:         96
        .size:           8
        .value_kind:     hidden_global_offset_x
      - .offset:         104
        .size:           8
        .value_kind:     hidden_global_offset_y
      - .offset:         112
        .size:           8
        .value_kind:     hidden_global_offset_z
      - .offset:         120
        .size:           2
        .value_kind:     hidden_grid_dims
    .group_segment_fixed_size: 0
    .kernarg_segment_align: 8
    .kernarg_segment_size: 312
    .language:       OpenCL C
    .language_version:
      - 2
      - 0
    .max_flat_workgroup_size: 256
    .name:           _ZN7rocprim17ROCPRIM_400000_NS6detail17trampoline_kernelINS0_14default_configENS1_27upper_bound_config_selectorIxlEEZNS1_14transform_implILb0ES3_S5_N6thrust23THRUST_200600_302600_NS6detail15normal_iteratorINS8_7pointerIxNS8_11hip_rocprim5par_tENS8_11use_defaultESE_EEEENSA_INSB_IlSD_SE_SE_EEEEZNS1_13binary_searchIS3_S5_PxSG_SI_NS1_21upper_bound_search_opENS9_16wrapped_functionINS8_6system6detail7generic6detail18binary_search_lessEbEEEE10hipError_tPvRmT1_T2_T3_mmT4_T5_P12ihipStream_tbEUlRKxE_EEST_SX_SY_mSZ_S12_bEUlT_E_NS1_11comp_targetILNS1_3genE2ELNS1_11target_archE906ELNS1_3gpuE6ELNS1_3repE0EEENS1_30default_config_static_selectorELNS0_4arch9wavefront6targetE1EEEvSW_
    .private_segment_fixed_size: 0
    .sgpr_count:     22
    .sgpr_spill_count: 0
    .symbol:         _ZN7rocprim17ROCPRIM_400000_NS6detail17trampoline_kernelINS0_14default_configENS1_27upper_bound_config_selectorIxlEEZNS1_14transform_implILb0ES3_S5_N6thrust23THRUST_200600_302600_NS6detail15normal_iteratorINS8_7pointerIxNS8_11hip_rocprim5par_tENS8_11use_defaultESE_EEEENSA_INSB_IlSD_SE_SE_EEEEZNS1_13binary_searchIS3_S5_PxSG_SI_NS1_21upper_bound_search_opENS9_16wrapped_functionINS8_6system6detail7generic6detail18binary_search_lessEbEEEE10hipError_tPvRmT1_T2_T3_mmT4_T5_P12ihipStream_tbEUlRKxE_EEST_SX_SY_mSZ_S12_bEUlT_E_NS1_11comp_targetILNS1_3genE2ELNS1_11target_archE906ELNS1_3gpuE6ELNS1_3repE0EEENS1_30default_config_static_selectorELNS0_4arch9wavefront6targetE1EEEvSW_.kd
    .uniform_work_group_size: 1
    .uses_dynamic_stack: false
    .vgpr_count:     14
    .vgpr_spill_count: 0
    .wavefront_size: 64
  - .args:
      - .offset:         0
        .size:           56
        .value_kind:     by_value
    .group_segment_fixed_size: 0
    .kernarg_segment_align: 8
    .kernarg_segment_size: 56
    .language:       OpenCL C
    .language_version:
      - 2
      - 0
    .max_flat_workgroup_size: 128
    .name:           _ZN7rocprim17ROCPRIM_400000_NS6detail17trampoline_kernelINS0_14default_configENS1_27upper_bound_config_selectorIxlEEZNS1_14transform_implILb0ES3_S5_N6thrust23THRUST_200600_302600_NS6detail15normal_iteratorINS8_7pointerIxNS8_11hip_rocprim5par_tENS8_11use_defaultESE_EEEENSA_INSB_IlSD_SE_SE_EEEEZNS1_13binary_searchIS3_S5_PxSG_SI_NS1_21upper_bound_search_opENS9_16wrapped_functionINS8_6system6detail7generic6detail18binary_search_lessEbEEEE10hipError_tPvRmT1_T2_T3_mmT4_T5_P12ihipStream_tbEUlRKxE_EEST_SX_SY_mSZ_S12_bEUlT_E_NS1_11comp_targetILNS1_3genE10ELNS1_11target_archE1201ELNS1_3gpuE5ELNS1_3repE0EEENS1_30default_config_static_selectorELNS0_4arch9wavefront6targetE1EEEvSW_
    .private_segment_fixed_size: 0
    .sgpr_count:     4
    .sgpr_spill_count: 0
    .symbol:         _ZN7rocprim17ROCPRIM_400000_NS6detail17trampoline_kernelINS0_14default_configENS1_27upper_bound_config_selectorIxlEEZNS1_14transform_implILb0ES3_S5_N6thrust23THRUST_200600_302600_NS6detail15normal_iteratorINS8_7pointerIxNS8_11hip_rocprim5par_tENS8_11use_defaultESE_EEEENSA_INSB_IlSD_SE_SE_EEEEZNS1_13binary_searchIS3_S5_PxSG_SI_NS1_21upper_bound_search_opENS9_16wrapped_functionINS8_6system6detail7generic6detail18binary_search_lessEbEEEE10hipError_tPvRmT1_T2_T3_mmT4_T5_P12ihipStream_tbEUlRKxE_EEST_SX_SY_mSZ_S12_bEUlT_E_NS1_11comp_targetILNS1_3genE10ELNS1_11target_archE1201ELNS1_3gpuE5ELNS1_3repE0EEENS1_30default_config_static_selectorELNS0_4arch9wavefront6targetE1EEEvSW_.kd
    .uniform_work_group_size: 1
    .uses_dynamic_stack: false
    .vgpr_count:     0
    .vgpr_spill_count: 0
    .wavefront_size: 64
  - .args:
      - .offset:         0
        .size:           56
        .value_kind:     by_value
    .group_segment_fixed_size: 0
    .kernarg_segment_align: 8
    .kernarg_segment_size: 56
    .language:       OpenCL C
    .language_version:
      - 2
      - 0
    .max_flat_workgroup_size: 128
    .name:           _ZN7rocprim17ROCPRIM_400000_NS6detail17trampoline_kernelINS0_14default_configENS1_27upper_bound_config_selectorIxlEEZNS1_14transform_implILb0ES3_S5_N6thrust23THRUST_200600_302600_NS6detail15normal_iteratorINS8_7pointerIxNS8_11hip_rocprim5par_tENS8_11use_defaultESE_EEEENSA_INSB_IlSD_SE_SE_EEEEZNS1_13binary_searchIS3_S5_PxSG_SI_NS1_21upper_bound_search_opENS9_16wrapped_functionINS8_6system6detail7generic6detail18binary_search_lessEbEEEE10hipError_tPvRmT1_T2_T3_mmT4_T5_P12ihipStream_tbEUlRKxE_EEST_SX_SY_mSZ_S12_bEUlT_E_NS1_11comp_targetILNS1_3genE10ELNS1_11target_archE1200ELNS1_3gpuE4ELNS1_3repE0EEENS1_30default_config_static_selectorELNS0_4arch9wavefront6targetE1EEEvSW_
    .private_segment_fixed_size: 0
    .sgpr_count:     4
    .sgpr_spill_count: 0
    .symbol:         _ZN7rocprim17ROCPRIM_400000_NS6detail17trampoline_kernelINS0_14default_configENS1_27upper_bound_config_selectorIxlEEZNS1_14transform_implILb0ES3_S5_N6thrust23THRUST_200600_302600_NS6detail15normal_iteratorINS8_7pointerIxNS8_11hip_rocprim5par_tENS8_11use_defaultESE_EEEENSA_INSB_IlSD_SE_SE_EEEEZNS1_13binary_searchIS3_S5_PxSG_SI_NS1_21upper_bound_search_opENS9_16wrapped_functionINS8_6system6detail7generic6detail18binary_search_lessEbEEEE10hipError_tPvRmT1_T2_T3_mmT4_T5_P12ihipStream_tbEUlRKxE_EEST_SX_SY_mSZ_S12_bEUlT_E_NS1_11comp_targetILNS1_3genE10ELNS1_11target_archE1200ELNS1_3gpuE4ELNS1_3repE0EEENS1_30default_config_static_selectorELNS0_4arch9wavefront6targetE1EEEvSW_.kd
    .uniform_work_group_size: 1
    .uses_dynamic_stack: false
    .vgpr_count:     0
    .vgpr_spill_count: 0
    .wavefront_size: 64
  - .args:
      - .offset:         0
        .size:           56
        .value_kind:     by_value
    .group_segment_fixed_size: 0
    .kernarg_segment_align: 8
    .kernarg_segment_size: 56
    .language:       OpenCL C
    .language_version:
      - 2
      - 0
    .max_flat_workgroup_size: 256
    .name:           _ZN7rocprim17ROCPRIM_400000_NS6detail17trampoline_kernelINS0_14default_configENS1_27upper_bound_config_selectorIxlEEZNS1_14transform_implILb0ES3_S5_N6thrust23THRUST_200600_302600_NS6detail15normal_iteratorINS8_7pointerIxNS8_11hip_rocprim5par_tENS8_11use_defaultESE_EEEENSA_INSB_IlSD_SE_SE_EEEEZNS1_13binary_searchIS3_S5_PxSG_SI_NS1_21upper_bound_search_opENS9_16wrapped_functionINS8_6system6detail7generic6detail18binary_search_lessEbEEEE10hipError_tPvRmT1_T2_T3_mmT4_T5_P12ihipStream_tbEUlRKxE_EEST_SX_SY_mSZ_S12_bEUlT_E_NS1_11comp_targetILNS1_3genE9ELNS1_11target_archE1100ELNS1_3gpuE3ELNS1_3repE0EEENS1_30default_config_static_selectorELNS0_4arch9wavefront6targetE1EEEvSW_
    .private_segment_fixed_size: 0
    .sgpr_count:     4
    .sgpr_spill_count: 0
    .symbol:         _ZN7rocprim17ROCPRIM_400000_NS6detail17trampoline_kernelINS0_14default_configENS1_27upper_bound_config_selectorIxlEEZNS1_14transform_implILb0ES3_S5_N6thrust23THRUST_200600_302600_NS6detail15normal_iteratorINS8_7pointerIxNS8_11hip_rocprim5par_tENS8_11use_defaultESE_EEEENSA_INSB_IlSD_SE_SE_EEEEZNS1_13binary_searchIS3_S5_PxSG_SI_NS1_21upper_bound_search_opENS9_16wrapped_functionINS8_6system6detail7generic6detail18binary_search_lessEbEEEE10hipError_tPvRmT1_T2_T3_mmT4_T5_P12ihipStream_tbEUlRKxE_EEST_SX_SY_mSZ_S12_bEUlT_E_NS1_11comp_targetILNS1_3genE9ELNS1_11target_archE1100ELNS1_3gpuE3ELNS1_3repE0EEENS1_30default_config_static_selectorELNS0_4arch9wavefront6targetE1EEEvSW_.kd
    .uniform_work_group_size: 1
    .uses_dynamic_stack: false
    .vgpr_count:     0
    .vgpr_spill_count: 0
    .wavefront_size: 64
  - .args:
      - .offset:         0
        .size:           56
        .value_kind:     by_value
    .group_segment_fixed_size: 0
    .kernarg_segment_align: 8
    .kernarg_segment_size: 56
    .language:       OpenCL C
    .language_version:
      - 2
      - 0
    .max_flat_workgroup_size: 256
    .name:           _ZN7rocprim17ROCPRIM_400000_NS6detail17trampoline_kernelINS0_14default_configENS1_27upper_bound_config_selectorIxlEEZNS1_14transform_implILb0ES3_S5_N6thrust23THRUST_200600_302600_NS6detail15normal_iteratorINS8_7pointerIxNS8_11hip_rocprim5par_tENS8_11use_defaultESE_EEEENSA_INSB_IlSD_SE_SE_EEEEZNS1_13binary_searchIS3_S5_PxSG_SI_NS1_21upper_bound_search_opENS9_16wrapped_functionINS8_6system6detail7generic6detail18binary_search_lessEbEEEE10hipError_tPvRmT1_T2_T3_mmT4_T5_P12ihipStream_tbEUlRKxE_EEST_SX_SY_mSZ_S12_bEUlT_E_NS1_11comp_targetILNS1_3genE8ELNS1_11target_archE1030ELNS1_3gpuE2ELNS1_3repE0EEENS1_30default_config_static_selectorELNS0_4arch9wavefront6targetE1EEEvSW_
    .private_segment_fixed_size: 0
    .sgpr_count:     4
    .sgpr_spill_count: 0
    .symbol:         _ZN7rocprim17ROCPRIM_400000_NS6detail17trampoline_kernelINS0_14default_configENS1_27upper_bound_config_selectorIxlEEZNS1_14transform_implILb0ES3_S5_N6thrust23THRUST_200600_302600_NS6detail15normal_iteratorINS8_7pointerIxNS8_11hip_rocprim5par_tENS8_11use_defaultESE_EEEENSA_INSB_IlSD_SE_SE_EEEEZNS1_13binary_searchIS3_S5_PxSG_SI_NS1_21upper_bound_search_opENS9_16wrapped_functionINS8_6system6detail7generic6detail18binary_search_lessEbEEEE10hipError_tPvRmT1_T2_T3_mmT4_T5_P12ihipStream_tbEUlRKxE_EEST_SX_SY_mSZ_S12_bEUlT_E_NS1_11comp_targetILNS1_3genE8ELNS1_11target_archE1030ELNS1_3gpuE2ELNS1_3repE0EEENS1_30default_config_static_selectorELNS0_4arch9wavefront6targetE1EEEvSW_.kd
    .uniform_work_group_size: 1
    .uses_dynamic_stack: false
    .vgpr_count:     0
    .vgpr_spill_count: 0
    .wavefront_size: 64
  - .args:
      - .offset:         0
        .size:           8
        .value_kind:     by_value
      - .address_space:  global
        .offset:         8
        .size:           8
        .value_kind:     global_buffer
      - .address_space:  global
        .offset:         16
        .size:           8
        .value_kind:     global_buffer
    .group_segment_fixed_size: 0
    .kernarg_segment_align: 8
    .kernarg_segment_size: 24
    .language:       OpenCL C
    .language_version:
      - 2
      - 0
    .max_flat_workgroup_size: 256
    .name:           _Z18upper_bound_kernelIiEvmPT_Pl
    .private_segment_fixed_size: 0
    .sgpr_count:     21
    .sgpr_spill_count: 0
    .symbol:         _Z18upper_bound_kernelIiEvmPT_Pl.kd
    .uniform_work_group_size: 1
    .uses_dynamic_stack: false
    .vgpr_count:     3
    .vgpr_spill_count: 0
    .wavefront_size: 64
  - .args:
      - .offset:         0
        .size:           56
        .value_kind:     by_value
    .group_segment_fixed_size: 0
    .kernarg_segment_align: 8
    .kernarg_segment_size: 56
    .language:       OpenCL C
    .language_version:
      - 2
      - 0
    .max_flat_workgroup_size: 256
    .name:           _ZN7rocprim17ROCPRIM_400000_NS6detail17trampoline_kernelINS0_14default_configENS1_27upper_bound_config_selectorIilEEZNS1_14transform_implILb0ES3_S5_N6thrust23THRUST_200600_302600_NS6detail15normal_iteratorINS8_7pointerIiNS8_11hip_rocprim5par_tENS8_11use_defaultESE_EEEENSA_INSB_IlSD_SE_SE_EEEEZNS1_13binary_searchIS3_S5_PiSG_SI_NS1_21upper_bound_search_opENS9_16wrapped_functionINS8_6system6detail7generic6detail18binary_search_lessEbEEEE10hipError_tPvRmT1_T2_T3_mmT4_T5_P12ihipStream_tbEUlRKiE_EEST_SX_SY_mSZ_S12_bEUlT_E_NS1_11comp_targetILNS1_3genE0ELNS1_11target_archE4294967295ELNS1_3gpuE0ELNS1_3repE0EEENS1_30default_config_static_selectorELNS0_4arch9wavefront6targetE1EEEvSW_
    .private_segment_fixed_size: 0
    .sgpr_count:     4
    .sgpr_spill_count: 0
    .symbol:         _ZN7rocprim17ROCPRIM_400000_NS6detail17trampoline_kernelINS0_14default_configENS1_27upper_bound_config_selectorIilEEZNS1_14transform_implILb0ES3_S5_N6thrust23THRUST_200600_302600_NS6detail15normal_iteratorINS8_7pointerIiNS8_11hip_rocprim5par_tENS8_11use_defaultESE_EEEENSA_INSB_IlSD_SE_SE_EEEEZNS1_13binary_searchIS3_S5_PiSG_SI_NS1_21upper_bound_search_opENS9_16wrapped_functionINS8_6system6detail7generic6detail18binary_search_lessEbEEEE10hipError_tPvRmT1_T2_T3_mmT4_T5_P12ihipStream_tbEUlRKiE_EEST_SX_SY_mSZ_S12_bEUlT_E_NS1_11comp_targetILNS1_3genE0ELNS1_11target_archE4294967295ELNS1_3gpuE0ELNS1_3repE0EEENS1_30default_config_static_selectorELNS0_4arch9wavefront6targetE1EEEvSW_.kd
    .uniform_work_group_size: 1
    .uses_dynamic_stack: false
    .vgpr_count:     0
    .vgpr_spill_count: 0
    .wavefront_size: 64
  - .args:
      - .offset:         0
        .size:           56
        .value_kind:     by_value
    .group_segment_fixed_size: 0
    .kernarg_segment_align: 8
    .kernarg_segment_size: 56
    .language:       OpenCL C
    .language_version:
      - 2
      - 0
    .max_flat_workgroup_size: 256
    .name:           _ZN7rocprim17ROCPRIM_400000_NS6detail17trampoline_kernelINS0_14default_configENS1_27upper_bound_config_selectorIilEEZNS1_14transform_implILb0ES3_S5_N6thrust23THRUST_200600_302600_NS6detail15normal_iteratorINS8_7pointerIiNS8_11hip_rocprim5par_tENS8_11use_defaultESE_EEEENSA_INSB_IlSD_SE_SE_EEEEZNS1_13binary_searchIS3_S5_PiSG_SI_NS1_21upper_bound_search_opENS9_16wrapped_functionINS8_6system6detail7generic6detail18binary_search_lessEbEEEE10hipError_tPvRmT1_T2_T3_mmT4_T5_P12ihipStream_tbEUlRKiE_EEST_SX_SY_mSZ_S12_bEUlT_E_NS1_11comp_targetILNS1_3genE5ELNS1_11target_archE942ELNS1_3gpuE9ELNS1_3repE0EEENS1_30default_config_static_selectorELNS0_4arch9wavefront6targetE1EEEvSW_
    .private_segment_fixed_size: 0
    .sgpr_count:     4
    .sgpr_spill_count: 0
    .symbol:         _ZN7rocprim17ROCPRIM_400000_NS6detail17trampoline_kernelINS0_14default_configENS1_27upper_bound_config_selectorIilEEZNS1_14transform_implILb0ES3_S5_N6thrust23THRUST_200600_302600_NS6detail15normal_iteratorINS8_7pointerIiNS8_11hip_rocprim5par_tENS8_11use_defaultESE_EEEENSA_INSB_IlSD_SE_SE_EEEEZNS1_13binary_searchIS3_S5_PiSG_SI_NS1_21upper_bound_search_opENS9_16wrapped_functionINS8_6system6detail7generic6detail18binary_search_lessEbEEEE10hipError_tPvRmT1_T2_T3_mmT4_T5_P12ihipStream_tbEUlRKiE_EEST_SX_SY_mSZ_S12_bEUlT_E_NS1_11comp_targetILNS1_3genE5ELNS1_11target_archE942ELNS1_3gpuE9ELNS1_3repE0EEENS1_30default_config_static_selectorELNS0_4arch9wavefront6targetE1EEEvSW_.kd
    .uniform_work_group_size: 1
    .uses_dynamic_stack: false
    .vgpr_count:     0
    .vgpr_spill_count: 0
    .wavefront_size: 64
  - .args:
      - .offset:         0
        .size:           56
        .value_kind:     by_value
    .group_segment_fixed_size: 0
    .kernarg_segment_align: 8
    .kernarg_segment_size: 56
    .language:       OpenCL C
    .language_version:
      - 2
      - 0
    .max_flat_workgroup_size: 256
    .name:           _ZN7rocprim17ROCPRIM_400000_NS6detail17trampoline_kernelINS0_14default_configENS1_27upper_bound_config_selectorIilEEZNS1_14transform_implILb0ES3_S5_N6thrust23THRUST_200600_302600_NS6detail15normal_iteratorINS8_7pointerIiNS8_11hip_rocprim5par_tENS8_11use_defaultESE_EEEENSA_INSB_IlSD_SE_SE_EEEEZNS1_13binary_searchIS3_S5_PiSG_SI_NS1_21upper_bound_search_opENS9_16wrapped_functionINS8_6system6detail7generic6detail18binary_search_lessEbEEEE10hipError_tPvRmT1_T2_T3_mmT4_T5_P12ihipStream_tbEUlRKiE_EEST_SX_SY_mSZ_S12_bEUlT_E_NS1_11comp_targetILNS1_3genE4ELNS1_11target_archE910ELNS1_3gpuE8ELNS1_3repE0EEENS1_30default_config_static_selectorELNS0_4arch9wavefront6targetE1EEEvSW_
    .private_segment_fixed_size: 0
    .sgpr_count:     4
    .sgpr_spill_count: 0
    .symbol:         _ZN7rocprim17ROCPRIM_400000_NS6detail17trampoline_kernelINS0_14default_configENS1_27upper_bound_config_selectorIilEEZNS1_14transform_implILb0ES3_S5_N6thrust23THRUST_200600_302600_NS6detail15normal_iteratorINS8_7pointerIiNS8_11hip_rocprim5par_tENS8_11use_defaultESE_EEEENSA_INSB_IlSD_SE_SE_EEEEZNS1_13binary_searchIS3_S5_PiSG_SI_NS1_21upper_bound_search_opENS9_16wrapped_functionINS8_6system6detail7generic6detail18binary_search_lessEbEEEE10hipError_tPvRmT1_T2_T3_mmT4_T5_P12ihipStream_tbEUlRKiE_EEST_SX_SY_mSZ_S12_bEUlT_E_NS1_11comp_targetILNS1_3genE4ELNS1_11target_archE910ELNS1_3gpuE8ELNS1_3repE0EEENS1_30default_config_static_selectorELNS0_4arch9wavefront6targetE1EEEvSW_.kd
    .uniform_work_group_size: 1
    .uses_dynamic_stack: false
    .vgpr_count:     0
    .vgpr_spill_count: 0
    .wavefront_size: 64
  - .args:
      - .offset:         0
        .size:           56
        .value_kind:     by_value
    .group_segment_fixed_size: 0
    .kernarg_segment_align: 8
    .kernarg_segment_size: 56
    .language:       OpenCL C
    .language_version:
      - 2
      - 0
    .max_flat_workgroup_size: 256
    .name:           _ZN7rocprim17ROCPRIM_400000_NS6detail17trampoline_kernelINS0_14default_configENS1_27upper_bound_config_selectorIilEEZNS1_14transform_implILb0ES3_S5_N6thrust23THRUST_200600_302600_NS6detail15normal_iteratorINS8_7pointerIiNS8_11hip_rocprim5par_tENS8_11use_defaultESE_EEEENSA_INSB_IlSD_SE_SE_EEEEZNS1_13binary_searchIS3_S5_PiSG_SI_NS1_21upper_bound_search_opENS9_16wrapped_functionINS8_6system6detail7generic6detail18binary_search_lessEbEEEE10hipError_tPvRmT1_T2_T3_mmT4_T5_P12ihipStream_tbEUlRKiE_EEST_SX_SY_mSZ_S12_bEUlT_E_NS1_11comp_targetILNS1_3genE3ELNS1_11target_archE908ELNS1_3gpuE7ELNS1_3repE0EEENS1_30default_config_static_selectorELNS0_4arch9wavefront6targetE1EEEvSW_
    .private_segment_fixed_size: 0
    .sgpr_count:     4
    .sgpr_spill_count: 0
    .symbol:         _ZN7rocprim17ROCPRIM_400000_NS6detail17trampoline_kernelINS0_14default_configENS1_27upper_bound_config_selectorIilEEZNS1_14transform_implILb0ES3_S5_N6thrust23THRUST_200600_302600_NS6detail15normal_iteratorINS8_7pointerIiNS8_11hip_rocprim5par_tENS8_11use_defaultESE_EEEENSA_INSB_IlSD_SE_SE_EEEEZNS1_13binary_searchIS3_S5_PiSG_SI_NS1_21upper_bound_search_opENS9_16wrapped_functionINS8_6system6detail7generic6detail18binary_search_lessEbEEEE10hipError_tPvRmT1_T2_T3_mmT4_T5_P12ihipStream_tbEUlRKiE_EEST_SX_SY_mSZ_S12_bEUlT_E_NS1_11comp_targetILNS1_3genE3ELNS1_11target_archE908ELNS1_3gpuE7ELNS1_3repE0EEENS1_30default_config_static_selectorELNS0_4arch9wavefront6targetE1EEEvSW_.kd
    .uniform_work_group_size: 1
    .uses_dynamic_stack: false
    .vgpr_count:     0
    .vgpr_spill_count: 0
    .wavefront_size: 64
  - .args:
      - .offset:         0
        .size:           56
        .value_kind:     by_value
      - .offset:         56
        .size:           4
        .value_kind:     hidden_block_count_x
      - .offset:         60
        .size:           4
        .value_kind:     hidden_block_count_y
      - .offset:         64
        .size:           4
        .value_kind:     hidden_block_count_z
      - .offset:         68
        .size:           2
        .value_kind:     hidden_group_size_x
      - .offset:         70
        .size:           2
        .value_kind:     hidden_group_size_y
      - .offset:         72
        .size:           2
        .value_kind:     hidden_group_size_z
      - .offset:         74
        .size:           2
        .value_kind:     hidden_remainder_x
      - .offset:         76
        .size:           2
        .value_kind:     hidden_remainder_y
      - .offset:         78
        .size:           2
        .value_kind:     hidden_remainder_z
      - .offset:         96
        .size:           8
        .value_kind:     hidden_global_offset_x
      - .offset:         104
        .size:           8
        .value_kind:     hidden_global_offset_y
      - .offset:         112
        .size:           8
        .value_kind:     hidden_global_offset_z
      - .offset:         120
        .size:           2
        .value_kind:     hidden_grid_dims
    .group_segment_fixed_size: 0
    .kernarg_segment_align: 8
    .kernarg_segment_size: 312
    .language:       OpenCL C
    .language_version:
      - 2
      - 0
    .max_flat_workgroup_size: 256
    .name:           _ZN7rocprim17ROCPRIM_400000_NS6detail17trampoline_kernelINS0_14default_configENS1_27upper_bound_config_selectorIilEEZNS1_14transform_implILb0ES3_S5_N6thrust23THRUST_200600_302600_NS6detail15normal_iteratorINS8_7pointerIiNS8_11hip_rocprim5par_tENS8_11use_defaultESE_EEEENSA_INSB_IlSD_SE_SE_EEEEZNS1_13binary_searchIS3_S5_PiSG_SI_NS1_21upper_bound_search_opENS9_16wrapped_functionINS8_6system6detail7generic6detail18binary_search_lessEbEEEE10hipError_tPvRmT1_T2_T3_mmT4_T5_P12ihipStream_tbEUlRKiE_EEST_SX_SY_mSZ_S12_bEUlT_E_NS1_11comp_targetILNS1_3genE2ELNS1_11target_archE906ELNS1_3gpuE6ELNS1_3repE0EEENS1_30default_config_static_selectorELNS0_4arch9wavefront6targetE1EEEvSW_
    .private_segment_fixed_size: 0
    .sgpr_count:     24
    .sgpr_spill_count: 0
    .symbol:         _ZN7rocprim17ROCPRIM_400000_NS6detail17trampoline_kernelINS0_14default_configENS1_27upper_bound_config_selectorIilEEZNS1_14transform_implILb0ES3_S5_N6thrust23THRUST_200600_302600_NS6detail15normal_iteratorINS8_7pointerIiNS8_11hip_rocprim5par_tENS8_11use_defaultESE_EEEENSA_INSB_IlSD_SE_SE_EEEEZNS1_13binary_searchIS3_S5_PiSG_SI_NS1_21upper_bound_search_opENS9_16wrapped_functionINS8_6system6detail7generic6detail18binary_search_lessEbEEEE10hipError_tPvRmT1_T2_T3_mmT4_T5_P12ihipStream_tbEUlRKiE_EEST_SX_SY_mSZ_S12_bEUlT_E_NS1_11comp_targetILNS1_3genE2ELNS1_11target_archE906ELNS1_3gpuE6ELNS1_3repE0EEENS1_30default_config_static_selectorELNS0_4arch9wavefront6targetE1EEEvSW_.kd
    .uniform_work_group_size: 1
    .uses_dynamic_stack: false
    .vgpr_count:     12
    .vgpr_spill_count: 0
    .wavefront_size: 64
  - .args:
      - .offset:         0
        .size:           56
        .value_kind:     by_value
    .group_segment_fixed_size: 0
    .kernarg_segment_align: 8
    .kernarg_segment_size: 56
    .language:       OpenCL C
    .language_version:
      - 2
      - 0
    .max_flat_workgroup_size: 128
    .name:           _ZN7rocprim17ROCPRIM_400000_NS6detail17trampoline_kernelINS0_14default_configENS1_27upper_bound_config_selectorIilEEZNS1_14transform_implILb0ES3_S5_N6thrust23THRUST_200600_302600_NS6detail15normal_iteratorINS8_7pointerIiNS8_11hip_rocprim5par_tENS8_11use_defaultESE_EEEENSA_INSB_IlSD_SE_SE_EEEEZNS1_13binary_searchIS3_S5_PiSG_SI_NS1_21upper_bound_search_opENS9_16wrapped_functionINS8_6system6detail7generic6detail18binary_search_lessEbEEEE10hipError_tPvRmT1_T2_T3_mmT4_T5_P12ihipStream_tbEUlRKiE_EEST_SX_SY_mSZ_S12_bEUlT_E_NS1_11comp_targetILNS1_3genE10ELNS1_11target_archE1201ELNS1_3gpuE5ELNS1_3repE0EEENS1_30default_config_static_selectorELNS0_4arch9wavefront6targetE1EEEvSW_
    .private_segment_fixed_size: 0
    .sgpr_count:     4
    .sgpr_spill_count: 0
    .symbol:         _ZN7rocprim17ROCPRIM_400000_NS6detail17trampoline_kernelINS0_14default_configENS1_27upper_bound_config_selectorIilEEZNS1_14transform_implILb0ES3_S5_N6thrust23THRUST_200600_302600_NS6detail15normal_iteratorINS8_7pointerIiNS8_11hip_rocprim5par_tENS8_11use_defaultESE_EEEENSA_INSB_IlSD_SE_SE_EEEEZNS1_13binary_searchIS3_S5_PiSG_SI_NS1_21upper_bound_search_opENS9_16wrapped_functionINS8_6system6detail7generic6detail18binary_search_lessEbEEEE10hipError_tPvRmT1_T2_T3_mmT4_T5_P12ihipStream_tbEUlRKiE_EEST_SX_SY_mSZ_S12_bEUlT_E_NS1_11comp_targetILNS1_3genE10ELNS1_11target_archE1201ELNS1_3gpuE5ELNS1_3repE0EEENS1_30default_config_static_selectorELNS0_4arch9wavefront6targetE1EEEvSW_.kd
    .uniform_work_group_size: 1
    .uses_dynamic_stack: false
    .vgpr_count:     0
    .vgpr_spill_count: 0
    .wavefront_size: 64
  - .args:
      - .offset:         0
        .size:           56
        .value_kind:     by_value
    .group_segment_fixed_size: 0
    .kernarg_segment_align: 8
    .kernarg_segment_size: 56
    .language:       OpenCL C
    .language_version:
      - 2
      - 0
    .max_flat_workgroup_size: 128
    .name:           _ZN7rocprim17ROCPRIM_400000_NS6detail17trampoline_kernelINS0_14default_configENS1_27upper_bound_config_selectorIilEEZNS1_14transform_implILb0ES3_S5_N6thrust23THRUST_200600_302600_NS6detail15normal_iteratorINS8_7pointerIiNS8_11hip_rocprim5par_tENS8_11use_defaultESE_EEEENSA_INSB_IlSD_SE_SE_EEEEZNS1_13binary_searchIS3_S5_PiSG_SI_NS1_21upper_bound_search_opENS9_16wrapped_functionINS8_6system6detail7generic6detail18binary_search_lessEbEEEE10hipError_tPvRmT1_T2_T3_mmT4_T5_P12ihipStream_tbEUlRKiE_EEST_SX_SY_mSZ_S12_bEUlT_E_NS1_11comp_targetILNS1_3genE10ELNS1_11target_archE1200ELNS1_3gpuE4ELNS1_3repE0EEENS1_30default_config_static_selectorELNS0_4arch9wavefront6targetE1EEEvSW_
    .private_segment_fixed_size: 0
    .sgpr_count:     4
    .sgpr_spill_count: 0
    .symbol:         _ZN7rocprim17ROCPRIM_400000_NS6detail17trampoline_kernelINS0_14default_configENS1_27upper_bound_config_selectorIilEEZNS1_14transform_implILb0ES3_S5_N6thrust23THRUST_200600_302600_NS6detail15normal_iteratorINS8_7pointerIiNS8_11hip_rocprim5par_tENS8_11use_defaultESE_EEEENSA_INSB_IlSD_SE_SE_EEEEZNS1_13binary_searchIS3_S5_PiSG_SI_NS1_21upper_bound_search_opENS9_16wrapped_functionINS8_6system6detail7generic6detail18binary_search_lessEbEEEE10hipError_tPvRmT1_T2_T3_mmT4_T5_P12ihipStream_tbEUlRKiE_EEST_SX_SY_mSZ_S12_bEUlT_E_NS1_11comp_targetILNS1_3genE10ELNS1_11target_archE1200ELNS1_3gpuE4ELNS1_3repE0EEENS1_30default_config_static_selectorELNS0_4arch9wavefront6targetE1EEEvSW_.kd
    .uniform_work_group_size: 1
    .uses_dynamic_stack: false
    .vgpr_count:     0
    .vgpr_spill_count: 0
    .wavefront_size: 64
  - .args:
      - .offset:         0
        .size:           56
        .value_kind:     by_value
    .group_segment_fixed_size: 0
    .kernarg_segment_align: 8
    .kernarg_segment_size: 56
    .language:       OpenCL C
    .language_version:
      - 2
      - 0
    .max_flat_workgroup_size: 256
    .name:           _ZN7rocprim17ROCPRIM_400000_NS6detail17trampoline_kernelINS0_14default_configENS1_27upper_bound_config_selectorIilEEZNS1_14transform_implILb0ES3_S5_N6thrust23THRUST_200600_302600_NS6detail15normal_iteratorINS8_7pointerIiNS8_11hip_rocprim5par_tENS8_11use_defaultESE_EEEENSA_INSB_IlSD_SE_SE_EEEEZNS1_13binary_searchIS3_S5_PiSG_SI_NS1_21upper_bound_search_opENS9_16wrapped_functionINS8_6system6detail7generic6detail18binary_search_lessEbEEEE10hipError_tPvRmT1_T2_T3_mmT4_T5_P12ihipStream_tbEUlRKiE_EEST_SX_SY_mSZ_S12_bEUlT_E_NS1_11comp_targetILNS1_3genE9ELNS1_11target_archE1100ELNS1_3gpuE3ELNS1_3repE0EEENS1_30default_config_static_selectorELNS0_4arch9wavefront6targetE1EEEvSW_
    .private_segment_fixed_size: 0
    .sgpr_count:     4
    .sgpr_spill_count: 0
    .symbol:         _ZN7rocprim17ROCPRIM_400000_NS6detail17trampoline_kernelINS0_14default_configENS1_27upper_bound_config_selectorIilEEZNS1_14transform_implILb0ES3_S5_N6thrust23THRUST_200600_302600_NS6detail15normal_iteratorINS8_7pointerIiNS8_11hip_rocprim5par_tENS8_11use_defaultESE_EEEENSA_INSB_IlSD_SE_SE_EEEEZNS1_13binary_searchIS3_S5_PiSG_SI_NS1_21upper_bound_search_opENS9_16wrapped_functionINS8_6system6detail7generic6detail18binary_search_lessEbEEEE10hipError_tPvRmT1_T2_T3_mmT4_T5_P12ihipStream_tbEUlRKiE_EEST_SX_SY_mSZ_S12_bEUlT_E_NS1_11comp_targetILNS1_3genE9ELNS1_11target_archE1100ELNS1_3gpuE3ELNS1_3repE0EEENS1_30default_config_static_selectorELNS0_4arch9wavefront6targetE1EEEvSW_.kd
    .uniform_work_group_size: 1
    .uses_dynamic_stack: false
    .vgpr_count:     0
    .vgpr_spill_count: 0
    .wavefront_size: 64
  - .args:
      - .offset:         0
        .size:           56
        .value_kind:     by_value
    .group_segment_fixed_size: 0
    .kernarg_segment_align: 8
    .kernarg_segment_size: 56
    .language:       OpenCL C
    .language_version:
      - 2
      - 0
    .max_flat_workgroup_size: 256
    .name:           _ZN7rocprim17ROCPRIM_400000_NS6detail17trampoline_kernelINS0_14default_configENS1_27upper_bound_config_selectorIilEEZNS1_14transform_implILb0ES3_S5_N6thrust23THRUST_200600_302600_NS6detail15normal_iteratorINS8_7pointerIiNS8_11hip_rocprim5par_tENS8_11use_defaultESE_EEEENSA_INSB_IlSD_SE_SE_EEEEZNS1_13binary_searchIS3_S5_PiSG_SI_NS1_21upper_bound_search_opENS9_16wrapped_functionINS8_6system6detail7generic6detail18binary_search_lessEbEEEE10hipError_tPvRmT1_T2_T3_mmT4_T5_P12ihipStream_tbEUlRKiE_EEST_SX_SY_mSZ_S12_bEUlT_E_NS1_11comp_targetILNS1_3genE8ELNS1_11target_archE1030ELNS1_3gpuE2ELNS1_3repE0EEENS1_30default_config_static_selectorELNS0_4arch9wavefront6targetE1EEEvSW_
    .private_segment_fixed_size: 0
    .sgpr_count:     4
    .sgpr_spill_count: 0
    .symbol:         _ZN7rocprim17ROCPRIM_400000_NS6detail17trampoline_kernelINS0_14default_configENS1_27upper_bound_config_selectorIilEEZNS1_14transform_implILb0ES3_S5_N6thrust23THRUST_200600_302600_NS6detail15normal_iteratorINS8_7pointerIiNS8_11hip_rocprim5par_tENS8_11use_defaultESE_EEEENSA_INSB_IlSD_SE_SE_EEEEZNS1_13binary_searchIS3_S5_PiSG_SI_NS1_21upper_bound_search_opENS9_16wrapped_functionINS8_6system6detail7generic6detail18binary_search_lessEbEEEE10hipError_tPvRmT1_T2_T3_mmT4_T5_P12ihipStream_tbEUlRKiE_EEST_SX_SY_mSZ_S12_bEUlT_E_NS1_11comp_targetILNS1_3genE8ELNS1_11target_archE1030ELNS1_3gpuE2ELNS1_3repE0EEENS1_30default_config_static_selectorELNS0_4arch9wavefront6targetE1EEEvSW_.kd
    .uniform_work_group_size: 1
    .uses_dynamic_stack: false
    .vgpr_count:     0
    .vgpr_spill_count: 0
    .wavefront_size: 64
  - .args:
      - .offset:         0
        .size:           8
        .value_kind:     by_value
      - .address_space:  global
        .offset:         8
        .size:           8
        .value_kind:     global_buffer
      - .address_space:  global
        .offset:         16
        .size:           8
        .value_kind:     global_buffer
    .group_segment_fixed_size: 0
    .kernarg_segment_align: 8
    .kernarg_segment_size: 24
    .language:       OpenCL C
    .language_version:
      - 2
      - 0
    .max_flat_workgroup_size: 256
    .name:           _Z18upper_bound_kernelIsEvmPT_Pl
    .private_segment_fixed_size: 0
    .sgpr_count:     21
    .sgpr_spill_count: 0
    .symbol:         _Z18upper_bound_kernelIsEvmPT_Pl.kd
    .uniform_work_group_size: 1
    .uses_dynamic_stack: false
    .vgpr_count:     3
    .vgpr_spill_count: 0
    .wavefront_size: 64
  - .args:
      - .offset:         0
        .size:           56
        .value_kind:     by_value
    .group_segment_fixed_size: 0
    .kernarg_segment_align: 8
    .kernarg_segment_size: 56
    .language:       OpenCL C
    .language_version:
      - 2
      - 0
    .max_flat_workgroup_size: 128
    .name:           _ZN7rocprim17ROCPRIM_400000_NS6detail17trampoline_kernelINS0_14default_configENS1_27upper_bound_config_selectorIslEEZNS1_14transform_implILb0ES3_S5_N6thrust23THRUST_200600_302600_NS6detail15normal_iteratorINS8_7pointerIsNS8_11hip_rocprim5par_tENS8_11use_defaultESE_EEEENSA_INSB_IlSD_SE_SE_EEEEZNS1_13binary_searchIS3_S5_PsSG_SI_NS1_21upper_bound_search_opENS9_16wrapped_functionINS8_6system6detail7generic6detail18binary_search_lessEbEEEE10hipError_tPvRmT1_T2_T3_mmT4_T5_P12ihipStream_tbEUlRKsE_EEST_SX_SY_mSZ_S12_bEUlT_E_NS1_11comp_targetILNS1_3genE0ELNS1_11target_archE4294967295ELNS1_3gpuE0ELNS1_3repE0EEENS1_30default_config_static_selectorELNS0_4arch9wavefront6targetE1EEEvSW_
    .private_segment_fixed_size: 0
    .sgpr_count:     4
    .sgpr_spill_count: 0
    .symbol:         _ZN7rocprim17ROCPRIM_400000_NS6detail17trampoline_kernelINS0_14default_configENS1_27upper_bound_config_selectorIslEEZNS1_14transform_implILb0ES3_S5_N6thrust23THRUST_200600_302600_NS6detail15normal_iteratorINS8_7pointerIsNS8_11hip_rocprim5par_tENS8_11use_defaultESE_EEEENSA_INSB_IlSD_SE_SE_EEEEZNS1_13binary_searchIS3_S5_PsSG_SI_NS1_21upper_bound_search_opENS9_16wrapped_functionINS8_6system6detail7generic6detail18binary_search_lessEbEEEE10hipError_tPvRmT1_T2_T3_mmT4_T5_P12ihipStream_tbEUlRKsE_EEST_SX_SY_mSZ_S12_bEUlT_E_NS1_11comp_targetILNS1_3genE0ELNS1_11target_archE4294967295ELNS1_3gpuE0ELNS1_3repE0EEENS1_30default_config_static_selectorELNS0_4arch9wavefront6targetE1EEEvSW_.kd
    .uniform_work_group_size: 1
    .uses_dynamic_stack: false
    .vgpr_count:     0
    .vgpr_spill_count: 0
    .wavefront_size: 64
  - .args:
      - .offset:         0
        .size:           56
        .value_kind:     by_value
    .group_segment_fixed_size: 0
    .kernarg_segment_align: 8
    .kernarg_segment_size: 56
    .language:       OpenCL C
    .language_version:
      - 2
      - 0
    .max_flat_workgroup_size: 256
    .name:           _ZN7rocprim17ROCPRIM_400000_NS6detail17trampoline_kernelINS0_14default_configENS1_27upper_bound_config_selectorIslEEZNS1_14transform_implILb0ES3_S5_N6thrust23THRUST_200600_302600_NS6detail15normal_iteratorINS8_7pointerIsNS8_11hip_rocprim5par_tENS8_11use_defaultESE_EEEENSA_INSB_IlSD_SE_SE_EEEEZNS1_13binary_searchIS3_S5_PsSG_SI_NS1_21upper_bound_search_opENS9_16wrapped_functionINS8_6system6detail7generic6detail18binary_search_lessEbEEEE10hipError_tPvRmT1_T2_T3_mmT4_T5_P12ihipStream_tbEUlRKsE_EEST_SX_SY_mSZ_S12_bEUlT_E_NS1_11comp_targetILNS1_3genE5ELNS1_11target_archE942ELNS1_3gpuE9ELNS1_3repE0EEENS1_30default_config_static_selectorELNS0_4arch9wavefront6targetE1EEEvSW_
    .private_segment_fixed_size: 0
    .sgpr_count:     4
    .sgpr_spill_count: 0
    .symbol:         _ZN7rocprim17ROCPRIM_400000_NS6detail17trampoline_kernelINS0_14default_configENS1_27upper_bound_config_selectorIslEEZNS1_14transform_implILb0ES3_S5_N6thrust23THRUST_200600_302600_NS6detail15normal_iteratorINS8_7pointerIsNS8_11hip_rocprim5par_tENS8_11use_defaultESE_EEEENSA_INSB_IlSD_SE_SE_EEEEZNS1_13binary_searchIS3_S5_PsSG_SI_NS1_21upper_bound_search_opENS9_16wrapped_functionINS8_6system6detail7generic6detail18binary_search_lessEbEEEE10hipError_tPvRmT1_T2_T3_mmT4_T5_P12ihipStream_tbEUlRKsE_EEST_SX_SY_mSZ_S12_bEUlT_E_NS1_11comp_targetILNS1_3genE5ELNS1_11target_archE942ELNS1_3gpuE9ELNS1_3repE0EEENS1_30default_config_static_selectorELNS0_4arch9wavefront6targetE1EEEvSW_.kd
    .uniform_work_group_size: 1
    .uses_dynamic_stack: false
    .vgpr_count:     0
    .vgpr_spill_count: 0
    .wavefront_size: 64
  - .args:
      - .offset:         0
        .size:           56
        .value_kind:     by_value
    .group_segment_fixed_size: 0
    .kernarg_segment_align: 8
    .kernarg_segment_size: 56
    .language:       OpenCL C
    .language_version:
      - 2
      - 0
    .max_flat_workgroup_size: 256
    .name:           _ZN7rocprim17ROCPRIM_400000_NS6detail17trampoline_kernelINS0_14default_configENS1_27upper_bound_config_selectorIslEEZNS1_14transform_implILb0ES3_S5_N6thrust23THRUST_200600_302600_NS6detail15normal_iteratorINS8_7pointerIsNS8_11hip_rocprim5par_tENS8_11use_defaultESE_EEEENSA_INSB_IlSD_SE_SE_EEEEZNS1_13binary_searchIS3_S5_PsSG_SI_NS1_21upper_bound_search_opENS9_16wrapped_functionINS8_6system6detail7generic6detail18binary_search_lessEbEEEE10hipError_tPvRmT1_T2_T3_mmT4_T5_P12ihipStream_tbEUlRKsE_EEST_SX_SY_mSZ_S12_bEUlT_E_NS1_11comp_targetILNS1_3genE4ELNS1_11target_archE910ELNS1_3gpuE8ELNS1_3repE0EEENS1_30default_config_static_selectorELNS0_4arch9wavefront6targetE1EEEvSW_
    .private_segment_fixed_size: 0
    .sgpr_count:     4
    .sgpr_spill_count: 0
    .symbol:         _ZN7rocprim17ROCPRIM_400000_NS6detail17trampoline_kernelINS0_14default_configENS1_27upper_bound_config_selectorIslEEZNS1_14transform_implILb0ES3_S5_N6thrust23THRUST_200600_302600_NS6detail15normal_iteratorINS8_7pointerIsNS8_11hip_rocprim5par_tENS8_11use_defaultESE_EEEENSA_INSB_IlSD_SE_SE_EEEEZNS1_13binary_searchIS3_S5_PsSG_SI_NS1_21upper_bound_search_opENS9_16wrapped_functionINS8_6system6detail7generic6detail18binary_search_lessEbEEEE10hipError_tPvRmT1_T2_T3_mmT4_T5_P12ihipStream_tbEUlRKsE_EEST_SX_SY_mSZ_S12_bEUlT_E_NS1_11comp_targetILNS1_3genE4ELNS1_11target_archE910ELNS1_3gpuE8ELNS1_3repE0EEENS1_30default_config_static_selectorELNS0_4arch9wavefront6targetE1EEEvSW_.kd
    .uniform_work_group_size: 1
    .uses_dynamic_stack: false
    .vgpr_count:     0
    .vgpr_spill_count: 0
    .wavefront_size: 64
  - .args:
      - .offset:         0
        .size:           56
        .value_kind:     by_value
    .group_segment_fixed_size: 0
    .kernarg_segment_align: 8
    .kernarg_segment_size: 56
    .language:       OpenCL C
    .language_version:
      - 2
      - 0
    .max_flat_workgroup_size: 128
    .name:           _ZN7rocprim17ROCPRIM_400000_NS6detail17trampoline_kernelINS0_14default_configENS1_27upper_bound_config_selectorIslEEZNS1_14transform_implILb0ES3_S5_N6thrust23THRUST_200600_302600_NS6detail15normal_iteratorINS8_7pointerIsNS8_11hip_rocprim5par_tENS8_11use_defaultESE_EEEENSA_INSB_IlSD_SE_SE_EEEEZNS1_13binary_searchIS3_S5_PsSG_SI_NS1_21upper_bound_search_opENS9_16wrapped_functionINS8_6system6detail7generic6detail18binary_search_lessEbEEEE10hipError_tPvRmT1_T2_T3_mmT4_T5_P12ihipStream_tbEUlRKsE_EEST_SX_SY_mSZ_S12_bEUlT_E_NS1_11comp_targetILNS1_3genE3ELNS1_11target_archE908ELNS1_3gpuE7ELNS1_3repE0EEENS1_30default_config_static_selectorELNS0_4arch9wavefront6targetE1EEEvSW_
    .private_segment_fixed_size: 0
    .sgpr_count:     4
    .sgpr_spill_count: 0
    .symbol:         _ZN7rocprim17ROCPRIM_400000_NS6detail17trampoline_kernelINS0_14default_configENS1_27upper_bound_config_selectorIslEEZNS1_14transform_implILb0ES3_S5_N6thrust23THRUST_200600_302600_NS6detail15normal_iteratorINS8_7pointerIsNS8_11hip_rocprim5par_tENS8_11use_defaultESE_EEEENSA_INSB_IlSD_SE_SE_EEEEZNS1_13binary_searchIS3_S5_PsSG_SI_NS1_21upper_bound_search_opENS9_16wrapped_functionINS8_6system6detail7generic6detail18binary_search_lessEbEEEE10hipError_tPvRmT1_T2_T3_mmT4_T5_P12ihipStream_tbEUlRKsE_EEST_SX_SY_mSZ_S12_bEUlT_E_NS1_11comp_targetILNS1_3genE3ELNS1_11target_archE908ELNS1_3gpuE7ELNS1_3repE0EEENS1_30default_config_static_selectorELNS0_4arch9wavefront6targetE1EEEvSW_.kd
    .uniform_work_group_size: 1
    .uses_dynamic_stack: false
    .vgpr_count:     0
    .vgpr_spill_count: 0
    .wavefront_size: 64
  - .args:
      - .offset:         0
        .size:           56
        .value_kind:     by_value
      - .offset:         56
        .size:           4
        .value_kind:     hidden_block_count_x
      - .offset:         60
        .size:           4
        .value_kind:     hidden_block_count_y
      - .offset:         64
        .size:           4
        .value_kind:     hidden_block_count_z
      - .offset:         68
        .size:           2
        .value_kind:     hidden_group_size_x
      - .offset:         70
        .size:           2
        .value_kind:     hidden_group_size_y
      - .offset:         72
        .size:           2
        .value_kind:     hidden_group_size_z
      - .offset:         74
        .size:           2
        .value_kind:     hidden_remainder_x
      - .offset:         76
        .size:           2
        .value_kind:     hidden_remainder_y
      - .offset:         78
        .size:           2
        .value_kind:     hidden_remainder_z
      - .offset:         96
        .size:           8
        .value_kind:     hidden_global_offset_x
      - .offset:         104
        .size:           8
        .value_kind:     hidden_global_offset_y
      - .offset:         112
        .size:           8
        .value_kind:     hidden_global_offset_z
      - .offset:         120
        .size:           2
        .value_kind:     hidden_grid_dims
    .group_segment_fixed_size: 0
    .kernarg_segment_align: 8
    .kernarg_segment_size: 312
    .language:       OpenCL C
    .language_version:
      - 2
      - 0
    .max_flat_workgroup_size: 256
    .name:           _ZN7rocprim17ROCPRIM_400000_NS6detail17trampoline_kernelINS0_14default_configENS1_27upper_bound_config_selectorIslEEZNS1_14transform_implILb0ES3_S5_N6thrust23THRUST_200600_302600_NS6detail15normal_iteratorINS8_7pointerIsNS8_11hip_rocprim5par_tENS8_11use_defaultESE_EEEENSA_INSB_IlSD_SE_SE_EEEEZNS1_13binary_searchIS3_S5_PsSG_SI_NS1_21upper_bound_search_opENS9_16wrapped_functionINS8_6system6detail7generic6detail18binary_search_lessEbEEEE10hipError_tPvRmT1_T2_T3_mmT4_T5_P12ihipStream_tbEUlRKsE_EEST_SX_SY_mSZ_S12_bEUlT_E_NS1_11comp_targetILNS1_3genE2ELNS1_11target_archE906ELNS1_3gpuE6ELNS1_3repE0EEENS1_30default_config_static_selectorELNS0_4arch9wavefront6targetE1EEEvSW_
    .private_segment_fixed_size: 0
    .sgpr_count:     26
    .sgpr_spill_count: 0
    .symbol:         _ZN7rocprim17ROCPRIM_400000_NS6detail17trampoline_kernelINS0_14default_configENS1_27upper_bound_config_selectorIslEEZNS1_14transform_implILb0ES3_S5_N6thrust23THRUST_200600_302600_NS6detail15normal_iteratorINS8_7pointerIsNS8_11hip_rocprim5par_tENS8_11use_defaultESE_EEEENSA_INSB_IlSD_SE_SE_EEEEZNS1_13binary_searchIS3_S5_PsSG_SI_NS1_21upper_bound_search_opENS9_16wrapped_functionINS8_6system6detail7generic6detail18binary_search_lessEbEEEE10hipError_tPvRmT1_T2_T3_mmT4_T5_P12ihipStream_tbEUlRKsE_EEST_SX_SY_mSZ_S12_bEUlT_E_NS1_11comp_targetILNS1_3genE2ELNS1_11target_archE906ELNS1_3gpuE6ELNS1_3repE0EEENS1_30default_config_static_selectorELNS0_4arch9wavefront6targetE1EEEvSW_.kd
    .uniform_work_group_size: 1
    .uses_dynamic_stack: false
    .vgpr_count:     18
    .vgpr_spill_count: 0
    .wavefront_size: 64
  - .args:
      - .offset:         0
        .size:           56
        .value_kind:     by_value
    .group_segment_fixed_size: 0
    .kernarg_segment_align: 8
    .kernarg_segment_size: 56
    .language:       OpenCL C
    .language_version:
      - 2
      - 0
    .max_flat_workgroup_size: 256
    .name:           _ZN7rocprim17ROCPRIM_400000_NS6detail17trampoline_kernelINS0_14default_configENS1_27upper_bound_config_selectorIslEEZNS1_14transform_implILb0ES3_S5_N6thrust23THRUST_200600_302600_NS6detail15normal_iteratorINS8_7pointerIsNS8_11hip_rocprim5par_tENS8_11use_defaultESE_EEEENSA_INSB_IlSD_SE_SE_EEEEZNS1_13binary_searchIS3_S5_PsSG_SI_NS1_21upper_bound_search_opENS9_16wrapped_functionINS8_6system6detail7generic6detail18binary_search_lessEbEEEE10hipError_tPvRmT1_T2_T3_mmT4_T5_P12ihipStream_tbEUlRKsE_EEST_SX_SY_mSZ_S12_bEUlT_E_NS1_11comp_targetILNS1_3genE10ELNS1_11target_archE1201ELNS1_3gpuE5ELNS1_3repE0EEENS1_30default_config_static_selectorELNS0_4arch9wavefront6targetE1EEEvSW_
    .private_segment_fixed_size: 0
    .sgpr_count:     4
    .sgpr_spill_count: 0
    .symbol:         _ZN7rocprim17ROCPRIM_400000_NS6detail17trampoline_kernelINS0_14default_configENS1_27upper_bound_config_selectorIslEEZNS1_14transform_implILb0ES3_S5_N6thrust23THRUST_200600_302600_NS6detail15normal_iteratorINS8_7pointerIsNS8_11hip_rocprim5par_tENS8_11use_defaultESE_EEEENSA_INSB_IlSD_SE_SE_EEEEZNS1_13binary_searchIS3_S5_PsSG_SI_NS1_21upper_bound_search_opENS9_16wrapped_functionINS8_6system6detail7generic6detail18binary_search_lessEbEEEE10hipError_tPvRmT1_T2_T3_mmT4_T5_P12ihipStream_tbEUlRKsE_EEST_SX_SY_mSZ_S12_bEUlT_E_NS1_11comp_targetILNS1_3genE10ELNS1_11target_archE1201ELNS1_3gpuE5ELNS1_3repE0EEENS1_30default_config_static_selectorELNS0_4arch9wavefront6targetE1EEEvSW_.kd
    .uniform_work_group_size: 1
    .uses_dynamic_stack: false
    .vgpr_count:     0
    .vgpr_spill_count: 0
    .wavefront_size: 64
  - .args:
      - .offset:         0
        .size:           56
        .value_kind:     by_value
    .group_segment_fixed_size: 0
    .kernarg_segment_align: 8
    .kernarg_segment_size: 56
    .language:       OpenCL C
    .language_version:
      - 2
      - 0
    .max_flat_workgroup_size: 256
    .name:           _ZN7rocprim17ROCPRIM_400000_NS6detail17trampoline_kernelINS0_14default_configENS1_27upper_bound_config_selectorIslEEZNS1_14transform_implILb0ES3_S5_N6thrust23THRUST_200600_302600_NS6detail15normal_iteratorINS8_7pointerIsNS8_11hip_rocprim5par_tENS8_11use_defaultESE_EEEENSA_INSB_IlSD_SE_SE_EEEEZNS1_13binary_searchIS3_S5_PsSG_SI_NS1_21upper_bound_search_opENS9_16wrapped_functionINS8_6system6detail7generic6detail18binary_search_lessEbEEEE10hipError_tPvRmT1_T2_T3_mmT4_T5_P12ihipStream_tbEUlRKsE_EEST_SX_SY_mSZ_S12_bEUlT_E_NS1_11comp_targetILNS1_3genE10ELNS1_11target_archE1200ELNS1_3gpuE4ELNS1_3repE0EEENS1_30default_config_static_selectorELNS0_4arch9wavefront6targetE1EEEvSW_
    .private_segment_fixed_size: 0
    .sgpr_count:     4
    .sgpr_spill_count: 0
    .symbol:         _ZN7rocprim17ROCPRIM_400000_NS6detail17trampoline_kernelINS0_14default_configENS1_27upper_bound_config_selectorIslEEZNS1_14transform_implILb0ES3_S5_N6thrust23THRUST_200600_302600_NS6detail15normal_iteratorINS8_7pointerIsNS8_11hip_rocprim5par_tENS8_11use_defaultESE_EEEENSA_INSB_IlSD_SE_SE_EEEEZNS1_13binary_searchIS3_S5_PsSG_SI_NS1_21upper_bound_search_opENS9_16wrapped_functionINS8_6system6detail7generic6detail18binary_search_lessEbEEEE10hipError_tPvRmT1_T2_T3_mmT4_T5_P12ihipStream_tbEUlRKsE_EEST_SX_SY_mSZ_S12_bEUlT_E_NS1_11comp_targetILNS1_3genE10ELNS1_11target_archE1200ELNS1_3gpuE4ELNS1_3repE0EEENS1_30default_config_static_selectorELNS0_4arch9wavefront6targetE1EEEvSW_.kd
    .uniform_work_group_size: 1
    .uses_dynamic_stack: false
    .vgpr_count:     0
    .vgpr_spill_count: 0
    .wavefront_size: 64
  - .args:
      - .offset:         0
        .size:           56
        .value_kind:     by_value
    .group_segment_fixed_size: 0
    .kernarg_segment_align: 8
    .kernarg_segment_size: 56
    .language:       OpenCL C
    .language_version:
      - 2
      - 0
    .max_flat_workgroup_size: 64
    .name:           _ZN7rocprim17ROCPRIM_400000_NS6detail17trampoline_kernelINS0_14default_configENS1_27upper_bound_config_selectorIslEEZNS1_14transform_implILb0ES3_S5_N6thrust23THRUST_200600_302600_NS6detail15normal_iteratorINS8_7pointerIsNS8_11hip_rocprim5par_tENS8_11use_defaultESE_EEEENSA_INSB_IlSD_SE_SE_EEEEZNS1_13binary_searchIS3_S5_PsSG_SI_NS1_21upper_bound_search_opENS9_16wrapped_functionINS8_6system6detail7generic6detail18binary_search_lessEbEEEE10hipError_tPvRmT1_T2_T3_mmT4_T5_P12ihipStream_tbEUlRKsE_EEST_SX_SY_mSZ_S12_bEUlT_E_NS1_11comp_targetILNS1_3genE9ELNS1_11target_archE1100ELNS1_3gpuE3ELNS1_3repE0EEENS1_30default_config_static_selectorELNS0_4arch9wavefront6targetE1EEEvSW_
    .private_segment_fixed_size: 0
    .sgpr_count:     4
    .sgpr_spill_count: 0
    .symbol:         _ZN7rocprim17ROCPRIM_400000_NS6detail17trampoline_kernelINS0_14default_configENS1_27upper_bound_config_selectorIslEEZNS1_14transform_implILb0ES3_S5_N6thrust23THRUST_200600_302600_NS6detail15normal_iteratorINS8_7pointerIsNS8_11hip_rocprim5par_tENS8_11use_defaultESE_EEEENSA_INSB_IlSD_SE_SE_EEEEZNS1_13binary_searchIS3_S5_PsSG_SI_NS1_21upper_bound_search_opENS9_16wrapped_functionINS8_6system6detail7generic6detail18binary_search_lessEbEEEE10hipError_tPvRmT1_T2_T3_mmT4_T5_P12ihipStream_tbEUlRKsE_EEST_SX_SY_mSZ_S12_bEUlT_E_NS1_11comp_targetILNS1_3genE9ELNS1_11target_archE1100ELNS1_3gpuE3ELNS1_3repE0EEENS1_30default_config_static_selectorELNS0_4arch9wavefront6targetE1EEEvSW_.kd
    .uniform_work_group_size: 1
    .uses_dynamic_stack: false
    .vgpr_count:     0
    .vgpr_spill_count: 0
    .wavefront_size: 64
  - .args:
      - .offset:         0
        .size:           56
        .value_kind:     by_value
    .group_segment_fixed_size: 0
    .kernarg_segment_align: 8
    .kernarg_segment_size: 56
    .language:       OpenCL C
    .language_version:
      - 2
      - 0
    .max_flat_workgroup_size: 128
    .name:           _ZN7rocprim17ROCPRIM_400000_NS6detail17trampoline_kernelINS0_14default_configENS1_27upper_bound_config_selectorIslEEZNS1_14transform_implILb0ES3_S5_N6thrust23THRUST_200600_302600_NS6detail15normal_iteratorINS8_7pointerIsNS8_11hip_rocprim5par_tENS8_11use_defaultESE_EEEENSA_INSB_IlSD_SE_SE_EEEEZNS1_13binary_searchIS3_S5_PsSG_SI_NS1_21upper_bound_search_opENS9_16wrapped_functionINS8_6system6detail7generic6detail18binary_search_lessEbEEEE10hipError_tPvRmT1_T2_T3_mmT4_T5_P12ihipStream_tbEUlRKsE_EEST_SX_SY_mSZ_S12_bEUlT_E_NS1_11comp_targetILNS1_3genE8ELNS1_11target_archE1030ELNS1_3gpuE2ELNS1_3repE0EEENS1_30default_config_static_selectorELNS0_4arch9wavefront6targetE1EEEvSW_
    .private_segment_fixed_size: 0
    .sgpr_count:     4
    .sgpr_spill_count: 0
    .symbol:         _ZN7rocprim17ROCPRIM_400000_NS6detail17trampoline_kernelINS0_14default_configENS1_27upper_bound_config_selectorIslEEZNS1_14transform_implILb0ES3_S5_N6thrust23THRUST_200600_302600_NS6detail15normal_iteratorINS8_7pointerIsNS8_11hip_rocprim5par_tENS8_11use_defaultESE_EEEENSA_INSB_IlSD_SE_SE_EEEEZNS1_13binary_searchIS3_S5_PsSG_SI_NS1_21upper_bound_search_opENS9_16wrapped_functionINS8_6system6detail7generic6detail18binary_search_lessEbEEEE10hipError_tPvRmT1_T2_T3_mmT4_T5_P12ihipStream_tbEUlRKsE_EEST_SX_SY_mSZ_S12_bEUlT_E_NS1_11comp_targetILNS1_3genE8ELNS1_11target_archE1030ELNS1_3gpuE2ELNS1_3repE0EEENS1_30default_config_static_selectorELNS0_4arch9wavefront6targetE1EEEvSW_.kd
    .uniform_work_group_size: 1
    .uses_dynamic_stack: false
    .vgpr_count:     0
    .vgpr_spill_count: 0
    .wavefront_size: 64
  - .args:
      - .offset:         0
        .size:           16
        .value_kind:     by_value
      - .offset:         16
        .size:           8
        .value_kind:     by_value
      - .offset:         24
        .size:           8
        .value_kind:     by_value
    .group_segment_fixed_size: 0
    .kernarg_segment_align: 8
    .kernarg_segment_size: 32
    .language:       OpenCL C
    .language_version:
      - 2
      - 0
    .max_flat_workgroup_size: 256
    .name:           _ZN6thrust23THRUST_200600_302600_NS11hip_rocprim14__parallel_for6kernelILj256ENS1_20__uninitialized_fill7functorINS0_10device_ptrIbEEbEEmLj1EEEvT0_T1_SA_
    .private_segment_fixed_size: 0
    .sgpr_count:     20
    .sgpr_spill_count: 0
    .symbol:         _ZN6thrust23THRUST_200600_302600_NS11hip_rocprim14__parallel_for6kernelILj256ENS1_20__uninitialized_fill7functorINS0_10device_ptrIbEEbEEmLj1EEEvT0_T1_SA_.kd
    .uniform_work_group_size: 1
    .uses_dynamic_stack: false
    .vgpr_count:     4
    .vgpr_spill_count: 0
    .wavefront_size: 64
  - .args:
      - .offset:         0
        .size:           8
        .value_kind:     by_value
      - .address_space:  global
        .offset:         8
        .size:           8
        .value_kind:     global_buffer
      - .address_space:  global
        .offset:         16
        .size:           8
        .value_kind:     global_buffer
    .group_segment_fixed_size: 0
    .kernarg_segment_align: 8
    .kernarg_segment_size: 24
    .language:       OpenCL C
    .language_version:
      - 2
      - 0
    .max_flat_workgroup_size: 256
    .name:           _Z20binary_search_kernelIdEvmPT_Pb
    .private_segment_fixed_size: 0
    .sgpr_count:     24
    .sgpr_spill_count: 0
    .symbol:         _Z20binary_search_kernelIdEvmPT_Pb.kd
    .uniform_work_group_size: 1
    .uses_dynamic_stack: false
    .vgpr_count:     4
    .vgpr_spill_count: 0
    .wavefront_size: 64
  - .args:
      - .offset:         0
        .size:           56
        .value_kind:     by_value
    .group_segment_fixed_size: 0
    .kernarg_segment_align: 8
    .kernarg_segment_size: 56
    .language:       OpenCL C
    .language_version:
      - 2
      - 0
    .max_flat_workgroup_size: 256
    .name:           _ZN7rocprim17ROCPRIM_400000_NS6detail17trampoline_kernelINS0_14default_configENS1_29binary_search_config_selectorIdiEEZNS1_14transform_implILb0ES3_S5_N6thrust23THRUST_200600_302600_NS6detail15normal_iteratorINS8_7pointerIdNS8_11hip_rocprim5par_tENS8_11use_defaultESE_EEEENSA_INSB_IiSD_SE_SE_EEEEZNS1_13binary_searchIS3_S5_PdSG_SI_NS1_16binary_search_opENS9_16wrapped_functionINS8_6system6detail7generic6detail18binary_search_lessEbEEEE10hipError_tPvRmT1_T2_T3_mmT4_T5_P12ihipStream_tbEUlRKdE_EEST_SX_SY_mSZ_S12_bEUlT_E_NS1_11comp_targetILNS1_3genE0ELNS1_11target_archE4294967295ELNS1_3gpuE0ELNS1_3repE0EEENS1_30default_config_static_selectorELNS0_4arch9wavefront6targetE1EEEvSW_
    .private_segment_fixed_size: 0
    .sgpr_count:     4
    .sgpr_spill_count: 0
    .symbol:         _ZN7rocprim17ROCPRIM_400000_NS6detail17trampoline_kernelINS0_14default_configENS1_29binary_search_config_selectorIdiEEZNS1_14transform_implILb0ES3_S5_N6thrust23THRUST_200600_302600_NS6detail15normal_iteratorINS8_7pointerIdNS8_11hip_rocprim5par_tENS8_11use_defaultESE_EEEENSA_INSB_IiSD_SE_SE_EEEEZNS1_13binary_searchIS3_S5_PdSG_SI_NS1_16binary_search_opENS9_16wrapped_functionINS8_6system6detail7generic6detail18binary_search_lessEbEEEE10hipError_tPvRmT1_T2_T3_mmT4_T5_P12ihipStream_tbEUlRKdE_EEST_SX_SY_mSZ_S12_bEUlT_E_NS1_11comp_targetILNS1_3genE0ELNS1_11target_archE4294967295ELNS1_3gpuE0ELNS1_3repE0EEENS1_30default_config_static_selectorELNS0_4arch9wavefront6targetE1EEEvSW_.kd
    .uniform_work_group_size: 1
    .uses_dynamic_stack: false
    .vgpr_count:     0
    .vgpr_spill_count: 0
    .wavefront_size: 64
  - .args:
      - .offset:         0
        .size:           56
        .value_kind:     by_value
    .group_segment_fixed_size: 0
    .kernarg_segment_align: 8
    .kernarg_segment_size: 56
    .language:       OpenCL C
    .language_version:
      - 2
      - 0
    .max_flat_workgroup_size: 128
    .name:           _ZN7rocprim17ROCPRIM_400000_NS6detail17trampoline_kernelINS0_14default_configENS1_29binary_search_config_selectorIdiEEZNS1_14transform_implILb0ES3_S5_N6thrust23THRUST_200600_302600_NS6detail15normal_iteratorINS8_7pointerIdNS8_11hip_rocprim5par_tENS8_11use_defaultESE_EEEENSA_INSB_IiSD_SE_SE_EEEEZNS1_13binary_searchIS3_S5_PdSG_SI_NS1_16binary_search_opENS9_16wrapped_functionINS8_6system6detail7generic6detail18binary_search_lessEbEEEE10hipError_tPvRmT1_T2_T3_mmT4_T5_P12ihipStream_tbEUlRKdE_EEST_SX_SY_mSZ_S12_bEUlT_E_NS1_11comp_targetILNS1_3genE5ELNS1_11target_archE942ELNS1_3gpuE9ELNS1_3repE0EEENS1_30default_config_static_selectorELNS0_4arch9wavefront6targetE1EEEvSW_
    .private_segment_fixed_size: 0
    .sgpr_count:     4
    .sgpr_spill_count: 0
    .symbol:         _ZN7rocprim17ROCPRIM_400000_NS6detail17trampoline_kernelINS0_14default_configENS1_29binary_search_config_selectorIdiEEZNS1_14transform_implILb0ES3_S5_N6thrust23THRUST_200600_302600_NS6detail15normal_iteratorINS8_7pointerIdNS8_11hip_rocprim5par_tENS8_11use_defaultESE_EEEENSA_INSB_IiSD_SE_SE_EEEEZNS1_13binary_searchIS3_S5_PdSG_SI_NS1_16binary_search_opENS9_16wrapped_functionINS8_6system6detail7generic6detail18binary_search_lessEbEEEE10hipError_tPvRmT1_T2_T3_mmT4_T5_P12ihipStream_tbEUlRKdE_EEST_SX_SY_mSZ_S12_bEUlT_E_NS1_11comp_targetILNS1_3genE5ELNS1_11target_archE942ELNS1_3gpuE9ELNS1_3repE0EEENS1_30default_config_static_selectorELNS0_4arch9wavefront6targetE1EEEvSW_.kd
    .uniform_work_group_size: 1
    .uses_dynamic_stack: false
    .vgpr_count:     0
    .vgpr_spill_count: 0
    .wavefront_size: 64
  - .args:
      - .offset:         0
        .size:           56
        .value_kind:     by_value
    .group_segment_fixed_size: 0
    .kernarg_segment_align: 8
    .kernarg_segment_size: 56
    .language:       OpenCL C
    .language_version:
      - 2
      - 0
    .max_flat_workgroup_size: 64
    .name:           _ZN7rocprim17ROCPRIM_400000_NS6detail17trampoline_kernelINS0_14default_configENS1_29binary_search_config_selectorIdiEEZNS1_14transform_implILb0ES3_S5_N6thrust23THRUST_200600_302600_NS6detail15normal_iteratorINS8_7pointerIdNS8_11hip_rocprim5par_tENS8_11use_defaultESE_EEEENSA_INSB_IiSD_SE_SE_EEEEZNS1_13binary_searchIS3_S5_PdSG_SI_NS1_16binary_search_opENS9_16wrapped_functionINS8_6system6detail7generic6detail18binary_search_lessEbEEEE10hipError_tPvRmT1_T2_T3_mmT4_T5_P12ihipStream_tbEUlRKdE_EEST_SX_SY_mSZ_S12_bEUlT_E_NS1_11comp_targetILNS1_3genE4ELNS1_11target_archE910ELNS1_3gpuE8ELNS1_3repE0EEENS1_30default_config_static_selectorELNS0_4arch9wavefront6targetE1EEEvSW_
    .private_segment_fixed_size: 0
    .sgpr_count:     4
    .sgpr_spill_count: 0
    .symbol:         _ZN7rocprim17ROCPRIM_400000_NS6detail17trampoline_kernelINS0_14default_configENS1_29binary_search_config_selectorIdiEEZNS1_14transform_implILb0ES3_S5_N6thrust23THRUST_200600_302600_NS6detail15normal_iteratorINS8_7pointerIdNS8_11hip_rocprim5par_tENS8_11use_defaultESE_EEEENSA_INSB_IiSD_SE_SE_EEEEZNS1_13binary_searchIS3_S5_PdSG_SI_NS1_16binary_search_opENS9_16wrapped_functionINS8_6system6detail7generic6detail18binary_search_lessEbEEEE10hipError_tPvRmT1_T2_T3_mmT4_T5_P12ihipStream_tbEUlRKdE_EEST_SX_SY_mSZ_S12_bEUlT_E_NS1_11comp_targetILNS1_3genE4ELNS1_11target_archE910ELNS1_3gpuE8ELNS1_3repE0EEENS1_30default_config_static_selectorELNS0_4arch9wavefront6targetE1EEEvSW_.kd
    .uniform_work_group_size: 1
    .uses_dynamic_stack: false
    .vgpr_count:     0
    .vgpr_spill_count: 0
    .wavefront_size: 64
  - .args:
      - .offset:         0
        .size:           56
        .value_kind:     by_value
    .group_segment_fixed_size: 0
    .kernarg_segment_align: 8
    .kernarg_segment_size: 56
    .language:       OpenCL C
    .language_version:
      - 2
      - 0
    .max_flat_workgroup_size: 256
    .name:           _ZN7rocprim17ROCPRIM_400000_NS6detail17trampoline_kernelINS0_14default_configENS1_29binary_search_config_selectorIdiEEZNS1_14transform_implILb0ES3_S5_N6thrust23THRUST_200600_302600_NS6detail15normal_iteratorINS8_7pointerIdNS8_11hip_rocprim5par_tENS8_11use_defaultESE_EEEENSA_INSB_IiSD_SE_SE_EEEEZNS1_13binary_searchIS3_S5_PdSG_SI_NS1_16binary_search_opENS9_16wrapped_functionINS8_6system6detail7generic6detail18binary_search_lessEbEEEE10hipError_tPvRmT1_T2_T3_mmT4_T5_P12ihipStream_tbEUlRKdE_EEST_SX_SY_mSZ_S12_bEUlT_E_NS1_11comp_targetILNS1_3genE3ELNS1_11target_archE908ELNS1_3gpuE7ELNS1_3repE0EEENS1_30default_config_static_selectorELNS0_4arch9wavefront6targetE1EEEvSW_
    .private_segment_fixed_size: 0
    .sgpr_count:     4
    .sgpr_spill_count: 0
    .symbol:         _ZN7rocprim17ROCPRIM_400000_NS6detail17trampoline_kernelINS0_14default_configENS1_29binary_search_config_selectorIdiEEZNS1_14transform_implILb0ES3_S5_N6thrust23THRUST_200600_302600_NS6detail15normal_iteratorINS8_7pointerIdNS8_11hip_rocprim5par_tENS8_11use_defaultESE_EEEENSA_INSB_IiSD_SE_SE_EEEEZNS1_13binary_searchIS3_S5_PdSG_SI_NS1_16binary_search_opENS9_16wrapped_functionINS8_6system6detail7generic6detail18binary_search_lessEbEEEE10hipError_tPvRmT1_T2_T3_mmT4_T5_P12ihipStream_tbEUlRKdE_EEST_SX_SY_mSZ_S12_bEUlT_E_NS1_11comp_targetILNS1_3genE3ELNS1_11target_archE908ELNS1_3gpuE7ELNS1_3repE0EEENS1_30default_config_static_selectorELNS0_4arch9wavefront6targetE1EEEvSW_.kd
    .uniform_work_group_size: 1
    .uses_dynamic_stack: false
    .vgpr_count:     0
    .vgpr_spill_count: 0
    .wavefront_size: 64
  - .args:
      - .offset:         0
        .size:           56
        .value_kind:     by_value
      - .offset:         56
        .size:           4
        .value_kind:     hidden_block_count_x
      - .offset:         60
        .size:           4
        .value_kind:     hidden_block_count_y
      - .offset:         64
        .size:           4
        .value_kind:     hidden_block_count_z
      - .offset:         68
        .size:           2
        .value_kind:     hidden_group_size_x
      - .offset:         70
        .size:           2
        .value_kind:     hidden_group_size_y
      - .offset:         72
        .size:           2
        .value_kind:     hidden_group_size_z
      - .offset:         74
        .size:           2
        .value_kind:     hidden_remainder_x
      - .offset:         76
        .size:           2
        .value_kind:     hidden_remainder_y
      - .offset:         78
        .size:           2
        .value_kind:     hidden_remainder_z
      - .offset:         96
        .size:           8
        .value_kind:     hidden_global_offset_x
      - .offset:         104
        .size:           8
        .value_kind:     hidden_global_offset_y
      - .offset:         112
        .size:           8
        .value_kind:     hidden_global_offset_z
      - .offset:         120
        .size:           2
        .value_kind:     hidden_grid_dims
    .group_segment_fixed_size: 0
    .kernarg_segment_align: 8
    .kernarg_segment_size: 312
    .language:       OpenCL C
    .language_version:
      - 2
      - 0
    .max_flat_workgroup_size: 256
    .name:           _ZN7rocprim17ROCPRIM_400000_NS6detail17trampoline_kernelINS0_14default_configENS1_29binary_search_config_selectorIdiEEZNS1_14transform_implILb0ES3_S5_N6thrust23THRUST_200600_302600_NS6detail15normal_iteratorINS8_7pointerIdNS8_11hip_rocprim5par_tENS8_11use_defaultESE_EEEENSA_INSB_IiSD_SE_SE_EEEEZNS1_13binary_searchIS3_S5_PdSG_SI_NS1_16binary_search_opENS9_16wrapped_functionINS8_6system6detail7generic6detail18binary_search_lessEbEEEE10hipError_tPvRmT1_T2_T3_mmT4_T5_P12ihipStream_tbEUlRKdE_EEST_SX_SY_mSZ_S12_bEUlT_E_NS1_11comp_targetILNS1_3genE2ELNS1_11target_archE906ELNS1_3gpuE6ELNS1_3repE0EEENS1_30default_config_static_selectorELNS0_4arch9wavefront6targetE1EEEvSW_
    .private_segment_fixed_size: 0
    .sgpr_count:     24
    .sgpr_spill_count: 0
    .symbol:         _ZN7rocprim17ROCPRIM_400000_NS6detail17trampoline_kernelINS0_14default_configENS1_29binary_search_config_selectorIdiEEZNS1_14transform_implILb0ES3_S5_N6thrust23THRUST_200600_302600_NS6detail15normal_iteratorINS8_7pointerIdNS8_11hip_rocprim5par_tENS8_11use_defaultESE_EEEENSA_INSB_IiSD_SE_SE_EEEEZNS1_13binary_searchIS3_S5_PdSG_SI_NS1_16binary_search_opENS9_16wrapped_functionINS8_6system6detail7generic6detail18binary_search_lessEbEEEE10hipError_tPvRmT1_T2_T3_mmT4_T5_P12ihipStream_tbEUlRKdE_EEST_SX_SY_mSZ_S12_bEUlT_E_NS1_11comp_targetILNS1_3genE2ELNS1_11target_archE906ELNS1_3gpuE6ELNS1_3repE0EEENS1_30default_config_static_selectorELNS0_4arch9wavefront6targetE1EEEvSW_.kd
    .uniform_work_group_size: 1
    .uses_dynamic_stack: false
    .vgpr_count:     13
    .vgpr_spill_count: 0
    .wavefront_size: 64
  - .args:
      - .offset:         0
        .size:           56
        .value_kind:     by_value
    .group_segment_fixed_size: 0
    .kernarg_segment_align: 8
    .kernarg_segment_size: 56
    .language:       OpenCL C
    .language_version:
      - 2
      - 0
    .max_flat_workgroup_size: 128
    .name:           _ZN7rocprim17ROCPRIM_400000_NS6detail17trampoline_kernelINS0_14default_configENS1_29binary_search_config_selectorIdiEEZNS1_14transform_implILb0ES3_S5_N6thrust23THRUST_200600_302600_NS6detail15normal_iteratorINS8_7pointerIdNS8_11hip_rocprim5par_tENS8_11use_defaultESE_EEEENSA_INSB_IiSD_SE_SE_EEEEZNS1_13binary_searchIS3_S5_PdSG_SI_NS1_16binary_search_opENS9_16wrapped_functionINS8_6system6detail7generic6detail18binary_search_lessEbEEEE10hipError_tPvRmT1_T2_T3_mmT4_T5_P12ihipStream_tbEUlRKdE_EEST_SX_SY_mSZ_S12_bEUlT_E_NS1_11comp_targetILNS1_3genE10ELNS1_11target_archE1201ELNS1_3gpuE5ELNS1_3repE0EEENS1_30default_config_static_selectorELNS0_4arch9wavefront6targetE1EEEvSW_
    .private_segment_fixed_size: 0
    .sgpr_count:     4
    .sgpr_spill_count: 0
    .symbol:         _ZN7rocprim17ROCPRIM_400000_NS6detail17trampoline_kernelINS0_14default_configENS1_29binary_search_config_selectorIdiEEZNS1_14transform_implILb0ES3_S5_N6thrust23THRUST_200600_302600_NS6detail15normal_iteratorINS8_7pointerIdNS8_11hip_rocprim5par_tENS8_11use_defaultESE_EEEENSA_INSB_IiSD_SE_SE_EEEEZNS1_13binary_searchIS3_S5_PdSG_SI_NS1_16binary_search_opENS9_16wrapped_functionINS8_6system6detail7generic6detail18binary_search_lessEbEEEE10hipError_tPvRmT1_T2_T3_mmT4_T5_P12ihipStream_tbEUlRKdE_EEST_SX_SY_mSZ_S12_bEUlT_E_NS1_11comp_targetILNS1_3genE10ELNS1_11target_archE1201ELNS1_3gpuE5ELNS1_3repE0EEENS1_30default_config_static_selectorELNS0_4arch9wavefront6targetE1EEEvSW_.kd
    .uniform_work_group_size: 1
    .uses_dynamic_stack: false
    .vgpr_count:     0
    .vgpr_spill_count: 0
    .wavefront_size: 64
  - .args:
      - .offset:         0
        .size:           56
        .value_kind:     by_value
    .group_segment_fixed_size: 0
    .kernarg_segment_align: 8
    .kernarg_segment_size: 56
    .language:       OpenCL C
    .language_version:
      - 2
      - 0
    .max_flat_workgroup_size: 128
    .name:           _ZN7rocprim17ROCPRIM_400000_NS6detail17trampoline_kernelINS0_14default_configENS1_29binary_search_config_selectorIdiEEZNS1_14transform_implILb0ES3_S5_N6thrust23THRUST_200600_302600_NS6detail15normal_iteratorINS8_7pointerIdNS8_11hip_rocprim5par_tENS8_11use_defaultESE_EEEENSA_INSB_IiSD_SE_SE_EEEEZNS1_13binary_searchIS3_S5_PdSG_SI_NS1_16binary_search_opENS9_16wrapped_functionINS8_6system6detail7generic6detail18binary_search_lessEbEEEE10hipError_tPvRmT1_T2_T3_mmT4_T5_P12ihipStream_tbEUlRKdE_EEST_SX_SY_mSZ_S12_bEUlT_E_NS1_11comp_targetILNS1_3genE10ELNS1_11target_archE1200ELNS1_3gpuE4ELNS1_3repE0EEENS1_30default_config_static_selectorELNS0_4arch9wavefront6targetE1EEEvSW_
    .private_segment_fixed_size: 0
    .sgpr_count:     4
    .sgpr_spill_count: 0
    .symbol:         _ZN7rocprim17ROCPRIM_400000_NS6detail17trampoline_kernelINS0_14default_configENS1_29binary_search_config_selectorIdiEEZNS1_14transform_implILb0ES3_S5_N6thrust23THRUST_200600_302600_NS6detail15normal_iteratorINS8_7pointerIdNS8_11hip_rocprim5par_tENS8_11use_defaultESE_EEEENSA_INSB_IiSD_SE_SE_EEEEZNS1_13binary_searchIS3_S5_PdSG_SI_NS1_16binary_search_opENS9_16wrapped_functionINS8_6system6detail7generic6detail18binary_search_lessEbEEEE10hipError_tPvRmT1_T2_T3_mmT4_T5_P12ihipStream_tbEUlRKdE_EEST_SX_SY_mSZ_S12_bEUlT_E_NS1_11comp_targetILNS1_3genE10ELNS1_11target_archE1200ELNS1_3gpuE4ELNS1_3repE0EEENS1_30default_config_static_selectorELNS0_4arch9wavefront6targetE1EEEvSW_.kd
    .uniform_work_group_size: 1
    .uses_dynamic_stack: false
    .vgpr_count:     0
    .vgpr_spill_count: 0
    .wavefront_size: 64
  - .args:
      - .offset:         0
        .size:           56
        .value_kind:     by_value
    .group_segment_fixed_size: 0
    .kernarg_segment_align: 8
    .kernarg_segment_size: 56
    .language:       OpenCL C
    .language_version:
      - 2
      - 0
    .max_flat_workgroup_size: 256
    .name:           _ZN7rocprim17ROCPRIM_400000_NS6detail17trampoline_kernelINS0_14default_configENS1_29binary_search_config_selectorIdiEEZNS1_14transform_implILb0ES3_S5_N6thrust23THRUST_200600_302600_NS6detail15normal_iteratorINS8_7pointerIdNS8_11hip_rocprim5par_tENS8_11use_defaultESE_EEEENSA_INSB_IiSD_SE_SE_EEEEZNS1_13binary_searchIS3_S5_PdSG_SI_NS1_16binary_search_opENS9_16wrapped_functionINS8_6system6detail7generic6detail18binary_search_lessEbEEEE10hipError_tPvRmT1_T2_T3_mmT4_T5_P12ihipStream_tbEUlRKdE_EEST_SX_SY_mSZ_S12_bEUlT_E_NS1_11comp_targetILNS1_3genE9ELNS1_11target_archE1100ELNS1_3gpuE3ELNS1_3repE0EEENS1_30default_config_static_selectorELNS0_4arch9wavefront6targetE1EEEvSW_
    .private_segment_fixed_size: 0
    .sgpr_count:     4
    .sgpr_spill_count: 0
    .symbol:         _ZN7rocprim17ROCPRIM_400000_NS6detail17trampoline_kernelINS0_14default_configENS1_29binary_search_config_selectorIdiEEZNS1_14transform_implILb0ES3_S5_N6thrust23THRUST_200600_302600_NS6detail15normal_iteratorINS8_7pointerIdNS8_11hip_rocprim5par_tENS8_11use_defaultESE_EEEENSA_INSB_IiSD_SE_SE_EEEEZNS1_13binary_searchIS3_S5_PdSG_SI_NS1_16binary_search_opENS9_16wrapped_functionINS8_6system6detail7generic6detail18binary_search_lessEbEEEE10hipError_tPvRmT1_T2_T3_mmT4_T5_P12ihipStream_tbEUlRKdE_EEST_SX_SY_mSZ_S12_bEUlT_E_NS1_11comp_targetILNS1_3genE9ELNS1_11target_archE1100ELNS1_3gpuE3ELNS1_3repE0EEENS1_30default_config_static_selectorELNS0_4arch9wavefront6targetE1EEEvSW_.kd
    .uniform_work_group_size: 1
    .uses_dynamic_stack: false
    .vgpr_count:     0
    .vgpr_spill_count: 0
    .wavefront_size: 64
  - .args:
      - .offset:         0
        .size:           56
        .value_kind:     by_value
    .group_segment_fixed_size: 0
    .kernarg_segment_align: 8
    .kernarg_segment_size: 56
    .language:       OpenCL C
    .language_version:
      - 2
      - 0
    .max_flat_workgroup_size: 256
    .name:           _ZN7rocprim17ROCPRIM_400000_NS6detail17trampoline_kernelINS0_14default_configENS1_29binary_search_config_selectorIdiEEZNS1_14transform_implILb0ES3_S5_N6thrust23THRUST_200600_302600_NS6detail15normal_iteratorINS8_7pointerIdNS8_11hip_rocprim5par_tENS8_11use_defaultESE_EEEENSA_INSB_IiSD_SE_SE_EEEEZNS1_13binary_searchIS3_S5_PdSG_SI_NS1_16binary_search_opENS9_16wrapped_functionINS8_6system6detail7generic6detail18binary_search_lessEbEEEE10hipError_tPvRmT1_T2_T3_mmT4_T5_P12ihipStream_tbEUlRKdE_EEST_SX_SY_mSZ_S12_bEUlT_E_NS1_11comp_targetILNS1_3genE8ELNS1_11target_archE1030ELNS1_3gpuE2ELNS1_3repE0EEENS1_30default_config_static_selectorELNS0_4arch9wavefront6targetE1EEEvSW_
    .private_segment_fixed_size: 0
    .sgpr_count:     4
    .sgpr_spill_count: 0
    .symbol:         _ZN7rocprim17ROCPRIM_400000_NS6detail17trampoline_kernelINS0_14default_configENS1_29binary_search_config_selectorIdiEEZNS1_14transform_implILb0ES3_S5_N6thrust23THRUST_200600_302600_NS6detail15normal_iteratorINS8_7pointerIdNS8_11hip_rocprim5par_tENS8_11use_defaultESE_EEEENSA_INSB_IiSD_SE_SE_EEEEZNS1_13binary_searchIS3_S5_PdSG_SI_NS1_16binary_search_opENS9_16wrapped_functionINS8_6system6detail7generic6detail18binary_search_lessEbEEEE10hipError_tPvRmT1_T2_T3_mmT4_T5_P12ihipStream_tbEUlRKdE_EEST_SX_SY_mSZ_S12_bEUlT_E_NS1_11comp_targetILNS1_3genE8ELNS1_11target_archE1030ELNS1_3gpuE2ELNS1_3repE0EEENS1_30default_config_static_selectorELNS0_4arch9wavefront6targetE1EEEvSW_.kd
    .uniform_work_group_size: 1
    .uses_dynamic_stack: false
    .vgpr_count:     0
    .vgpr_spill_count: 0
    .wavefront_size: 64
  - .args:
      - .offset:         0
        .size:           8
        .value_kind:     by_value
      - .address_space:  global
        .offset:         8
        .size:           8
        .value_kind:     global_buffer
      - .address_space:  global
        .offset:         16
        .size:           8
        .value_kind:     global_buffer
    .group_segment_fixed_size: 0
    .kernarg_segment_align: 8
    .kernarg_segment_size: 24
    .language:       OpenCL C
    .language_version:
      - 2
      - 0
    .max_flat_workgroup_size: 256
    .name:           _Z20binary_search_kernelIfEvmPT_Pb
    .private_segment_fixed_size: 0
    .sgpr_count:     24
    .sgpr_spill_count: 0
    .symbol:         _Z20binary_search_kernelIfEvmPT_Pb.kd
    .uniform_work_group_size: 1
    .uses_dynamic_stack: false
    .vgpr_count:     3
    .vgpr_spill_count: 0
    .wavefront_size: 64
  - .args:
      - .offset:         0
        .size:           56
        .value_kind:     by_value
    .group_segment_fixed_size: 0
    .kernarg_segment_align: 8
    .kernarg_segment_size: 56
    .language:       OpenCL C
    .language_version:
      - 2
      - 0
    .max_flat_workgroup_size: 256
    .name:           _ZN7rocprim17ROCPRIM_400000_NS6detail17trampoline_kernelINS0_14default_configENS1_29binary_search_config_selectorIfiEEZNS1_14transform_implILb0ES3_S5_N6thrust23THRUST_200600_302600_NS6detail15normal_iteratorINS8_7pointerIfNS8_11hip_rocprim5par_tENS8_11use_defaultESE_EEEENSA_INSB_IiSD_SE_SE_EEEEZNS1_13binary_searchIS3_S5_PfSG_SI_NS1_16binary_search_opENS9_16wrapped_functionINS8_6system6detail7generic6detail18binary_search_lessEbEEEE10hipError_tPvRmT1_T2_T3_mmT4_T5_P12ihipStream_tbEUlRKfE_EEST_SX_SY_mSZ_S12_bEUlT_E_NS1_11comp_targetILNS1_3genE0ELNS1_11target_archE4294967295ELNS1_3gpuE0ELNS1_3repE0EEENS1_30default_config_static_selectorELNS0_4arch9wavefront6targetE1EEEvSW_
    .private_segment_fixed_size: 0
    .sgpr_count:     4
    .sgpr_spill_count: 0
    .symbol:         _ZN7rocprim17ROCPRIM_400000_NS6detail17trampoline_kernelINS0_14default_configENS1_29binary_search_config_selectorIfiEEZNS1_14transform_implILb0ES3_S5_N6thrust23THRUST_200600_302600_NS6detail15normal_iteratorINS8_7pointerIfNS8_11hip_rocprim5par_tENS8_11use_defaultESE_EEEENSA_INSB_IiSD_SE_SE_EEEEZNS1_13binary_searchIS3_S5_PfSG_SI_NS1_16binary_search_opENS9_16wrapped_functionINS8_6system6detail7generic6detail18binary_search_lessEbEEEE10hipError_tPvRmT1_T2_T3_mmT4_T5_P12ihipStream_tbEUlRKfE_EEST_SX_SY_mSZ_S12_bEUlT_E_NS1_11comp_targetILNS1_3genE0ELNS1_11target_archE4294967295ELNS1_3gpuE0ELNS1_3repE0EEENS1_30default_config_static_selectorELNS0_4arch9wavefront6targetE1EEEvSW_.kd
    .uniform_work_group_size: 1
    .uses_dynamic_stack: false
    .vgpr_count:     0
    .vgpr_spill_count: 0
    .wavefront_size: 64
  - .args:
      - .offset:         0
        .size:           56
        .value_kind:     by_value
    .group_segment_fixed_size: 0
    .kernarg_segment_align: 8
    .kernarg_segment_size: 56
    .language:       OpenCL C
    .language_version:
      - 2
      - 0
    .max_flat_workgroup_size: 256
    .name:           _ZN7rocprim17ROCPRIM_400000_NS6detail17trampoline_kernelINS0_14default_configENS1_29binary_search_config_selectorIfiEEZNS1_14transform_implILb0ES3_S5_N6thrust23THRUST_200600_302600_NS6detail15normal_iteratorINS8_7pointerIfNS8_11hip_rocprim5par_tENS8_11use_defaultESE_EEEENSA_INSB_IiSD_SE_SE_EEEEZNS1_13binary_searchIS3_S5_PfSG_SI_NS1_16binary_search_opENS9_16wrapped_functionINS8_6system6detail7generic6detail18binary_search_lessEbEEEE10hipError_tPvRmT1_T2_T3_mmT4_T5_P12ihipStream_tbEUlRKfE_EEST_SX_SY_mSZ_S12_bEUlT_E_NS1_11comp_targetILNS1_3genE5ELNS1_11target_archE942ELNS1_3gpuE9ELNS1_3repE0EEENS1_30default_config_static_selectorELNS0_4arch9wavefront6targetE1EEEvSW_
    .private_segment_fixed_size: 0
    .sgpr_count:     4
    .sgpr_spill_count: 0
    .symbol:         _ZN7rocprim17ROCPRIM_400000_NS6detail17trampoline_kernelINS0_14default_configENS1_29binary_search_config_selectorIfiEEZNS1_14transform_implILb0ES3_S5_N6thrust23THRUST_200600_302600_NS6detail15normal_iteratorINS8_7pointerIfNS8_11hip_rocprim5par_tENS8_11use_defaultESE_EEEENSA_INSB_IiSD_SE_SE_EEEEZNS1_13binary_searchIS3_S5_PfSG_SI_NS1_16binary_search_opENS9_16wrapped_functionINS8_6system6detail7generic6detail18binary_search_lessEbEEEE10hipError_tPvRmT1_T2_T3_mmT4_T5_P12ihipStream_tbEUlRKfE_EEST_SX_SY_mSZ_S12_bEUlT_E_NS1_11comp_targetILNS1_3genE5ELNS1_11target_archE942ELNS1_3gpuE9ELNS1_3repE0EEENS1_30default_config_static_selectorELNS0_4arch9wavefront6targetE1EEEvSW_.kd
    .uniform_work_group_size: 1
    .uses_dynamic_stack: false
    .vgpr_count:     0
    .vgpr_spill_count: 0
    .wavefront_size: 64
  - .args:
      - .offset:         0
        .size:           56
        .value_kind:     by_value
    .group_segment_fixed_size: 0
    .kernarg_segment_align: 8
    .kernarg_segment_size: 56
    .language:       OpenCL C
    .language_version:
      - 2
      - 0
    .max_flat_workgroup_size: 256
    .name:           _ZN7rocprim17ROCPRIM_400000_NS6detail17trampoline_kernelINS0_14default_configENS1_29binary_search_config_selectorIfiEEZNS1_14transform_implILb0ES3_S5_N6thrust23THRUST_200600_302600_NS6detail15normal_iteratorINS8_7pointerIfNS8_11hip_rocprim5par_tENS8_11use_defaultESE_EEEENSA_INSB_IiSD_SE_SE_EEEEZNS1_13binary_searchIS3_S5_PfSG_SI_NS1_16binary_search_opENS9_16wrapped_functionINS8_6system6detail7generic6detail18binary_search_lessEbEEEE10hipError_tPvRmT1_T2_T3_mmT4_T5_P12ihipStream_tbEUlRKfE_EEST_SX_SY_mSZ_S12_bEUlT_E_NS1_11comp_targetILNS1_3genE4ELNS1_11target_archE910ELNS1_3gpuE8ELNS1_3repE0EEENS1_30default_config_static_selectorELNS0_4arch9wavefront6targetE1EEEvSW_
    .private_segment_fixed_size: 0
    .sgpr_count:     4
    .sgpr_spill_count: 0
    .symbol:         _ZN7rocprim17ROCPRIM_400000_NS6detail17trampoline_kernelINS0_14default_configENS1_29binary_search_config_selectorIfiEEZNS1_14transform_implILb0ES3_S5_N6thrust23THRUST_200600_302600_NS6detail15normal_iteratorINS8_7pointerIfNS8_11hip_rocprim5par_tENS8_11use_defaultESE_EEEENSA_INSB_IiSD_SE_SE_EEEEZNS1_13binary_searchIS3_S5_PfSG_SI_NS1_16binary_search_opENS9_16wrapped_functionINS8_6system6detail7generic6detail18binary_search_lessEbEEEE10hipError_tPvRmT1_T2_T3_mmT4_T5_P12ihipStream_tbEUlRKfE_EEST_SX_SY_mSZ_S12_bEUlT_E_NS1_11comp_targetILNS1_3genE4ELNS1_11target_archE910ELNS1_3gpuE8ELNS1_3repE0EEENS1_30default_config_static_selectorELNS0_4arch9wavefront6targetE1EEEvSW_.kd
    .uniform_work_group_size: 1
    .uses_dynamic_stack: false
    .vgpr_count:     0
    .vgpr_spill_count: 0
    .wavefront_size: 64
  - .args:
      - .offset:         0
        .size:           56
        .value_kind:     by_value
    .group_segment_fixed_size: 0
    .kernarg_segment_align: 8
    .kernarg_segment_size: 56
    .language:       OpenCL C
    .language_version:
      - 2
      - 0
    .max_flat_workgroup_size: 256
    .name:           _ZN7rocprim17ROCPRIM_400000_NS6detail17trampoline_kernelINS0_14default_configENS1_29binary_search_config_selectorIfiEEZNS1_14transform_implILb0ES3_S5_N6thrust23THRUST_200600_302600_NS6detail15normal_iteratorINS8_7pointerIfNS8_11hip_rocprim5par_tENS8_11use_defaultESE_EEEENSA_INSB_IiSD_SE_SE_EEEEZNS1_13binary_searchIS3_S5_PfSG_SI_NS1_16binary_search_opENS9_16wrapped_functionINS8_6system6detail7generic6detail18binary_search_lessEbEEEE10hipError_tPvRmT1_T2_T3_mmT4_T5_P12ihipStream_tbEUlRKfE_EEST_SX_SY_mSZ_S12_bEUlT_E_NS1_11comp_targetILNS1_3genE3ELNS1_11target_archE908ELNS1_3gpuE7ELNS1_3repE0EEENS1_30default_config_static_selectorELNS0_4arch9wavefront6targetE1EEEvSW_
    .private_segment_fixed_size: 0
    .sgpr_count:     4
    .sgpr_spill_count: 0
    .symbol:         _ZN7rocprim17ROCPRIM_400000_NS6detail17trampoline_kernelINS0_14default_configENS1_29binary_search_config_selectorIfiEEZNS1_14transform_implILb0ES3_S5_N6thrust23THRUST_200600_302600_NS6detail15normal_iteratorINS8_7pointerIfNS8_11hip_rocprim5par_tENS8_11use_defaultESE_EEEENSA_INSB_IiSD_SE_SE_EEEEZNS1_13binary_searchIS3_S5_PfSG_SI_NS1_16binary_search_opENS9_16wrapped_functionINS8_6system6detail7generic6detail18binary_search_lessEbEEEE10hipError_tPvRmT1_T2_T3_mmT4_T5_P12ihipStream_tbEUlRKfE_EEST_SX_SY_mSZ_S12_bEUlT_E_NS1_11comp_targetILNS1_3genE3ELNS1_11target_archE908ELNS1_3gpuE7ELNS1_3repE0EEENS1_30default_config_static_selectorELNS0_4arch9wavefront6targetE1EEEvSW_.kd
    .uniform_work_group_size: 1
    .uses_dynamic_stack: false
    .vgpr_count:     0
    .vgpr_spill_count: 0
    .wavefront_size: 64
  - .args:
      - .offset:         0
        .size:           56
        .value_kind:     by_value
      - .offset:         56
        .size:           4
        .value_kind:     hidden_block_count_x
      - .offset:         60
        .size:           4
        .value_kind:     hidden_block_count_y
      - .offset:         64
        .size:           4
        .value_kind:     hidden_block_count_z
      - .offset:         68
        .size:           2
        .value_kind:     hidden_group_size_x
      - .offset:         70
        .size:           2
        .value_kind:     hidden_group_size_y
      - .offset:         72
        .size:           2
        .value_kind:     hidden_group_size_z
      - .offset:         74
        .size:           2
        .value_kind:     hidden_remainder_x
      - .offset:         76
        .size:           2
        .value_kind:     hidden_remainder_y
      - .offset:         78
        .size:           2
        .value_kind:     hidden_remainder_z
      - .offset:         96
        .size:           8
        .value_kind:     hidden_global_offset_x
      - .offset:         104
        .size:           8
        .value_kind:     hidden_global_offset_y
      - .offset:         112
        .size:           8
        .value_kind:     hidden_global_offset_z
      - .offset:         120
        .size:           2
        .value_kind:     hidden_grid_dims
    .group_segment_fixed_size: 0
    .kernarg_segment_align: 8
    .kernarg_segment_size: 312
    .language:       OpenCL C
    .language_version:
      - 2
      - 0
    .max_flat_workgroup_size: 256
    .name:           _ZN7rocprim17ROCPRIM_400000_NS6detail17trampoline_kernelINS0_14default_configENS1_29binary_search_config_selectorIfiEEZNS1_14transform_implILb0ES3_S5_N6thrust23THRUST_200600_302600_NS6detail15normal_iteratorINS8_7pointerIfNS8_11hip_rocprim5par_tENS8_11use_defaultESE_EEEENSA_INSB_IiSD_SE_SE_EEEEZNS1_13binary_searchIS3_S5_PfSG_SI_NS1_16binary_search_opENS9_16wrapped_functionINS8_6system6detail7generic6detail18binary_search_lessEbEEEE10hipError_tPvRmT1_T2_T3_mmT4_T5_P12ihipStream_tbEUlRKfE_EEST_SX_SY_mSZ_S12_bEUlT_E_NS1_11comp_targetILNS1_3genE2ELNS1_11target_archE906ELNS1_3gpuE6ELNS1_3repE0EEENS1_30default_config_static_selectorELNS0_4arch9wavefront6targetE1EEEvSW_
    .private_segment_fixed_size: 0
    .sgpr_count:     24
    .sgpr_spill_count: 0
    .symbol:         _ZN7rocprim17ROCPRIM_400000_NS6detail17trampoline_kernelINS0_14default_configENS1_29binary_search_config_selectorIfiEEZNS1_14transform_implILb0ES3_S5_N6thrust23THRUST_200600_302600_NS6detail15normal_iteratorINS8_7pointerIfNS8_11hip_rocprim5par_tENS8_11use_defaultESE_EEEENSA_INSB_IiSD_SE_SE_EEEEZNS1_13binary_searchIS3_S5_PfSG_SI_NS1_16binary_search_opENS9_16wrapped_functionINS8_6system6detail7generic6detail18binary_search_lessEbEEEE10hipError_tPvRmT1_T2_T3_mmT4_T5_P12ihipStream_tbEUlRKfE_EEST_SX_SY_mSZ_S12_bEUlT_E_NS1_11comp_targetILNS1_3genE2ELNS1_11target_archE906ELNS1_3gpuE6ELNS1_3repE0EEENS1_30default_config_static_selectorELNS0_4arch9wavefront6targetE1EEEvSW_.kd
    .uniform_work_group_size: 1
    .uses_dynamic_stack: false
    .vgpr_count:     13
    .vgpr_spill_count: 0
    .wavefront_size: 64
  - .args:
      - .offset:         0
        .size:           56
        .value_kind:     by_value
    .group_segment_fixed_size: 0
    .kernarg_segment_align: 8
    .kernarg_segment_size: 56
    .language:       OpenCL C
    .language_version:
      - 2
      - 0
    .max_flat_workgroup_size: 128
    .name:           _ZN7rocprim17ROCPRIM_400000_NS6detail17trampoline_kernelINS0_14default_configENS1_29binary_search_config_selectorIfiEEZNS1_14transform_implILb0ES3_S5_N6thrust23THRUST_200600_302600_NS6detail15normal_iteratorINS8_7pointerIfNS8_11hip_rocprim5par_tENS8_11use_defaultESE_EEEENSA_INSB_IiSD_SE_SE_EEEEZNS1_13binary_searchIS3_S5_PfSG_SI_NS1_16binary_search_opENS9_16wrapped_functionINS8_6system6detail7generic6detail18binary_search_lessEbEEEE10hipError_tPvRmT1_T2_T3_mmT4_T5_P12ihipStream_tbEUlRKfE_EEST_SX_SY_mSZ_S12_bEUlT_E_NS1_11comp_targetILNS1_3genE10ELNS1_11target_archE1201ELNS1_3gpuE5ELNS1_3repE0EEENS1_30default_config_static_selectorELNS0_4arch9wavefront6targetE1EEEvSW_
    .private_segment_fixed_size: 0
    .sgpr_count:     4
    .sgpr_spill_count: 0
    .symbol:         _ZN7rocprim17ROCPRIM_400000_NS6detail17trampoline_kernelINS0_14default_configENS1_29binary_search_config_selectorIfiEEZNS1_14transform_implILb0ES3_S5_N6thrust23THRUST_200600_302600_NS6detail15normal_iteratorINS8_7pointerIfNS8_11hip_rocprim5par_tENS8_11use_defaultESE_EEEENSA_INSB_IiSD_SE_SE_EEEEZNS1_13binary_searchIS3_S5_PfSG_SI_NS1_16binary_search_opENS9_16wrapped_functionINS8_6system6detail7generic6detail18binary_search_lessEbEEEE10hipError_tPvRmT1_T2_T3_mmT4_T5_P12ihipStream_tbEUlRKfE_EEST_SX_SY_mSZ_S12_bEUlT_E_NS1_11comp_targetILNS1_3genE10ELNS1_11target_archE1201ELNS1_3gpuE5ELNS1_3repE0EEENS1_30default_config_static_selectorELNS0_4arch9wavefront6targetE1EEEvSW_.kd
    .uniform_work_group_size: 1
    .uses_dynamic_stack: false
    .vgpr_count:     0
    .vgpr_spill_count: 0
    .wavefront_size: 64
  - .args:
      - .offset:         0
        .size:           56
        .value_kind:     by_value
    .group_segment_fixed_size: 0
    .kernarg_segment_align: 8
    .kernarg_segment_size: 56
    .language:       OpenCL C
    .language_version:
      - 2
      - 0
    .max_flat_workgroup_size: 128
    .name:           _ZN7rocprim17ROCPRIM_400000_NS6detail17trampoline_kernelINS0_14default_configENS1_29binary_search_config_selectorIfiEEZNS1_14transform_implILb0ES3_S5_N6thrust23THRUST_200600_302600_NS6detail15normal_iteratorINS8_7pointerIfNS8_11hip_rocprim5par_tENS8_11use_defaultESE_EEEENSA_INSB_IiSD_SE_SE_EEEEZNS1_13binary_searchIS3_S5_PfSG_SI_NS1_16binary_search_opENS9_16wrapped_functionINS8_6system6detail7generic6detail18binary_search_lessEbEEEE10hipError_tPvRmT1_T2_T3_mmT4_T5_P12ihipStream_tbEUlRKfE_EEST_SX_SY_mSZ_S12_bEUlT_E_NS1_11comp_targetILNS1_3genE10ELNS1_11target_archE1200ELNS1_3gpuE4ELNS1_3repE0EEENS1_30default_config_static_selectorELNS0_4arch9wavefront6targetE1EEEvSW_
    .private_segment_fixed_size: 0
    .sgpr_count:     4
    .sgpr_spill_count: 0
    .symbol:         _ZN7rocprim17ROCPRIM_400000_NS6detail17trampoline_kernelINS0_14default_configENS1_29binary_search_config_selectorIfiEEZNS1_14transform_implILb0ES3_S5_N6thrust23THRUST_200600_302600_NS6detail15normal_iteratorINS8_7pointerIfNS8_11hip_rocprim5par_tENS8_11use_defaultESE_EEEENSA_INSB_IiSD_SE_SE_EEEEZNS1_13binary_searchIS3_S5_PfSG_SI_NS1_16binary_search_opENS9_16wrapped_functionINS8_6system6detail7generic6detail18binary_search_lessEbEEEE10hipError_tPvRmT1_T2_T3_mmT4_T5_P12ihipStream_tbEUlRKfE_EEST_SX_SY_mSZ_S12_bEUlT_E_NS1_11comp_targetILNS1_3genE10ELNS1_11target_archE1200ELNS1_3gpuE4ELNS1_3repE0EEENS1_30default_config_static_selectorELNS0_4arch9wavefront6targetE1EEEvSW_.kd
    .uniform_work_group_size: 1
    .uses_dynamic_stack: false
    .vgpr_count:     0
    .vgpr_spill_count: 0
    .wavefront_size: 64
  - .args:
      - .offset:         0
        .size:           56
        .value_kind:     by_value
    .group_segment_fixed_size: 0
    .kernarg_segment_align: 8
    .kernarg_segment_size: 56
    .language:       OpenCL C
    .language_version:
      - 2
      - 0
    .max_flat_workgroup_size: 256
    .name:           _ZN7rocprim17ROCPRIM_400000_NS6detail17trampoline_kernelINS0_14default_configENS1_29binary_search_config_selectorIfiEEZNS1_14transform_implILb0ES3_S5_N6thrust23THRUST_200600_302600_NS6detail15normal_iteratorINS8_7pointerIfNS8_11hip_rocprim5par_tENS8_11use_defaultESE_EEEENSA_INSB_IiSD_SE_SE_EEEEZNS1_13binary_searchIS3_S5_PfSG_SI_NS1_16binary_search_opENS9_16wrapped_functionINS8_6system6detail7generic6detail18binary_search_lessEbEEEE10hipError_tPvRmT1_T2_T3_mmT4_T5_P12ihipStream_tbEUlRKfE_EEST_SX_SY_mSZ_S12_bEUlT_E_NS1_11comp_targetILNS1_3genE9ELNS1_11target_archE1100ELNS1_3gpuE3ELNS1_3repE0EEENS1_30default_config_static_selectorELNS0_4arch9wavefront6targetE1EEEvSW_
    .private_segment_fixed_size: 0
    .sgpr_count:     4
    .sgpr_spill_count: 0
    .symbol:         _ZN7rocprim17ROCPRIM_400000_NS6detail17trampoline_kernelINS0_14default_configENS1_29binary_search_config_selectorIfiEEZNS1_14transform_implILb0ES3_S5_N6thrust23THRUST_200600_302600_NS6detail15normal_iteratorINS8_7pointerIfNS8_11hip_rocprim5par_tENS8_11use_defaultESE_EEEENSA_INSB_IiSD_SE_SE_EEEEZNS1_13binary_searchIS3_S5_PfSG_SI_NS1_16binary_search_opENS9_16wrapped_functionINS8_6system6detail7generic6detail18binary_search_lessEbEEEE10hipError_tPvRmT1_T2_T3_mmT4_T5_P12ihipStream_tbEUlRKfE_EEST_SX_SY_mSZ_S12_bEUlT_E_NS1_11comp_targetILNS1_3genE9ELNS1_11target_archE1100ELNS1_3gpuE3ELNS1_3repE0EEENS1_30default_config_static_selectorELNS0_4arch9wavefront6targetE1EEEvSW_.kd
    .uniform_work_group_size: 1
    .uses_dynamic_stack: false
    .vgpr_count:     0
    .vgpr_spill_count: 0
    .wavefront_size: 64
  - .args:
      - .offset:         0
        .size:           56
        .value_kind:     by_value
    .group_segment_fixed_size: 0
    .kernarg_segment_align: 8
    .kernarg_segment_size: 56
    .language:       OpenCL C
    .language_version:
      - 2
      - 0
    .max_flat_workgroup_size: 256
    .name:           _ZN7rocprim17ROCPRIM_400000_NS6detail17trampoline_kernelINS0_14default_configENS1_29binary_search_config_selectorIfiEEZNS1_14transform_implILb0ES3_S5_N6thrust23THRUST_200600_302600_NS6detail15normal_iteratorINS8_7pointerIfNS8_11hip_rocprim5par_tENS8_11use_defaultESE_EEEENSA_INSB_IiSD_SE_SE_EEEEZNS1_13binary_searchIS3_S5_PfSG_SI_NS1_16binary_search_opENS9_16wrapped_functionINS8_6system6detail7generic6detail18binary_search_lessEbEEEE10hipError_tPvRmT1_T2_T3_mmT4_T5_P12ihipStream_tbEUlRKfE_EEST_SX_SY_mSZ_S12_bEUlT_E_NS1_11comp_targetILNS1_3genE8ELNS1_11target_archE1030ELNS1_3gpuE2ELNS1_3repE0EEENS1_30default_config_static_selectorELNS0_4arch9wavefront6targetE1EEEvSW_
    .private_segment_fixed_size: 0
    .sgpr_count:     4
    .sgpr_spill_count: 0
    .symbol:         _ZN7rocprim17ROCPRIM_400000_NS6detail17trampoline_kernelINS0_14default_configENS1_29binary_search_config_selectorIfiEEZNS1_14transform_implILb0ES3_S5_N6thrust23THRUST_200600_302600_NS6detail15normal_iteratorINS8_7pointerIfNS8_11hip_rocprim5par_tENS8_11use_defaultESE_EEEENSA_INSB_IiSD_SE_SE_EEEEZNS1_13binary_searchIS3_S5_PfSG_SI_NS1_16binary_search_opENS9_16wrapped_functionINS8_6system6detail7generic6detail18binary_search_lessEbEEEE10hipError_tPvRmT1_T2_T3_mmT4_T5_P12ihipStream_tbEUlRKfE_EEST_SX_SY_mSZ_S12_bEUlT_E_NS1_11comp_targetILNS1_3genE8ELNS1_11target_archE1030ELNS1_3gpuE2ELNS1_3repE0EEENS1_30default_config_static_selectorELNS0_4arch9wavefront6targetE1EEEvSW_.kd
    .uniform_work_group_size: 1
    .uses_dynamic_stack: false
    .vgpr_count:     0
    .vgpr_spill_count: 0
    .wavefront_size: 64
  - .args:
      - .offset:         0
        .size:           8
        .value_kind:     by_value
      - .address_space:  global
        .offset:         8
        .size:           8
        .value_kind:     global_buffer
      - .address_space:  global
        .offset:         16
        .size:           8
        .value_kind:     global_buffer
    .group_segment_fixed_size: 0
    .kernarg_segment_align: 8
    .kernarg_segment_size: 24
    .language:       OpenCL C
    .language_version:
      - 2
      - 0
    .max_flat_workgroup_size: 256
    .name:           _Z20binary_search_kernelIyEvmPT_Pb
    .private_segment_fixed_size: 0
    .sgpr_count:     24
    .sgpr_spill_count: 0
    .symbol:         _Z20binary_search_kernelIyEvmPT_Pb.kd
    .uniform_work_group_size: 1
    .uses_dynamic_stack: false
    .vgpr_count:     3
    .vgpr_spill_count: 0
    .wavefront_size: 64
  - .args:
      - .offset:         0
        .size:           56
        .value_kind:     by_value
    .group_segment_fixed_size: 0
    .kernarg_segment_align: 8
    .kernarg_segment_size: 56
    .language:       OpenCL C
    .language_version:
      - 2
      - 0
    .max_flat_workgroup_size: 256
    .name:           _ZN7rocprim17ROCPRIM_400000_NS6detail17trampoline_kernelINS0_14default_configENS1_29binary_search_config_selectorIyiEEZNS1_14transform_implILb0ES3_S5_N6thrust23THRUST_200600_302600_NS6detail15normal_iteratorINS8_7pointerIyNS8_11hip_rocprim5par_tENS8_11use_defaultESE_EEEENSA_INSB_IiSD_SE_SE_EEEEZNS1_13binary_searchIS3_S5_PySG_SI_NS1_16binary_search_opENS9_16wrapped_functionINS8_6system6detail7generic6detail18binary_search_lessEbEEEE10hipError_tPvRmT1_T2_T3_mmT4_T5_P12ihipStream_tbEUlRKyE_EEST_SX_SY_mSZ_S12_bEUlT_E_NS1_11comp_targetILNS1_3genE0ELNS1_11target_archE4294967295ELNS1_3gpuE0ELNS1_3repE0EEENS1_30default_config_static_selectorELNS0_4arch9wavefront6targetE1EEEvSW_
    .private_segment_fixed_size: 0
    .sgpr_count:     4
    .sgpr_spill_count: 0
    .symbol:         _ZN7rocprim17ROCPRIM_400000_NS6detail17trampoline_kernelINS0_14default_configENS1_29binary_search_config_selectorIyiEEZNS1_14transform_implILb0ES3_S5_N6thrust23THRUST_200600_302600_NS6detail15normal_iteratorINS8_7pointerIyNS8_11hip_rocprim5par_tENS8_11use_defaultESE_EEEENSA_INSB_IiSD_SE_SE_EEEEZNS1_13binary_searchIS3_S5_PySG_SI_NS1_16binary_search_opENS9_16wrapped_functionINS8_6system6detail7generic6detail18binary_search_lessEbEEEE10hipError_tPvRmT1_T2_T3_mmT4_T5_P12ihipStream_tbEUlRKyE_EEST_SX_SY_mSZ_S12_bEUlT_E_NS1_11comp_targetILNS1_3genE0ELNS1_11target_archE4294967295ELNS1_3gpuE0ELNS1_3repE0EEENS1_30default_config_static_selectorELNS0_4arch9wavefront6targetE1EEEvSW_.kd
    .uniform_work_group_size: 1
    .uses_dynamic_stack: false
    .vgpr_count:     0
    .vgpr_spill_count: 0
    .wavefront_size: 64
  - .args:
      - .offset:         0
        .size:           56
        .value_kind:     by_value
    .group_segment_fixed_size: 0
    .kernarg_segment_align: 8
    .kernarg_segment_size: 56
    .language:       OpenCL C
    .language_version:
      - 2
      - 0
    .max_flat_workgroup_size: 64
    .name:           _ZN7rocprim17ROCPRIM_400000_NS6detail17trampoline_kernelINS0_14default_configENS1_29binary_search_config_selectorIyiEEZNS1_14transform_implILb0ES3_S5_N6thrust23THRUST_200600_302600_NS6detail15normal_iteratorINS8_7pointerIyNS8_11hip_rocprim5par_tENS8_11use_defaultESE_EEEENSA_INSB_IiSD_SE_SE_EEEEZNS1_13binary_searchIS3_S5_PySG_SI_NS1_16binary_search_opENS9_16wrapped_functionINS8_6system6detail7generic6detail18binary_search_lessEbEEEE10hipError_tPvRmT1_T2_T3_mmT4_T5_P12ihipStream_tbEUlRKyE_EEST_SX_SY_mSZ_S12_bEUlT_E_NS1_11comp_targetILNS1_3genE5ELNS1_11target_archE942ELNS1_3gpuE9ELNS1_3repE0EEENS1_30default_config_static_selectorELNS0_4arch9wavefront6targetE1EEEvSW_
    .private_segment_fixed_size: 0
    .sgpr_count:     4
    .sgpr_spill_count: 0
    .symbol:         _ZN7rocprim17ROCPRIM_400000_NS6detail17trampoline_kernelINS0_14default_configENS1_29binary_search_config_selectorIyiEEZNS1_14transform_implILb0ES3_S5_N6thrust23THRUST_200600_302600_NS6detail15normal_iteratorINS8_7pointerIyNS8_11hip_rocprim5par_tENS8_11use_defaultESE_EEEENSA_INSB_IiSD_SE_SE_EEEEZNS1_13binary_searchIS3_S5_PySG_SI_NS1_16binary_search_opENS9_16wrapped_functionINS8_6system6detail7generic6detail18binary_search_lessEbEEEE10hipError_tPvRmT1_T2_T3_mmT4_T5_P12ihipStream_tbEUlRKyE_EEST_SX_SY_mSZ_S12_bEUlT_E_NS1_11comp_targetILNS1_3genE5ELNS1_11target_archE942ELNS1_3gpuE9ELNS1_3repE0EEENS1_30default_config_static_selectorELNS0_4arch9wavefront6targetE1EEEvSW_.kd
    .uniform_work_group_size: 1
    .uses_dynamic_stack: false
    .vgpr_count:     0
    .vgpr_spill_count: 0
    .wavefront_size: 64
  - .args:
      - .offset:         0
        .size:           56
        .value_kind:     by_value
    .group_segment_fixed_size: 0
    .kernarg_segment_align: 8
    .kernarg_segment_size: 56
    .language:       OpenCL C
    .language_version:
      - 2
      - 0
    .max_flat_workgroup_size: 64
    .name:           _ZN7rocprim17ROCPRIM_400000_NS6detail17trampoline_kernelINS0_14default_configENS1_29binary_search_config_selectorIyiEEZNS1_14transform_implILb0ES3_S5_N6thrust23THRUST_200600_302600_NS6detail15normal_iteratorINS8_7pointerIyNS8_11hip_rocprim5par_tENS8_11use_defaultESE_EEEENSA_INSB_IiSD_SE_SE_EEEEZNS1_13binary_searchIS3_S5_PySG_SI_NS1_16binary_search_opENS9_16wrapped_functionINS8_6system6detail7generic6detail18binary_search_lessEbEEEE10hipError_tPvRmT1_T2_T3_mmT4_T5_P12ihipStream_tbEUlRKyE_EEST_SX_SY_mSZ_S12_bEUlT_E_NS1_11comp_targetILNS1_3genE4ELNS1_11target_archE910ELNS1_3gpuE8ELNS1_3repE0EEENS1_30default_config_static_selectorELNS0_4arch9wavefront6targetE1EEEvSW_
    .private_segment_fixed_size: 0
    .sgpr_count:     4
    .sgpr_spill_count: 0
    .symbol:         _ZN7rocprim17ROCPRIM_400000_NS6detail17trampoline_kernelINS0_14default_configENS1_29binary_search_config_selectorIyiEEZNS1_14transform_implILb0ES3_S5_N6thrust23THRUST_200600_302600_NS6detail15normal_iteratorINS8_7pointerIyNS8_11hip_rocprim5par_tENS8_11use_defaultESE_EEEENSA_INSB_IiSD_SE_SE_EEEEZNS1_13binary_searchIS3_S5_PySG_SI_NS1_16binary_search_opENS9_16wrapped_functionINS8_6system6detail7generic6detail18binary_search_lessEbEEEE10hipError_tPvRmT1_T2_T3_mmT4_T5_P12ihipStream_tbEUlRKyE_EEST_SX_SY_mSZ_S12_bEUlT_E_NS1_11comp_targetILNS1_3genE4ELNS1_11target_archE910ELNS1_3gpuE8ELNS1_3repE0EEENS1_30default_config_static_selectorELNS0_4arch9wavefront6targetE1EEEvSW_.kd
    .uniform_work_group_size: 1
    .uses_dynamic_stack: false
    .vgpr_count:     0
    .vgpr_spill_count: 0
    .wavefront_size: 64
  - .args:
      - .offset:         0
        .size:           56
        .value_kind:     by_value
    .group_segment_fixed_size: 0
    .kernarg_segment_align: 8
    .kernarg_segment_size: 56
    .language:       OpenCL C
    .language_version:
      - 2
      - 0
    .max_flat_workgroup_size: 256
    .name:           _ZN7rocprim17ROCPRIM_400000_NS6detail17trampoline_kernelINS0_14default_configENS1_29binary_search_config_selectorIyiEEZNS1_14transform_implILb0ES3_S5_N6thrust23THRUST_200600_302600_NS6detail15normal_iteratorINS8_7pointerIyNS8_11hip_rocprim5par_tENS8_11use_defaultESE_EEEENSA_INSB_IiSD_SE_SE_EEEEZNS1_13binary_searchIS3_S5_PySG_SI_NS1_16binary_search_opENS9_16wrapped_functionINS8_6system6detail7generic6detail18binary_search_lessEbEEEE10hipError_tPvRmT1_T2_T3_mmT4_T5_P12ihipStream_tbEUlRKyE_EEST_SX_SY_mSZ_S12_bEUlT_E_NS1_11comp_targetILNS1_3genE3ELNS1_11target_archE908ELNS1_3gpuE7ELNS1_3repE0EEENS1_30default_config_static_selectorELNS0_4arch9wavefront6targetE1EEEvSW_
    .private_segment_fixed_size: 0
    .sgpr_count:     4
    .sgpr_spill_count: 0
    .symbol:         _ZN7rocprim17ROCPRIM_400000_NS6detail17trampoline_kernelINS0_14default_configENS1_29binary_search_config_selectorIyiEEZNS1_14transform_implILb0ES3_S5_N6thrust23THRUST_200600_302600_NS6detail15normal_iteratorINS8_7pointerIyNS8_11hip_rocprim5par_tENS8_11use_defaultESE_EEEENSA_INSB_IiSD_SE_SE_EEEEZNS1_13binary_searchIS3_S5_PySG_SI_NS1_16binary_search_opENS9_16wrapped_functionINS8_6system6detail7generic6detail18binary_search_lessEbEEEE10hipError_tPvRmT1_T2_T3_mmT4_T5_P12ihipStream_tbEUlRKyE_EEST_SX_SY_mSZ_S12_bEUlT_E_NS1_11comp_targetILNS1_3genE3ELNS1_11target_archE908ELNS1_3gpuE7ELNS1_3repE0EEENS1_30default_config_static_selectorELNS0_4arch9wavefront6targetE1EEEvSW_.kd
    .uniform_work_group_size: 1
    .uses_dynamic_stack: false
    .vgpr_count:     0
    .vgpr_spill_count: 0
    .wavefront_size: 64
  - .args:
      - .offset:         0
        .size:           56
        .value_kind:     by_value
      - .offset:         56
        .size:           4
        .value_kind:     hidden_block_count_x
      - .offset:         60
        .size:           4
        .value_kind:     hidden_block_count_y
      - .offset:         64
        .size:           4
        .value_kind:     hidden_block_count_z
      - .offset:         68
        .size:           2
        .value_kind:     hidden_group_size_x
      - .offset:         70
        .size:           2
        .value_kind:     hidden_group_size_y
      - .offset:         72
        .size:           2
        .value_kind:     hidden_group_size_z
      - .offset:         74
        .size:           2
        .value_kind:     hidden_remainder_x
      - .offset:         76
        .size:           2
        .value_kind:     hidden_remainder_y
      - .offset:         78
        .size:           2
        .value_kind:     hidden_remainder_z
      - .offset:         96
        .size:           8
        .value_kind:     hidden_global_offset_x
      - .offset:         104
        .size:           8
        .value_kind:     hidden_global_offset_y
      - .offset:         112
        .size:           8
        .value_kind:     hidden_global_offset_z
      - .offset:         120
        .size:           2
        .value_kind:     hidden_grid_dims
    .group_segment_fixed_size: 0
    .kernarg_segment_align: 8
    .kernarg_segment_size: 312
    .language:       OpenCL C
    .language_version:
      - 2
      - 0
    .max_flat_workgroup_size: 256
    .name:           _ZN7rocprim17ROCPRIM_400000_NS6detail17trampoline_kernelINS0_14default_configENS1_29binary_search_config_selectorIyiEEZNS1_14transform_implILb0ES3_S5_N6thrust23THRUST_200600_302600_NS6detail15normal_iteratorINS8_7pointerIyNS8_11hip_rocprim5par_tENS8_11use_defaultESE_EEEENSA_INSB_IiSD_SE_SE_EEEEZNS1_13binary_searchIS3_S5_PySG_SI_NS1_16binary_search_opENS9_16wrapped_functionINS8_6system6detail7generic6detail18binary_search_lessEbEEEE10hipError_tPvRmT1_T2_T3_mmT4_T5_P12ihipStream_tbEUlRKyE_EEST_SX_SY_mSZ_S12_bEUlT_E_NS1_11comp_targetILNS1_3genE2ELNS1_11target_archE906ELNS1_3gpuE6ELNS1_3repE0EEENS1_30default_config_static_selectorELNS0_4arch9wavefront6targetE1EEEvSW_
    .private_segment_fixed_size: 0
    .sgpr_count:     24
    .sgpr_spill_count: 0
    .symbol:         _ZN7rocprim17ROCPRIM_400000_NS6detail17trampoline_kernelINS0_14default_configENS1_29binary_search_config_selectorIyiEEZNS1_14transform_implILb0ES3_S5_N6thrust23THRUST_200600_302600_NS6detail15normal_iteratorINS8_7pointerIyNS8_11hip_rocprim5par_tENS8_11use_defaultESE_EEEENSA_INSB_IiSD_SE_SE_EEEEZNS1_13binary_searchIS3_S5_PySG_SI_NS1_16binary_search_opENS9_16wrapped_functionINS8_6system6detail7generic6detail18binary_search_lessEbEEEE10hipError_tPvRmT1_T2_T3_mmT4_T5_P12ihipStream_tbEUlRKyE_EEST_SX_SY_mSZ_S12_bEUlT_E_NS1_11comp_targetILNS1_3genE2ELNS1_11target_archE906ELNS1_3gpuE6ELNS1_3repE0EEENS1_30default_config_static_selectorELNS0_4arch9wavefront6targetE1EEEvSW_.kd
    .uniform_work_group_size: 1
    .uses_dynamic_stack: false
    .vgpr_count:     15
    .vgpr_spill_count: 0
    .wavefront_size: 64
  - .args:
      - .offset:         0
        .size:           56
        .value_kind:     by_value
    .group_segment_fixed_size: 0
    .kernarg_segment_align: 8
    .kernarg_segment_size: 56
    .language:       OpenCL C
    .language_version:
      - 2
      - 0
    .max_flat_workgroup_size: 128
    .name:           _ZN7rocprim17ROCPRIM_400000_NS6detail17trampoline_kernelINS0_14default_configENS1_29binary_search_config_selectorIyiEEZNS1_14transform_implILb0ES3_S5_N6thrust23THRUST_200600_302600_NS6detail15normal_iteratorINS8_7pointerIyNS8_11hip_rocprim5par_tENS8_11use_defaultESE_EEEENSA_INSB_IiSD_SE_SE_EEEEZNS1_13binary_searchIS3_S5_PySG_SI_NS1_16binary_search_opENS9_16wrapped_functionINS8_6system6detail7generic6detail18binary_search_lessEbEEEE10hipError_tPvRmT1_T2_T3_mmT4_T5_P12ihipStream_tbEUlRKyE_EEST_SX_SY_mSZ_S12_bEUlT_E_NS1_11comp_targetILNS1_3genE10ELNS1_11target_archE1201ELNS1_3gpuE5ELNS1_3repE0EEENS1_30default_config_static_selectorELNS0_4arch9wavefront6targetE1EEEvSW_
    .private_segment_fixed_size: 0
    .sgpr_count:     4
    .sgpr_spill_count: 0
    .symbol:         _ZN7rocprim17ROCPRIM_400000_NS6detail17trampoline_kernelINS0_14default_configENS1_29binary_search_config_selectorIyiEEZNS1_14transform_implILb0ES3_S5_N6thrust23THRUST_200600_302600_NS6detail15normal_iteratorINS8_7pointerIyNS8_11hip_rocprim5par_tENS8_11use_defaultESE_EEEENSA_INSB_IiSD_SE_SE_EEEEZNS1_13binary_searchIS3_S5_PySG_SI_NS1_16binary_search_opENS9_16wrapped_functionINS8_6system6detail7generic6detail18binary_search_lessEbEEEE10hipError_tPvRmT1_T2_T3_mmT4_T5_P12ihipStream_tbEUlRKyE_EEST_SX_SY_mSZ_S12_bEUlT_E_NS1_11comp_targetILNS1_3genE10ELNS1_11target_archE1201ELNS1_3gpuE5ELNS1_3repE0EEENS1_30default_config_static_selectorELNS0_4arch9wavefront6targetE1EEEvSW_.kd
    .uniform_work_group_size: 1
    .uses_dynamic_stack: false
    .vgpr_count:     0
    .vgpr_spill_count: 0
    .wavefront_size: 64
  - .args:
      - .offset:         0
        .size:           56
        .value_kind:     by_value
    .group_segment_fixed_size: 0
    .kernarg_segment_align: 8
    .kernarg_segment_size: 56
    .language:       OpenCL C
    .language_version:
      - 2
      - 0
    .max_flat_workgroup_size: 128
    .name:           _ZN7rocprim17ROCPRIM_400000_NS6detail17trampoline_kernelINS0_14default_configENS1_29binary_search_config_selectorIyiEEZNS1_14transform_implILb0ES3_S5_N6thrust23THRUST_200600_302600_NS6detail15normal_iteratorINS8_7pointerIyNS8_11hip_rocprim5par_tENS8_11use_defaultESE_EEEENSA_INSB_IiSD_SE_SE_EEEEZNS1_13binary_searchIS3_S5_PySG_SI_NS1_16binary_search_opENS9_16wrapped_functionINS8_6system6detail7generic6detail18binary_search_lessEbEEEE10hipError_tPvRmT1_T2_T3_mmT4_T5_P12ihipStream_tbEUlRKyE_EEST_SX_SY_mSZ_S12_bEUlT_E_NS1_11comp_targetILNS1_3genE10ELNS1_11target_archE1200ELNS1_3gpuE4ELNS1_3repE0EEENS1_30default_config_static_selectorELNS0_4arch9wavefront6targetE1EEEvSW_
    .private_segment_fixed_size: 0
    .sgpr_count:     4
    .sgpr_spill_count: 0
    .symbol:         _ZN7rocprim17ROCPRIM_400000_NS6detail17trampoline_kernelINS0_14default_configENS1_29binary_search_config_selectorIyiEEZNS1_14transform_implILb0ES3_S5_N6thrust23THRUST_200600_302600_NS6detail15normal_iteratorINS8_7pointerIyNS8_11hip_rocprim5par_tENS8_11use_defaultESE_EEEENSA_INSB_IiSD_SE_SE_EEEEZNS1_13binary_searchIS3_S5_PySG_SI_NS1_16binary_search_opENS9_16wrapped_functionINS8_6system6detail7generic6detail18binary_search_lessEbEEEE10hipError_tPvRmT1_T2_T3_mmT4_T5_P12ihipStream_tbEUlRKyE_EEST_SX_SY_mSZ_S12_bEUlT_E_NS1_11comp_targetILNS1_3genE10ELNS1_11target_archE1200ELNS1_3gpuE4ELNS1_3repE0EEENS1_30default_config_static_selectorELNS0_4arch9wavefront6targetE1EEEvSW_.kd
    .uniform_work_group_size: 1
    .uses_dynamic_stack: false
    .vgpr_count:     0
    .vgpr_spill_count: 0
    .wavefront_size: 64
  - .args:
      - .offset:         0
        .size:           56
        .value_kind:     by_value
    .group_segment_fixed_size: 0
    .kernarg_segment_align: 8
    .kernarg_segment_size: 56
    .language:       OpenCL C
    .language_version:
      - 2
      - 0
    .max_flat_workgroup_size: 256
    .name:           _ZN7rocprim17ROCPRIM_400000_NS6detail17trampoline_kernelINS0_14default_configENS1_29binary_search_config_selectorIyiEEZNS1_14transform_implILb0ES3_S5_N6thrust23THRUST_200600_302600_NS6detail15normal_iteratorINS8_7pointerIyNS8_11hip_rocprim5par_tENS8_11use_defaultESE_EEEENSA_INSB_IiSD_SE_SE_EEEEZNS1_13binary_searchIS3_S5_PySG_SI_NS1_16binary_search_opENS9_16wrapped_functionINS8_6system6detail7generic6detail18binary_search_lessEbEEEE10hipError_tPvRmT1_T2_T3_mmT4_T5_P12ihipStream_tbEUlRKyE_EEST_SX_SY_mSZ_S12_bEUlT_E_NS1_11comp_targetILNS1_3genE9ELNS1_11target_archE1100ELNS1_3gpuE3ELNS1_3repE0EEENS1_30default_config_static_selectorELNS0_4arch9wavefront6targetE1EEEvSW_
    .private_segment_fixed_size: 0
    .sgpr_count:     4
    .sgpr_spill_count: 0
    .symbol:         _ZN7rocprim17ROCPRIM_400000_NS6detail17trampoline_kernelINS0_14default_configENS1_29binary_search_config_selectorIyiEEZNS1_14transform_implILb0ES3_S5_N6thrust23THRUST_200600_302600_NS6detail15normal_iteratorINS8_7pointerIyNS8_11hip_rocprim5par_tENS8_11use_defaultESE_EEEENSA_INSB_IiSD_SE_SE_EEEEZNS1_13binary_searchIS3_S5_PySG_SI_NS1_16binary_search_opENS9_16wrapped_functionINS8_6system6detail7generic6detail18binary_search_lessEbEEEE10hipError_tPvRmT1_T2_T3_mmT4_T5_P12ihipStream_tbEUlRKyE_EEST_SX_SY_mSZ_S12_bEUlT_E_NS1_11comp_targetILNS1_3genE9ELNS1_11target_archE1100ELNS1_3gpuE3ELNS1_3repE0EEENS1_30default_config_static_selectorELNS0_4arch9wavefront6targetE1EEEvSW_.kd
    .uniform_work_group_size: 1
    .uses_dynamic_stack: false
    .vgpr_count:     0
    .vgpr_spill_count: 0
    .wavefront_size: 64
  - .args:
      - .offset:         0
        .size:           56
        .value_kind:     by_value
    .group_segment_fixed_size: 0
    .kernarg_segment_align: 8
    .kernarg_segment_size: 56
    .language:       OpenCL C
    .language_version:
      - 2
      - 0
    .max_flat_workgroup_size: 256
    .name:           _ZN7rocprim17ROCPRIM_400000_NS6detail17trampoline_kernelINS0_14default_configENS1_29binary_search_config_selectorIyiEEZNS1_14transform_implILb0ES3_S5_N6thrust23THRUST_200600_302600_NS6detail15normal_iteratorINS8_7pointerIyNS8_11hip_rocprim5par_tENS8_11use_defaultESE_EEEENSA_INSB_IiSD_SE_SE_EEEEZNS1_13binary_searchIS3_S5_PySG_SI_NS1_16binary_search_opENS9_16wrapped_functionINS8_6system6detail7generic6detail18binary_search_lessEbEEEE10hipError_tPvRmT1_T2_T3_mmT4_T5_P12ihipStream_tbEUlRKyE_EEST_SX_SY_mSZ_S12_bEUlT_E_NS1_11comp_targetILNS1_3genE8ELNS1_11target_archE1030ELNS1_3gpuE2ELNS1_3repE0EEENS1_30default_config_static_selectorELNS0_4arch9wavefront6targetE1EEEvSW_
    .private_segment_fixed_size: 0
    .sgpr_count:     4
    .sgpr_spill_count: 0
    .symbol:         _ZN7rocprim17ROCPRIM_400000_NS6detail17trampoline_kernelINS0_14default_configENS1_29binary_search_config_selectorIyiEEZNS1_14transform_implILb0ES3_S5_N6thrust23THRUST_200600_302600_NS6detail15normal_iteratorINS8_7pointerIyNS8_11hip_rocprim5par_tENS8_11use_defaultESE_EEEENSA_INSB_IiSD_SE_SE_EEEEZNS1_13binary_searchIS3_S5_PySG_SI_NS1_16binary_search_opENS9_16wrapped_functionINS8_6system6detail7generic6detail18binary_search_lessEbEEEE10hipError_tPvRmT1_T2_T3_mmT4_T5_P12ihipStream_tbEUlRKyE_EEST_SX_SY_mSZ_S12_bEUlT_E_NS1_11comp_targetILNS1_3genE8ELNS1_11target_archE1030ELNS1_3gpuE2ELNS1_3repE0EEENS1_30default_config_static_selectorELNS0_4arch9wavefront6targetE1EEEvSW_.kd
    .uniform_work_group_size: 1
    .uses_dynamic_stack: false
    .vgpr_count:     0
    .vgpr_spill_count: 0
    .wavefront_size: 64
  - .args:
      - .offset:         0
        .size:           8
        .value_kind:     by_value
      - .address_space:  global
        .offset:         8
        .size:           8
        .value_kind:     global_buffer
      - .address_space:  global
        .offset:         16
        .size:           8
        .value_kind:     global_buffer
    .group_segment_fixed_size: 0
    .kernarg_segment_align: 8
    .kernarg_segment_size: 24
    .language:       OpenCL C
    .language_version:
      - 2
      - 0
    .max_flat_workgroup_size: 256
    .name:           _Z20binary_search_kernelIjEvmPT_Pb
    .private_segment_fixed_size: 0
    .sgpr_count:     23
    .sgpr_spill_count: 0
    .symbol:         _Z20binary_search_kernelIjEvmPT_Pb.kd
    .uniform_work_group_size: 1
    .uses_dynamic_stack: false
    .vgpr_count:     3
    .vgpr_spill_count: 0
    .wavefront_size: 64
  - .args:
      - .offset:         0
        .size:           56
        .value_kind:     by_value
    .group_segment_fixed_size: 0
    .kernarg_segment_align: 8
    .kernarg_segment_size: 56
    .language:       OpenCL C
    .language_version:
      - 2
      - 0
    .max_flat_workgroup_size: 256
    .name:           _ZN7rocprim17ROCPRIM_400000_NS6detail17trampoline_kernelINS0_14default_configENS1_29binary_search_config_selectorIjiEEZNS1_14transform_implILb0ES3_S5_N6thrust23THRUST_200600_302600_NS6detail15normal_iteratorINS8_7pointerIjNS8_11hip_rocprim5par_tENS8_11use_defaultESE_EEEENSA_INSB_IiSD_SE_SE_EEEEZNS1_13binary_searchIS3_S5_PjSG_SI_NS1_16binary_search_opENS9_16wrapped_functionINS8_6system6detail7generic6detail18binary_search_lessEbEEEE10hipError_tPvRmT1_T2_T3_mmT4_T5_P12ihipStream_tbEUlRKjE_EEST_SX_SY_mSZ_S12_bEUlT_E_NS1_11comp_targetILNS1_3genE0ELNS1_11target_archE4294967295ELNS1_3gpuE0ELNS1_3repE0EEENS1_30default_config_static_selectorELNS0_4arch9wavefront6targetE1EEEvSW_
    .private_segment_fixed_size: 0
    .sgpr_count:     4
    .sgpr_spill_count: 0
    .symbol:         _ZN7rocprim17ROCPRIM_400000_NS6detail17trampoline_kernelINS0_14default_configENS1_29binary_search_config_selectorIjiEEZNS1_14transform_implILb0ES3_S5_N6thrust23THRUST_200600_302600_NS6detail15normal_iteratorINS8_7pointerIjNS8_11hip_rocprim5par_tENS8_11use_defaultESE_EEEENSA_INSB_IiSD_SE_SE_EEEEZNS1_13binary_searchIS3_S5_PjSG_SI_NS1_16binary_search_opENS9_16wrapped_functionINS8_6system6detail7generic6detail18binary_search_lessEbEEEE10hipError_tPvRmT1_T2_T3_mmT4_T5_P12ihipStream_tbEUlRKjE_EEST_SX_SY_mSZ_S12_bEUlT_E_NS1_11comp_targetILNS1_3genE0ELNS1_11target_archE4294967295ELNS1_3gpuE0ELNS1_3repE0EEENS1_30default_config_static_selectorELNS0_4arch9wavefront6targetE1EEEvSW_.kd
    .uniform_work_group_size: 1
    .uses_dynamic_stack: false
    .vgpr_count:     0
    .vgpr_spill_count: 0
    .wavefront_size: 64
  - .args:
      - .offset:         0
        .size:           56
        .value_kind:     by_value
    .group_segment_fixed_size: 0
    .kernarg_segment_align: 8
    .kernarg_segment_size: 56
    .language:       OpenCL C
    .language_version:
      - 2
      - 0
    .max_flat_workgroup_size: 256
    .name:           _ZN7rocprim17ROCPRIM_400000_NS6detail17trampoline_kernelINS0_14default_configENS1_29binary_search_config_selectorIjiEEZNS1_14transform_implILb0ES3_S5_N6thrust23THRUST_200600_302600_NS6detail15normal_iteratorINS8_7pointerIjNS8_11hip_rocprim5par_tENS8_11use_defaultESE_EEEENSA_INSB_IiSD_SE_SE_EEEEZNS1_13binary_searchIS3_S5_PjSG_SI_NS1_16binary_search_opENS9_16wrapped_functionINS8_6system6detail7generic6detail18binary_search_lessEbEEEE10hipError_tPvRmT1_T2_T3_mmT4_T5_P12ihipStream_tbEUlRKjE_EEST_SX_SY_mSZ_S12_bEUlT_E_NS1_11comp_targetILNS1_3genE5ELNS1_11target_archE942ELNS1_3gpuE9ELNS1_3repE0EEENS1_30default_config_static_selectorELNS0_4arch9wavefront6targetE1EEEvSW_
    .private_segment_fixed_size: 0
    .sgpr_count:     4
    .sgpr_spill_count: 0
    .symbol:         _ZN7rocprim17ROCPRIM_400000_NS6detail17trampoline_kernelINS0_14default_configENS1_29binary_search_config_selectorIjiEEZNS1_14transform_implILb0ES3_S5_N6thrust23THRUST_200600_302600_NS6detail15normal_iteratorINS8_7pointerIjNS8_11hip_rocprim5par_tENS8_11use_defaultESE_EEEENSA_INSB_IiSD_SE_SE_EEEEZNS1_13binary_searchIS3_S5_PjSG_SI_NS1_16binary_search_opENS9_16wrapped_functionINS8_6system6detail7generic6detail18binary_search_lessEbEEEE10hipError_tPvRmT1_T2_T3_mmT4_T5_P12ihipStream_tbEUlRKjE_EEST_SX_SY_mSZ_S12_bEUlT_E_NS1_11comp_targetILNS1_3genE5ELNS1_11target_archE942ELNS1_3gpuE9ELNS1_3repE0EEENS1_30default_config_static_selectorELNS0_4arch9wavefront6targetE1EEEvSW_.kd
    .uniform_work_group_size: 1
    .uses_dynamic_stack: false
    .vgpr_count:     0
    .vgpr_spill_count: 0
    .wavefront_size: 64
  - .args:
      - .offset:         0
        .size:           56
        .value_kind:     by_value
    .group_segment_fixed_size: 0
    .kernarg_segment_align: 8
    .kernarg_segment_size: 56
    .language:       OpenCL C
    .language_version:
      - 2
      - 0
    .max_flat_workgroup_size: 256
    .name:           _ZN7rocprim17ROCPRIM_400000_NS6detail17trampoline_kernelINS0_14default_configENS1_29binary_search_config_selectorIjiEEZNS1_14transform_implILb0ES3_S5_N6thrust23THRUST_200600_302600_NS6detail15normal_iteratorINS8_7pointerIjNS8_11hip_rocprim5par_tENS8_11use_defaultESE_EEEENSA_INSB_IiSD_SE_SE_EEEEZNS1_13binary_searchIS3_S5_PjSG_SI_NS1_16binary_search_opENS9_16wrapped_functionINS8_6system6detail7generic6detail18binary_search_lessEbEEEE10hipError_tPvRmT1_T2_T3_mmT4_T5_P12ihipStream_tbEUlRKjE_EEST_SX_SY_mSZ_S12_bEUlT_E_NS1_11comp_targetILNS1_3genE4ELNS1_11target_archE910ELNS1_3gpuE8ELNS1_3repE0EEENS1_30default_config_static_selectorELNS0_4arch9wavefront6targetE1EEEvSW_
    .private_segment_fixed_size: 0
    .sgpr_count:     4
    .sgpr_spill_count: 0
    .symbol:         _ZN7rocprim17ROCPRIM_400000_NS6detail17trampoline_kernelINS0_14default_configENS1_29binary_search_config_selectorIjiEEZNS1_14transform_implILb0ES3_S5_N6thrust23THRUST_200600_302600_NS6detail15normal_iteratorINS8_7pointerIjNS8_11hip_rocprim5par_tENS8_11use_defaultESE_EEEENSA_INSB_IiSD_SE_SE_EEEEZNS1_13binary_searchIS3_S5_PjSG_SI_NS1_16binary_search_opENS9_16wrapped_functionINS8_6system6detail7generic6detail18binary_search_lessEbEEEE10hipError_tPvRmT1_T2_T3_mmT4_T5_P12ihipStream_tbEUlRKjE_EEST_SX_SY_mSZ_S12_bEUlT_E_NS1_11comp_targetILNS1_3genE4ELNS1_11target_archE910ELNS1_3gpuE8ELNS1_3repE0EEENS1_30default_config_static_selectorELNS0_4arch9wavefront6targetE1EEEvSW_.kd
    .uniform_work_group_size: 1
    .uses_dynamic_stack: false
    .vgpr_count:     0
    .vgpr_spill_count: 0
    .wavefront_size: 64
  - .args:
      - .offset:         0
        .size:           56
        .value_kind:     by_value
    .group_segment_fixed_size: 0
    .kernarg_segment_align: 8
    .kernarg_segment_size: 56
    .language:       OpenCL C
    .language_version:
      - 2
      - 0
    .max_flat_workgroup_size: 256
    .name:           _ZN7rocprim17ROCPRIM_400000_NS6detail17trampoline_kernelINS0_14default_configENS1_29binary_search_config_selectorIjiEEZNS1_14transform_implILb0ES3_S5_N6thrust23THRUST_200600_302600_NS6detail15normal_iteratorINS8_7pointerIjNS8_11hip_rocprim5par_tENS8_11use_defaultESE_EEEENSA_INSB_IiSD_SE_SE_EEEEZNS1_13binary_searchIS3_S5_PjSG_SI_NS1_16binary_search_opENS9_16wrapped_functionINS8_6system6detail7generic6detail18binary_search_lessEbEEEE10hipError_tPvRmT1_T2_T3_mmT4_T5_P12ihipStream_tbEUlRKjE_EEST_SX_SY_mSZ_S12_bEUlT_E_NS1_11comp_targetILNS1_3genE3ELNS1_11target_archE908ELNS1_3gpuE7ELNS1_3repE0EEENS1_30default_config_static_selectorELNS0_4arch9wavefront6targetE1EEEvSW_
    .private_segment_fixed_size: 0
    .sgpr_count:     4
    .sgpr_spill_count: 0
    .symbol:         _ZN7rocprim17ROCPRIM_400000_NS6detail17trampoline_kernelINS0_14default_configENS1_29binary_search_config_selectorIjiEEZNS1_14transform_implILb0ES3_S5_N6thrust23THRUST_200600_302600_NS6detail15normal_iteratorINS8_7pointerIjNS8_11hip_rocprim5par_tENS8_11use_defaultESE_EEEENSA_INSB_IiSD_SE_SE_EEEEZNS1_13binary_searchIS3_S5_PjSG_SI_NS1_16binary_search_opENS9_16wrapped_functionINS8_6system6detail7generic6detail18binary_search_lessEbEEEE10hipError_tPvRmT1_T2_T3_mmT4_T5_P12ihipStream_tbEUlRKjE_EEST_SX_SY_mSZ_S12_bEUlT_E_NS1_11comp_targetILNS1_3genE3ELNS1_11target_archE908ELNS1_3gpuE7ELNS1_3repE0EEENS1_30default_config_static_selectorELNS0_4arch9wavefront6targetE1EEEvSW_.kd
    .uniform_work_group_size: 1
    .uses_dynamic_stack: false
    .vgpr_count:     0
    .vgpr_spill_count: 0
    .wavefront_size: 64
  - .args:
      - .offset:         0
        .size:           56
        .value_kind:     by_value
      - .offset:         56
        .size:           4
        .value_kind:     hidden_block_count_x
      - .offset:         60
        .size:           4
        .value_kind:     hidden_block_count_y
      - .offset:         64
        .size:           4
        .value_kind:     hidden_block_count_z
      - .offset:         68
        .size:           2
        .value_kind:     hidden_group_size_x
      - .offset:         70
        .size:           2
        .value_kind:     hidden_group_size_y
      - .offset:         72
        .size:           2
        .value_kind:     hidden_group_size_z
      - .offset:         74
        .size:           2
        .value_kind:     hidden_remainder_x
      - .offset:         76
        .size:           2
        .value_kind:     hidden_remainder_y
      - .offset:         78
        .size:           2
        .value_kind:     hidden_remainder_z
      - .offset:         96
        .size:           8
        .value_kind:     hidden_global_offset_x
      - .offset:         104
        .size:           8
        .value_kind:     hidden_global_offset_y
      - .offset:         112
        .size:           8
        .value_kind:     hidden_global_offset_z
      - .offset:         120
        .size:           2
        .value_kind:     hidden_grid_dims
    .group_segment_fixed_size: 0
    .kernarg_segment_align: 8
    .kernarg_segment_size: 312
    .language:       OpenCL C
    .language_version:
      - 2
      - 0
    .max_flat_workgroup_size: 256
    .name:           _ZN7rocprim17ROCPRIM_400000_NS6detail17trampoline_kernelINS0_14default_configENS1_29binary_search_config_selectorIjiEEZNS1_14transform_implILb0ES3_S5_N6thrust23THRUST_200600_302600_NS6detail15normal_iteratorINS8_7pointerIjNS8_11hip_rocprim5par_tENS8_11use_defaultESE_EEEENSA_INSB_IiSD_SE_SE_EEEEZNS1_13binary_searchIS3_S5_PjSG_SI_NS1_16binary_search_opENS9_16wrapped_functionINS8_6system6detail7generic6detail18binary_search_lessEbEEEE10hipError_tPvRmT1_T2_T3_mmT4_T5_P12ihipStream_tbEUlRKjE_EEST_SX_SY_mSZ_S12_bEUlT_E_NS1_11comp_targetILNS1_3genE2ELNS1_11target_archE906ELNS1_3gpuE6ELNS1_3repE0EEENS1_30default_config_static_selectorELNS0_4arch9wavefront6targetE1EEEvSW_
    .private_segment_fixed_size: 0
    .sgpr_count:     24
    .sgpr_spill_count: 0
    .symbol:         _ZN7rocprim17ROCPRIM_400000_NS6detail17trampoline_kernelINS0_14default_configENS1_29binary_search_config_selectorIjiEEZNS1_14transform_implILb0ES3_S5_N6thrust23THRUST_200600_302600_NS6detail15normal_iteratorINS8_7pointerIjNS8_11hip_rocprim5par_tENS8_11use_defaultESE_EEEENSA_INSB_IiSD_SE_SE_EEEEZNS1_13binary_searchIS3_S5_PjSG_SI_NS1_16binary_search_opENS9_16wrapped_functionINS8_6system6detail7generic6detail18binary_search_lessEbEEEE10hipError_tPvRmT1_T2_T3_mmT4_T5_P12ihipStream_tbEUlRKjE_EEST_SX_SY_mSZ_S12_bEUlT_E_NS1_11comp_targetILNS1_3genE2ELNS1_11target_archE906ELNS1_3gpuE6ELNS1_3repE0EEENS1_30default_config_static_selectorELNS0_4arch9wavefront6targetE1EEEvSW_.kd
    .uniform_work_group_size: 1
    .uses_dynamic_stack: false
    .vgpr_count:     13
    .vgpr_spill_count: 0
    .wavefront_size: 64
  - .args:
      - .offset:         0
        .size:           56
        .value_kind:     by_value
    .group_segment_fixed_size: 0
    .kernarg_segment_align: 8
    .kernarg_segment_size: 56
    .language:       OpenCL C
    .language_version:
      - 2
      - 0
    .max_flat_workgroup_size: 128
    .name:           _ZN7rocprim17ROCPRIM_400000_NS6detail17trampoline_kernelINS0_14default_configENS1_29binary_search_config_selectorIjiEEZNS1_14transform_implILb0ES3_S5_N6thrust23THRUST_200600_302600_NS6detail15normal_iteratorINS8_7pointerIjNS8_11hip_rocprim5par_tENS8_11use_defaultESE_EEEENSA_INSB_IiSD_SE_SE_EEEEZNS1_13binary_searchIS3_S5_PjSG_SI_NS1_16binary_search_opENS9_16wrapped_functionINS8_6system6detail7generic6detail18binary_search_lessEbEEEE10hipError_tPvRmT1_T2_T3_mmT4_T5_P12ihipStream_tbEUlRKjE_EEST_SX_SY_mSZ_S12_bEUlT_E_NS1_11comp_targetILNS1_3genE10ELNS1_11target_archE1201ELNS1_3gpuE5ELNS1_3repE0EEENS1_30default_config_static_selectorELNS0_4arch9wavefront6targetE1EEEvSW_
    .private_segment_fixed_size: 0
    .sgpr_count:     4
    .sgpr_spill_count: 0
    .symbol:         _ZN7rocprim17ROCPRIM_400000_NS6detail17trampoline_kernelINS0_14default_configENS1_29binary_search_config_selectorIjiEEZNS1_14transform_implILb0ES3_S5_N6thrust23THRUST_200600_302600_NS6detail15normal_iteratorINS8_7pointerIjNS8_11hip_rocprim5par_tENS8_11use_defaultESE_EEEENSA_INSB_IiSD_SE_SE_EEEEZNS1_13binary_searchIS3_S5_PjSG_SI_NS1_16binary_search_opENS9_16wrapped_functionINS8_6system6detail7generic6detail18binary_search_lessEbEEEE10hipError_tPvRmT1_T2_T3_mmT4_T5_P12ihipStream_tbEUlRKjE_EEST_SX_SY_mSZ_S12_bEUlT_E_NS1_11comp_targetILNS1_3genE10ELNS1_11target_archE1201ELNS1_3gpuE5ELNS1_3repE0EEENS1_30default_config_static_selectorELNS0_4arch9wavefront6targetE1EEEvSW_.kd
    .uniform_work_group_size: 1
    .uses_dynamic_stack: false
    .vgpr_count:     0
    .vgpr_spill_count: 0
    .wavefront_size: 64
  - .args:
      - .offset:         0
        .size:           56
        .value_kind:     by_value
    .group_segment_fixed_size: 0
    .kernarg_segment_align: 8
    .kernarg_segment_size: 56
    .language:       OpenCL C
    .language_version:
      - 2
      - 0
    .max_flat_workgroup_size: 128
    .name:           _ZN7rocprim17ROCPRIM_400000_NS6detail17trampoline_kernelINS0_14default_configENS1_29binary_search_config_selectorIjiEEZNS1_14transform_implILb0ES3_S5_N6thrust23THRUST_200600_302600_NS6detail15normal_iteratorINS8_7pointerIjNS8_11hip_rocprim5par_tENS8_11use_defaultESE_EEEENSA_INSB_IiSD_SE_SE_EEEEZNS1_13binary_searchIS3_S5_PjSG_SI_NS1_16binary_search_opENS9_16wrapped_functionINS8_6system6detail7generic6detail18binary_search_lessEbEEEE10hipError_tPvRmT1_T2_T3_mmT4_T5_P12ihipStream_tbEUlRKjE_EEST_SX_SY_mSZ_S12_bEUlT_E_NS1_11comp_targetILNS1_3genE10ELNS1_11target_archE1200ELNS1_3gpuE4ELNS1_3repE0EEENS1_30default_config_static_selectorELNS0_4arch9wavefront6targetE1EEEvSW_
    .private_segment_fixed_size: 0
    .sgpr_count:     4
    .sgpr_spill_count: 0
    .symbol:         _ZN7rocprim17ROCPRIM_400000_NS6detail17trampoline_kernelINS0_14default_configENS1_29binary_search_config_selectorIjiEEZNS1_14transform_implILb0ES3_S5_N6thrust23THRUST_200600_302600_NS6detail15normal_iteratorINS8_7pointerIjNS8_11hip_rocprim5par_tENS8_11use_defaultESE_EEEENSA_INSB_IiSD_SE_SE_EEEEZNS1_13binary_searchIS3_S5_PjSG_SI_NS1_16binary_search_opENS9_16wrapped_functionINS8_6system6detail7generic6detail18binary_search_lessEbEEEE10hipError_tPvRmT1_T2_T3_mmT4_T5_P12ihipStream_tbEUlRKjE_EEST_SX_SY_mSZ_S12_bEUlT_E_NS1_11comp_targetILNS1_3genE10ELNS1_11target_archE1200ELNS1_3gpuE4ELNS1_3repE0EEENS1_30default_config_static_selectorELNS0_4arch9wavefront6targetE1EEEvSW_.kd
    .uniform_work_group_size: 1
    .uses_dynamic_stack: false
    .vgpr_count:     0
    .vgpr_spill_count: 0
    .wavefront_size: 64
  - .args:
      - .offset:         0
        .size:           56
        .value_kind:     by_value
    .group_segment_fixed_size: 0
    .kernarg_segment_align: 8
    .kernarg_segment_size: 56
    .language:       OpenCL C
    .language_version:
      - 2
      - 0
    .max_flat_workgroup_size: 256
    .name:           _ZN7rocprim17ROCPRIM_400000_NS6detail17trampoline_kernelINS0_14default_configENS1_29binary_search_config_selectorIjiEEZNS1_14transform_implILb0ES3_S5_N6thrust23THRUST_200600_302600_NS6detail15normal_iteratorINS8_7pointerIjNS8_11hip_rocprim5par_tENS8_11use_defaultESE_EEEENSA_INSB_IiSD_SE_SE_EEEEZNS1_13binary_searchIS3_S5_PjSG_SI_NS1_16binary_search_opENS9_16wrapped_functionINS8_6system6detail7generic6detail18binary_search_lessEbEEEE10hipError_tPvRmT1_T2_T3_mmT4_T5_P12ihipStream_tbEUlRKjE_EEST_SX_SY_mSZ_S12_bEUlT_E_NS1_11comp_targetILNS1_3genE9ELNS1_11target_archE1100ELNS1_3gpuE3ELNS1_3repE0EEENS1_30default_config_static_selectorELNS0_4arch9wavefront6targetE1EEEvSW_
    .private_segment_fixed_size: 0
    .sgpr_count:     4
    .sgpr_spill_count: 0
    .symbol:         _ZN7rocprim17ROCPRIM_400000_NS6detail17trampoline_kernelINS0_14default_configENS1_29binary_search_config_selectorIjiEEZNS1_14transform_implILb0ES3_S5_N6thrust23THRUST_200600_302600_NS6detail15normal_iteratorINS8_7pointerIjNS8_11hip_rocprim5par_tENS8_11use_defaultESE_EEEENSA_INSB_IiSD_SE_SE_EEEEZNS1_13binary_searchIS3_S5_PjSG_SI_NS1_16binary_search_opENS9_16wrapped_functionINS8_6system6detail7generic6detail18binary_search_lessEbEEEE10hipError_tPvRmT1_T2_T3_mmT4_T5_P12ihipStream_tbEUlRKjE_EEST_SX_SY_mSZ_S12_bEUlT_E_NS1_11comp_targetILNS1_3genE9ELNS1_11target_archE1100ELNS1_3gpuE3ELNS1_3repE0EEENS1_30default_config_static_selectorELNS0_4arch9wavefront6targetE1EEEvSW_.kd
    .uniform_work_group_size: 1
    .uses_dynamic_stack: false
    .vgpr_count:     0
    .vgpr_spill_count: 0
    .wavefront_size: 64
  - .args:
      - .offset:         0
        .size:           56
        .value_kind:     by_value
    .group_segment_fixed_size: 0
    .kernarg_segment_align: 8
    .kernarg_segment_size: 56
    .language:       OpenCL C
    .language_version:
      - 2
      - 0
    .max_flat_workgroup_size: 256
    .name:           _ZN7rocprim17ROCPRIM_400000_NS6detail17trampoline_kernelINS0_14default_configENS1_29binary_search_config_selectorIjiEEZNS1_14transform_implILb0ES3_S5_N6thrust23THRUST_200600_302600_NS6detail15normal_iteratorINS8_7pointerIjNS8_11hip_rocprim5par_tENS8_11use_defaultESE_EEEENSA_INSB_IiSD_SE_SE_EEEEZNS1_13binary_searchIS3_S5_PjSG_SI_NS1_16binary_search_opENS9_16wrapped_functionINS8_6system6detail7generic6detail18binary_search_lessEbEEEE10hipError_tPvRmT1_T2_T3_mmT4_T5_P12ihipStream_tbEUlRKjE_EEST_SX_SY_mSZ_S12_bEUlT_E_NS1_11comp_targetILNS1_3genE8ELNS1_11target_archE1030ELNS1_3gpuE2ELNS1_3repE0EEENS1_30default_config_static_selectorELNS0_4arch9wavefront6targetE1EEEvSW_
    .private_segment_fixed_size: 0
    .sgpr_count:     4
    .sgpr_spill_count: 0
    .symbol:         _ZN7rocprim17ROCPRIM_400000_NS6detail17trampoline_kernelINS0_14default_configENS1_29binary_search_config_selectorIjiEEZNS1_14transform_implILb0ES3_S5_N6thrust23THRUST_200600_302600_NS6detail15normal_iteratorINS8_7pointerIjNS8_11hip_rocprim5par_tENS8_11use_defaultESE_EEEENSA_INSB_IiSD_SE_SE_EEEEZNS1_13binary_searchIS3_S5_PjSG_SI_NS1_16binary_search_opENS9_16wrapped_functionINS8_6system6detail7generic6detail18binary_search_lessEbEEEE10hipError_tPvRmT1_T2_T3_mmT4_T5_P12ihipStream_tbEUlRKjE_EEST_SX_SY_mSZ_S12_bEUlT_E_NS1_11comp_targetILNS1_3genE8ELNS1_11target_archE1030ELNS1_3gpuE2ELNS1_3repE0EEENS1_30default_config_static_selectorELNS0_4arch9wavefront6targetE1EEEvSW_.kd
    .uniform_work_group_size: 1
    .uses_dynamic_stack: false
    .vgpr_count:     0
    .vgpr_spill_count: 0
    .wavefront_size: 64
  - .args:
      - .offset:         0
        .size:           8
        .value_kind:     by_value
      - .address_space:  global
        .offset:         8
        .size:           8
        .value_kind:     global_buffer
      - .address_space:  global
        .offset:         16
        .size:           8
        .value_kind:     global_buffer
    .group_segment_fixed_size: 0
    .kernarg_segment_align: 8
    .kernarg_segment_size: 24
    .language:       OpenCL C
    .language_version:
      - 2
      - 0
    .max_flat_workgroup_size: 256
    .name:           _Z20binary_search_kernelItEvmPT_Pb
    .private_segment_fixed_size: 0
    .sgpr_count:     23
    .sgpr_spill_count: 0
    .symbol:         _Z20binary_search_kernelItEvmPT_Pb.kd
    .uniform_work_group_size: 1
    .uses_dynamic_stack: false
    .vgpr_count:     3
    .vgpr_spill_count: 0
    .wavefront_size: 64
  - .args:
      - .offset:         0
        .size:           56
        .value_kind:     by_value
    .group_segment_fixed_size: 0
    .kernarg_segment_align: 8
    .kernarg_segment_size: 56
    .language:       OpenCL C
    .language_version:
      - 2
      - 0
    .max_flat_workgroup_size: 128
    .name:           _ZN7rocprim17ROCPRIM_400000_NS6detail17trampoline_kernelINS0_14default_configENS1_29binary_search_config_selectorItiEEZNS1_14transform_implILb0ES3_S5_N6thrust23THRUST_200600_302600_NS6detail15normal_iteratorINS8_7pointerItNS8_11hip_rocprim5par_tENS8_11use_defaultESE_EEEENSA_INSB_IiSD_SE_SE_EEEEZNS1_13binary_searchIS3_S5_PtSG_SI_NS1_16binary_search_opENS9_16wrapped_functionINS8_6system6detail7generic6detail18binary_search_lessEbEEEE10hipError_tPvRmT1_T2_T3_mmT4_T5_P12ihipStream_tbEUlRKtE_EEST_SX_SY_mSZ_S12_bEUlT_E_NS1_11comp_targetILNS1_3genE0ELNS1_11target_archE4294967295ELNS1_3gpuE0ELNS1_3repE0EEENS1_30default_config_static_selectorELNS0_4arch9wavefront6targetE1EEEvSW_
    .private_segment_fixed_size: 0
    .sgpr_count:     4
    .sgpr_spill_count: 0
    .symbol:         _ZN7rocprim17ROCPRIM_400000_NS6detail17trampoline_kernelINS0_14default_configENS1_29binary_search_config_selectorItiEEZNS1_14transform_implILb0ES3_S5_N6thrust23THRUST_200600_302600_NS6detail15normal_iteratorINS8_7pointerItNS8_11hip_rocprim5par_tENS8_11use_defaultESE_EEEENSA_INSB_IiSD_SE_SE_EEEEZNS1_13binary_searchIS3_S5_PtSG_SI_NS1_16binary_search_opENS9_16wrapped_functionINS8_6system6detail7generic6detail18binary_search_lessEbEEEE10hipError_tPvRmT1_T2_T3_mmT4_T5_P12ihipStream_tbEUlRKtE_EEST_SX_SY_mSZ_S12_bEUlT_E_NS1_11comp_targetILNS1_3genE0ELNS1_11target_archE4294967295ELNS1_3gpuE0ELNS1_3repE0EEENS1_30default_config_static_selectorELNS0_4arch9wavefront6targetE1EEEvSW_.kd
    .uniform_work_group_size: 1
    .uses_dynamic_stack: false
    .vgpr_count:     0
    .vgpr_spill_count: 0
    .wavefront_size: 64
  - .args:
      - .offset:         0
        .size:           56
        .value_kind:     by_value
    .group_segment_fixed_size: 0
    .kernarg_segment_align: 8
    .kernarg_segment_size: 56
    .language:       OpenCL C
    .language_version:
      - 2
      - 0
    .max_flat_workgroup_size: 256
    .name:           _ZN7rocprim17ROCPRIM_400000_NS6detail17trampoline_kernelINS0_14default_configENS1_29binary_search_config_selectorItiEEZNS1_14transform_implILb0ES3_S5_N6thrust23THRUST_200600_302600_NS6detail15normal_iteratorINS8_7pointerItNS8_11hip_rocprim5par_tENS8_11use_defaultESE_EEEENSA_INSB_IiSD_SE_SE_EEEEZNS1_13binary_searchIS3_S5_PtSG_SI_NS1_16binary_search_opENS9_16wrapped_functionINS8_6system6detail7generic6detail18binary_search_lessEbEEEE10hipError_tPvRmT1_T2_T3_mmT4_T5_P12ihipStream_tbEUlRKtE_EEST_SX_SY_mSZ_S12_bEUlT_E_NS1_11comp_targetILNS1_3genE5ELNS1_11target_archE942ELNS1_3gpuE9ELNS1_3repE0EEENS1_30default_config_static_selectorELNS0_4arch9wavefront6targetE1EEEvSW_
    .private_segment_fixed_size: 0
    .sgpr_count:     4
    .sgpr_spill_count: 0
    .symbol:         _ZN7rocprim17ROCPRIM_400000_NS6detail17trampoline_kernelINS0_14default_configENS1_29binary_search_config_selectorItiEEZNS1_14transform_implILb0ES3_S5_N6thrust23THRUST_200600_302600_NS6detail15normal_iteratorINS8_7pointerItNS8_11hip_rocprim5par_tENS8_11use_defaultESE_EEEENSA_INSB_IiSD_SE_SE_EEEEZNS1_13binary_searchIS3_S5_PtSG_SI_NS1_16binary_search_opENS9_16wrapped_functionINS8_6system6detail7generic6detail18binary_search_lessEbEEEE10hipError_tPvRmT1_T2_T3_mmT4_T5_P12ihipStream_tbEUlRKtE_EEST_SX_SY_mSZ_S12_bEUlT_E_NS1_11comp_targetILNS1_3genE5ELNS1_11target_archE942ELNS1_3gpuE9ELNS1_3repE0EEENS1_30default_config_static_selectorELNS0_4arch9wavefront6targetE1EEEvSW_.kd
    .uniform_work_group_size: 1
    .uses_dynamic_stack: false
    .vgpr_count:     0
    .vgpr_spill_count: 0
    .wavefront_size: 64
  - .args:
      - .offset:         0
        .size:           56
        .value_kind:     by_value
    .group_segment_fixed_size: 0
    .kernarg_segment_align: 8
    .kernarg_segment_size: 56
    .language:       OpenCL C
    .language_version:
      - 2
      - 0
    .max_flat_workgroup_size: 256
    .name:           _ZN7rocprim17ROCPRIM_400000_NS6detail17trampoline_kernelINS0_14default_configENS1_29binary_search_config_selectorItiEEZNS1_14transform_implILb0ES3_S5_N6thrust23THRUST_200600_302600_NS6detail15normal_iteratorINS8_7pointerItNS8_11hip_rocprim5par_tENS8_11use_defaultESE_EEEENSA_INSB_IiSD_SE_SE_EEEEZNS1_13binary_searchIS3_S5_PtSG_SI_NS1_16binary_search_opENS9_16wrapped_functionINS8_6system6detail7generic6detail18binary_search_lessEbEEEE10hipError_tPvRmT1_T2_T3_mmT4_T5_P12ihipStream_tbEUlRKtE_EEST_SX_SY_mSZ_S12_bEUlT_E_NS1_11comp_targetILNS1_3genE4ELNS1_11target_archE910ELNS1_3gpuE8ELNS1_3repE0EEENS1_30default_config_static_selectorELNS0_4arch9wavefront6targetE1EEEvSW_
    .private_segment_fixed_size: 0
    .sgpr_count:     4
    .sgpr_spill_count: 0
    .symbol:         _ZN7rocprim17ROCPRIM_400000_NS6detail17trampoline_kernelINS0_14default_configENS1_29binary_search_config_selectorItiEEZNS1_14transform_implILb0ES3_S5_N6thrust23THRUST_200600_302600_NS6detail15normal_iteratorINS8_7pointerItNS8_11hip_rocprim5par_tENS8_11use_defaultESE_EEEENSA_INSB_IiSD_SE_SE_EEEEZNS1_13binary_searchIS3_S5_PtSG_SI_NS1_16binary_search_opENS9_16wrapped_functionINS8_6system6detail7generic6detail18binary_search_lessEbEEEE10hipError_tPvRmT1_T2_T3_mmT4_T5_P12ihipStream_tbEUlRKtE_EEST_SX_SY_mSZ_S12_bEUlT_E_NS1_11comp_targetILNS1_3genE4ELNS1_11target_archE910ELNS1_3gpuE8ELNS1_3repE0EEENS1_30default_config_static_selectorELNS0_4arch9wavefront6targetE1EEEvSW_.kd
    .uniform_work_group_size: 1
    .uses_dynamic_stack: false
    .vgpr_count:     0
    .vgpr_spill_count: 0
    .wavefront_size: 64
  - .args:
      - .offset:         0
        .size:           56
        .value_kind:     by_value
    .group_segment_fixed_size: 0
    .kernarg_segment_align: 8
    .kernarg_segment_size: 56
    .language:       OpenCL C
    .language_version:
      - 2
      - 0
    .max_flat_workgroup_size: 128
    .name:           _ZN7rocprim17ROCPRIM_400000_NS6detail17trampoline_kernelINS0_14default_configENS1_29binary_search_config_selectorItiEEZNS1_14transform_implILb0ES3_S5_N6thrust23THRUST_200600_302600_NS6detail15normal_iteratorINS8_7pointerItNS8_11hip_rocprim5par_tENS8_11use_defaultESE_EEEENSA_INSB_IiSD_SE_SE_EEEEZNS1_13binary_searchIS3_S5_PtSG_SI_NS1_16binary_search_opENS9_16wrapped_functionINS8_6system6detail7generic6detail18binary_search_lessEbEEEE10hipError_tPvRmT1_T2_T3_mmT4_T5_P12ihipStream_tbEUlRKtE_EEST_SX_SY_mSZ_S12_bEUlT_E_NS1_11comp_targetILNS1_3genE3ELNS1_11target_archE908ELNS1_3gpuE7ELNS1_3repE0EEENS1_30default_config_static_selectorELNS0_4arch9wavefront6targetE1EEEvSW_
    .private_segment_fixed_size: 0
    .sgpr_count:     4
    .sgpr_spill_count: 0
    .symbol:         _ZN7rocprim17ROCPRIM_400000_NS6detail17trampoline_kernelINS0_14default_configENS1_29binary_search_config_selectorItiEEZNS1_14transform_implILb0ES3_S5_N6thrust23THRUST_200600_302600_NS6detail15normal_iteratorINS8_7pointerItNS8_11hip_rocprim5par_tENS8_11use_defaultESE_EEEENSA_INSB_IiSD_SE_SE_EEEEZNS1_13binary_searchIS3_S5_PtSG_SI_NS1_16binary_search_opENS9_16wrapped_functionINS8_6system6detail7generic6detail18binary_search_lessEbEEEE10hipError_tPvRmT1_T2_T3_mmT4_T5_P12ihipStream_tbEUlRKtE_EEST_SX_SY_mSZ_S12_bEUlT_E_NS1_11comp_targetILNS1_3genE3ELNS1_11target_archE908ELNS1_3gpuE7ELNS1_3repE0EEENS1_30default_config_static_selectorELNS0_4arch9wavefront6targetE1EEEvSW_.kd
    .uniform_work_group_size: 1
    .uses_dynamic_stack: false
    .vgpr_count:     0
    .vgpr_spill_count: 0
    .wavefront_size: 64
  - .args:
      - .offset:         0
        .size:           56
        .value_kind:     by_value
      - .offset:         56
        .size:           4
        .value_kind:     hidden_block_count_x
      - .offset:         60
        .size:           4
        .value_kind:     hidden_block_count_y
      - .offset:         64
        .size:           4
        .value_kind:     hidden_block_count_z
      - .offset:         68
        .size:           2
        .value_kind:     hidden_group_size_x
      - .offset:         70
        .size:           2
        .value_kind:     hidden_group_size_y
      - .offset:         72
        .size:           2
        .value_kind:     hidden_group_size_z
      - .offset:         74
        .size:           2
        .value_kind:     hidden_remainder_x
      - .offset:         76
        .size:           2
        .value_kind:     hidden_remainder_y
      - .offset:         78
        .size:           2
        .value_kind:     hidden_remainder_z
      - .offset:         96
        .size:           8
        .value_kind:     hidden_global_offset_x
      - .offset:         104
        .size:           8
        .value_kind:     hidden_global_offset_y
      - .offset:         112
        .size:           8
        .value_kind:     hidden_global_offset_z
      - .offset:         120
        .size:           2
        .value_kind:     hidden_grid_dims
    .group_segment_fixed_size: 0
    .kernarg_segment_align: 8
    .kernarg_segment_size: 312
    .language:       OpenCL C
    .language_version:
      - 2
      - 0
    .max_flat_workgroup_size: 256
    .name:           _ZN7rocprim17ROCPRIM_400000_NS6detail17trampoline_kernelINS0_14default_configENS1_29binary_search_config_selectorItiEEZNS1_14transform_implILb0ES3_S5_N6thrust23THRUST_200600_302600_NS6detail15normal_iteratorINS8_7pointerItNS8_11hip_rocprim5par_tENS8_11use_defaultESE_EEEENSA_INSB_IiSD_SE_SE_EEEEZNS1_13binary_searchIS3_S5_PtSG_SI_NS1_16binary_search_opENS9_16wrapped_functionINS8_6system6detail7generic6detail18binary_search_lessEbEEEE10hipError_tPvRmT1_T2_T3_mmT4_T5_P12ihipStream_tbEUlRKtE_EEST_SX_SY_mSZ_S12_bEUlT_E_NS1_11comp_targetILNS1_3genE2ELNS1_11target_archE906ELNS1_3gpuE6ELNS1_3repE0EEENS1_30default_config_static_selectorELNS0_4arch9wavefront6targetE1EEEvSW_
    .private_segment_fixed_size: 0
    .sgpr_count:     30
    .sgpr_spill_count: 0
    .symbol:         _ZN7rocprim17ROCPRIM_400000_NS6detail17trampoline_kernelINS0_14default_configENS1_29binary_search_config_selectorItiEEZNS1_14transform_implILb0ES3_S5_N6thrust23THRUST_200600_302600_NS6detail15normal_iteratorINS8_7pointerItNS8_11hip_rocprim5par_tENS8_11use_defaultESE_EEEENSA_INSB_IiSD_SE_SE_EEEEZNS1_13binary_searchIS3_S5_PtSG_SI_NS1_16binary_search_opENS9_16wrapped_functionINS8_6system6detail7generic6detail18binary_search_lessEbEEEE10hipError_tPvRmT1_T2_T3_mmT4_T5_P12ihipStream_tbEUlRKtE_EEST_SX_SY_mSZ_S12_bEUlT_E_NS1_11comp_targetILNS1_3genE2ELNS1_11target_archE906ELNS1_3gpuE6ELNS1_3repE0EEENS1_30default_config_static_selectorELNS0_4arch9wavefront6targetE1EEEvSW_.kd
    .uniform_work_group_size: 1
    .uses_dynamic_stack: false
    .vgpr_count:     16
    .vgpr_spill_count: 0
    .wavefront_size: 64
  - .args:
      - .offset:         0
        .size:           56
        .value_kind:     by_value
    .group_segment_fixed_size: 0
    .kernarg_segment_align: 8
    .kernarg_segment_size: 56
    .language:       OpenCL C
    .language_version:
      - 2
      - 0
    .max_flat_workgroup_size: 256
    .name:           _ZN7rocprim17ROCPRIM_400000_NS6detail17trampoline_kernelINS0_14default_configENS1_29binary_search_config_selectorItiEEZNS1_14transform_implILb0ES3_S5_N6thrust23THRUST_200600_302600_NS6detail15normal_iteratorINS8_7pointerItNS8_11hip_rocprim5par_tENS8_11use_defaultESE_EEEENSA_INSB_IiSD_SE_SE_EEEEZNS1_13binary_searchIS3_S5_PtSG_SI_NS1_16binary_search_opENS9_16wrapped_functionINS8_6system6detail7generic6detail18binary_search_lessEbEEEE10hipError_tPvRmT1_T2_T3_mmT4_T5_P12ihipStream_tbEUlRKtE_EEST_SX_SY_mSZ_S12_bEUlT_E_NS1_11comp_targetILNS1_3genE10ELNS1_11target_archE1201ELNS1_3gpuE5ELNS1_3repE0EEENS1_30default_config_static_selectorELNS0_4arch9wavefront6targetE1EEEvSW_
    .private_segment_fixed_size: 0
    .sgpr_count:     4
    .sgpr_spill_count: 0
    .symbol:         _ZN7rocprim17ROCPRIM_400000_NS6detail17trampoline_kernelINS0_14default_configENS1_29binary_search_config_selectorItiEEZNS1_14transform_implILb0ES3_S5_N6thrust23THRUST_200600_302600_NS6detail15normal_iteratorINS8_7pointerItNS8_11hip_rocprim5par_tENS8_11use_defaultESE_EEEENSA_INSB_IiSD_SE_SE_EEEEZNS1_13binary_searchIS3_S5_PtSG_SI_NS1_16binary_search_opENS9_16wrapped_functionINS8_6system6detail7generic6detail18binary_search_lessEbEEEE10hipError_tPvRmT1_T2_T3_mmT4_T5_P12ihipStream_tbEUlRKtE_EEST_SX_SY_mSZ_S12_bEUlT_E_NS1_11comp_targetILNS1_3genE10ELNS1_11target_archE1201ELNS1_3gpuE5ELNS1_3repE0EEENS1_30default_config_static_selectorELNS0_4arch9wavefront6targetE1EEEvSW_.kd
    .uniform_work_group_size: 1
    .uses_dynamic_stack: false
    .vgpr_count:     0
    .vgpr_spill_count: 0
    .wavefront_size: 64
  - .args:
      - .offset:         0
        .size:           56
        .value_kind:     by_value
    .group_segment_fixed_size: 0
    .kernarg_segment_align: 8
    .kernarg_segment_size: 56
    .language:       OpenCL C
    .language_version:
      - 2
      - 0
    .max_flat_workgroup_size: 256
    .name:           _ZN7rocprim17ROCPRIM_400000_NS6detail17trampoline_kernelINS0_14default_configENS1_29binary_search_config_selectorItiEEZNS1_14transform_implILb0ES3_S5_N6thrust23THRUST_200600_302600_NS6detail15normal_iteratorINS8_7pointerItNS8_11hip_rocprim5par_tENS8_11use_defaultESE_EEEENSA_INSB_IiSD_SE_SE_EEEEZNS1_13binary_searchIS3_S5_PtSG_SI_NS1_16binary_search_opENS9_16wrapped_functionINS8_6system6detail7generic6detail18binary_search_lessEbEEEE10hipError_tPvRmT1_T2_T3_mmT4_T5_P12ihipStream_tbEUlRKtE_EEST_SX_SY_mSZ_S12_bEUlT_E_NS1_11comp_targetILNS1_3genE10ELNS1_11target_archE1200ELNS1_3gpuE4ELNS1_3repE0EEENS1_30default_config_static_selectorELNS0_4arch9wavefront6targetE1EEEvSW_
    .private_segment_fixed_size: 0
    .sgpr_count:     4
    .sgpr_spill_count: 0
    .symbol:         _ZN7rocprim17ROCPRIM_400000_NS6detail17trampoline_kernelINS0_14default_configENS1_29binary_search_config_selectorItiEEZNS1_14transform_implILb0ES3_S5_N6thrust23THRUST_200600_302600_NS6detail15normal_iteratorINS8_7pointerItNS8_11hip_rocprim5par_tENS8_11use_defaultESE_EEEENSA_INSB_IiSD_SE_SE_EEEEZNS1_13binary_searchIS3_S5_PtSG_SI_NS1_16binary_search_opENS9_16wrapped_functionINS8_6system6detail7generic6detail18binary_search_lessEbEEEE10hipError_tPvRmT1_T2_T3_mmT4_T5_P12ihipStream_tbEUlRKtE_EEST_SX_SY_mSZ_S12_bEUlT_E_NS1_11comp_targetILNS1_3genE10ELNS1_11target_archE1200ELNS1_3gpuE4ELNS1_3repE0EEENS1_30default_config_static_selectorELNS0_4arch9wavefront6targetE1EEEvSW_.kd
    .uniform_work_group_size: 1
    .uses_dynamic_stack: false
    .vgpr_count:     0
    .vgpr_spill_count: 0
    .wavefront_size: 64
  - .args:
      - .offset:         0
        .size:           56
        .value_kind:     by_value
    .group_segment_fixed_size: 0
    .kernarg_segment_align: 8
    .kernarg_segment_size: 56
    .language:       OpenCL C
    .language_version:
      - 2
      - 0
    .max_flat_workgroup_size: 64
    .name:           _ZN7rocprim17ROCPRIM_400000_NS6detail17trampoline_kernelINS0_14default_configENS1_29binary_search_config_selectorItiEEZNS1_14transform_implILb0ES3_S5_N6thrust23THRUST_200600_302600_NS6detail15normal_iteratorINS8_7pointerItNS8_11hip_rocprim5par_tENS8_11use_defaultESE_EEEENSA_INSB_IiSD_SE_SE_EEEEZNS1_13binary_searchIS3_S5_PtSG_SI_NS1_16binary_search_opENS9_16wrapped_functionINS8_6system6detail7generic6detail18binary_search_lessEbEEEE10hipError_tPvRmT1_T2_T3_mmT4_T5_P12ihipStream_tbEUlRKtE_EEST_SX_SY_mSZ_S12_bEUlT_E_NS1_11comp_targetILNS1_3genE9ELNS1_11target_archE1100ELNS1_3gpuE3ELNS1_3repE0EEENS1_30default_config_static_selectorELNS0_4arch9wavefront6targetE1EEEvSW_
    .private_segment_fixed_size: 0
    .sgpr_count:     4
    .sgpr_spill_count: 0
    .symbol:         _ZN7rocprim17ROCPRIM_400000_NS6detail17trampoline_kernelINS0_14default_configENS1_29binary_search_config_selectorItiEEZNS1_14transform_implILb0ES3_S5_N6thrust23THRUST_200600_302600_NS6detail15normal_iteratorINS8_7pointerItNS8_11hip_rocprim5par_tENS8_11use_defaultESE_EEEENSA_INSB_IiSD_SE_SE_EEEEZNS1_13binary_searchIS3_S5_PtSG_SI_NS1_16binary_search_opENS9_16wrapped_functionINS8_6system6detail7generic6detail18binary_search_lessEbEEEE10hipError_tPvRmT1_T2_T3_mmT4_T5_P12ihipStream_tbEUlRKtE_EEST_SX_SY_mSZ_S12_bEUlT_E_NS1_11comp_targetILNS1_3genE9ELNS1_11target_archE1100ELNS1_3gpuE3ELNS1_3repE0EEENS1_30default_config_static_selectorELNS0_4arch9wavefront6targetE1EEEvSW_.kd
    .uniform_work_group_size: 1
    .uses_dynamic_stack: false
    .vgpr_count:     0
    .vgpr_spill_count: 0
    .wavefront_size: 64
  - .args:
      - .offset:         0
        .size:           56
        .value_kind:     by_value
    .group_segment_fixed_size: 0
    .kernarg_segment_align: 8
    .kernarg_segment_size: 56
    .language:       OpenCL C
    .language_version:
      - 2
      - 0
    .max_flat_workgroup_size: 128
    .name:           _ZN7rocprim17ROCPRIM_400000_NS6detail17trampoline_kernelINS0_14default_configENS1_29binary_search_config_selectorItiEEZNS1_14transform_implILb0ES3_S5_N6thrust23THRUST_200600_302600_NS6detail15normal_iteratorINS8_7pointerItNS8_11hip_rocprim5par_tENS8_11use_defaultESE_EEEENSA_INSB_IiSD_SE_SE_EEEEZNS1_13binary_searchIS3_S5_PtSG_SI_NS1_16binary_search_opENS9_16wrapped_functionINS8_6system6detail7generic6detail18binary_search_lessEbEEEE10hipError_tPvRmT1_T2_T3_mmT4_T5_P12ihipStream_tbEUlRKtE_EEST_SX_SY_mSZ_S12_bEUlT_E_NS1_11comp_targetILNS1_3genE8ELNS1_11target_archE1030ELNS1_3gpuE2ELNS1_3repE0EEENS1_30default_config_static_selectorELNS0_4arch9wavefront6targetE1EEEvSW_
    .private_segment_fixed_size: 0
    .sgpr_count:     4
    .sgpr_spill_count: 0
    .symbol:         _ZN7rocprim17ROCPRIM_400000_NS6detail17trampoline_kernelINS0_14default_configENS1_29binary_search_config_selectorItiEEZNS1_14transform_implILb0ES3_S5_N6thrust23THRUST_200600_302600_NS6detail15normal_iteratorINS8_7pointerItNS8_11hip_rocprim5par_tENS8_11use_defaultESE_EEEENSA_INSB_IiSD_SE_SE_EEEEZNS1_13binary_searchIS3_S5_PtSG_SI_NS1_16binary_search_opENS9_16wrapped_functionINS8_6system6detail7generic6detail18binary_search_lessEbEEEE10hipError_tPvRmT1_T2_T3_mmT4_T5_P12ihipStream_tbEUlRKtE_EEST_SX_SY_mSZ_S12_bEUlT_E_NS1_11comp_targetILNS1_3genE8ELNS1_11target_archE1030ELNS1_3gpuE2ELNS1_3repE0EEENS1_30default_config_static_selectorELNS0_4arch9wavefront6targetE1EEEvSW_.kd
    .uniform_work_group_size: 1
    .uses_dynamic_stack: false
    .vgpr_count:     0
    .vgpr_spill_count: 0
    .wavefront_size: 64
  - .args:
      - .offset:         0
        .size:           8
        .value_kind:     by_value
      - .address_space:  global
        .offset:         8
        .size:           8
        .value_kind:     global_buffer
      - .address_space:  global
        .offset:         16
        .size:           8
        .value_kind:     global_buffer
    .group_segment_fixed_size: 0
    .kernarg_segment_align: 8
    .kernarg_segment_size: 24
    .language:       OpenCL C
    .language_version:
      - 2
      - 0
    .max_flat_workgroup_size: 256
    .name:           _Z20binary_search_kernelIxEvmPT_Pb
    .private_segment_fixed_size: 0
    .sgpr_count:     24
    .sgpr_spill_count: 0
    .symbol:         _Z20binary_search_kernelIxEvmPT_Pb.kd
    .uniform_work_group_size: 1
    .uses_dynamic_stack: false
    .vgpr_count:     3
    .vgpr_spill_count: 0
    .wavefront_size: 64
  - .args:
      - .offset:         0
        .size:           56
        .value_kind:     by_value
    .group_segment_fixed_size: 0
    .kernarg_segment_align: 8
    .kernarg_segment_size: 56
    .language:       OpenCL C
    .language_version:
      - 2
      - 0
    .max_flat_workgroup_size: 256
    .name:           _ZN7rocprim17ROCPRIM_400000_NS6detail17trampoline_kernelINS0_14default_configENS1_29binary_search_config_selectorIxiEEZNS1_14transform_implILb0ES3_S5_N6thrust23THRUST_200600_302600_NS6detail15normal_iteratorINS8_7pointerIxNS8_11hip_rocprim5par_tENS8_11use_defaultESE_EEEENSA_INSB_IiSD_SE_SE_EEEEZNS1_13binary_searchIS3_S5_PxSG_SI_NS1_16binary_search_opENS9_16wrapped_functionINS8_6system6detail7generic6detail18binary_search_lessEbEEEE10hipError_tPvRmT1_T2_T3_mmT4_T5_P12ihipStream_tbEUlRKxE_EEST_SX_SY_mSZ_S12_bEUlT_E_NS1_11comp_targetILNS1_3genE0ELNS1_11target_archE4294967295ELNS1_3gpuE0ELNS1_3repE0EEENS1_30default_config_static_selectorELNS0_4arch9wavefront6targetE1EEEvSW_
    .private_segment_fixed_size: 0
    .sgpr_count:     4
    .sgpr_spill_count: 0
    .symbol:         _ZN7rocprim17ROCPRIM_400000_NS6detail17trampoline_kernelINS0_14default_configENS1_29binary_search_config_selectorIxiEEZNS1_14transform_implILb0ES3_S5_N6thrust23THRUST_200600_302600_NS6detail15normal_iteratorINS8_7pointerIxNS8_11hip_rocprim5par_tENS8_11use_defaultESE_EEEENSA_INSB_IiSD_SE_SE_EEEEZNS1_13binary_searchIS3_S5_PxSG_SI_NS1_16binary_search_opENS9_16wrapped_functionINS8_6system6detail7generic6detail18binary_search_lessEbEEEE10hipError_tPvRmT1_T2_T3_mmT4_T5_P12ihipStream_tbEUlRKxE_EEST_SX_SY_mSZ_S12_bEUlT_E_NS1_11comp_targetILNS1_3genE0ELNS1_11target_archE4294967295ELNS1_3gpuE0ELNS1_3repE0EEENS1_30default_config_static_selectorELNS0_4arch9wavefront6targetE1EEEvSW_.kd
    .uniform_work_group_size: 1
    .uses_dynamic_stack: false
    .vgpr_count:     0
    .vgpr_spill_count: 0
    .wavefront_size: 64
  - .args:
      - .offset:         0
        .size:           56
        .value_kind:     by_value
    .group_segment_fixed_size: 0
    .kernarg_segment_align: 8
    .kernarg_segment_size: 56
    .language:       OpenCL C
    .language_version:
      - 2
      - 0
    .max_flat_workgroup_size: 64
    .name:           _ZN7rocprim17ROCPRIM_400000_NS6detail17trampoline_kernelINS0_14default_configENS1_29binary_search_config_selectorIxiEEZNS1_14transform_implILb0ES3_S5_N6thrust23THRUST_200600_302600_NS6detail15normal_iteratorINS8_7pointerIxNS8_11hip_rocprim5par_tENS8_11use_defaultESE_EEEENSA_INSB_IiSD_SE_SE_EEEEZNS1_13binary_searchIS3_S5_PxSG_SI_NS1_16binary_search_opENS9_16wrapped_functionINS8_6system6detail7generic6detail18binary_search_lessEbEEEE10hipError_tPvRmT1_T2_T3_mmT4_T5_P12ihipStream_tbEUlRKxE_EEST_SX_SY_mSZ_S12_bEUlT_E_NS1_11comp_targetILNS1_3genE5ELNS1_11target_archE942ELNS1_3gpuE9ELNS1_3repE0EEENS1_30default_config_static_selectorELNS0_4arch9wavefront6targetE1EEEvSW_
    .private_segment_fixed_size: 0
    .sgpr_count:     4
    .sgpr_spill_count: 0
    .symbol:         _ZN7rocprim17ROCPRIM_400000_NS6detail17trampoline_kernelINS0_14default_configENS1_29binary_search_config_selectorIxiEEZNS1_14transform_implILb0ES3_S5_N6thrust23THRUST_200600_302600_NS6detail15normal_iteratorINS8_7pointerIxNS8_11hip_rocprim5par_tENS8_11use_defaultESE_EEEENSA_INSB_IiSD_SE_SE_EEEEZNS1_13binary_searchIS3_S5_PxSG_SI_NS1_16binary_search_opENS9_16wrapped_functionINS8_6system6detail7generic6detail18binary_search_lessEbEEEE10hipError_tPvRmT1_T2_T3_mmT4_T5_P12ihipStream_tbEUlRKxE_EEST_SX_SY_mSZ_S12_bEUlT_E_NS1_11comp_targetILNS1_3genE5ELNS1_11target_archE942ELNS1_3gpuE9ELNS1_3repE0EEENS1_30default_config_static_selectorELNS0_4arch9wavefront6targetE1EEEvSW_.kd
    .uniform_work_group_size: 1
    .uses_dynamic_stack: false
    .vgpr_count:     0
    .vgpr_spill_count: 0
    .wavefront_size: 64
  - .args:
      - .offset:         0
        .size:           56
        .value_kind:     by_value
    .group_segment_fixed_size: 0
    .kernarg_segment_align: 8
    .kernarg_segment_size: 56
    .language:       OpenCL C
    .language_version:
      - 2
      - 0
    .max_flat_workgroup_size: 64
    .name:           _ZN7rocprim17ROCPRIM_400000_NS6detail17trampoline_kernelINS0_14default_configENS1_29binary_search_config_selectorIxiEEZNS1_14transform_implILb0ES3_S5_N6thrust23THRUST_200600_302600_NS6detail15normal_iteratorINS8_7pointerIxNS8_11hip_rocprim5par_tENS8_11use_defaultESE_EEEENSA_INSB_IiSD_SE_SE_EEEEZNS1_13binary_searchIS3_S5_PxSG_SI_NS1_16binary_search_opENS9_16wrapped_functionINS8_6system6detail7generic6detail18binary_search_lessEbEEEE10hipError_tPvRmT1_T2_T3_mmT4_T5_P12ihipStream_tbEUlRKxE_EEST_SX_SY_mSZ_S12_bEUlT_E_NS1_11comp_targetILNS1_3genE4ELNS1_11target_archE910ELNS1_3gpuE8ELNS1_3repE0EEENS1_30default_config_static_selectorELNS0_4arch9wavefront6targetE1EEEvSW_
    .private_segment_fixed_size: 0
    .sgpr_count:     4
    .sgpr_spill_count: 0
    .symbol:         _ZN7rocprim17ROCPRIM_400000_NS6detail17trampoline_kernelINS0_14default_configENS1_29binary_search_config_selectorIxiEEZNS1_14transform_implILb0ES3_S5_N6thrust23THRUST_200600_302600_NS6detail15normal_iteratorINS8_7pointerIxNS8_11hip_rocprim5par_tENS8_11use_defaultESE_EEEENSA_INSB_IiSD_SE_SE_EEEEZNS1_13binary_searchIS3_S5_PxSG_SI_NS1_16binary_search_opENS9_16wrapped_functionINS8_6system6detail7generic6detail18binary_search_lessEbEEEE10hipError_tPvRmT1_T2_T3_mmT4_T5_P12ihipStream_tbEUlRKxE_EEST_SX_SY_mSZ_S12_bEUlT_E_NS1_11comp_targetILNS1_3genE4ELNS1_11target_archE910ELNS1_3gpuE8ELNS1_3repE0EEENS1_30default_config_static_selectorELNS0_4arch9wavefront6targetE1EEEvSW_.kd
    .uniform_work_group_size: 1
    .uses_dynamic_stack: false
    .vgpr_count:     0
    .vgpr_spill_count: 0
    .wavefront_size: 64
  - .args:
      - .offset:         0
        .size:           56
        .value_kind:     by_value
    .group_segment_fixed_size: 0
    .kernarg_segment_align: 8
    .kernarg_segment_size: 56
    .language:       OpenCL C
    .language_version:
      - 2
      - 0
    .max_flat_workgroup_size: 256
    .name:           _ZN7rocprim17ROCPRIM_400000_NS6detail17trampoline_kernelINS0_14default_configENS1_29binary_search_config_selectorIxiEEZNS1_14transform_implILb0ES3_S5_N6thrust23THRUST_200600_302600_NS6detail15normal_iteratorINS8_7pointerIxNS8_11hip_rocprim5par_tENS8_11use_defaultESE_EEEENSA_INSB_IiSD_SE_SE_EEEEZNS1_13binary_searchIS3_S5_PxSG_SI_NS1_16binary_search_opENS9_16wrapped_functionINS8_6system6detail7generic6detail18binary_search_lessEbEEEE10hipError_tPvRmT1_T2_T3_mmT4_T5_P12ihipStream_tbEUlRKxE_EEST_SX_SY_mSZ_S12_bEUlT_E_NS1_11comp_targetILNS1_3genE3ELNS1_11target_archE908ELNS1_3gpuE7ELNS1_3repE0EEENS1_30default_config_static_selectorELNS0_4arch9wavefront6targetE1EEEvSW_
    .private_segment_fixed_size: 0
    .sgpr_count:     4
    .sgpr_spill_count: 0
    .symbol:         _ZN7rocprim17ROCPRIM_400000_NS6detail17trampoline_kernelINS0_14default_configENS1_29binary_search_config_selectorIxiEEZNS1_14transform_implILb0ES3_S5_N6thrust23THRUST_200600_302600_NS6detail15normal_iteratorINS8_7pointerIxNS8_11hip_rocprim5par_tENS8_11use_defaultESE_EEEENSA_INSB_IiSD_SE_SE_EEEEZNS1_13binary_searchIS3_S5_PxSG_SI_NS1_16binary_search_opENS9_16wrapped_functionINS8_6system6detail7generic6detail18binary_search_lessEbEEEE10hipError_tPvRmT1_T2_T3_mmT4_T5_P12ihipStream_tbEUlRKxE_EEST_SX_SY_mSZ_S12_bEUlT_E_NS1_11comp_targetILNS1_3genE3ELNS1_11target_archE908ELNS1_3gpuE7ELNS1_3repE0EEENS1_30default_config_static_selectorELNS0_4arch9wavefront6targetE1EEEvSW_.kd
    .uniform_work_group_size: 1
    .uses_dynamic_stack: false
    .vgpr_count:     0
    .vgpr_spill_count: 0
    .wavefront_size: 64
  - .args:
      - .offset:         0
        .size:           56
        .value_kind:     by_value
      - .offset:         56
        .size:           4
        .value_kind:     hidden_block_count_x
      - .offset:         60
        .size:           4
        .value_kind:     hidden_block_count_y
      - .offset:         64
        .size:           4
        .value_kind:     hidden_block_count_z
      - .offset:         68
        .size:           2
        .value_kind:     hidden_group_size_x
      - .offset:         70
        .size:           2
        .value_kind:     hidden_group_size_y
      - .offset:         72
        .size:           2
        .value_kind:     hidden_group_size_z
      - .offset:         74
        .size:           2
        .value_kind:     hidden_remainder_x
      - .offset:         76
        .size:           2
        .value_kind:     hidden_remainder_y
      - .offset:         78
        .size:           2
        .value_kind:     hidden_remainder_z
      - .offset:         96
        .size:           8
        .value_kind:     hidden_global_offset_x
      - .offset:         104
        .size:           8
        .value_kind:     hidden_global_offset_y
      - .offset:         112
        .size:           8
        .value_kind:     hidden_global_offset_z
      - .offset:         120
        .size:           2
        .value_kind:     hidden_grid_dims
    .group_segment_fixed_size: 0
    .kernarg_segment_align: 8
    .kernarg_segment_size: 312
    .language:       OpenCL C
    .language_version:
      - 2
      - 0
    .max_flat_workgroup_size: 256
    .name:           _ZN7rocprim17ROCPRIM_400000_NS6detail17trampoline_kernelINS0_14default_configENS1_29binary_search_config_selectorIxiEEZNS1_14transform_implILb0ES3_S5_N6thrust23THRUST_200600_302600_NS6detail15normal_iteratorINS8_7pointerIxNS8_11hip_rocprim5par_tENS8_11use_defaultESE_EEEENSA_INSB_IiSD_SE_SE_EEEEZNS1_13binary_searchIS3_S5_PxSG_SI_NS1_16binary_search_opENS9_16wrapped_functionINS8_6system6detail7generic6detail18binary_search_lessEbEEEE10hipError_tPvRmT1_T2_T3_mmT4_T5_P12ihipStream_tbEUlRKxE_EEST_SX_SY_mSZ_S12_bEUlT_E_NS1_11comp_targetILNS1_3genE2ELNS1_11target_archE906ELNS1_3gpuE6ELNS1_3repE0EEENS1_30default_config_static_selectorELNS0_4arch9wavefront6targetE1EEEvSW_
    .private_segment_fixed_size: 0
    .sgpr_count:     24
    .sgpr_spill_count: 0
    .symbol:         _ZN7rocprim17ROCPRIM_400000_NS6detail17trampoline_kernelINS0_14default_configENS1_29binary_search_config_selectorIxiEEZNS1_14transform_implILb0ES3_S5_N6thrust23THRUST_200600_302600_NS6detail15normal_iteratorINS8_7pointerIxNS8_11hip_rocprim5par_tENS8_11use_defaultESE_EEEENSA_INSB_IiSD_SE_SE_EEEEZNS1_13binary_searchIS3_S5_PxSG_SI_NS1_16binary_search_opENS9_16wrapped_functionINS8_6system6detail7generic6detail18binary_search_lessEbEEEE10hipError_tPvRmT1_T2_T3_mmT4_T5_P12ihipStream_tbEUlRKxE_EEST_SX_SY_mSZ_S12_bEUlT_E_NS1_11comp_targetILNS1_3genE2ELNS1_11target_archE906ELNS1_3gpuE6ELNS1_3repE0EEENS1_30default_config_static_selectorELNS0_4arch9wavefront6targetE1EEEvSW_.kd
    .uniform_work_group_size: 1
    .uses_dynamic_stack: false
    .vgpr_count:     15
    .vgpr_spill_count: 0
    .wavefront_size: 64
  - .args:
      - .offset:         0
        .size:           56
        .value_kind:     by_value
    .group_segment_fixed_size: 0
    .kernarg_segment_align: 8
    .kernarg_segment_size: 56
    .language:       OpenCL C
    .language_version:
      - 2
      - 0
    .max_flat_workgroup_size: 128
    .name:           _ZN7rocprim17ROCPRIM_400000_NS6detail17trampoline_kernelINS0_14default_configENS1_29binary_search_config_selectorIxiEEZNS1_14transform_implILb0ES3_S5_N6thrust23THRUST_200600_302600_NS6detail15normal_iteratorINS8_7pointerIxNS8_11hip_rocprim5par_tENS8_11use_defaultESE_EEEENSA_INSB_IiSD_SE_SE_EEEEZNS1_13binary_searchIS3_S5_PxSG_SI_NS1_16binary_search_opENS9_16wrapped_functionINS8_6system6detail7generic6detail18binary_search_lessEbEEEE10hipError_tPvRmT1_T2_T3_mmT4_T5_P12ihipStream_tbEUlRKxE_EEST_SX_SY_mSZ_S12_bEUlT_E_NS1_11comp_targetILNS1_3genE10ELNS1_11target_archE1201ELNS1_3gpuE5ELNS1_3repE0EEENS1_30default_config_static_selectorELNS0_4arch9wavefront6targetE1EEEvSW_
    .private_segment_fixed_size: 0
    .sgpr_count:     4
    .sgpr_spill_count: 0
    .symbol:         _ZN7rocprim17ROCPRIM_400000_NS6detail17trampoline_kernelINS0_14default_configENS1_29binary_search_config_selectorIxiEEZNS1_14transform_implILb0ES3_S5_N6thrust23THRUST_200600_302600_NS6detail15normal_iteratorINS8_7pointerIxNS8_11hip_rocprim5par_tENS8_11use_defaultESE_EEEENSA_INSB_IiSD_SE_SE_EEEEZNS1_13binary_searchIS3_S5_PxSG_SI_NS1_16binary_search_opENS9_16wrapped_functionINS8_6system6detail7generic6detail18binary_search_lessEbEEEE10hipError_tPvRmT1_T2_T3_mmT4_T5_P12ihipStream_tbEUlRKxE_EEST_SX_SY_mSZ_S12_bEUlT_E_NS1_11comp_targetILNS1_3genE10ELNS1_11target_archE1201ELNS1_3gpuE5ELNS1_3repE0EEENS1_30default_config_static_selectorELNS0_4arch9wavefront6targetE1EEEvSW_.kd
    .uniform_work_group_size: 1
    .uses_dynamic_stack: false
    .vgpr_count:     0
    .vgpr_spill_count: 0
    .wavefront_size: 64
  - .args:
      - .offset:         0
        .size:           56
        .value_kind:     by_value
    .group_segment_fixed_size: 0
    .kernarg_segment_align: 8
    .kernarg_segment_size: 56
    .language:       OpenCL C
    .language_version:
      - 2
      - 0
    .max_flat_workgroup_size: 128
    .name:           _ZN7rocprim17ROCPRIM_400000_NS6detail17trampoline_kernelINS0_14default_configENS1_29binary_search_config_selectorIxiEEZNS1_14transform_implILb0ES3_S5_N6thrust23THRUST_200600_302600_NS6detail15normal_iteratorINS8_7pointerIxNS8_11hip_rocprim5par_tENS8_11use_defaultESE_EEEENSA_INSB_IiSD_SE_SE_EEEEZNS1_13binary_searchIS3_S5_PxSG_SI_NS1_16binary_search_opENS9_16wrapped_functionINS8_6system6detail7generic6detail18binary_search_lessEbEEEE10hipError_tPvRmT1_T2_T3_mmT4_T5_P12ihipStream_tbEUlRKxE_EEST_SX_SY_mSZ_S12_bEUlT_E_NS1_11comp_targetILNS1_3genE10ELNS1_11target_archE1200ELNS1_3gpuE4ELNS1_3repE0EEENS1_30default_config_static_selectorELNS0_4arch9wavefront6targetE1EEEvSW_
    .private_segment_fixed_size: 0
    .sgpr_count:     4
    .sgpr_spill_count: 0
    .symbol:         _ZN7rocprim17ROCPRIM_400000_NS6detail17trampoline_kernelINS0_14default_configENS1_29binary_search_config_selectorIxiEEZNS1_14transform_implILb0ES3_S5_N6thrust23THRUST_200600_302600_NS6detail15normal_iteratorINS8_7pointerIxNS8_11hip_rocprim5par_tENS8_11use_defaultESE_EEEENSA_INSB_IiSD_SE_SE_EEEEZNS1_13binary_searchIS3_S5_PxSG_SI_NS1_16binary_search_opENS9_16wrapped_functionINS8_6system6detail7generic6detail18binary_search_lessEbEEEE10hipError_tPvRmT1_T2_T3_mmT4_T5_P12ihipStream_tbEUlRKxE_EEST_SX_SY_mSZ_S12_bEUlT_E_NS1_11comp_targetILNS1_3genE10ELNS1_11target_archE1200ELNS1_3gpuE4ELNS1_3repE0EEENS1_30default_config_static_selectorELNS0_4arch9wavefront6targetE1EEEvSW_.kd
    .uniform_work_group_size: 1
    .uses_dynamic_stack: false
    .vgpr_count:     0
    .vgpr_spill_count: 0
    .wavefront_size: 64
  - .args:
      - .offset:         0
        .size:           56
        .value_kind:     by_value
    .group_segment_fixed_size: 0
    .kernarg_segment_align: 8
    .kernarg_segment_size: 56
    .language:       OpenCL C
    .language_version:
      - 2
      - 0
    .max_flat_workgroup_size: 256
    .name:           _ZN7rocprim17ROCPRIM_400000_NS6detail17trampoline_kernelINS0_14default_configENS1_29binary_search_config_selectorIxiEEZNS1_14transform_implILb0ES3_S5_N6thrust23THRUST_200600_302600_NS6detail15normal_iteratorINS8_7pointerIxNS8_11hip_rocprim5par_tENS8_11use_defaultESE_EEEENSA_INSB_IiSD_SE_SE_EEEEZNS1_13binary_searchIS3_S5_PxSG_SI_NS1_16binary_search_opENS9_16wrapped_functionINS8_6system6detail7generic6detail18binary_search_lessEbEEEE10hipError_tPvRmT1_T2_T3_mmT4_T5_P12ihipStream_tbEUlRKxE_EEST_SX_SY_mSZ_S12_bEUlT_E_NS1_11comp_targetILNS1_3genE9ELNS1_11target_archE1100ELNS1_3gpuE3ELNS1_3repE0EEENS1_30default_config_static_selectorELNS0_4arch9wavefront6targetE1EEEvSW_
    .private_segment_fixed_size: 0
    .sgpr_count:     4
    .sgpr_spill_count: 0
    .symbol:         _ZN7rocprim17ROCPRIM_400000_NS6detail17trampoline_kernelINS0_14default_configENS1_29binary_search_config_selectorIxiEEZNS1_14transform_implILb0ES3_S5_N6thrust23THRUST_200600_302600_NS6detail15normal_iteratorINS8_7pointerIxNS8_11hip_rocprim5par_tENS8_11use_defaultESE_EEEENSA_INSB_IiSD_SE_SE_EEEEZNS1_13binary_searchIS3_S5_PxSG_SI_NS1_16binary_search_opENS9_16wrapped_functionINS8_6system6detail7generic6detail18binary_search_lessEbEEEE10hipError_tPvRmT1_T2_T3_mmT4_T5_P12ihipStream_tbEUlRKxE_EEST_SX_SY_mSZ_S12_bEUlT_E_NS1_11comp_targetILNS1_3genE9ELNS1_11target_archE1100ELNS1_3gpuE3ELNS1_3repE0EEENS1_30default_config_static_selectorELNS0_4arch9wavefront6targetE1EEEvSW_.kd
    .uniform_work_group_size: 1
    .uses_dynamic_stack: false
    .vgpr_count:     0
    .vgpr_spill_count: 0
    .wavefront_size: 64
  - .args:
      - .offset:         0
        .size:           56
        .value_kind:     by_value
    .group_segment_fixed_size: 0
    .kernarg_segment_align: 8
    .kernarg_segment_size: 56
    .language:       OpenCL C
    .language_version:
      - 2
      - 0
    .max_flat_workgroup_size: 256
    .name:           _ZN7rocprim17ROCPRIM_400000_NS6detail17trampoline_kernelINS0_14default_configENS1_29binary_search_config_selectorIxiEEZNS1_14transform_implILb0ES3_S5_N6thrust23THRUST_200600_302600_NS6detail15normal_iteratorINS8_7pointerIxNS8_11hip_rocprim5par_tENS8_11use_defaultESE_EEEENSA_INSB_IiSD_SE_SE_EEEEZNS1_13binary_searchIS3_S5_PxSG_SI_NS1_16binary_search_opENS9_16wrapped_functionINS8_6system6detail7generic6detail18binary_search_lessEbEEEE10hipError_tPvRmT1_T2_T3_mmT4_T5_P12ihipStream_tbEUlRKxE_EEST_SX_SY_mSZ_S12_bEUlT_E_NS1_11comp_targetILNS1_3genE8ELNS1_11target_archE1030ELNS1_3gpuE2ELNS1_3repE0EEENS1_30default_config_static_selectorELNS0_4arch9wavefront6targetE1EEEvSW_
    .private_segment_fixed_size: 0
    .sgpr_count:     4
    .sgpr_spill_count: 0
    .symbol:         _ZN7rocprim17ROCPRIM_400000_NS6detail17trampoline_kernelINS0_14default_configENS1_29binary_search_config_selectorIxiEEZNS1_14transform_implILb0ES3_S5_N6thrust23THRUST_200600_302600_NS6detail15normal_iteratorINS8_7pointerIxNS8_11hip_rocprim5par_tENS8_11use_defaultESE_EEEENSA_INSB_IiSD_SE_SE_EEEEZNS1_13binary_searchIS3_S5_PxSG_SI_NS1_16binary_search_opENS9_16wrapped_functionINS8_6system6detail7generic6detail18binary_search_lessEbEEEE10hipError_tPvRmT1_T2_T3_mmT4_T5_P12ihipStream_tbEUlRKxE_EEST_SX_SY_mSZ_S12_bEUlT_E_NS1_11comp_targetILNS1_3genE8ELNS1_11target_archE1030ELNS1_3gpuE2ELNS1_3repE0EEENS1_30default_config_static_selectorELNS0_4arch9wavefront6targetE1EEEvSW_.kd
    .uniform_work_group_size: 1
    .uses_dynamic_stack: false
    .vgpr_count:     0
    .vgpr_spill_count: 0
    .wavefront_size: 64
  - .args:
      - .offset:         0
        .size:           8
        .value_kind:     by_value
      - .address_space:  global
        .offset:         8
        .size:           8
        .value_kind:     global_buffer
      - .address_space:  global
        .offset:         16
        .size:           8
        .value_kind:     global_buffer
    .group_segment_fixed_size: 0
    .kernarg_segment_align: 8
    .kernarg_segment_size: 24
    .language:       OpenCL C
    .language_version:
      - 2
      - 0
    .max_flat_workgroup_size: 256
    .name:           _Z20binary_search_kernelIiEvmPT_Pb
    .private_segment_fixed_size: 0
    .sgpr_count:     23
    .sgpr_spill_count: 0
    .symbol:         _Z20binary_search_kernelIiEvmPT_Pb.kd
    .uniform_work_group_size: 1
    .uses_dynamic_stack: false
    .vgpr_count:     3
    .vgpr_spill_count: 0
    .wavefront_size: 64
  - .args:
      - .offset:         0
        .size:           56
        .value_kind:     by_value
    .group_segment_fixed_size: 0
    .kernarg_segment_align: 8
    .kernarg_segment_size: 56
    .language:       OpenCL C
    .language_version:
      - 2
      - 0
    .max_flat_workgroup_size: 256
    .name:           _ZN7rocprim17ROCPRIM_400000_NS6detail17trampoline_kernelINS0_14default_configENS1_29binary_search_config_selectorIiiEEZNS1_14transform_implILb0ES3_S5_N6thrust23THRUST_200600_302600_NS6detail15normal_iteratorINS8_7pointerIiNS8_11hip_rocprim5par_tENS8_11use_defaultESE_EEEESG_ZNS1_13binary_searchIS3_S5_PiSG_SG_NS1_16binary_search_opENS9_16wrapped_functionINS8_6system6detail7generic6detail18binary_search_lessEbEEEE10hipError_tPvRmT1_T2_T3_mmT4_T5_P12ihipStream_tbEUlRKiE_EESR_SV_SW_mSX_S10_bEUlT_E_NS1_11comp_targetILNS1_3genE0ELNS1_11target_archE4294967295ELNS1_3gpuE0ELNS1_3repE0EEENS1_30default_config_static_selectorELNS0_4arch9wavefront6targetE1EEEvSU_
    .private_segment_fixed_size: 0
    .sgpr_count:     4
    .sgpr_spill_count: 0
    .symbol:         _ZN7rocprim17ROCPRIM_400000_NS6detail17trampoline_kernelINS0_14default_configENS1_29binary_search_config_selectorIiiEEZNS1_14transform_implILb0ES3_S5_N6thrust23THRUST_200600_302600_NS6detail15normal_iteratorINS8_7pointerIiNS8_11hip_rocprim5par_tENS8_11use_defaultESE_EEEESG_ZNS1_13binary_searchIS3_S5_PiSG_SG_NS1_16binary_search_opENS9_16wrapped_functionINS8_6system6detail7generic6detail18binary_search_lessEbEEEE10hipError_tPvRmT1_T2_T3_mmT4_T5_P12ihipStream_tbEUlRKiE_EESR_SV_SW_mSX_S10_bEUlT_E_NS1_11comp_targetILNS1_3genE0ELNS1_11target_archE4294967295ELNS1_3gpuE0ELNS1_3repE0EEENS1_30default_config_static_selectorELNS0_4arch9wavefront6targetE1EEEvSU_.kd
    .uniform_work_group_size: 1
    .uses_dynamic_stack: false
    .vgpr_count:     0
    .vgpr_spill_count: 0
    .wavefront_size: 64
  - .args:
      - .offset:         0
        .size:           56
        .value_kind:     by_value
    .group_segment_fixed_size: 0
    .kernarg_segment_align: 8
    .kernarg_segment_size: 56
    .language:       OpenCL C
    .language_version:
      - 2
      - 0
    .max_flat_workgroup_size: 256
    .name:           _ZN7rocprim17ROCPRIM_400000_NS6detail17trampoline_kernelINS0_14default_configENS1_29binary_search_config_selectorIiiEEZNS1_14transform_implILb0ES3_S5_N6thrust23THRUST_200600_302600_NS6detail15normal_iteratorINS8_7pointerIiNS8_11hip_rocprim5par_tENS8_11use_defaultESE_EEEESG_ZNS1_13binary_searchIS3_S5_PiSG_SG_NS1_16binary_search_opENS9_16wrapped_functionINS8_6system6detail7generic6detail18binary_search_lessEbEEEE10hipError_tPvRmT1_T2_T3_mmT4_T5_P12ihipStream_tbEUlRKiE_EESR_SV_SW_mSX_S10_bEUlT_E_NS1_11comp_targetILNS1_3genE5ELNS1_11target_archE942ELNS1_3gpuE9ELNS1_3repE0EEENS1_30default_config_static_selectorELNS0_4arch9wavefront6targetE1EEEvSU_
    .private_segment_fixed_size: 0
    .sgpr_count:     4
    .sgpr_spill_count: 0
    .symbol:         _ZN7rocprim17ROCPRIM_400000_NS6detail17trampoline_kernelINS0_14default_configENS1_29binary_search_config_selectorIiiEEZNS1_14transform_implILb0ES3_S5_N6thrust23THRUST_200600_302600_NS6detail15normal_iteratorINS8_7pointerIiNS8_11hip_rocprim5par_tENS8_11use_defaultESE_EEEESG_ZNS1_13binary_searchIS3_S5_PiSG_SG_NS1_16binary_search_opENS9_16wrapped_functionINS8_6system6detail7generic6detail18binary_search_lessEbEEEE10hipError_tPvRmT1_T2_T3_mmT4_T5_P12ihipStream_tbEUlRKiE_EESR_SV_SW_mSX_S10_bEUlT_E_NS1_11comp_targetILNS1_3genE5ELNS1_11target_archE942ELNS1_3gpuE9ELNS1_3repE0EEENS1_30default_config_static_selectorELNS0_4arch9wavefront6targetE1EEEvSU_.kd
    .uniform_work_group_size: 1
    .uses_dynamic_stack: false
    .vgpr_count:     0
    .vgpr_spill_count: 0
    .wavefront_size: 64
  - .args:
      - .offset:         0
        .size:           56
        .value_kind:     by_value
    .group_segment_fixed_size: 0
    .kernarg_segment_align: 8
    .kernarg_segment_size: 56
    .language:       OpenCL C
    .language_version:
      - 2
      - 0
    .max_flat_workgroup_size: 256
    .name:           _ZN7rocprim17ROCPRIM_400000_NS6detail17trampoline_kernelINS0_14default_configENS1_29binary_search_config_selectorIiiEEZNS1_14transform_implILb0ES3_S5_N6thrust23THRUST_200600_302600_NS6detail15normal_iteratorINS8_7pointerIiNS8_11hip_rocprim5par_tENS8_11use_defaultESE_EEEESG_ZNS1_13binary_searchIS3_S5_PiSG_SG_NS1_16binary_search_opENS9_16wrapped_functionINS8_6system6detail7generic6detail18binary_search_lessEbEEEE10hipError_tPvRmT1_T2_T3_mmT4_T5_P12ihipStream_tbEUlRKiE_EESR_SV_SW_mSX_S10_bEUlT_E_NS1_11comp_targetILNS1_3genE4ELNS1_11target_archE910ELNS1_3gpuE8ELNS1_3repE0EEENS1_30default_config_static_selectorELNS0_4arch9wavefront6targetE1EEEvSU_
    .private_segment_fixed_size: 0
    .sgpr_count:     4
    .sgpr_spill_count: 0
    .symbol:         _ZN7rocprim17ROCPRIM_400000_NS6detail17trampoline_kernelINS0_14default_configENS1_29binary_search_config_selectorIiiEEZNS1_14transform_implILb0ES3_S5_N6thrust23THRUST_200600_302600_NS6detail15normal_iteratorINS8_7pointerIiNS8_11hip_rocprim5par_tENS8_11use_defaultESE_EEEESG_ZNS1_13binary_searchIS3_S5_PiSG_SG_NS1_16binary_search_opENS9_16wrapped_functionINS8_6system6detail7generic6detail18binary_search_lessEbEEEE10hipError_tPvRmT1_T2_T3_mmT4_T5_P12ihipStream_tbEUlRKiE_EESR_SV_SW_mSX_S10_bEUlT_E_NS1_11comp_targetILNS1_3genE4ELNS1_11target_archE910ELNS1_3gpuE8ELNS1_3repE0EEENS1_30default_config_static_selectorELNS0_4arch9wavefront6targetE1EEEvSU_.kd
    .uniform_work_group_size: 1
    .uses_dynamic_stack: false
    .vgpr_count:     0
    .vgpr_spill_count: 0
    .wavefront_size: 64
  - .args:
      - .offset:         0
        .size:           56
        .value_kind:     by_value
    .group_segment_fixed_size: 0
    .kernarg_segment_align: 8
    .kernarg_segment_size: 56
    .language:       OpenCL C
    .language_version:
      - 2
      - 0
    .max_flat_workgroup_size: 256
    .name:           _ZN7rocprim17ROCPRIM_400000_NS6detail17trampoline_kernelINS0_14default_configENS1_29binary_search_config_selectorIiiEEZNS1_14transform_implILb0ES3_S5_N6thrust23THRUST_200600_302600_NS6detail15normal_iteratorINS8_7pointerIiNS8_11hip_rocprim5par_tENS8_11use_defaultESE_EEEESG_ZNS1_13binary_searchIS3_S5_PiSG_SG_NS1_16binary_search_opENS9_16wrapped_functionINS8_6system6detail7generic6detail18binary_search_lessEbEEEE10hipError_tPvRmT1_T2_T3_mmT4_T5_P12ihipStream_tbEUlRKiE_EESR_SV_SW_mSX_S10_bEUlT_E_NS1_11comp_targetILNS1_3genE3ELNS1_11target_archE908ELNS1_3gpuE7ELNS1_3repE0EEENS1_30default_config_static_selectorELNS0_4arch9wavefront6targetE1EEEvSU_
    .private_segment_fixed_size: 0
    .sgpr_count:     4
    .sgpr_spill_count: 0
    .symbol:         _ZN7rocprim17ROCPRIM_400000_NS6detail17trampoline_kernelINS0_14default_configENS1_29binary_search_config_selectorIiiEEZNS1_14transform_implILb0ES3_S5_N6thrust23THRUST_200600_302600_NS6detail15normal_iteratorINS8_7pointerIiNS8_11hip_rocprim5par_tENS8_11use_defaultESE_EEEESG_ZNS1_13binary_searchIS3_S5_PiSG_SG_NS1_16binary_search_opENS9_16wrapped_functionINS8_6system6detail7generic6detail18binary_search_lessEbEEEE10hipError_tPvRmT1_T2_T3_mmT4_T5_P12ihipStream_tbEUlRKiE_EESR_SV_SW_mSX_S10_bEUlT_E_NS1_11comp_targetILNS1_3genE3ELNS1_11target_archE908ELNS1_3gpuE7ELNS1_3repE0EEENS1_30default_config_static_selectorELNS0_4arch9wavefront6targetE1EEEvSU_.kd
    .uniform_work_group_size: 1
    .uses_dynamic_stack: false
    .vgpr_count:     0
    .vgpr_spill_count: 0
    .wavefront_size: 64
  - .args:
      - .offset:         0
        .size:           56
        .value_kind:     by_value
      - .offset:         56
        .size:           4
        .value_kind:     hidden_block_count_x
      - .offset:         60
        .size:           4
        .value_kind:     hidden_block_count_y
      - .offset:         64
        .size:           4
        .value_kind:     hidden_block_count_z
      - .offset:         68
        .size:           2
        .value_kind:     hidden_group_size_x
      - .offset:         70
        .size:           2
        .value_kind:     hidden_group_size_y
      - .offset:         72
        .size:           2
        .value_kind:     hidden_group_size_z
      - .offset:         74
        .size:           2
        .value_kind:     hidden_remainder_x
      - .offset:         76
        .size:           2
        .value_kind:     hidden_remainder_y
      - .offset:         78
        .size:           2
        .value_kind:     hidden_remainder_z
      - .offset:         96
        .size:           8
        .value_kind:     hidden_global_offset_x
      - .offset:         104
        .size:           8
        .value_kind:     hidden_global_offset_y
      - .offset:         112
        .size:           8
        .value_kind:     hidden_global_offset_z
      - .offset:         120
        .size:           2
        .value_kind:     hidden_grid_dims
    .group_segment_fixed_size: 0
    .kernarg_segment_align: 8
    .kernarg_segment_size: 312
    .language:       OpenCL C
    .language_version:
      - 2
      - 0
    .max_flat_workgroup_size: 256
    .name:           _ZN7rocprim17ROCPRIM_400000_NS6detail17trampoline_kernelINS0_14default_configENS1_29binary_search_config_selectorIiiEEZNS1_14transform_implILb0ES3_S5_N6thrust23THRUST_200600_302600_NS6detail15normal_iteratorINS8_7pointerIiNS8_11hip_rocprim5par_tENS8_11use_defaultESE_EEEESG_ZNS1_13binary_searchIS3_S5_PiSG_SG_NS1_16binary_search_opENS9_16wrapped_functionINS8_6system6detail7generic6detail18binary_search_lessEbEEEE10hipError_tPvRmT1_T2_T3_mmT4_T5_P12ihipStream_tbEUlRKiE_EESR_SV_SW_mSX_S10_bEUlT_E_NS1_11comp_targetILNS1_3genE2ELNS1_11target_archE906ELNS1_3gpuE6ELNS1_3repE0EEENS1_30default_config_static_selectorELNS0_4arch9wavefront6targetE1EEEvSU_
    .private_segment_fixed_size: 0
    .sgpr_count:     24
    .sgpr_spill_count: 0
    .symbol:         _ZN7rocprim17ROCPRIM_400000_NS6detail17trampoline_kernelINS0_14default_configENS1_29binary_search_config_selectorIiiEEZNS1_14transform_implILb0ES3_S5_N6thrust23THRUST_200600_302600_NS6detail15normal_iteratorINS8_7pointerIiNS8_11hip_rocprim5par_tENS8_11use_defaultESE_EEEESG_ZNS1_13binary_searchIS3_S5_PiSG_SG_NS1_16binary_search_opENS9_16wrapped_functionINS8_6system6detail7generic6detail18binary_search_lessEbEEEE10hipError_tPvRmT1_T2_T3_mmT4_T5_P12ihipStream_tbEUlRKiE_EESR_SV_SW_mSX_S10_bEUlT_E_NS1_11comp_targetILNS1_3genE2ELNS1_11target_archE906ELNS1_3gpuE6ELNS1_3repE0EEENS1_30default_config_static_selectorELNS0_4arch9wavefront6targetE1EEEvSU_.kd
    .uniform_work_group_size: 1
    .uses_dynamic_stack: false
    .vgpr_count:     13
    .vgpr_spill_count: 0
    .wavefront_size: 64
  - .args:
      - .offset:         0
        .size:           56
        .value_kind:     by_value
    .group_segment_fixed_size: 0
    .kernarg_segment_align: 8
    .kernarg_segment_size: 56
    .language:       OpenCL C
    .language_version:
      - 2
      - 0
    .max_flat_workgroup_size: 128
    .name:           _ZN7rocprim17ROCPRIM_400000_NS6detail17trampoline_kernelINS0_14default_configENS1_29binary_search_config_selectorIiiEEZNS1_14transform_implILb0ES3_S5_N6thrust23THRUST_200600_302600_NS6detail15normal_iteratorINS8_7pointerIiNS8_11hip_rocprim5par_tENS8_11use_defaultESE_EEEESG_ZNS1_13binary_searchIS3_S5_PiSG_SG_NS1_16binary_search_opENS9_16wrapped_functionINS8_6system6detail7generic6detail18binary_search_lessEbEEEE10hipError_tPvRmT1_T2_T3_mmT4_T5_P12ihipStream_tbEUlRKiE_EESR_SV_SW_mSX_S10_bEUlT_E_NS1_11comp_targetILNS1_3genE10ELNS1_11target_archE1201ELNS1_3gpuE5ELNS1_3repE0EEENS1_30default_config_static_selectorELNS0_4arch9wavefront6targetE1EEEvSU_
    .private_segment_fixed_size: 0
    .sgpr_count:     4
    .sgpr_spill_count: 0
    .symbol:         _ZN7rocprim17ROCPRIM_400000_NS6detail17trampoline_kernelINS0_14default_configENS1_29binary_search_config_selectorIiiEEZNS1_14transform_implILb0ES3_S5_N6thrust23THRUST_200600_302600_NS6detail15normal_iteratorINS8_7pointerIiNS8_11hip_rocprim5par_tENS8_11use_defaultESE_EEEESG_ZNS1_13binary_searchIS3_S5_PiSG_SG_NS1_16binary_search_opENS9_16wrapped_functionINS8_6system6detail7generic6detail18binary_search_lessEbEEEE10hipError_tPvRmT1_T2_T3_mmT4_T5_P12ihipStream_tbEUlRKiE_EESR_SV_SW_mSX_S10_bEUlT_E_NS1_11comp_targetILNS1_3genE10ELNS1_11target_archE1201ELNS1_3gpuE5ELNS1_3repE0EEENS1_30default_config_static_selectorELNS0_4arch9wavefront6targetE1EEEvSU_.kd
    .uniform_work_group_size: 1
    .uses_dynamic_stack: false
    .vgpr_count:     0
    .vgpr_spill_count: 0
    .wavefront_size: 64
  - .args:
      - .offset:         0
        .size:           56
        .value_kind:     by_value
    .group_segment_fixed_size: 0
    .kernarg_segment_align: 8
    .kernarg_segment_size: 56
    .language:       OpenCL C
    .language_version:
      - 2
      - 0
    .max_flat_workgroup_size: 128
    .name:           _ZN7rocprim17ROCPRIM_400000_NS6detail17trampoline_kernelINS0_14default_configENS1_29binary_search_config_selectorIiiEEZNS1_14transform_implILb0ES3_S5_N6thrust23THRUST_200600_302600_NS6detail15normal_iteratorINS8_7pointerIiNS8_11hip_rocprim5par_tENS8_11use_defaultESE_EEEESG_ZNS1_13binary_searchIS3_S5_PiSG_SG_NS1_16binary_search_opENS9_16wrapped_functionINS8_6system6detail7generic6detail18binary_search_lessEbEEEE10hipError_tPvRmT1_T2_T3_mmT4_T5_P12ihipStream_tbEUlRKiE_EESR_SV_SW_mSX_S10_bEUlT_E_NS1_11comp_targetILNS1_3genE10ELNS1_11target_archE1200ELNS1_3gpuE4ELNS1_3repE0EEENS1_30default_config_static_selectorELNS0_4arch9wavefront6targetE1EEEvSU_
    .private_segment_fixed_size: 0
    .sgpr_count:     4
    .sgpr_spill_count: 0
    .symbol:         _ZN7rocprim17ROCPRIM_400000_NS6detail17trampoline_kernelINS0_14default_configENS1_29binary_search_config_selectorIiiEEZNS1_14transform_implILb0ES3_S5_N6thrust23THRUST_200600_302600_NS6detail15normal_iteratorINS8_7pointerIiNS8_11hip_rocprim5par_tENS8_11use_defaultESE_EEEESG_ZNS1_13binary_searchIS3_S5_PiSG_SG_NS1_16binary_search_opENS9_16wrapped_functionINS8_6system6detail7generic6detail18binary_search_lessEbEEEE10hipError_tPvRmT1_T2_T3_mmT4_T5_P12ihipStream_tbEUlRKiE_EESR_SV_SW_mSX_S10_bEUlT_E_NS1_11comp_targetILNS1_3genE10ELNS1_11target_archE1200ELNS1_3gpuE4ELNS1_3repE0EEENS1_30default_config_static_selectorELNS0_4arch9wavefront6targetE1EEEvSU_.kd
    .uniform_work_group_size: 1
    .uses_dynamic_stack: false
    .vgpr_count:     0
    .vgpr_spill_count: 0
    .wavefront_size: 64
  - .args:
      - .offset:         0
        .size:           56
        .value_kind:     by_value
    .group_segment_fixed_size: 0
    .kernarg_segment_align: 8
    .kernarg_segment_size: 56
    .language:       OpenCL C
    .language_version:
      - 2
      - 0
    .max_flat_workgroup_size: 256
    .name:           _ZN7rocprim17ROCPRIM_400000_NS6detail17trampoline_kernelINS0_14default_configENS1_29binary_search_config_selectorIiiEEZNS1_14transform_implILb0ES3_S5_N6thrust23THRUST_200600_302600_NS6detail15normal_iteratorINS8_7pointerIiNS8_11hip_rocprim5par_tENS8_11use_defaultESE_EEEESG_ZNS1_13binary_searchIS3_S5_PiSG_SG_NS1_16binary_search_opENS9_16wrapped_functionINS8_6system6detail7generic6detail18binary_search_lessEbEEEE10hipError_tPvRmT1_T2_T3_mmT4_T5_P12ihipStream_tbEUlRKiE_EESR_SV_SW_mSX_S10_bEUlT_E_NS1_11comp_targetILNS1_3genE9ELNS1_11target_archE1100ELNS1_3gpuE3ELNS1_3repE0EEENS1_30default_config_static_selectorELNS0_4arch9wavefront6targetE1EEEvSU_
    .private_segment_fixed_size: 0
    .sgpr_count:     4
    .sgpr_spill_count: 0
    .symbol:         _ZN7rocprim17ROCPRIM_400000_NS6detail17trampoline_kernelINS0_14default_configENS1_29binary_search_config_selectorIiiEEZNS1_14transform_implILb0ES3_S5_N6thrust23THRUST_200600_302600_NS6detail15normal_iteratorINS8_7pointerIiNS8_11hip_rocprim5par_tENS8_11use_defaultESE_EEEESG_ZNS1_13binary_searchIS3_S5_PiSG_SG_NS1_16binary_search_opENS9_16wrapped_functionINS8_6system6detail7generic6detail18binary_search_lessEbEEEE10hipError_tPvRmT1_T2_T3_mmT4_T5_P12ihipStream_tbEUlRKiE_EESR_SV_SW_mSX_S10_bEUlT_E_NS1_11comp_targetILNS1_3genE9ELNS1_11target_archE1100ELNS1_3gpuE3ELNS1_3repE0EEENS1_30default_config_static_selectorELNS0_4arch9wavefront6targetE1EEEvSU_.kd
    .uniform_work_group_size: 1
    .uses_dynamic_stack: false
    .vgpr_count:     0
    .vgpr_spill_count: 0
    .wavefront_size: 64
  - .args:
      - .offset:         0
        .size:           56
        .value_kind:     by_value
    .group_segment_fixed_size: 0
    .kernarg_segment_align: 8
    .kernarg_segment_size: 56
    .language:       OpenCL C
    .language_version:
      - 2
      - 0
    .max_flat_workgroup_size: 256
    .name:           _ZN7rocprim17ROCPRIM_400000_NS6detail17trampoline_kernelINS0_14default_configENS1_29binary_search_config_selectorIiiEEZNS1_14transform_implILb0ES3_S5_N6thrust23THRUST_200600_302600_NS6detail15normal_iteratorINS8_7pointerIiNS8_11hip_rocprim5par_tENS8_11use_defaultESE_EEEESG_ZNS1_13binary_searchIS3_S5_PiSG_SG_NS1_16binary_search_opENS9_16wrapped_functionINS8_6system6detail7generic6detail18binary_search_lessEbEEEE10hipError_tPvRmT1_T2_T3_mmT4_T5_P12ihipStream_tbEUlRKiE_EESR_SV_SW_mSX_S10_bEUlT_E_NS1_11comp_targetILNS1_3genE8ELNS1_11target_archE1030ELNS1_3gpuE2ELNS1_3repE0EEENS1_30default_config_static_selectorELNS0_4arch9wavefront6targetE1EEEvSU_
    .private_segment_fixed_size: 0
    .sgpr_count:     4
    .sgpr_spill_count: 0
    .symbol:         _ZN7rocprim17ROCPRIM_400000_NS6detail17trampoline_kernelINS0_14default_configENS1_29binary_search_config_selectorIiiEEZNS1_14transform_implILb0ES3_S5_N6thrust23THRUST_200600_302600_NS6detail15normal_iteratorINS8_7pointerIiNS8_11hip_rocprim5par_tENS8_11use_defaultESE_EEEESG_ZNS1_13binary_searchIS3_S5_PiSG_SG_NS1_16binary_search_opENS9_16wrapped_functionINS8_6system6detail7generic6detail18binary_search_lessEbEEEE10hipError_tPvRmT1_T2_T3_mmT4_T5_P12ihipStream_tbEUlRKiE_EESR_SV_SW_mSX_S10_bEUlT_E_NS1_11comp_targetILNS1_3genE8ELNS1_11target_archE1030ELNS1_3gpuE2ELNS1_3repE0EEENS1_30default_config_static_selectorELNS0_4arch9wavefront6targetE1EEEvSU_.kd
    .uniform_work_group_size: 1
    .uses_dynamic_stack: false
    .vgpr_count:     0
    .vgpr_spill_count: 0
    .wavefront_size: 64
  - .args:
      - .offset:         0
        .size:           8
        .value_kind:     by_value
      - .address_space:  global
        .offset:         8
        .size:           8
        .value_kind:     global_buffer
      - .address_space:  global
        .offset:         16
        .size:           8
        .value_kind:     global_buffer
    .group_segment_fixed_size: 0
    .kernarg_segment_align: 8
    .kernarg_segment_size: 24
    .language:       OpenCL C
    .language_version:
      - 2
      - 0
    .max_flat_workgroup_size: 256
    .name:           _Z20binary_search_kernelIsEvmPT_Pb
    .private_segment_fixed_size: 0
    .sgpr_count:     23
    .sgpr_spill_count: 0
    .symbol:         _Z20binary_search_kernelIsEvmPT_Pb.kd
    .uniform_work_group_size: 1
    .uses_dynamic_stack: false
    .vgpr_count:     3
    .vgpr_spill_count: 0
    .wavefront_size: 64
  - .args:
      - .offset:         0
        .size:           56
        .value_kind:     by_value
    .group_segment_fixed_size: 0
    .kernarg_segment_align: 8
    .kernarg_segment_size: 56
    .language:       OpenCL C
    .language_version:
      - 2
      - 0
    .max_flat_workgroup_size: 128
    .name:           _ZN7rocprim17ROCPRIM_400000_NS6detail17trampoline_kernelINS0_14default_configENS1_29binary_search_config_selectorIsiEEZNS1_14transform_implILb0ES3_S5_N6thrust23THRUST_200600_302600_NS6detail15normal_iteratorINS8_7pointerIsNS8_11hip_rocprim5par_tENS8_11use_defaultESE_EEEENSA_INSB_IiSD_SE_SE_EEEEZNS1_13binary_searchIS3_S5_PsSG_SI_NS1_16binary_search_opENS9_16wrapped_functionINS8_6system6detail7generic6detail18binary_search_lessEbEEEE10hipError_tPvRmT1_T2_T3_mmT4_T5_P12ihipStream_tbEUlRKsE_EEST_SX_SY_mSZ_S12_bEUlT_E_NS1_11comp_targetILNS1_3genE0ELNS1_11target_archE4294967295ELNS1_3gpuE0ELNS1_3repE0EEENS1_30default_config_static_selectorELNS0_4arch9wavefront6targetE1EEEvSW_
    .private_segment_fixed_size: 0
    .sgpr_count:     4
    .sgpr_spill_count: 0
    .symbol:         _ZN7rocprim17ROCPRIM_400000_NS6detail17trampoline_kernelINS0_14default_configENS1_29binary_search_config_selectorIsiEEZNS1_14transform_implILb0ES3_S5_N6thrust23THRUST_200600_302600_NS6detail15normal_iteratorINS8_7pointerIsNS8_11hip_rocprim5par_tENS8_11use_defaultESE_EEEENSA_INSB_IiSD_SE_SE_EEEEZNS1_13binary_searchIS3_S5_PsSG_SI_NS1_16binary_search_opENS9_16wrapped_functionINS8_6system6detail7generic6detail18binary_search_lessEbEEEE10hipError_tPvRmT1_T2_T3_mmT4_T5_P12ihipStream_tbEUlRKsE_EEST_SX_SY_mSZ_S12_bEUlT_E_NS1_11comp_targetILNS1_3genE0ELNS1_11target_archE4294967295ELNS1_3gpuE0ELNS1_3repE0EEENS1_30default_config_static_selectorELNS0_4arch9wavefront6targetE1EEEvSW_.kd
    .uniform_work_group_size: 1
    .uses_dynamic_stack: false
    .vgpr_count:     0
    .vgpr_spill_count: 0
    .wavefront_size: 64
  - .args:
      - .offset:         0
        .size:           56
        .value_kind:     by_value
    .group_segment_fixed_size: 0
    .kernarg_segment_align: 8
    .kernarg_segment_size: 56
    .language:       OpenCL C
    .language_version:
      - 2
      - 0
    .max_flat_workgroup_size: 256
    .name:           _ZN7rocprim17ROCPRIM_400000_NS6detail17trampoline_kernelINS0_14default_configENS1_29binary_search_config_selectorIsiEEZNS1_14transform_implILb0ES3_S5_N6thrust23THRUST_200600_302600_NS6detail15normal_iteratorINS8_7pointerIsNS8_11hip_rocprim5par_tENS8_11use_defaultESE_EEEENSA_INSB_IiSD_SE_SE_EEEEZNS1_13binary_searchIS3_S5_PsSG_SI_NS1_16binary_search_opENS9_16wrapped_functionINS8_6system6detail7generic6detail18binary_search_lessEbEEEE10hipError_tPvRmT1_T2_T3_mmT4_T5_P12ihipStream_tbEUlRKsE_EEST_SX_SY_mSZ_S12_bEUlT_E_NS1_11comp_targetILNS1_3genE5ELNS1_11target_archE942ELNS1_3gpuE9ELNS1_3repE0EEENS1_30default_config_static_selectorELNS0_4arch9wavefront6targetE1EEEvSW_
    .private_segment_fixed_size: 0
    .sgpr_count:     4
    .sgpr_spill_count: 0
    .symbol:         _ZN7rocprim17ROCPRIM_400000_NS6detail17trampoline_kernelINS0_14default_configENS1_29binary_search_config_selectorIsiEEZNS1_14transform_implILb0ES3_S5_N6thrust23THRUST_200600_302600_NS6detail15normal_iteratorINS8_7pointerIsNS8_11hip_rocprim5par_tENS8_11use_defaultESE_EEEENSA_INSB_IiSD_SE_SE_EEEEZNS1_13binary_searchIS3_S5_PsSG_SI_NS1_16binary_search_opENS9_16wrapped_functionINS8_6system6detail7generic6detail18binary_search_lessEbEEEE10hipError_tPvRmT1_T2_T3_mmT4_T5_P12ihipStream_tbEUlRKsE_EEST_SX_SY_mSZ_S12_bEUlT_E_NS1_11comp_targetILNS1_3genE5ELNS1_11target_archE942ELNS1_3gpuE9ELNS1_3repE0EEENS1_30default_config_static_selectorELNS0_4arch9wavefront6targetE1EEEvSW_.kd
    .uniform_work_group_size: 1
    .uses_dynamic_stack: false
    .vgpr_count:     0
    .vgpr_spill_count: 0
    .wavefront_size: 64
  - .args:
      - .offset:         0
        .size:           56
        .value_kind:     by_value
    .group_segment_fixed_size: 0
    .kernarg_segment_align: 8
    .kernarg_segment_size: 56
    .language:       OpenCL C
    .language_version:
      - 2
      - 0
    .max_flat_workgroup_size: 256
    .name:           _ZN7rocprim17ROCPRIM_400000_NS6detail17trampoline_kernelINS0_14default_configENS1_29binary_search_config_selectorIsiEEZNS1_14transform_implILb0ES3_S5_N6thrust23THRUST_200600_302600_NS6detail15normal_iteratorINS8_7pointerIsNS8_11hip_rocprim5par_tENS8_11use_defaultESE_EEEENSA_INSB_IiSD_SE_SE_EEEEZNS1_13binary_searchIS3_S5_PsSG_SI_NS1_16binary_search_opENS9_16wrapped_functionINS8_6system6detail7generic6detail18binary_search_lessEbEEEE10hipError_tPvRmT1_T2_T3_mmT4_T5_P12ihipStream_tbEUlRKsE_EEST_SX_SY_mSZ_S12_bEUlT_E_NS1_11comp_targetILNS1_3genE4ELNS1_11target_archE910ELNS1_3gpuE8ELNS1_3repE0EEENS1_30default_config_static_selectorELNS0_4arch9wavefront6targetE1EEEvSW_
    .private_segment_fixed_size: 0
    .sgpr_count:     4
    .sgpr_spill_count: 0
    .symbol:         _ZN7rocprim17ROCPRIM_400000_NS6detail17trampoline_kernelINS0_14default_configENS1_29binary_search_config_selectorIsiEEZNS1_14transform_implILb0ES3_S5_N6thrust23THRUST_200600_302600_NS6detail15normal_iteratorINS8_7pointerIsNS8_11hip_rocprim5par_tENS8_11use_defaultESE_EEEENSA_INSB_IiSD_SE_SE_EEEEZNS1_13binary_searchIS3_S5_PsSG_SI_NS1_16binary_search_opENS9_16wrapped_functionINS8_6system6detail7generic6detail18binary_search_lessEbEEEE10hipError_tPvRmT1_T2_T3_mmT4_T5_P12ihipStream_tbEUlRKsE_EEST_SX_SY_mSZ_S12_bEUlT_E_NS1_11comp_targetILNS1_3genE4ELNS1_11target_archE910ELNS1_3gpuE8ELNS1_3repE0EEENS1_30default_config_static_selectorELNS0_4arch9wavefront6targetE1EEEvSW_.kd
    .uniform_work_group_size: 1
    .uses_dynamic_stack: false
    .vgpr_count:     0
    .vgpr_spill_count: 0
    .wavefront_size: 64
  - .args:
      - .offset:         0
        .size:           56
        .value_kind:     by_value
    .group_segment_fixed_size: 0
    .kernarg_segment_align: 8
    .kernarg_segment_size: 56
    .language:       OpenCL C
    .language_version:
      - 2
      - 0
    .max_flat_workgroup_size: 128
    .name:           _ZN7rocprim17ROCPRIM_400000_NS6detail17trampoline_kernelINS0_14default_configENS1_29binary_search_config_selectorIsiEEZNS1_14transform_implILb0ES3_S5_N6thrust23THRUST_200600_302600_NS6detail15normal_iteratorINS8_7pointerIsNS8_11hip_rocprim5par_tENS8_11use_defaultESE_EEEENSA_INSB_IiSD_SE_SE_EEEEZNS1_13binary_searchIS3_S5_PsSG_SI_NS1_16binary_search_opENS9_16wrapped_functionINS8_6system6detail7generic6detail18binary_search_lessEbEEEE10hipError_tPvRmT1_T2_T3_mmT4_T5_P12ihipStream_tbEUlRKsE_EEST_SX_SY_mSZ_S12_bEUlT_E_NS1_11comp_targetILNS1_3genE3ELNS1_11target_archE908ELNS1_3gpuE7ELNS1_3repE0EEENS1_30default_config_static_selectorELNS0_4arch9wavefront6targetE1EEEvSW_
    .private_segment_fixed_size: 0
    .sgpr_count:     4
    .sgpr_spill_count: 0
    .symbol:         _ZN7rocprim17ROCPRIM_400000_NS6detail17trampoline_kernelINS0_14default_configENS1_29binary_search_config_selectorIsiEEZNS1_14transform_implILb0ES3_S5_N6thrust23THRUST_200600_302600_NS6detail15normal_iteratorINS8_7pointerIsNS8_11hip_rocprim5par_tENS8_11use_defaultESE_EEEENSA_INSB_IiSD_SE_SE_EEEEZNS1_13binary_searchIS3_S5_PsSG_SI_NS1_16binary_search_opENS9_16wrapped_functionINS8_6system6detail7generic6detail18binary_search_lessEbEEEE10hipError_tPvRmT1_T2_T3_mmT4_T5_P12ihipStream_tbEUlRKsE_EEST_SX_SY_mSZ_S12_bEUlT_E_NS1_11comp_targetILNS1_3genE3ELNS1_11target_archE908ELNS1_3gpuE7ELNS1_3repE0EEENS1_30default_config_static_selectorELNS0_4arch9wavefront6targetE1EEEvSW_.kd
    .uniform_work_group_size: 1
    .uses_dynamic_stack: false
    .vgpr_count:     0
    .vgpr_spill_count: 0
    .wavefront_size: 64
  - .args:
      - .offset:         0
        .size:           56
        .value_kind:     by_value
      - .offset:         56
        .size:           4
        .value_kind:     hidden_block_count_x
      - .offset:         60
        .size:           4
        .value_kind:     hidden_block_count_y
      - .offset:         64
        .size:           4
        .value_kind:     hidden_block_count_z
      - .offset:         68
        .size:           2
        .value_kind:     hidden_group_size_x
      - .offset:         70
        .size:           2
        .value_kind:     hidden_group_size_y
      - .offset:         72
        .size:           2
        .value_kind:     hidden_group_size_z
      - .offset:         74
        .size:           2
        .value_kind:     hidden_remainder_x
      - .offset:         76
        .size:           2
        .value_kind:     hidden_remainder_y
      - .offset:         78
        .size:           2
        .value_kind:     hidden_remainder_z
      - .offset:         96
        .size:           8
        .value_kind:     hidden_global_offset_x
      - .offset:         104
        .size:           8
        .value_kind:     hidden_global_offset_y
      - .offset:         112
        .size:           8
        .value_kind:     hidden_global_offset_z
      - .offset:         120
        .size:           2
        .value_kind:     hidden_grid_dims
    .group_segment_fixed_size: 0
    .kernarg_segment_align: 8
    .kernarg_segment_size: 312
    .language:       OpenCL C
    .language_version:
      - 2
      - 0
    .max_flat_workgroup_size: 256
    .name:           _ZN7rocprim17ROCPRIM_400000_NS6detail17trampoline_kernelINS0_14default_configENS1_29binary_search_config_selectorIsiEEZNS1_14transform_implILb0ES3_S5_N6thrust23THRUST_200600_302600_NS6detail15normal_iteratorINS8_7pointerIsNS8_11hip_rocprim5par_tENS8_11use_defaultESE_EEEENSA_INSB_IiSD_SE_SE_EEEEZNS1_13binary_searchIS3_S5_PsSG_SI_NS1_16binary_search_opENS9_16wrapped_functionINS8_6system6detail7generic6detail18binary_search_lessEbEEEE10hipError_tPvRmT1_T2_T3_mmT4_T5_P12ihipStream_tbEUlRKsE_EEST_SX_SY_mSZ_S12_bEUlT_E_NS1_11comp_targetILNS1_3genE2ELNS1_11target_archE906ELNS1_3gpuE6ELNS1_3repE0EEENS1_30default_config_static_selectorELNS0_4arch9wavefront6targetE1EEEvSW_
    .private_segment_fixed_size: 0
    .sgpr_count:     30
    .sgpr_spill_count: 0
    .symbol:         _ZN7rocprim17ROCPRIM_400000_NS6detail17trampoline_kernelINS0_14default_configENS1_29binary_search_config_selectorIsiEEZNS1_14transform_implILb0ES3_S5_N6thrust23THRUST_200600_302600_NS6detail15normal_iteratorINS8_7pointerIsNS8_11hip_rocprim5par_tENS8_11use_defaultESE_EEEENSA_INSB_IiSD_SE_SE_EEEEZNS1_13binary_searchIS3_S5_PsSG_SI_NS1_16binary_search_opENS9_16wrapped_functionINS8_6system6detail7generic6detail18binary_search_lessEbEEEE10hipError_tPvRmT1_T2_T3_mmT4_T5_P12ihipStream_tbEUlRKsE_EEST_SX_SY_mSZ_S12_bEUlT_E_NS1_11comp_targetILNS1_3genE2ELNS1_11target_archE906ELNS1_3gpuE6ELNS1_3repE0EEENS1_30default_config_static_selectorELNS0_4arch9wavefront6targetE1EEEvSW_.kd
    .uniform_work_group_size: 1
    .uses_dynamic_stack: false
    .vgpr_count:     16
    .vgpr_spill_count: 0
    .wavefront_size: 64
  - .args:
      - .offset:         0
        .size:           56
        .value_kind:     by_value
    .group_segment_fixed_size: 0
    .kernarg_segment_align: 8
    .kernarg_segment_size: 56
    .language:       OpenCL C
    .language_version:
      - 2
      - 0
    .max_flat_workgroup_size: 256
    .name:           _ZN7rocprim17ROCPRIM_400000_NS6detail17trampoline_kernelINS0_14default_configENS1_29binary_search_config_selectorIsiEEZNS1_14transform_implILb0ES3_S5_N6thrust23THRUST_200600_302600_NS6detail15normal_iteratorINS8_7pointerIsNS8_11hip_rocprim5par_tENS8_11use_defaultESE_EEEENSA_INSB_IiSD_SE_SE_EEEEZNS1_13binary_searchIS3_S5_PsSG_SI_NS1_16binary_search_opENS9_16wrapped_functionINS8_6system6detail7generic6detail18binary_search_lessEbEEEE10hipError_tPvRmT1_T2_T3_mmT4_T5_P12ihipStream_tbEUlRKsE_EEST_SX_SY_mSZ_S12_bEUlT_E_NS1_11comp_targetILNS1_3genE10ELNS1_11target_archE1201ELNS1_3gpuE5ELNS1_3repE0EEENS1_30default_config_static_selectorELNS0_4arch9wavefront6targetE1EEEvSW_
    .private_segment_fixed_size: 0
    .sgpr_count:     4
    .sgpr_spill_count: 0
    .symbol:         _ZN7rocprim17ROCPRIM_400000_NS6detail17trampoline_kernelINS0_14default_configENS1_29binary_search_config_selectorIsiEEZNS1_14transform_implILb0ES3_S5_N6thrust23THRUST_200600_302600_NS6detail15normal_iteratorINS8_7pointerIsNS8_11hip_rocprim5par_tENS8_11use_defaultESE_EEEENSA_INSB_IiSD_SE_SE_EEEEZNS1_13binary_searchIS3_S5_PsSG_SI_NS1_16binary_search_opENS9_16wrapped_functionINS8_6system6detail7generic6detail18binary_search_lessEbEEEE10hipError_tPvRmT1_T2_T3_mmT4_T5_P12ihipStream_tbEUlRKsE_EEST_SX_SY_mSZ_S12_bEUlT_E_NS1_11comp_targetILNS1_3genE10ELNS1_11target_archE1201ELNS1_3gpuE5ELNS1_3repE0EEENS1_30default_config_static_selectorELNS0_4arch9wavefront6targetE1EEEvSW_.kd
    .uniform_work_group_size: 1
    .uses_dynamic_stack: false
    .vgpr_count:     0
    .vgpr_spill_count: 0
    .wavefront_size: 64
  - .args:
      - .offset:         0
        .size:           56
        .value_kind:     by_value
    .group_segment_fixed_size: 0
    .kernarg_segment_align: 8
    .kernarg_segment_size: 56
    .language:       OpenCL C
    .language_version:
      - 2
      - 0
    .max_flat_workgroup_size: 256
    .name:           _ZN7rocprim17ROCPRIM_400000_NS6detail17trampoline_kernelINS0_14default_configENS1_29binary_search_config_selectorIsiEEZNS1_14transform_implILb0ES3_S5_N6thrust23THRUST_200600_302600_NS6detail15normal_iteratorINS8_7pointerIsNS8_11hip_rocprim5par_tENS8_11use_defaultESE_EEEENSA_INSB_IiSD_SE_SE_EEEEZNS1_13binary_searchIS3_S5_PsSG_SI_NS1_16binary_search_opENS9_16wrapped_functionINS8_6system6detail7generic6detail18binary_search_lessEbEEEE10hipError_tPvRmT1_T2_T3_mmT4_T5_P12ihipStream_tbEUlRKsE_EEST_SX_SY_mSZ_S12_bEUlT_E_NS1_11comp_targetILNS1_3genE10ELNS1_11target_archE1200ELNS1_3gpuE4ELNS1_3repE0EEENS1_30default_config_static_selectorELNS0_4arch9wavefront6targetE1EEEvSW_
    .private_segment_fixed_size: 0
    .sgpr_count:     4
    .sgpr_spill_count: 0
    .symbol:         _ZN7rocprim17ROCPRIM_400000_NS6detail17trampoline_kernelINS0_14default_configENS1_29binary_search_config_selectorIsiEEZNS1_14transform_implILb0ES3_S5_N6thrust23THRUST_200600_302600_NS6detail15normal_iteratorINS8_7pointerIsNS8_11hip_rocprim5par_tENS8_11use_defaultESE_EEEENSA_INSB_IiSD_SE_SE_EEEEZNS1_13binary_searchIS3_S5_PsSG_SI_NS1_16binary_search_opENS9_16wrapped_functionINS8_6system6detail7generic6detail18binary_search_lessEbEEEE10hipError_tPvRmT1_T2_T3_mmT4_T5_P12ihipStream_tbEUlRKsE_EEST_SX_SY_mSZ_S12_bEUlT_E_NS1_11comp_targetILNS1_3genE10ELNS1_11target_archE1200ELNS1_3gpuE4ELNS1_3repE0EEENS1_30default_config_static_selectorELNS0_4arch9wavefront6targetE1EEEvSW_.kd
    .uniform_work_group_size: 1
    .uses_dynamic_stack: false
    .vgpr_count:     0
    .vgpr_spill_count: 0
    .wavefront_size: 64
  - .args:
      - .offset:         0
        .size:           56
        .value_kind:     by_value
    .group_segment_fixed_size: 0
    .kernarg_segment_align: 8
    .kernarg_segment_size: 56
    .language:       OpenCL C
    .language_version:
      - 2
      - 0
    .max_flat_workgroup_size: 64
    .name:           _ZN7rocprim17ROCPRIM_400000_NS6detail17trampoline_kernelINS0_14default_configENS1_29binary_search_config_selectorIsiEEZNS1_14transform_implILb0ES3_S5_N6thrust23THRUST_200600_302600_NS6detail15normal_iteratorINS8_7pointerIsNS8_11hip_rocprim5par_tENS8_11use_defaultESE_EEEENSA_INSB_IiSD_SE_SE_EEEEZNS1_13binary_searchIS3_S5_PsSG_SI_NS1_16binary_search_opENS9_16wrapped_functionINS8_6system6detail7generic6detail18binary_search_lessEbEEEE10hipError_tPvRmT1_T2_T3_mmT4_T5_P12ihipStream_tbEUlRKsE_EEST_SX_SY_mSZ_S12_bEUlT_E_NS1_11comp_targetILNS1_3genE9ELNS1_11target_archE1100ELNS1_3gpuE3ELNS1_3repE0EEENS1_30default_config_static_selectorELNS0_4arch9wavefront6targetE1EEEvSW_
    .private_segment_fixed_size: 0
    .sgpr_count:     4
    .sgpr_spill_count: 0
    .symbol:         _ZN7rocprim17ROCPRIM_400000_NS6detail17trampoline_kernelINS0_14default_configENS1_29binary_search_config_selectorIsiEEZNS1_14transform_implILb0ES3_S5_N6thrust23THRUST_200600_302600_NS6detail15normal_iteratorINS8_7pointerIsNS8_11hip_rocprim5par_tENS8_11use_defaultESE_EEEENSA_INSB_IiSD_SE_SE_EEEEZNS1_13binary_searchIS3_S5_PsSG_SI_NS1_16binary_search_opENS9_16wrapped_functionINS8_6system6detail7generic6detail18binary_search_lessEbEEEE10hipError_tPvRmT1_T2_T3_mmT4_T5_P12ihipStream_tbEUlRKsE_EEST_SX_SY_mSZ_S12_bEUlT_E_NS1_11comp_targetILNS1_3genE9ELNS1_11target_archE1100ELNS1_3gpuE3ELNS1_3repE0EEENS1_30default_config_static_selectorELNS0_4arch9wavefront6targetE1EEEvSW_.kd
    .uniform_work_group_size: 1
    .uses_dynamic_stack: false
    .vgpr_count:     0
    .vgpr_spill_count: 0
    .wavefront_size: 64
  - .args:
      - .offset:         0
        .size:           56
        .value_kind:     by_value
    .group_segment_fixed_size: 0
    .kernarg_segment_align: 8
    .kernarg_segment_size: 56
    .language:       OpenCL C
    .language_version:
      - 2
      - 0
    .max_flat_workgroup_size: 128
    .name:           _ZN7rocprim17ROCPRIM_400000_NS6detail17trampoline_kernelINS0_14default_configENS1_29binary_search_config_selectorIsiEEZNS1_14transform_implILb0ES3_S5_N6thrust23THRUST_200600_302600_NS6detail15normal_iteratorINS8_7pointerIsNS8_11hip_rocprim5par_tENS8_11use_defaultESE_EEEENSA_INSB_IiSD_SE_SE_EEEEZNS1_13binary_searchIS3_S5_PsSG_SI_NS1_16binary_search_opENS9_16wrapped_functionINS8_6system6detail7generic6detail18binary_search_lessEbEEEE10hipError_tPvRmT1_T2_T3_mmT4_T5_P12ihipStream_tbEUlRKsE_EEST_SX_SY_mSZ_S12_bEUlT_E_NS1_11comp_targetILNS1_3genE8ELNS1_11target_archE1030ELNS1_3gpuE2ELNS1_3repE0EEENS1_30default_config_static_selectorELNS0_4arch9wavefront6targetE1EEEvSW_
    .private_segment_fixed_size: 0
    .sgpr_count:     4
    .sgpr_spill_count: 0
    .symbol:         _ZN7rocprim17ROCPRIM_400000_NS6detail17trampoline_kernelINS0_14default_configENS1_29binary_search_config_selectorIsiEEZNS1_14transform_implILb0ES3_S5_N6thrust23THRUST_200600_302600_NS6detail15normal_iteratorINS8_7pointerIsNS8_11hip_rocprim5par_tENS8_11use_defaultESE_EEEENSA_INSB_IiSD_SE_SE_EEEEZNS1_13binary_searchIS3_S5_PsSG_SI_NS1_16binary_search_opENS9_16wrapped_functionINS8_6system6detail7generic6detail18binary_search_lessEbEEEE10hipError_tPvRmT1_T2_T3_mmT4_T5_P12ihipStream_tbEUlRKsE_EEST_SX_SY_mSZ_S12_bEUlT_E_NS1_11comp_targetILNS1_3genE8ELNS1_11target_archE1030ELNS1_3gpuE2ELNS1_3repE0EEENS1_30default_config_static_selectorELNS0_4arch9wavefront6targetE1EEEvSW_.kd
    .uniform_work_group_size: 1
    .uses_dynamic_stack: false
    .vgpr_count:     0
    .vgpr_spill_count: 0
    .wavefront_size: 64
  - .args:
      - .offset:         0
        .size:           56
        .value_kind:     by_value
    .group_segment_fixed_size: 0
    .kernarg_segment_align: 8
    .kernarg_segment_size: 56
    .language:       OpenCL C
    .language_version:
      - 2
      - 0
    .max_flat_workgroup_size: 64
    .name:           _ZN7rocprim17ROCPRIM_400000_NS6detail17trampoline_kernelINS0_14default_configENS1_27lower_bound_config_selectorIdlEEZNS1_14transform_implILb0ES3_S5_N6thrust23THRUST_200600_302600_NS6detail15normal_iteratorINS8_7pointerIdNS8_11hip_rocprim5par_tENS8_11use_defaultESE_EEEENSA_INSB_IlSD_SE_SE_EEEEZNS1_13binary_searchIS3_S5_NSA_INS8_10device_ptrIdEEEESG_SI_NS1_21lower_bound_search_opENS9_16wrapped_functionINS8_6system6detail7generic6detail18binary_search_lessEbEEEE10hipError_tPvRmT1_T2_T3_mmT4_T5_P12ihipStream_tbEUlRKdE_EESV_SZ_S10_mS11_S14_bEUlT_E_NS1_11comp_targetILNS1_3genE0ELNS1_11target_archE4294967295ELNS1_3gpuE0ELNS1_3repE0EEENS1_30default_config_static_selectorELNS0_4arch9wavefront6targetE1EEEvSY_
    .private_segment_fixed_size: 0
    .sgpr_count:     4
    .sgpr_spill_count: 0
    .symbol:         _ZN7rocprim17ROCPRIM_400000_NS6detail17trampoline_kernelINS0_14default_configENS1_27lower_bound_config_selectorIdlEEZNS1_14transform_implILb0ES3_S5_N6thrust23THRUST_200600_302600_NS6detail15normal_iteratorINS8_7pointerIdNS8_11hip_rocprim5par_tENS8_11use_defaultESE_EEEENSA_INSB_IlSD_SE_SE_EEEEZNS1_13binary_searchIS3_S5_NSA_INS8_10device_ptrIdEEEESG_SI_NS1_21lower_bound_search_opENS9_16wrapped_functionINS8_6system6detail7generic6detail18binary_search_lessEbEEEE10hipError_tPvRmT1_T2_T3_mmT4_T5_P12ihipStream_tbEUlRKdE_EESV_SZ_S10_mS11_S14_bEUlT_E_NS1_11comp_targetILNS1_3genE0ELNS1_11target_archE4294967295ELNS1_3gpuE0ELNS1_3repE0EEENS1_30default_config_static_selectorELNS0_4arch9wavefront6targetE1EEEvSY_.kd
    .uniform_work_group_size: 1
    .uses_dynamic_stack: false
    .vgpr_count:     0
    .vgpr_spill_count: 0
    .wavefront_size: 64
  - .args:
      - .offset:         0
        .size:           56
        .value_kind:     by_value
    .group_segment_fixed_size: 0
    .kernarg_segment_align: 8
    .kernarg_segment_size: 56
    .language:       OpenCL C
    .language_version:
      - 2
      - 0
    .max_flat_workgroup_size: 64
    .name:           _ZN7rocprim17ROCPRIM_400000_NS6detail17trampoline_kernelINS0_14default_configENS1_27lower_bound_config_selectorIdlEEZNS1_14transform_implILb0ES3_S5_N6thrust23THRUST_200600_302600_NS6detail15normal_iteratorINS8_7pointerIdNS8_11hip_rocprim5par_tENS8_11use_defaultESE_EEEENSA_INSB_IlSD_SE_SE_EEEEZNS1_13binary_searchIS3_S5_NSA_INS8_10device_ptrIdEEEESG_SI_NS1_21lower_bound_search_opENS9_16wrapped_functionINS8_6system6detail7generic6detail18binary_search_lessEbEEEE10hipError_tPvRmT1_T2_T3_mmT4_T5_P12ihipStream_tbEUlRKdE_EESV_SZ_S10_mS11_S14_bEUlT_E_NS1_11comp_targetILNS1_3genE5ELNS1_11target_archE942ELNS1_3gpuE9ELNS1_3repE0EEENS1_30default_config_static_selectorELNS0_4arch9wavefront6targetE1EEEvSY_
    .private_segment_fixed_size: 0
    .sgpr_count:     4
    .sgpr_spill_count: 0
    .symbol:         _ZN7rocprim17ROCPRIM_400000_NS6detail17trampoline_kernelINS0_14default_configENS1_27lower_bound_config_selectorIdlEEZNS1_14transform_implILb0ES3_S5_N6thrust23THRUST_200600_302600_NS6detail15normal_iteratorINS8_7pointerIdNS8_11hip_rocprim5par_tENS8_11use_defaultESE_EEEENSA_INSB_IlSD_SE_SE_EEEEZNS1_13binary_searchIS3_S5_NSA_INS8_10device_ptrIdEEEESG_SI_NS1_21lower_bound_search_opENS9_16wrapped_functionINS8_6system6detail7generic6detail18binary_search_lessEbEEEE10hipError_tPvRmT1_T2_T3_mmT4_T5_P12ihipStream_tbEUlRKdE_EESV_SZ_S10_mS11_S14_bEUlT_E_NS1_11comp_targetILNS1_3genE5ELNS1_11target_archE942ELNS1_3gpuE9ELNS1_3repE0EEENS1_30default_config_static_selectorELNS0_4arch9wavefront6targetE1EEEvSY_.kd
    .uniform_work_group_size: 1
    .uses_dynamic_stack: false
    .vgpr_count:     0
    .vgpr_spill_count: 0
    .wavefront_size: 64
  - .args:
      - .offset:         0
        .size:           56
        .value_kind:     by_value
    .group_segment_fixed_size: 0
    .kernarg_segment_align: 8
    .kernarg_segment_size: 56
    .language:       OpenCL C
    .language_version:
      - 2
      - 0
    .max_flat_workgroup_size: 64
    .name:           _ZN7rocprim17ROCPRIM_400000_NS6detail17trampoline_kernelINS0_14default_configENS1_27lower_bound_config_selectorIdlEEZNS1_14transform_implILb0ES3_S5_N6thrust23THRUST_200600_302600_NS6detail15normal_iteratorINS8_7pointerIdNS8_11hip_rocprim5par_tENS8_11use_defaultESE_EEEENSA_INSB_IlSD_SE_SE_EEEEZNS1_13binary_searchIS3_S5_NSA_INS8_10device_ptrIdEEEESG_SI_NS1_21lower_bound_search_opENS9_16wrapped_functionINS8_6system6detail7generic6detail18binary_search_lessEbEEEE10hipError_tPvRmT1_T2_T3_mmT4_T5_P12ihipStream_tbEUlRKdE_EESV_SZ_S10_mS11_S14_bEUlT_E_NS1_11comp_targetILNS1_3genE4ELNS1_11target_archE910ELNS1_3gpuE8ELNS1_3repE0EEENS1_30default_config_static_selectorELNS0_4arch9wavefront6targetE1EEEvSY_
    .private_segment_fixed_size: 0
    .sgpr_count:     4
    .sgpr_spill_count: 0
    .symbol:         _ZN7rocprim17ROCPRIM_400000_NS6detail17trampoline_kernelINS0_14default_configENS1_27lower_bound_config_selectorIdlEEZNS1_14transform_implILb0ES3_S5_N6thrust23THRUST_200600_302600_NS6detail15normal_iteratorINS8_7pointerIdNS8_11hip_rocprim5par_tENS8_11use_defaultESE_EEEENSA_INSB_IlSD_SE_SE_EEEEZNS1_13binary_searchIS3_S5_NSA_INS8_10device_ptrIdEEEESG_SI_NS1_21lower_bound_search_opENS9_16wrapped_functionINS8_6system6detail7generic6detail18binary_search_lessEbEEEE10hipError_tPvRmT1_T2_T3_mmT4_T5_P12ihipStream_tbEUlRKdE_EESV_SZ_S10_mS11_S14_bEUlT_E_NS1_11comp_targetILNS1_3genE4ELNS1_11target_archE910ELNS1_3gpuE8ELNS1_3repE0EEENS1_30default_config_static_selectorELNS0_4arch9wavefront6targetE1EEEvSY_.kd
    .uniform_work_group_size: 1
    .uses_dynamic_stack: false
    .vgpr_count:     0
    .vgpr_spill_count: 0
    .wavefront_size: 64
  - .args:
      - .offset:         0
        .size:           56
        .value_kind:     by_value
    .group_segment_fixed_size: 0
    .kernarg_segment_align: 8
    .kernarg_segment_size: 56
    .language:       OpenCL C
    .language_version:
      - 2
      - 0
    .max_flat_workgroup_size: 64
    .name:           _ZN7rocprim17ROCPRIM_400000_NS6detail17trampoline_kernelINS0_14default_configENS1_27lower_bound_config_selectorIdlEEZNS1_14transform_implILb0ES3_S5_N6thrust23THRUST_200600_302600_NS6detail15normal_iteratorINS8_7pointerIdNS8_11hip_rocprim5par_tENS8_11use_defaultESE_EEEENSA_INSB_IlSD_SE_SE_EEEEZNS1_13binary_searchIS3_S5_NSA_INS8_10device_ptrIdEEEESG_SI_NS1_21lower_bound_search_opENS9_16wrapped_functionINS8_6system6detail7generic6detail18binary_search_lessEbEEEE10hipError_tPvRmT1_T2_T3_mmT4_T5_P12ihipStream_tbEUlRKdE_EESV_SZ_S10_mS11_S14_bEUlT_E_NS1_11comp_targetILNS1_3genE3ELNS1_11target_archE908ELNS1_3gpuE7ELNS1_3repE0EEENS1_30default_config_static_selectorELNS0_4arch9wavefront6targetE1EEEvSY_
    .private_segment_fixed_size: 0
    .sgpr_count:     4
    .sgpr_spill_count: 0
    .symbol:         _ZN7rocprim17ROCPRIM_400000_NS6detail17trampoline_kernelINS0_14default_configENS1_27lower_bound_config_selectorIdlEEZNS1_14transform_implILb0ES3_S5_N6thrust23THRUST_200600_302600_NS6detail15normal_iteratorINS8_7pointerIdNS8_11hip_rocprim5par_tENS8_11use_defaultESE_EEEENSA_INSB_IlSD_SE_SE_EEEEZNS1_13binary_searchIS3_S5_NSA_INS8_10device_ptrIdEEEESG_SI_NS1_21lower_bound_search_opENS9_16wrapped_functionINS8_6system6detail7generic6detail18binary_search_lessEbEEEE10hipError_tPvRmT1_T2_T3_mmT4_T5_P12ihipStream_tbEUlRKdE_EESV_SZ_S10_mS11_S14_bEUlT_E_NS1_11comp_targetILNS1_3genE3ELNS1_11target_archE908ELNS1_3gpuE7ELNS1_3repE0EEENS1_30default_config_static_selectorELNS0_4arch9wavefront6targetE1EEEvSY_.kd
    .uniform_work_group_size: 1
    .uses_dynamic_stack: false
    .vgpr_count:     0
    .vgpr_spill_count: 0
    .wavefront_size: 64
  - .args:
      - .offset:         0
        .size:           56
        .value_kind:     by_value
      - .offset:         56
        .size:           4
        .value_kind:     hidden_block_count_x
      - .offset:         60
        .size:           4
        .value_kind:     hidden_block_count_y
      - .offset:         64
        .size:           4
        .value_kind:     hidden_block_count_z
      - .offset:         68
        .size:           2
        .value_kind:     hidden_group_size_x
      - .offset:         70
        .size:           2
        .value_kind:     hidden_group_size_y
      - .offset:         72
        .size:           2
        .value_kind:     hidden_group_size_z
      - .offset:         74
        .size:           2
        .value_kind:     hidden_remainder_x
      - .offset:         76
        .size:           2
        .value_kind:     hidden_remainder_y
      - .offset:         78
        .size:           2
        .value_kind:     hidden_remainder_z
      - .offset:         96
        .size:           8
        .value_kind:     hidden_global_offset_x
      - .offset:         104
        .size:           8
        .value_kind:     hidden_global_offset_y
      - .offset:         112
        .size:           8
        .value_kind:     hidden_global_offset_z
      - .offset:         120
        .size:           2
        .value_kind:     hidden_grid_dims
    .group_segment_fixed_size: 0
    .kernarg_segment_align: 8
    .kernarg_segment_size: 312
    .language:       OpenCL C
    .language_version:
      - 2
      - 0
    .max_flat_workgroup_size: 256
    .name:           _ZN7rocprim17ROCPRIM_400000_NS6detail17trampoline_kernelINS0_14default_configENS1_27lower_bound_config_selectorIdlEEZNS1_14transform_implILb0ES3_S5_N6thrust23THRUST_200600_302600_NS6detail15normal_iteratorINS8_7pointerIdNS8_11hip_rocprim5par_tENS8_11use_defaultESE_EEEENSA_INSB_IlSD_SE_SE_EEEEZNS1_13binary_searchIS3_S5_NSA_INS8_10device_ptrIdEEEESG_SI_NS1_21lower_bound_search_opENS9_16wrapped_functionINS8_6system6detail7generic6detail18binary_search_lessEbEEEE10hipError_tPvRmT1_T2_T3_mmT4_T5_P12ihipStream_tbEUlRKdE_EESV_SZ_S10_mS11_S14_bEUlT_E_NS1_11comp_targetILNS1_3genE2ELNS1_11target_archE906ELNS1_3gpuE6ELNS1_3repE0EEENS1_30default_config_static_selectorELNS0_4arch9wavefront6targetE1EEEvSY_
    .private_segment_fixed_size: 0
    .sgpr_count:     22
    .sgpr_spill_count: 0
    .symbol:         _ZN7rocprim17ROCPRIM_400000_NS6detail17trampoline_kernelINS0_14default_configENS1_27lower_bound_config_selectorIdlEEZNS1_14transform_implILb0ES3_S5_N6thrust23THRUST_200600_302600_NS6detail15normal_iteratorINS8_7pointerIdNS8_11hip_rocprim5par_tENS8_11use_defaultESE_EEEENSA_INSB_IlSD_SE_SE_EEEEZNS1_13binary_searchIS3_S5_NSA_INS8_10device_ptrIdEEEESG_SI_NS1_21lower_bound_search_opENS9_16wrapped_functionINS8_6system6detail7generic6detail18binary_search_lessEbEEEE10hipError_tPvRmT1_T2_T3_mmT4_T5_P12ihipStream_tbEUlRKdE_EESV_SZ_S10_mS11_S14_bEUlT_E_NS1_11comp_targetILNS1_3genE2ELNS1_11target_archE906ELNS1_3gpuE6ELNS1_3repE0EEENS1_30default_config_static_selectorELNS0_4arch9wavefront6targetE1EEEvSY_.kd
    .uniform_work_group_size: 1
    .uses_dynamic_stack: false
    .vgpr_count:     12
    .vgpr_spill_count: 0
    .wavefront_size: 64
  - .args:
      - .offset:         0
        .size:           56
        .value_kind:     by_value
    .group_segment_fixed_size: 0
    .kernarg_segment_align: 8
    .kernarg_segment_size: 56
    .language:       OpenCL C
    .language_version:
      - 2
      - 0
    .max_flat_workgroup_size: 128
    .name:           _ZN7rocprim17ROCPRIM_400000_NS6detail17trampoline_kernelINS0_14default_configENS1_27lower_bound_config_selectorIdlEEZNS1_14transform_implILb0ES3_S5_N6thrust23THRUST_200600_302600_NS6detail15normal_iteratorINS8_7pointerIdNS8_11hip_rocprim5par_tENS8_11use_defaultESE_EEEENSA_INSB_IlSD_SE_SE_EEEEZNS1_13binary_searchIS3_S5_NSA_INS8_10device_ptrIdEEEESG_SI_NS1_21lower_bound_search_opENS9_16wrapped_functionINS8_6system6detail7generic6detail18binary_search_lessEbEEEE10hipError_tPvRmT1_T2_T3_mmT4_T5_P12ihipStream_tbEUlRKdE_EESV_SZ_S10_mS11_S14_bEUlT_E_NS1_11comp_targetILNS1_3genE10ELNS1_11target_archE1201ELNS1_3gpuE5ELNS1_3repE0EEENS1_30default_config_static_selectorELNS0_4arch9wavefront6targetE1EEEvSY_
    .private_segment_fixed_size: 0
    .sgpr_count:     4
    .sgpr_spill_count: 0
    .symbol:         _ZN7rocprim17ROCPRIM_400000_NS6detail17trampoline_kernelINS0_14default_configENS1_27lower_bound_config_selectorIdlEEZNS1_14transform_implILb0ES3_S5_N6thrust23THRUST_200600_302600_NS6detail15normal_iteratorINS8_7pointerIdNS8_11hip_rocprim5par_tENS8_11use_defaultESE_EEEENSA_INSB_IlSD_SE_SE_EEEEZNS1_13binary_searchIS3_S5_NSA_INS8_10device_ptrIdEEEESG_SI_NS1_21lower_bound_search_opENS9_16wrapped_functionINS8_6system6detail7generic6detail18binary_search_lessEbEEEE10hipError_tPvRmT1_T2_T3_mmT4_T5_P12ihipStream_tbEUlRKdE_EESV_SZ_S10_mS11_S14_bEUlT_E_NS1_11comp_targetILNS1_3genE10ELNS1_11target_archE1201ELNS1_3gpuE5ELNS1_3repE0EEENS1_30default_config_static_selectorELNS0_4arch9wavefront6targetE1EEEvSY_.kd
    .uniform_work_group_size: 1
    .uses_dynamic_stack: false
    .vgpr_count:     0
    .vgpr_spill_count: 0
    .wavefront_size: 64
  - .args:
      - .offset:         0
        .size:           56
        .value_kind:     by_value
    .group_segment_fixed_size: 0
    .kernarg_segment_align: 8
    .kernarg_segment_size: 56
    .language:       OpenCL C
    .language_version:
      - 2
      - 0
    .max_flat_workgroup_size: 128
    .name:           _ZN7rocprim17ROCPRIM_400000_NS6detail17trampoline_kernelINS0_14default_configENS1_27lower_bound_config_selectorIdlEEZNS1_14transform_implILb0ES3_S5_N6thrust23THRUST_200600_302600_NS6detail15normal_iteratorINS8_7pointerIdNS8_11hip_rocprim5par_tENS8_11use_defaultESE_EEEENSA_INSB_IlSD_SE_SE_EEEEZNS1_13binary_searchIS3_S5_NSA_INS8_10device_ptrIdEEEESG_SI_NS1_21lower_bound_search_opENS9_16wrapped_functionINS8_6system6detail7generic6detail18binary_search_lessEbEEEE10hipError_tPvRmT1_T2_T3_mmT4_T5_P12ihipStream_tbEUlRKdE_EESV_SZ_S10_mS11_S14_bEUlT_E_NS1_11comp_targetILNS1_3genE10ELNS1_11target_archE1200ELNS1_3gpuE4ELNS1_3repE0EEENS1_30default_config_static_selectorELNS0_4arch9wavefront6targetE1EEEvSY_
    .private_segment_fixed_size: 0
    .sgpr_count:     4
    .sgpr_spill_count: 0
    .symbol:         _ZN7rocprim17ROCPRIM_400000_NS6detail17trampoline_kernelINS0_14default_configENS1_27lower_bound_config_selectorIdlEEZNS1_14transform_implILb0ES3_S5_N6thrust23THRUST_200600_302600_NS6detail15normal_iteratorINS8_7pointerIdNS8_11hip_rocprim5par_tENS8_11use_defaultESE_EEEENSA_INSB_IlSD_SE_SE_EEEEZNS1_13binary_searchIS3_S5_NSA_INS8_10device_ptrIdEEEESG_SI_NS1_21lower_bound_search_opENS9_16wrapped_functionINS8_6system6detail7generic6detail18binary_search_lessEbEEEE10hipError_tPvRmT1_T2_T3_mmT4_T5_P12ihipStream_tbEUlRKdE_EESV_SZ_S10_mS11_S14_bEUlT_E_NS1_11comp_targetILNS1_3genE10ELNS1_11target_archE1200ELNS1_3gpuE4ELNS1_3repE0EEENS1_30default_config_static_selectorELNS0_4arch9wavefront6targetE1EEEvSY_.kd
    .uniform_work_group_size: 1
    .uses_dynamic_stack: false
    .vgpr_count:     0
    .vgpr_spill_count: 0
    .wavefront_size: 64
  - .args:
      - .offset:         0
        .size:           56
        .value_kind:     by_value
    .group_segment_fixed_size: 0
    .kernarg_segment_align: 8
    .kernarg_segment_size: 56
    .language:       OpenCL C
    .language_version:
      - 2
      - 0
    .max_flat_workgroup_size: 256
    .name:           _ZN7rocprim17ROCPRIM_400000_NS6detail17trampoline_kernelINS0_14default_configENS1_27lower_bound_config_selectorIdlEEZNS1_14transform_implILb0ES3_S5_N6thrust23THRUST_200600_302600_NS6detail15normal_iteratorINS8_7pointerIdNS8_11hip_rocprim5par_tENS8_11use_defaultESE_EEEENSA_INSB_IlSD_SE_SE_EEEEZNS1_13binary_searchIS3_S5_NSA_INS8_10device_ptrIdEEEESG_SI_NS1_21lower_bound_search_opENS9_16wrapped_functionINS8_6system6detail7generic6detail18binary_search_lessEbEEEE10hipError_tPvRmT1_T2_T3_mmT4_T5_P12ihipStream_tbEUlRKdE_EESV_SZ_S10_mS11_S14_bEUlT_E_NS1_11comp_targetILNS1_3genE9ELNS1_11target_archE1100ELNS1_3gpuE3ELNS1_3repE0EEENS1_30default_config_static_selectorELNS0_4arch9wavefront6targetE1EEEvSY_
    .private_segment_fixed_size: 0
    .sgpr_count:     4
    .sgpr_spill_count: 0
    .symbol:         _ZN7rocprim17ROCPRIM_400000_NS6detail17trampoline_kernelINS0_14default_configENS1_27lower_bound_config_selectorIdlEEZNS1_14transform_implILb0ES3_S5_N6thrust23THRUST_200600_302600_NS6detail15normal_iteratorINS8_7pointerIdNS8_11hip_rocprim5par_tENS8_11use_defaultESE_EEEENSA_INSB_IlSD_SE_SE_EEEEZNS1_13binary_searchIS3_S5_NSA_INS8_10device_ptrIdEEEESG_SI_NS1_21lower_bound_search_opENS9_16wrapped_functionINS8_6system6detail7generic6detail18binary_search_lessEbEEEE10hipError_tPvRmT1_T2_T3_mmT4_T5_P12ihipStream_tbEUlRKdE_EESV_SZ_S10_mS11_S14_bEUlT_E_NS1_11comp_targetILNS1_3genE9ELNS1_11target_archE1100ELNS1_3gpuE3ELNS1_3repE0EEENS1_30default_config_static_selectorELNS0_4arch9wavefront6targetE1EEEvSY_.kd
    .uniform_work_group_size: 1
    .uses_dynamic_stack: false
    .vgpr_count:     0
    .vgpr_spill_count: 0
    .wavefront_size: 64
  - .args:
      - .offset:         0
        .size:           56
        .value_kind:     by_value
    .group_segment_fixed_size: 0
    .kernarg_segment_align: 8
    .kernarg_segment_size: 56
    .language:       OpenCL C
    .language_version:
      - 2
      - 0
    .max_flat_workgroup_size: 256
    .name:           _ZN7rocprim17ROCPRIM_400000_NS6detail17trampoline_kernelINS0_14default_configENS1_27lower_bound_config_selectorIdlEEZNS1_14transform_implILb0ES3_S5_N6thrust23THRUST_200600_302600_NS6detail15normal_iteratorINS8_7pointerIdNS8_11hip_rocprim5par_tENS8_11use_defaultESE_EEEENSA_INSB_IlSD_SE_SE_EEEEZNS1_13binary_searchIS3_S5_NSA_INS8_10device_ptrIdEEEESG_SI_NS1_21lower_bound_search_opENS9_16wrapped_functionINS8_6system6detail7generic6detail18binary_search_lessEbEEEE10hipError_tPvRmT1_T2_T3_mmT4_T5_P12ihipStream_tbEUlRKdE_EESV_SZ_S10_mS11_S14_bEUlT_E_NS1_11comp_targetILNS1_3genE8ELNS1_11target_archE1030ELNS1_3gpuE2ELNS1_3repE0EEENS1_30default_config_static_selectorELNS0_4arch9wavefront6targetE1EEEvSY_
    .private_segment_fixed_size: 0
    .sgpr_count:     4
    .sgpr_spill_count: 0
    .symbol:         _ZN7rocprim17ROCPRIM_400000_NS6detail17trampoline_kernelINS0_14default_configENS1_27lower_bound_config_selectorIdlEEZNS1_14transform_implILb0ES3_S5_N6thrust23THRUST_200600_302600_NS6detail15normal_iteratorINS8_7pointerIdNS8_11hip_rocprim5par_tENS8_11use_defaultESE_EEEENSA_INSB_IlSD_SE_SE_EEEEZNS1_13binary_searchIS3_S5_NSA_INS8_10device_ptrIdEEEESG_SI_NS1_21lower_bound_search_opENS9_16wrapped_functionINS8_6system6detail7generic6detail18binary_search_lessEbEEEE10hipError_tPvRmT1_T2_T3_mmT4_T5_P12ihipStream_tbEUlRKdE_EESV_SZ_S10_mS11_S14_bEUlT_E_NS1_11comp_targetILNS1_3genE8ELNS1_11target_archE1030ELNS1_3gpuE2ELNS1_3repE0EEENS1_30default_config_static_selectorELNS0_4arch9wavefront6targetE1EEEvSY_.kd
    .uniform_work_group_size: 1
    .uses_dynamic_stack: false
    .vgpr_count:     0
    .vgpr_spill_count: 0
    .wavefront_size: 64
  - .args:
      - .offset:         0
        .size:           56
        .value_kind:     by_value
    .group_segment_fixed_size: 0
    .kernarg_segment_align: 8
    .kernarg_segment_size: 56
    .language:       OpenCL C
    .language_version:
      - 2
      - 0
    .max_flat_workgroup_size: 256
    .name:           _ZN7rocprim17ROCPRIM_400000_NS6detail17trampoline_kernelINS0_14default_configENS1_27lower_bound_config_selectorIflEEZNS1_14transform_implILb0ES3_S5_N6thrust23THRUST_200600_302600_NS6detail15normal_iteratorINS8_7pointerIfNS8_11hip_rocprim16par_det_nosync_tENS8_11use_defaultESE_EEEENSA_INSB_IlSD_SE_SE_EEEEZNS1_13binary_searchIS3_S5_NSA_INS8_10device_ptrIfEEEESG_SI_NS1_21lower_bound_search_opENS9_16wrapped_functionINS8_6system6detail7generic6detail18binary_search_lessEbEEEE10hipError_tPvRmT1_T2_T3_mmT4_T5_P12ihipStream_tbEUlRKfE_EESV_SZ_S10_mS11_S14_bEUlT_E_NS1_11comp_targetILNS1_3genE0ELNS1_11target_archE4294967295ELNS1_3gpuE0ELNS1_3repE0EEENS1_30default_config_static_selectorELNS0_4arch9wavefront6targetE1EEEvSY_
    .private_segment_fixed_size: 0
    .sgpr_count:     4
    .sgpr_spill_count: 0
    .symbol:         _ZN7rocprim17ROCPRIM_400000_NS6detail17trampoline_kernelINS0_14default_configENS1_27lower_bound_config_selectorIflEEZNS1_14transform_implILb0ES3_S5_N6thrust23THRUST_200600_302600_NS6detail15normal_iteratorINS8_7pointerIfNS8_11hip_rocprim16par_det_nosync_tENS8_11use_defaultESE_EEEENSA_INSB_IlSD_SE_SE_EEEEZNS1_13binary_searchIS3_S5_NSA_INS8_10device_ptrIfEEEESG_SI_NS1_21lower_bound_search_opENS9_16wrapped_functionINS8_6system6detail7generic6detail18binary_search_lessEbEEEE10hipError_tPvRmT1_T2_T3_mmT4_T5_P12ihipStream_tbEUlRKfE_EESV_SZ_S10_mS11_S14_bEUlT_E_NS1_11comp_targetILNS1_3genE0ELNS1_11target_archE4294967295ELNS1_3gpuE0ELNS1_3repE0EEENS1_30default_config_static_selectorELNS0_4arch9wavefront6targetE1EEEvSY_.kd
    .uniform_work_group_size: 1
    .uses_dynamic_stack: false
    .vgpr_count:     0
    .vgpr_spill_count: 0
    .wavefront_size: 64
  - .args:
      - .offset:         0
        .size:           56
        .value_kind:     by_value
    .group_segment_fixed_size: 0
    .kernarg_segment_align: 8
    .kernarg_segment_size: 56
    .language:       OpenCL C
    .language_version:
      - 2
      - 0
    .max_flat_workgroup_size: 256
    .name:           _ZN7rocprim17ROCPRIM_400000_NS6detail17trampoline_kernelINS0_14default_configENS1_27lower_bound_config_selectorIflEEZNS1_14transform_implILb0ES3_S5_N6thrust23THRUST_200600_302600_NS6detail15normal_iteratorINS8_7pointerIfNS8_11hip_rocprim16par_det_nosync_tENS8_11use_defaultESE_EEEENSA_INSB_IlSD_SE_SE_EEEEZNS1_13binary_searchIS3_S5_NSA_INS8_10device_ptrIfEEEESG_SI_NS1_21lower_bound_search_opENS9_16wrapped_functionINS8_6system6detail7generic6detail18binary_search_lessEbEEEE10hipError_tPvRmT1_T2_T3_mmT4_T5_P12ihipStream_tbEUlRKfE_EESV_SZ_S10_mS11_S14_bEUlT_E_NS1_11comp_targetILNS1_3genE5ELNS1_11target_archE942ELNS1_3gpuE9ELNS1_3repE0EEENS1_30default_config_static_selectorELNS0_4arch9wavefront6targetE1EEEvSY_
    .private_segment_fixed_size: 0
    .sgpr_count:     4
    .sgpr_spill_count: 0
    .symbol:         _ZN7rocprim17ROCPRIM_400000_NS6detail17trampoline_kernelINS0_14default_configENS1_27lower_bound_config_selectorIflEEZNS1_14transform_implILb0ES3_S5_N6thrust23THRUST_200600_302600_NS6detail15normal_iteratorINS8_7pointerIfNS8_11hip_rocprim16par_det_nosync_tENS8_11use_defaultESE_EEEENSA_INSB_IlSD_SE_SE_EEEEZNS1_13binary_searchIS3_S5_NSA_INS8_10device_ptrIfEEEESG_SI_NS1_21lower_bound_search_opENS9_16wrapped_functionINS8_6system6detail7generic6detail18binary_search_lessEbEEEE10hipError_tPvRmT1_T2_T3_mmT4_T5_P12ihipStream_tbEUlRKfE_EESV_SZ_S10_mS11_S14_bEUlT_E_NS1_11comp_targetILNS1_3genE5ELNS1_11target_archE942ELNS1_3gpuE9ELNS1_3repE0EEENS1_30default_config_static_selectorELNS0_4arch9wavefront6targetE1EEEvSY_.kd
    .uniform_work_group_size: 1
    .uses_dynamic_stack: false
    .vgpr_count:     0
    .vgpr_spill_count: 0
    .wavefront_size: 64
  - .args:
      - .offset:         0
        .size:           56
        .value_kind:     by_value
    .group_segment_fixed_size: 0
    .kernarg_segment_align: 8
    .kernarg_segment_size: 56
    .language:       OpenCL C
    .language_version:
      - 2
      - 0
    .max_flat_workgroup_size: 256
    .name:           _ZN7rocprim17ROCPRIM_400000_NS6detail17trampoline_kernelINS0_14default_configENS1_27lower_bound_config_selectorIflEEZNS1_14transform_implILb0ES3_S5_N6thrust23THRUST_200600_302600_NS6detail15normal_iteratorINS8_7pointerIfNS8_11hip_rocprim16par_det_nosync_tENS8_11use_defaultESE_EEEENSA_INSB_IlSD_SE_SE_EEEEZNS1_13binary_searchIS3_S5_NSA_INS8_10device_ptrIfEEEESG_SI_NS1_21lower_bound_search_opENS9_16wrapped_functionINS8_6system6detail7generic6detail18binary_search_lessEbEEEE10hipError_tPvRmT1_T2_T3_mmT4_T5_P12ihipStream_tbEUlRKfE_EESV_SZ_S10_mS11_S14_bEUlT_E_NS1_11comp_targetILNS1_3genE4ELNS1_11target_archE910ELNS1_3gpuE8ELNS1_3repE0EEENS1_30default_config_static_selectorELNS0_4arch9wavefront6targetE1EEEvSY_
    .private_segment_fixed_size: 0
    .sgpr_count:     4
    .sgpr_spill_count: 0
    .symbol:         _ZN7rocprim17ROCPRIM_400000_NS6detail17trampoline_kernelINS0_14default_configENS1_27lower_bound_config_selectorIflEEZNS1_14transform_implILb0ES3_S5_N6thrust23THRUST_200600_302600_NS6detail15normal_iteratorINS8_7pointerIfNS8_11hip_rocprim16par_det_nosync_tENS8_11use_defaultESE_EEEENSA_INSB_IlSD_SE_SE_EEEEZNS1_13binary_searchIS3_S5_NSA_INS8_10device_ptrIfEEEESG_SI_NS1_21lower_bound_search_opENS9_16wrapped_functionINS8_6system6detail7generic6detail18binary_search_lessEbEEEE10hipError_tPvRmT1_T2_T3_mmT4_T5_P12ihipStream_tbEUlRKfE_EESV_SZ_S10_mS11_S14_bEUlT_E_NS1_11comp_targetILNS1_3genE4ELNS1_11target_archE910ELNS1_3gpuE8ELNS1_3repE0EEENS1_30default_config_static_selectorELNS0_4arch9wavefront6targetE1EEEvSY_.kd
    .uniform_work_group_size: 1
    .uses_dynamic_stack: false
    .vgpr_count:     0
    .vgpr_spill_count: 0
    .wavefront_size: 64
  - .args:
      - .offset:         0
        .size:           56
        .value_kind:     by_value
    .group_segment_fixed_size: 0
    .kernarg_segment_align: 8
    .kernarg_segment_size: 56
    .language:       OpenCL C
    .language_version:
      - 2
      - 0
    .max_flat_workgroup_size: 256
    .name:           _ZN7rocprim17ROCPRIM_400000_NS6detail17trampoline_kernelINS0_14default_configENS1_27lower_bound_config_selectorIflEEZNS1_14transform_implILb0ES3_S5_N6thrust23THRUST_200600_302600_NS6detail15normal_iteratorINS8_7pointerIfNS8_11hip_rocprim16par_det_nosync_tENS8_11use_defaultESE_EEEENSA_INSB_IlSD_SE_SE_EEEEZNS1_13binary_searchIS3_S5_NSA_INS8_10device_ptrIfEEEESG_SI_NS1_21lower_bound_search_opENS9_16wrapped_functionINS8_6system6detail7generic6detail18binary_search_lessEbEEEE10hipError_tPvRmT1_T2_T3_mmT4_T5_P12ihipStream_tbEUlRKfE_EESV_SZ_S10_mS11_S14_bEUlT_E_NS1_11comp_targetILNS1_3genE3ELNS1_11target_archE908ELNS1_3gpuE7ELNS1_3repE0EEENS1_30default_config_static_selectorELNS0_4arch9wavefront6targetE1EEEvSY_
    .private_segment_fixed_size: 0
    .sgpr_count:     4
    .sgpr_spill_count: 0
    .symbol:         _ZN7rocprim17ROCPRIM_400000_NS6detail17trampoline_kernelINS0_14default_configENS1_27lower_bound_config_selectorIflEEZNS1_14transform_implILb0ES3_S5_N6thrust23THRUST_200600_302600_NS6detail15normal_iteratorINS8_7pointerIfNS8_11hip_rocprim16par_det_nosync_tENS8_11use_defaultESE_EEEENSA_INSB_IlSD_SE_SE_EEEEZNS1_13binary_searchIS3_S5_NSA_INS8_10device_ptrIfEEEESG_SI_NS1_21lower_bound_search_opENS9_16wrapped_functionINS8_6system6detail7generic6detail18binary_search_lessEbEEEE10hipError_tPvRmT1_T2_T3_mmT4_T5_P12ihipStream_tbEUlRKfE_EESV_SZ_S10_mS11_S14_bEUlT_E_NS1_11comp_targetILNS1_3genE3ELNS1_11target_archE908ELNS1_3gpuE7ELNS1_3repE0EEENS1_30default_config_static_selectorELNS0_4arch9wavefront6targetE1EEEvSY_.kd
    .uniform_work_group_size: 1
    .uses_dynamic_stack: false
    .vgpr_count:     0
    .vgpr_spill_count: 0
    .wavefront_size: 64
  - .args:
      - .offset:         0
        .size:           56
        .value_kind:     by_value
      - .offset:         56
        .size:           4
        .value_kind:     hidden_block_count_x
      - .offset:         60
        .size:           4
        .value_kind:     hidden_block_count_y
      - .offset:         64
        .size:           4
        .value_kind:     hidden_block_count_z
      - .offset:         68
        .size:           2
        .value_kind:     hidden_group_size_x
      - .offset:         70
        .size:           2
        .value_kind:     hidden_group_size_y
      - .offset:         72
        .size:           2
        .value_kind:     hidden_group_size_z
      - .offset:         74
        .size:           2
        .value_kind:     hidden_remainder_x
      - .offset:         76
        .size:           2
        .value_kind:     hidden_remainder_y
      - .offset:         78
        .size:           2
        .value_kind:     hidden_remainder_z
      - .offset:         96
        .size:           8
        .value_kind:     hidden_global_offset_x
      - .offset:         104
        .size:           8
        .value_kind:     hidden_global_offset_y
      - .offset:         112
        .size:           8
        .value_kind:     hidden_global_offset_z
      - .offset:         120
        .size:           2
        .value_kind:     hidden_grid_dims
    .group_segment_fixed_size: 0
    .kernarg_segment_align: 8
    .kernarg_segment_size: 312
    .language:       OpenCL C
    .language_version:
      - 2
      - 0
    .max_flat_workgroup_size: 256
    .name:           _ZN7rocprim17ROCPRIM_400000_NS6detail17trampoline_kernelINS0_14default_configENS1_27lower_bound_config_selectorIflEEZNS1_14transform_implILb0ES3_S5_N6thrust23THRUST_200600_302600_NS6detail15normal_iteratorINS8_7pointerIfNS8_11hip_rocprim16par_det_nosync_tENS8_11use_defaultESE_EEEENSA_INSB_IlSD_SE_SE_EEEEZNS1_13binary_searchIS3_S5_NSA_INS8_10device_ptrIfEEEESG_SI_NS1_21lower_bound_search_opENS9_16wrapped_functionINS8_6system6detail7generic6detail18binary_search_lessEbEEEE10hipError_tPvRmT1_T2_T3_mmT4_T5_P12ihipStream_tbEUlRKfE_EESV_SZ_S10_mS11_S14_bEUlT_E_NS1_11comp_targetILNS1_3genE2ELNS1_11target_archE906ELNS1_3gpuE6ELNS1_3repE0EEENS1_30default_config_static_selectorELNS0_4arch9wavefront6targetE1EEEvSY_
    .private_segment_fixed_size: 0
    .sgpr_count:     24
    .sgpr_spill_count: 0
    .symbol:         _ZN7rocprim17ROCPRIM_400000_NS6detail17trampoline_kernelINS0_14default_configENS1_27lower_bound_config_selectorIflEEZNS1_14transform_implILb0ES3_S5_N6thrust23THRUST_200600_302600_NS6detail15normal_iteratorINS8_7pointerIfNS8_11hip_rocprim16par_det_nosync_tENS8_11use_defaultESE_EEEENSA_INSB_IlSD_SE_SE_EEEEZNS1_13binary_searchIS3_S5_NSA_INS8_10device_ptrIfEEEESG_SI_NS1_21lower_bound_search_opENS9_16wrapped_functionINS8_6system6detail7generic6detail18binary_search_lessEbEEEE10hipError_tPvRmT1_T2_T3_mmT4_T5_P12ihipStream_tbEUlRKfE_EESV_SZ_S10_mS11_S14_bEUlT_E_NS1_11comp_targetILNS1_3genE2ELNS1_11target_archE906ELNS1_3gpuE6ELNS1_3repE0EEENS1_30default_config_static_selectorELNS0_4arch9wavefront6targetE1EEEvSY_.kd
    .uniform_work_group_size: 1
    .uses_dynamic_stack: false
    .vgpr_count:     12
    .vgpr_spill_count: 0
    .wavefront_size: 64
  - .args:
      - .offset:         0
        .size:           56
        .value_kind:     by_value
    .group_segment_fixed_size: 0
    .kernarg_segment_align: 8
    .kernarg_segment_size: 56
    .language:       OpenCL C
    .language_version:
      - 2
      - 0
    .max_flat_workgroup_size: 128
    .name:           _ZN7rocprim17ROCPRIM_400000_NS6detail17trampoline_kernelINS0_14default_configENS1_27lower_bound_config_selectorIflEEZNS1_14transform_implILb0ES3_S5_N6thrust23THRUST_200600_302600_NS6detail15normal_iteratorINS8_7pointerIfNS8_11hip_rocprim16par_det_nosync_tENS8_11use_defaultESE_EEEENSA_INSB_IlSD_SE_SE_EEEEZNS1_13binary_searchIS3_S5_NSA_INS8_10device_ptrIfEEEESG_SI_NS1_21lower_bound_search_opENS9_16wrapped_functionINS8_6system6detail7generic6detail18binary_search_lessEbEEEE10hipError_tPvRmT1_T2_T3_mmT4_T5_P12ihipStream_tbEUlRKfE_EESV_SZ_S10_mS11_S14_bEUlT_E_NS1_11comp_targetILNS1_3genE10ELNS1_11target_archE1201ELNS1_3gpuE5ELNS1_3repE0EEENS1_30default_config_static_selectorELNS0_4arch9wavefront6targetE1EEEvSY_
    .private_segment_fixed_size: 0
    .sgpr_count:     4
    .sgpr_spill_count: 0
    .symbol:         _ZN7rocprim17ROCPRIM_400000_NS6detail17trampoline_kernelINS0_14default_configENS1_27lower_bound_config_selectorIflEEZNS1_14transform_implILb0ES3_S5_N6thrust23THRUST_200600_302600_NS6detail15normal_iteratorINS8_7pointerIfNS8_11hip_rocprim16par_det_nosync_tENS8_11use_defaultESE_EEEENSA_INSB_IlSD_SE_SE_EEEEZNS1_13binary_searchIS3_S5_NSA_INS8_10device_ptrIfEEEESG_SI_NS1_21lower_bound_search_opENS9_16wrapped_functionINS8_6system6detail7generic6detail18binary_search_lessEbEEEE10hipError_tPvRmT1_T2_T3_mmT4_T5_P12ihipStream_tbEUlRKfE_EESV_SZ_S10_mS11_S14_bEUlT_E_NS1_11comp_targetILNS1_3genE10ELNS1_11target_archE1201ELNS1_3gpuE5ELNS1_3repE0EEENS1_30default_config_static_selectorELNS0_4arch9wavefront6targetE1EEEvSY_.kd
    .uniform_work_group_size: 1
    .uses_dynamic_stack: false
    .vgpr_count:     0
    .vgpr_spill_count: 0
    .wavefront_size: 64
  - .args:
      - .offset:         0
        .size:           56
        .value_kind:     by_value
    .group_segment_fixed_size: 0
    .kernarg_segment_align: 8
    .kernarg_segment_size: 56
    .language:       OpenCL C
    .language_version:
      - 2
      - 0
    .max_flat_workgroup_size: 128
    .name:           _ZN7rocprim17ROCPRIM_400000_NS6detail17trampoline_kernelINS0_14default_configENS1_27lower_bound_config_selectorIflEEZNS1_14transform_implILb0ES3_S5_N6thrust23THRUST_200600_302600_NS6detail15normal_iteratorINS8_7pointerIfNS8_11hip_rocprim16par_det_nosync_tENS8_11use_defaultESE_EEEENSA_INSB_IlSD_SE_SE_EEEEZNS1_13binary_searchIS3_S5_NSA_INS8_10device_ptrIfEEEESG_SI_NS1_21lower_bound_search_opENS9_16wrapped_functionINS8_6system6detail7generic6detail18binary_search_lessEbEEEE10hipError_tPvRmT1_T2_T3_mmT4_T5_P12ihipStream_tbEUlRKfE_EESV_SZ_S10_mS11_S14_bEUlT_E_NS1_11comp_targetILNS1_3genE10ELNS1_11target_archE1200ELNS1_3gpuE4ELNS1_3repE0EEENS1_30default_config_static_selectorELNS0_4arch9wavefront6targetE1EEEvSY_
    .private_segment_fixed_size: 0
    .sgpr_count:     4
    .sgpr_spill_count: 0
    .symbol:         _ZN7rocprim17ROCPRIM_400000_NS6detail17trampoline_kernelINS0_14default_configENS1_27lower_bound_config_selectorIflEEZNS1_14transform_implILb0ES3_S5_N6thrust23THRUST_200600_302600_NS6detail15normal_iteratorINS8_7pointerIfNS8_11hip_rocprim16par_det_nosync_tENS8_11use_defaultESE_EEEENSA_INSB_IlSD_SE_SE_EEEEZNS1_13binary_searchIS3_S5_NSA_INS8_10device_ptrIfEEEESG_SI_NS1_21lower_bound_search_opENS9_16wrapped_functionINS8_6system6detail7generic6detail18binary_search_lessEbEEEE10hipError_tPvRmT1_T2_T3_mmT4_T5_P12ihipStream_tbEUlRKfE_EESV_SZ_S10_mS11_S14_bEUlT_E_NS1_11comp_targetILNS1_3genE10ELNS1_11target_archE1200ELNS1_3gpuE4ELNS1_3repE0EEENS1_30default_config_static_selectorELNS0_4arch9wavefront6targetE1EEEvSY_.kd
    .uniform_work_group_size: 1
    .uses_dynamic_stack: false
    .vgpr_count:     0
    .vgpr_spill_count: 0
    .wavefront_size: 64
  - .args:
      - .offset:         0
        .size:           56
        .value_kind:     by_value
    .group_segment_fixed_size: 0
    .kernarg_segment_align: 8
    .kernarg_segment_size: 56
    .language:       OpenCL C
    .language_version:
      - 2
      - 0
    .max_flat_workgroup_size: 256
    .name:           _ZN7rocprim17ROCPRIM_400000_NS6detail17trampoline_kernelINS0_14default_configENS1_27lower_bound_config_selectorIflEEZNS1_14transform_implILb0ES3_S5_N6thrust23THRUST_200600_302600_NS6detail15normal_iteratorINS8_7pointerIfNS8_11hip_rocprim16par_det_nosync_tENS8_11use_defaultESE_EEEENSA_INSB_IlSD_SE_SE_EEEEZNS1_13binary_searchIS3_S5_NSA_INS8_10device_ptrIfEEEESG_SI_NS1_21lower_bound_search_opENS9_16wrapped_functionINS8_6system6detail7generic6detail18binary_search_lessEbEEEE10hipError_tPvRmT1_T2_T3_mmT4_T5_P12ihipStream_tbEUlRKfE_EESV_SZ_S10_mS11_S14_bEUlT_E_NS1_11comp_targetILNS1_3genE9ELNS1_11target_archE1100ELNS1_3gpuE3ELNS1_3repE0EEENS1_30default_config_static_selectorELNS0_4arch9wavefront6targetE1EEEvSY_
    .private_segment_fixed_size: 0
    .sgpr_count:     4
    .sgpr_spill_count: 0
    .symbol:         _ZN7rocprim17ROCPRIM_400000_NS6detail17trampoline_kernelINS0_14default_configENS1_27lower_bound_config_selectorIflEEZNS1_14transform_implILb0ES3_S5_N6thrust23THRUST_200600_302600_NS6detail15normal_iteratorINS8_7pointerIfNS8_11hip_rocprim16par_det_nosync_tENS8_11use_defaultESE_EEEENSA_INSB_IlSD_SE_SE_EEEEZNS1_13binary_searchIS3_S5_NSA_INS8_10device_ptrIfEEEESG_SI_NS1_21lower_bound_search_opENS9_16wrapped_functionINS8_6system6detail7generic6detail18binary_search_lessEbEEEE10hipError_tPvRmT1_T2_T3_mmT4_T5_P12ihipStream_tbEUlRKfE_EESV_SZ_S10_mS11_S14_bEUlT_E_NS1_11comp_targetILNS1_3genE9ELNS1_11target_archE1100ELNS1_3gpuE3ELNS1_3repE0EEENS1_30default_config_static_selectorELNS0_4arch9wavefront6targetE1EEEvSY_.kd
    .uniform_work_group_size: 1
    .uses_dynamic_stack: false
    .vgpr_count:     0
    .vgpr_spill_count: 0
    .wavefront_size: 64
  - .args:
      - .offset:         0
        .size:           56
        .value_kind:     by_value
    .group_segment_fixed_size: 0
    .kernarg_segment_align: 8
    .kernarg_segment_size: 56
    .language:       OpenCL C
    .language_version:
      - 2
      - 0
    .max_flat_workgroup_size: 256
    .name:           _ZN7rocprim17ROCPRIM_400000_NS6detail17trampoline_kernelINS0_14default_configENS1_27lower_bound_config_selectorIflEEZNS1_14transform_implILb0ES3_S5_N6thrust23THRUST_200600_302600_NS6detail15normal_iteratorINS8_7pointerIfNS8_11hip_rocprim16par_det_nosync_tENS8_11use_defaultESE_EEEENSA_INSB_IlSD_SE_SE_EEEEZNS1_13binary_searchIS3_S5_NSA_INS8_10device_ptrIfEEEESG_SI_NS1_21lower_bound_search_opENS9_16wrapped_functionINS8_6system6detail7generic6detail18binary_search_lessEbEEEE10hipError_tPvRmT1_T2_T3_mmT4_T5_P12ihipStream_tbEUlRKfE_EESV_SZ_S10_mS11_S14_bEUlT_E_NS1_11comp_targetILNS1_3genE8ELNS1_11target_archE1030ELNS1_3gpuE2ELNS1_3repE0EEENS1_30default_config_static_selectorELNS0_4arch9wavefront6targetE1EEEvSY_
    .private_segment_fixed_size: 0
    .sgpr_count:     4
    .sgpr_spill_count: 0
    .symbol:         _ZN7rocprim17ROCPRIM_400000_NS6detail17trampoline_kernelINS0_14default_configENS1_27lower_bound_config_selectorIflEEZNS1_14transform_implILb0ES3_S5_N6thrust23THRUST_200600_302600_NS6detail15normal_iteratorINS8_7pointerIfNS8_11hip_rocprim16par_det_nosync_tENS8_11use_defaultESE_EEEENSA_INSB_IlSD_SE_SE_EEEEZNS1_13binary_searchIS3_S5_NSA_INS8_10device_ptrIfEEEESG_SI_NS1_21lower_bound_search_opENS9_16wrapped_functionINS8_6system6detail7generic6detail18binary_search_lessEbEEEE10hipError_tPvRmT1_T2_T3_mmT4_T5_P12ihipStream_tbEUlRKfE_EESV_SZ_S10_mS11_S14_bEUlT_E_NS1_11comp_targetILNS1_3genE8ELNS1_11target_archE1030ELNS1_3gpuE2ELNS1_3repE0EEENS1_30default_config_static_selectorELNS0_4arch9wavefront6targetE1EEEvSY_.kd
    .uniform_work_group_size: 1
    .uses_dynamic_stack: false
    .vgpr_count:     0
    .vgpr_spill_count: 0
    .wavefront_size: 64
  - .args:
      - .offset:         0
        .size:           56
        .value_kind:     by_value
    .group_segment_fixed_size: 0
    .kernarg_segment_align: 8
    .kernarg_segment_size: 56
    .language:       OpenCL C
    .language_version:
      - 2
      - 0
    .max_flat_workgroup_size: 256
    .name:           _ZN7rocprim17ROCPRIM_400000_NS6detail17trampoline_kernelINS0_14default_configENS1_27lower_bound_config_selectorIflEEZNS1_14transform_implILb0ES3_S5_N6thrust23THRUST_200600_302600_NS6detail15normal_iteratorINS8_7pointerIfNS8_11hip_rocprim9par_det_tENS8_11use_defaultESE_EEEENSA_INSB_IlSD_SE_SE_EEEEZNS1_13binary_searchIS3_S5_NSA_INS8_10device_ptrIfEEEESG_SI_NS1_21lower_bound_search_opENS9_16wrapped_functionINS8_6system6detail7generic6detail18binary_search_lessEbEEEE10hipError_tPvRmT1_T2_T3_mmT4_T5_P12ihipStream_tbEUlRKfE_EESV_SZ_S10_mS11_S14_bEUlT_E_NS1_11comp_targetILNS1_3genE0ELNS1_11target_archE4294967295ELNS1_3gpuE0ELNS1_3repE0EEENS1_30default_config_static_selectorELNS0_4arch9wavefront6targetE1EEEvSY_
    .private_segment_fixed_size: 0
    .sgpr_count:     4
    .sgpr_spill_count: 0
    .symbol:         _ZN7rocprim17ROCPRIM_400000_NS6detail17trampoline_kernelINS0_14default_configENS1_27lower_bound_config_selectorIflEEZNS1_14transform_implILb0ES3_S5_N6thrust23THRUST_200600_302600_NS6detail15normal_iteratorINS8_7pointerIfNS8_11hip_rocprim9par_det_tENS8_11use_defaultESE_EEEENSA_INSB_IlSD_SE_SE_EEEEZNS1_13binary_searchIS3_S5_NSA_INS8_10device_ptrIfEEEESG_SI_NS1_21lower_bound_search_opENS9_16wrapped_functionINS8_6system6detail7generic6detail18binary_search_lessEbEEEE10hipError_tPvRmT1_T2_T3_mmT4_T5_P12ihipStream_tbEUlRKfE_EESV_SZ_S10_mS11_S14_bEUlT_E_NS1_11comp_targetILNS1_3genE0ELNS1_11target_archE4294967295ELNS1_3gpuE0ELNS1_3repE0EEENS1_30default_config_static_selectorELNS0_4arch9wavefront6targetE1EEEvSY_.kd
    .uniform_work_group_size: 1
    .uses_dynamic_stack: false
    .vgpr_count:     0
    .vgpr_spill_count: 0
    .wavefront_size: 64
  - .args:
      - .offset:         0
        .size:           56
        .value_kind:     by_value
    .group_segment_fixed_size: 0
    .kernarg_segment_align: 8
    .kernarg_segment_size: 56
    .language:       OpenCL C
    .language_version:
      - 2
      - 0
    .max_flat_workgroup_size: 256
    .name:           _ZN7rocprim17ROCPRIM_400000_NS6detail17trampoline_kernelINS0_14default_configENS1_27lower_bound_config_selectorIflEEZNS1_14transform_implILb0ES3_S5_N6thrust23THRUST_200600_302600_NS6detail15normal_iteratorINS8_7pointerIfNS8_11hip_rocprim9par_det_tENS8_11use_defaultESE_EEEENSA_INSB_IlSD_SE_SE_EEEEZNS1_13binary_searchIS3_S5_NSA_INS8_10device_ptrIfEEEESG_SI_NS1_21lower_bound_search_opENS9_16wrapped_functionINS8_6system6detail7generic6detail18binary_search_lessEbEEEE10hipError_tPvRmT1_T2_T3_mmT4_T5_P12ihipStream_tbEUlRKfE_EESV_SZ_S10_mS11_S14_bEUlT_E_NS1_11comp_targetILNS1_3genE5ELNS1_11target_archE942ELNS1_3gpuE9ELNS1_3repE0EEENS1_30default_config_static_selectorELNS0_4arch9wavefront6targetE1EEEvSY_
    .private_segment_fixed_size: 0
    .sgpr_count:     4
    .sgpr_spill_count: 0
    .symbol:         _ZN7rocprim17ROCPRIM_400000_NS6detail17trampoline_kernelINS0_14default_configENS1_27lower_bound_config_selectorIflEEZNS1_14transform_implILb0ES3_S5_N6thrust23THRUST_200600_302600_NS6detail15normal_iteratorINS8_7pointerIfNS8_11hip_rocprim9par_det_tENS8_11use_defaultESE_EEEENSA_INSB_IlSD_SE_SE_EEEEZNS1_13binary_searchIS3_S5_NSA_INS8_10device_ptrIfEEEESG_SI_NS1_21lower_bound_search_opENS9_16wrapped_functionINS8_6system6detail7generic6detail18binary_search_lessEbEEEE10hipError_tPvRmT1_T2_T3_mmT4_T5_P12ihipStream_tbEUlRKfE_EESV_SZ_S10_mS11_S14_bEUlT_E_NS1_11comp_targetILNS1_3genE5ELNS1_11target_archE942ELNS1_3gpuE9ELNS1_3repE0EEENS1_30default_config_static_selectorELNS0_4arch9wavefront6targetE1EEEvSY_.kd
    .uniform_work_group_size: 1
    .uses_dynamic_stack: false
    .vgpr_count:     0
    .vgpr_spill_count: 0
    .wavefront_size: 64
  - .args:
      - .offset:         0
        .size:           56
        .value_kind:     by_value
    .group_segment_fixed_size: 0
    .kernarg_segment_align: 8
    .kernarg_segment_size: 56
    .language:       OpenCL C
    .language_version:
      - 2
      - 0
    .max_flat_workgroup_size: 256
    .name:           _ZN7rocprim17ROCPRIM_400000_NS6detail17trampoline_kernelINS0_14default_configENS1_27lower_bound_config_selectorIflEEZNS1_14transform_implILb0ES3_S5_N6thrust23THRUST_200600_302600_NS6detail15normal_iteratorINS8_7pointerIfNS8_11hip_rocprim9par_det_tENS8_11use_defaultESE_EEEENSA_INSB_IlSD_SE_SE_EEEEZNS1_13binary_searchIS3_S5_NSA_INS8_10device_ptrIfEEEESG_SI_NS1_21lower_bound_search_opENS9_16wrapped_functionINS8_6system6detail7generic6detail18binary_search_lessEbEEEE10hipError_tPvRmT1_T2_T3_mmT4_T5_P12ihipStream_tbEUlRKfE_EESV_SZ_S10_mS11_S14_bEUlT_E_NS1_11comp_targetILNS1_3genE4ELNS1_11target_archE910ELNS1_3gpuE8ELNS1_3repE0EEENS1_30default_config_static_selectorELNS0_4arch9wavefront6targetE1EEEvSY_
    .private_segment_fixed_size: 0
    .sgpr_count:     4
    .sgpr_spill_count: 0
    .symbol:         _ZN7rocprim17ROCPRIM_400000_NS6detail17trampoline_kernelINS0_14default_configENS1_27lower_bound_config_selectorIflEEZNS1_14transform_implILb0ES3_S5_N6thrust23THRUST_200600_302600_NS6detail15normal_iteratorINS8_7pointerIfNS8_11hip_rocprim9par_det_tENS8_11use_defaultESE_EEEENSA_INSB_IlSD_SE_SE_EEEEZNS1_13binary_searchIS3_S5_NSA_INS8_10device_ptrIfEEEESG_SI_NS1_21lower_bound_search_opENS9_16wrapped_functionINS8_6system6detail7generic6detail18binary_search_lessEbEEEE10hipError_tPvRmT1_T2_T3_mmT4_T5_P12ihipStream_tbEUlRKfE_EESV_SZ_S10_mS11_S14_bEUlT_E_NS1_11comp_targetILNS1_3genE4ELNS1_11target_archE910ELNS1_3gpuE8ELNS1_3repE0EEENS1_30default_config_static_selectorELNS0_4arch9wavefront6targetE1EEEvSY_.kd
    .uniform_work_group_size: 1
    .uses_dynamic_stack: false
    .vgpr_count:     0
    .vgpr_spill_count: 0
    .wavefront_size: 64
  - .args:
      - .offset:         0
        .size:           56
        .value_kind:     by_value
    .group_segment_fixed_size: 0
    .kernarg_segment_align: 8
    .kernarg_segment_size: 56
    .language:       OpenCL C
    .language_version:
      - 2
      - 0
    .max_flat_workgroup_size: 256
    .name:           _ZN7rocprim17ROCPRIM_400000_NS6detail17trampoline_kernelINS0_14default_configENS1_27lower_bound_config_selectorIflEEZNS1_14transform_implILb0ES3_S5_N6thrust23THRUST_200600_302600_NS6detail15normal_iteratorINS8_7pointerIfNS8_11hip_rocprim9par_det_tENS8_11use_defaultESE_EEEENSA_INSB_IlSD_SE_SE_EEEEZNS1_13binary_searchIS3_S5_NSA_INS8_10device_ptrIfEEEESG_SI_NS1_21lower_bound_search_opENS9_16wrapped_functionINS8_6system6detail7generic6detail18binary_search_lessEbEEEE10hipError_tPvRmT1_T2_T3_mmT4_T5_P12ihipStream_tbEUlRKfE_EESV_SZ_S10_mS11_S14_bEUlT_E_NS1_11comp_targetILNS1_3genE3ELNS1_11target_archE908ELNS1_3gpuE7ELNS1_3repE0EEENS1_30default_config_static_selectorELNS0_4arch9wavefront6targetE1EEEvSY_
    .private_segment_fixed_size: 0
    .sgpr_count:     4
    .sgpr_spill_count: 0
    .symbol:         _ZN7rocprim17ROCPRIM_400000_NS6detail17trampoline_kernelINS0_14default_configENS1_27lower_bound_config_selectorIflEEZNS1_14transform_implILb0ES3_S5_N6thrust23THRUST_200600_302600_NS6detail15normal_iteratorINS8_7pointerIfNS8_11hip_rocprim9par_det_tENS8_11use_defaultESE_EEEENSA_INSB_IlSD_SE_SE_EEEEZNS1_13binary_searchIS3_S5_NSA_INS8_10device_ptrIfEEEESG_SI_NS1_21lower_bound_search_opENS9_16wrapped_functionINS8_6system6detail7generic6detail18binary_search_lessEbEEEE10hipError_tPvRmT1_T2_T3_mmT4_T5_P12ihipStream_tbEUlRKfE_EESV_SZ_S10_mS11_S14_bEUlT_E_NS1_11comp_targetILNS1_3genE3ELNS1_11target_archE908ELNS1_3gpuE7ELNS1_3repE0EEENS1_30default_config_static_selectorELNS0_4arch9wavefront6targetE1EEEvSY_.kd
    .uniform_work_group_size: 1
    .uses_dynamic_stack: false
    .vgpr_count:     0
    .vgpr_spill_count: 0
    .wavefront_size: 64
  - .args:
      - .offset:         0
        .size:           56
        .value_kind:     by_value
      - .offset:         56
        .size:           4
        .value_kind:     hidden_block_count_x
      - .offset:         60
        .size:           4
        .value_kind:     hidden_block_count_y
      - .offset:         64
        .size:           4
        .value_kind:     hidden_block_count_z
      - .offset:         68
        .size:           2
        .value_kind:     hidden_group_size_x
      - .offset:         70
        .size:           2
        .value_kind:     hidden_group_size_y
      - .offset:         72
        .size:           2
        .value_kind:     hidden_group_size_z
      - .offset:         74
        .size:           2
        .value_kind:     hidden_remainder_x
      - .offset:         76
        .size:           2
        .value_kind:     hidden_remainder_y
      - .offset:         78
        .size:           2
        .value_kind:     hidden_remainder_z
      - .offset:         96
        .size:           8
        .value_kind:     hidden_global_offset_x
      - .offset:         104
        .size:           8
        .value_kind:     hidden_global_offset_y
      - .offset:         112
        .size:           8
        .value_kind:     hidden_global_offset_z
      - .offset:         120
        .size:           2
        .value_kind:     hidden_grid_dims
    .group_segment_fixed_size: 0
    .kernarg_segment_align: 8
    .kernarg_segment_size: 312
    .language:       OpenCL C
    .language_version:
      - 2
      - 0
    .max_flat_workgroup_size: 256
    .name:           _ZN7rocprim17ROCPRIM_400000_NS6detail17trampoline_kernelINS0_14default_configENS1_27lower_bound_config_selectorIflEEZNS1_14transform_implILb0ES3_S5_N6thrust23THRUST_200600_302600_NS6detail15normal_iteratorINS8_7pointerIfNS8_11hip_rocprim9par_det_tENS8_11use_defaultESE_EEEENSA_INSB_IlSD_SE_SE_EEEEZNS1_13binary_searchIS3_S5_NSA_INS8_10device_ptrIfEEEESG_SI_NS1_21lower_bound_search_opENS9_16wrapped_functionINS8_6system6detail7generic6detail18binary_search_lessEbEEEE10hipError_tPvRmT1_T2_T3_mmT4_T5_P12ihipStream_tbEUlRKfE_EESV_SZ_S10_mS11_S14_bEUlT_E_NS1_11comp_targetILNS1_3genE2ELNS1_11target_archE906ELNS1_3gpuE6ELNS1_3repE0EEENS1_30default_config_static_selectorELNS0_4arch9wavefront6targetE1EEEvSY_
    .private_segment_fixed_size: 0
    .sgpr_count:     24
    .sgpr_spill_count: 0
    .symbol:         _ZN7rocprim17ROCPRIM_400000_NS6detail17trampoline_kernelINS0_14default_configENS1_27lower_bound_config_selectorIflEEZNS1_14transform_implILb0ES3_S5_N6thrust23THRUST_200600_302600_NS6detail15normal_iteratorINS8_7pointerIfNS8_11hip_rocprim9par_det_tENS8_11use_defaultESE_EEEENSA_INSB_IlSD_SE_SE_EEEEZNS1_13binary_searchIS3_S5_NSA_INS8_10device_ptrIfEEEESG_SI_NS1_21lower_bound_search_opENS9_16wrapped_functionINS8_6system6detail7generic6detail18binary_search_lessEbEEEE10hipError_tPvRmT1_T2_T3_mmT4_T5_P12ihipStream_tbEUlRKfE_EESV_SZ_S10_mS11_S14_bEUlT_E_NS1_11comp_targetILNS1_3genE2ELNS1_11target_archE906ELNS1_3gpuE6ELNS1_3repE0EEENS1_30default_config_static_selectorELNS0_4arch9wavefront6targetE1EEEvSY_.kd
    .uniform_work_group_size: 1
    .uses_dynamic_stack: false
    .vgpr_count:     12
    .vgpr_spill_count: 0
    .wavefront_size: 64
  - .args:
      - .offset:         0
        .size:           56
        .value_kind:     by_value
    .group_segment_fixed_size: 0
    .kernarg_segment_align: 8
    .kernarg_segment_size: 56
    .language:       OpenCL C
    .language_version:
      - 2
      - 0
    .max_flat_workgroup_size: 128
    .name:           _ZN7rocprim17ROCPRIM_400000_NS6detail17trampoline_kernelINS0_14default_configENS1_27lower_bound_config_selectorIflEEZNS1_14transform_implILb0ES3_S5_N6thrust23THRUST_200600_302600_NS6detail15normal_iteratorINS8_7pointerIfNS8_11hip_rocprim9par_det_tENS8_11use_defaultESE_EEEENSA_INSB_IlSD_SE_SE_EEEEZNS1_13binary_searchIS3_S5_NSA_INS8_10device_ptrIfEEEESG_SI_NS1_21lower_bound_search_opENS9_16wrapped_functionINS8_6system6detail7generic6detail18binary_search_lessEbEEEE10hipError_tPvRmT1_T2_T3_mmT4_T5_P12ihipStream_tbEUlRKfE_EESV_SZ_S10_mS11_S14_bEUlT_E_NS1_11comp_targetILNS1_3genE10ELNS1_11target_archE1201ELNS1_3gpuE5ELNS1_3repE0EEENS1_30default_config_static_selectorELNS0_4arch9wavefront6targetE1EEEvSY_
    .private_segment_fixed_size: 0
    .sgpr_count:     4
    .sgpr_spill_count: 0
    .symbol:         _ZN7rocprim17ROCPRIM_400000_NS6detail17trampoline_kernelINS0_14default_configENS1_27lower_bound_config_selectorIflEEZNS1_14transform_implILb0ES3_S5_N6thrust23THRUST_200600_302600_NS6detail15normal_iteratorINS8_7pointerIfNS8_11hip_rocprim9par_det_tENS8_11use_defaultESE_EEEENSA_INSB_IlSD_SE_SE_EEEEZNS1_13binary_searchIS3_S5_NSA_INS8_10device_ptrIfEEEESG_SI_NS1_21lower_bound_search_opENS9_16wrapped_functionINS8_6system6detail7generic6detail18binary_search_lessEbEEEE10hipError_tPvRmT1_T2_T3_mmT4_T5_P12ihipStream_tbEUlRKfE_EESV_SZ_S10_mS11_S14_bEUlT_E_NS1_11comp_targetILNS1_3genE10ELNS1_11target_archE1201ELNS1_3gpuE5ELNS1_3repE0EEENS1_30default_config_static_selectorELNS0_4arch9wavefront6targetE1EEEvSY_.kd
    .uniform_work_group_size: 1
    .uses_dynamic_stack: false
    .vgpr_count:     0
    .vgpr_spill_count: 0
    .wavefront_size: 64
  - .args:
      - .offset:         0
        .size:           56
        .value_kind:     by_value
    .group_segment_fixed_size: 0
    .kernarg_segment_align: 8
    .kernarg_segment_size: 56
    .language:       OpenCL C
    .language_version:
      - 2
      - 0
    .max_flat_workgroup_size: 128
    .name:           _ZN7rocprim17ROCPRIM_400000_NS6detail17trampoline_kernelINS0_14default_configENS1_27lower_bound_config_selectorIflEEZNS1_14transform_implILb0ES3_S5_N6thrust23THRUST_200600_302600_NS6detail15normal_iteratorINS8_7pointerIfNS8_11hip_rocprim9par_det_tENS8_11use_defaultESE_EEEENSA_INSB_IlSD_SE_SE_EEEEZNS1_13binary_searchIS3_S5_NSA_INS8_10device_ptrIfEEEESG_SI_NS1_21lower_bound_search_opENS9_16wrapped_functionINS8_6system6detail7generic6detail18binary_search_lessEbEEEE10hipError_tPvRmT1_T2_T3_mmT4_T5_P12ihipStream_tbEUlRKfE_EESV_SZ_S10_mS11_S14_bEUlT_E_NS1_11comp_targetILNS1_3genE10ELNS1_11target_archE1200ELNS1_3gpuE4ELNS1_3repE0EEENS1_30default_config_static_selectorELNS0_4arch9wavefront6targetE1EEEvSY_
    .private_segment_fixed_size: 0
    .sgpr_count:     4
    .sgpr_spill_count: 0
    .symbol:         _ZN7rocprim17ROCPRIM_400000_NS6detail17trampoline_kernelINS0_14default_configENS1_27lower_bound_config_selectorIflEEZNS1_14transform_implILb0ES3_S5_N6thrust23THRUST_200600_302600_NS6detail15normal_iteratorINS8_7pointerIfNS8_11hip_rocprim9par_det_tENS8_11use_defaultESE_EEEENSA_INSB_IlSD_SE_SE_EEEEZNS1_13binary_searchIS3_S5_NSA_INS8_10device_ptrIfEEEESG_SI_NS1_21lower_bound_search_opENS9_16wrapped_functionINS8_6system6detail7generic6detail18binary_search_lessEbEEEE10hipError_tPvRmT1_T2_T3_mmT4_T5_P12ihipStream_tbEUlRKfE_EESV_SZ_S10_mS11_S14_bEUlT_E_NS1_11comp_targetILNS1_3genE10ELNS1_11target_archE1200ELNS1_3gpuE4ELNS1_3repE0EEENS1_30default_config_static_selectorELNS0_4arch9wavefront6targetE1EEEvSY_.kd
    .uniform_work_group_size: 1
    .uses_dynamic_stack: false
    .vgpr_count:     0
    .vgpr_spill_count: 0
    .wavefront_size: 64
  - .args:
      - .offset:         0
        .size:           56
        .value_kind:     by_value
    .group_segment_fixed_size: 0
    .kernarg_segment_align: 8
    .kernarg_segment_size: 56
    .language:       OpenCL C
    .language_version:
      - 2
      - 0
    .max_flat_workgroup_size: 256
    .name:           _ZN7rocprim17ROCPRIM_400000_NS6detail17trampoline_kernelINS0_14default_configENS1_27lower_bound_config_selectorIflEEZNS1_14transform_implILb0ES3_S5_N6thrust23THRUST_200600_302600_NS6detail15normal_iteratorINS8_7pointerIfNS8_11hip_rocprim9par_det_tENS8_11use_defaultESE_EEEENSA_INSB_IlSD_SE_SE_EEEEZNS1_13binary_searchIS3_S5_NSA_INS8_10device_ptrIfEEEESG_SI_NS1_21lower_bound_search_opENS9_16wrapped_functionINS8_6system6detail7generic6detail18binary_search_lessEbEEEE10hipError_tPvRmT1_T2_T3_mmT4_T5_P12ihipStream_tbEUlRKfE_EESV_SZ_S10_mS11_S14_bEUlT_E_NS1_11comp_targetILNS1_3genE9ELNS1_11target_archE1100ELNS1_3gpuE3ELNS1_3repE0EEENS1_30default_config_static_selectorELNS0_4arch9wavefront6targetE1EEEvSY_
    .private_segment_fixed_size: 0
    .sgpr_count:     4
    .sgpr_spill_count: 0
    .symbol:         _ZN7rocprim17ROCPRIM_400000_NS6detail17trampoline_kernelINS0_14default_configENS1_27lower_bound_config_selectorIflEEZNS1_14transform_implILb0ES3_S5_N6thrust23THRUST_200600_302600_NS6detail15normal_iteratorINS8_7pointerIfNS8_11hip_rocprim9par_det_tENS8_11use_defaultESE_EEEENSA_INSB_IlSD_SE_SE_EEEEZNS1_13binary_searchIS3_S5_NSA_INS8_10device_ptrIfEEEESG_SI_NS1_21lower_bound_search_opENS9_16wrapped_functionINS8_6system6detail7generic6detail18binary_search_lessEbEEEE10hipError_tPvRmT1_T2_T3_mmT4_T5_P12ihipStream_tbEUlRKfE_EESV_SZ_S10_mS11_S14_bEUlT_E_NS1_11comp_targetILNS1_3genE9ELNS1_11target_archE1100ELNS1_3gpuE3ELNS1_3repE0EEENS1_30default_config_static_selectorELNS0_4arch9wavefront6targetE1EEEvSY_.kd
    .uniform_work_group_size: 1
    .uses_dynamic_stack: false
    .vgpr_count:     0
    .vgpr_spill_count: 0
    .wavefront_size: 64
  - .args:
      - .offset:         0
        .size:           56
        .value_kind:     by_value
    .group_segment_fixed_size: 0
    .kernarg_segment_align: 8
    .kernarg_segment_size: 56
    .language:       OpenCL C
    .language_version:
      - 2
      - 0
    .max_flat_workgroup_size: 256
    .name:           _ZN7rocprim17ROCPRIM_400000_NS6detail17trampoline_kernelINS0_14default_configENS1_27lower_bound_config_selectorIflEEZNS1_14transform_implILb0ES3_S5_N6thrust23THRUST_200600_302600_NS6detail15normal_iteratorINS8_7pointerIfNS8_11hip_rocprim9par_det_tENS8_11use_defaultESE_EEEENSA_INSB_IlSD_SE_SE_EEEEZNS1_13binary_searchIS3_S5_NSA_INS8_10device_ptrIfEEEESG_SI_NS1_21lower_bound_search_opENS9_16wrapped_functionINS8_6system6detail7generic6detail18binary_search_lessEbEEEE10hipError_tPvRmT1_T2_T3_mmT4_T5_P12ihipStream_tbEUlRKfE_EESV_SZ_S10_mS11_S14_bEUlT_E_NS1_11comp_targetILNS1_3genE8ELNS1_11target_archE1030ELNS1_3gpuE2ELNS1_3repE0EEENS1_30default_config_static_selectorELNS0_4arch9wavefront6targetE1EEEvSY_
    .private_segment_fixed_size: 0
    .sgpr_count:     4
    .sgpr_spill_count: 0
    .symbol:         _ZN7rocprim17ROCPRIM_400000_NS6detail17trampoline_kernelINS0_14default_configENS1_27lower_bound_config_selectorIflEEZNS1_14transform_implILb0ES3_S5_N6thrust23THRUST_200600_302600_NS6detail15normal_iteratorINS8_7pointerIfNS8_11hip_rocprim9par_det_tENS8_11use_defaultESE_EEEENSA_INSB_IlSD_SE_SE_EEEEZNS1_13binary_searchIS3_S5_NSA_INS8_10device_ptrIfEEEESG_SI_NS1_21lower_bound_search_opENS9_16wrapped_functionINS8_6system6detail7generic6detail18binary_search_lessEbEEEE10hipError_tPvRmT1_T2_T3_mmT4_T5_P12ihipStream_tbEUlRKfE_EESV_SZ_S10_mS11_S14_bEUlT_E_NS1_11comp_targetILNS1_3genE8ELNS1_11target_archE1030ELNS1_3gpuE2ELNS1_3repE0EEENS1_30default_config_static_selectorELNS0_4arch9wavefront6targetE1EEEvSY_.kd
    .uniform_work_group_size: 1
    .uses_dynamic_stack: false
    .vgpr_count:     0
    .vgpr_spill_count: 0
    .wavefront_size: 64
  - .args:
      - .offset:         0
        .size:           56
        .value_kind:     by_value
    .group_segment_fixed_size: 0
    .kernarg_segment_align: 8
    .kernarg_segment_size: 56
    .language:       OpenCL C
    .language_version:
      - 2
      - 0
    .max_flat_workgroup_size: 256
    .name:           _ZN7rocprim17ROCPRIM_400000_NS6detail17trampoline_kernelINS0_14default_configENS1_27lower_bound_config_selectorIflEEZNS1_14transform_implILb0ES3_S5_N6thrust23THRUST_200600_302600_NS6detail15normal_iteratorINS8_7pointerIfNS8_11hip_rocprim5par_tENS8_11use_defaultESE_EEEENSA_INSB_IlSD_SE_SE_EEEEZNS1_13binary_searchIS3_S5_NSA_INS8_10device_ptrIfEEEESG_SI_NS1_21lower_bound_search_opENS9_16wrapped_functionINS8_6system6detail7generic6detail18binary_search_lessEbEEEE10hipError_tPvRmT1_T2_T3_mmT4_T5_P12ihipStream_tbEUlRKfE_EESV_SZ_S10_mS11_S14_bEUlT_E_NS1_11comp_targetILNS1_3genE0ELNS1_11target_archE4294967295ELNS1_3gpuE0ELNS1_3repE0EEENS1_30default_config_static_selectorELNS0_4arch9wavefront6targetE1EEEvSY_
    .private_segment_fixed_size: 0
    .sgpr_count:     4
    .sgpr_spill_count: 0
    .symbol:         _ZN7rocprim17ROCPRIM_400000_NS6detail17trampoline_kernelINS0_14default_configENS1_27lower_bound_config_selectorIflEEZNS1_14transform_implILb0ES3_S5_N6thrust23THRUST_200600_302600_NS6detail15normal_iteratorINS8_7pointerIfNS8_11hip_rocprim5par_tENS8_11use_defaultESE_EEEENSA_INSB_IlSD_SE_SE_EEEEZNS1_13binary_searchIS3_S5_NSA_INS8_10device_ptrIfEEEESG_SI_NS1_21lower_bound_search_opENS9_16wrapped_functionINS8_6system6detail7generic6detail18binary_search_lessEbEEEE10hipError_tPvRmT1_T2_T3_mmT4_T5_P12ihipStream_tbEUlRKfE_EESV_SZ_S10_mS11_S14_bEUlT_E_NS1_11comp_targetILNS1_3genE0ELNS1_11target_archE4294967295ELNS1_3gpuE0ELNS1_3repE0EEENS1_30default_config_static_selectorELNS0_4arch9wavefront6targetE1EEEvSY_.kd
    .uniform_work_group_size: 1
    .uses_dynamic_stack: false
    .vgpr_count:     0
    .vgpr_spill_count: 0
    .wavefront_size: 64
  - .args:
      - .offset:         0
        .size:           56
        .value_kind:     by_value
    .group_segment_fixed_size: 0
    .kernarg_segment_align: 8
    .kernarg_segment_size: 56
    .language:       OpenCL C
    .language_version:
      - 2
      - 0
    .max_flat_workgroup_size: 256
    .name:           _ZN7rocprim17ROCPRIM_400000_NS6detail17trampoline_kernelINS0_14default_configENS1_27lower_bound_config_selectorIflEEZNS1_14transform_implILb0ES3_S5_N6thrust23THRUST_200600_302600_NS6detail15normal_iteratorINS8_7pointerIfNS8_11hip_rocprim5par_tENS8_11use_defaultESE_EEEENSA_INSB_IlSD_SE_SE_EEEEZNS1_13binary_searchIS3_S5_NSA_INS8_10device_ptrIfEEEESG_SI_NS1_21lower_bound_search_opENS9_16wrapped_functionINS8_6system6detail7generic6detail18binary_search_lessEbEEEE10hipError_tPvRmT1_T2_T3_mmT4_T5_P12ihipStream_tbEUlRKfE_EESV_SZ_S10_mS11_S14_bEUlT_E_NS1_11comp_targetILNS1_3genE5ELNS1_11target_archE942ELNS1_3gpuE9ELNS1_3repE0EEENS1_30default_config_static_selectorELNS0_4arch9wavefront6targetE1EEEvSY_
    .private_segment_fixed_size: 0
    .sgpr_count:     4
    .sgpr_spill_count: 0
    .symbol:         _ZN7rocprim17ROCPRIM_400000_NS6detail17trampoline_kernelINS0_14default_configENS1_27lower_bound_config_selectorIflEEZNS1_14transform_implILb0ES3_S5_N6thrust23THRUST_200600_302600_NS6detail15normal_iteratorINS8_7pointerIfNS8_11hip_rocprim5par_tENS8_11use_defaultESE_EEEENSA_INSB_IlSD_SE_SE_EEEEZNS1_13binary_searchIS3_S5_NSA_INS8_10device_ptrIfEEEESG_SI_NS1_21lower_bound_search_opENS9_16wrapped_functionINS8_6system6detail7generic6detail18binary_search_lessEbEEEE10hipError_tPvRmT1_T2_T3_mmT4_T5_P12ihipStream_tbEUlRKfE_EESV_SZ_S10_mS11_S14_bEUlT_E_NS1_11comp_targetILNS1_3genE5ELNS1_11target_archE942ELNS1_3gpuE9ELNS1_3repE0EEENS1_30default_config_static_selectorELNS0_4arch9wavefront6targetE1EEEvSY_.kd
    .uniform_work_group_size: 1
    .uses_dynamic_stack: false
    .vgpr_count:     0
    .vgpr_spill_count: 0
    .wavefront_size: 64
  - .args:
      - .offset:         0
        .size:           56
        .value_kind:     by_value
    .group_segment_fixed_size: 0
    .kernarg_segment_align: 8
    .kernarg_segment_size: 56
    .language:       OpenCL C
    .language_version:
      - 2
      - 0
    .max_flat_workgroup_size: 256
    .name:           _ZN7rocprim17ROCPRIM_400000_NS6detail17trampoline_kernelINS0_14default_configENS1_27lower_bound_config_selectorIflEEZNS1_14transform_implILb0ES3_S5_N6thrust23THRUST_200600_302600_NS6detail15normal_iteratorINS8_7pointerIfNS8_11hip_rocprim5par_tENS8_11use_defaultESE_EEEENSA_INSB_IlSD_SE_SE_EEEEZNS1_13binary_searchIS3_S5_NSA_INS8_10device_ptrIfEEEESG_SI_NS1_21lower_bound_search_opENS9_16wrapped_functionINS8_6system6detail7generic6detail18binary_search_lessEbEEEE10hipError_tPvRmT1_T2_T3_mmT4_T5_P12ihipStream_tbEUlRKfE_EESV_SZ_S10_mS11_S14_bEUlT_E_NS1_11comp_targetILNS1_3genE4ELNS1_11target_archE910ELNS1_3gpuE8ELNS1_3repE0EEENS1_30default_config_static_selectorELNS0_4arch9wavefront6targetE1EEEvSY_
    .private_segment_fixed_size: 0
    .sgpr_count:     4
    .sgpr_spill_count: 0
    .symbol:         _ZN7rocprim17ROCPRIM_400000_NS6detail17trampoline_kernelINS0_14default_configENS1_27lower_bound_config_selectorIflEEZNS1_14transform_implILb0ES3_S5_N6thrust23THRUST_200600_302600_NS6detail15normal_iteratorINS8_7pointerIfNS8_11hip_rocprim5par_tENS8_11use_defaultESE_EEEENSA_INSB_IlSD_SE_SE_EEEEZNS1_13binary_searchIS3_S5_NSA_INS8_10device_ptrIfEEEESG_SI_NS1_21lower_bound_search_opENS9_16wrapped_functionINS8_6system6detail7generic6detail18binary_search_lessEbEEEE10hipError_tPvRmT1_T2_T3_mmT4_T5_P12ihipStream_tbEUlRKfE_EESV_SZ_S10_mS11_S14_bEUlT_E_NS1_11comp_targetILNS1_3genE4ELNS1_11target_archE910ELNS1_3gpuE8ELNS1_3repE0EEENS1_30default_config_static_selectorELNS0_4arch9wavefront6targetE1EEEvSY_.kd
    .uniform_work_group_size: 1
    .uses_dynamic_stack: false
    .vgpr_count:     0
    .vgpr_spill_count: 0
    .wavefront_size: 64
  - .args:
      - .offset:         0
        .size:           56
        .value_kind:     by_value
    .group_segment_fixed_size: 0
    .kernarg_segment_align: 8
    .kernarg_segment_size: 56
    .language:       OpenCL C
    .language_version:
      - 2
      - 0
    .max_flat_workgroup_size: 256
    .name:           _ZN7rocprim17ROCPRIM_400000_NS6detail17trampoline_kernelINS0_14default_configENS1_27lower_bound_config_selectorIflEEZNS1_14transform_implILb0ES3_S5_N6thrust23THRUST_200600_302600_NS6detail15normal_iteratorINS8_7pointerIfNS8_11hip_rocprim5par_tENS8_11use_defaultESE_EEEENSA_INSB_IlSD_SE_SE_EEEEZNS1_13binary_searchIS3_S5_NSA_INS8_10device_ptrIfEEEESG_SI_NS1_21lower_bound_search_opENS9_16wrapped_functionINS8_6system6detail7generic6detail18binary_search_lessEbEEEE10hipError_tPvRmT1_T2_T3_mmT4_T5_P12ihipStream_tbEUlRKfE_EESV_SZ_S10_mS11_S14_bEUlT_E_NS1_11comp_targetILNS1_3genE3ELNS1_11target_archE908ELNS1_3gpuE7ELNS1_3repE0EEENS1_30default_config_static_selectorELNS0_4arch9wavefront6targetE1EEEvSY_
    .private_segment_fixed_size: 0
    .sgpr_count:     4
    .sgpr_spill_count: 0
    .symbol:         _ZN7rocprim17ROCPRIM_400000_NS6detail17trampoline_kernelINS0_14default_configENS1_27lower_bound_config_selectorIflEEZNS1_14transform_implILb0ES3_S5_N6thrust23THRUST_200600_302600_NS6detail15normal_iteratorINS8_7pointerIfNS8_11hip_rocprim5par_tENS8_11use_defaultESE_EEEENSA_INSB_IlSD_SE_SE_EEEEZNS1_13binary_searchIS3_S5_NSA_INS8_10device_ptrIfEEEESG_SI_NS1_21lower_bound_search_opENS9_16wrapped_functionINS8_6system6detail7generic6detail18binary_search_lessEbEEEE10hipError_tPvRmT1_T2_T3_mmT4_T5_P12ihipStream_tbEUlRKfE_EESV_SZ_S10_mS11_S14_bEUlT_E_NS1_11comp_targetILNS1_3genE3ELNS1_11target_archE908ELNS1_3gpuE7ELNS1_3repE0EEENS1_30default_config_static_selectorELNS0_4arch9wavefront6targetE1EEEvSY_.kd
    .uniform_work_group_size: 1
    .uses_dynamic_stack: false
    .vgpr_count:     0
    .vgpr_spill_count: 0
    .wavefront_size: 64
  - .args:
      - .offset:         0
        .size:           56
        .value_kind:     by_value
      - .offset:         56
        .size:           4
        .value_kind:     hidden_block_count_x
      - .offset:         60
        .size:           4
        .value_kind:     hidden_block_count_y
      - .offset:         64
        .size:           4
        .value_kind:     hidden_block_count_z
      - .offset:         68
        .size:           2
        .value_kind:     hidden_group_size_x
      - .offset:         70
        .size:           2
        .value_kind:     hidden_group_size_y
      - .offset:         72
        .size:           2
        .value_kind:     hidden_group_size_z
      - .offset:         74
        .size:           2
        .value_kind:     hidden_remainder_x
      - .offset:         76
        .size:           2
        .value_kind:     hidden_remainder_y
      - .offset:         78
        .size:           2
        .value_kind:     hidden_remainder_z
      - .offset:         96
        .size:           8
        .value_kind:     hidden_global_offset_x
      - .offset:         104
        .size:           8
        .value_kind:     hidden_global_offset_y
      - .offset:         112
        .size:           8
        .value_kind:     hidden_global_offset_z
      - .offset:         120
        .size:           2
        .value_kind:     hidden_grid_dims
    .group_segment_fixed_size: 0
    .kernarg_segment_align: 8
    .kernarg_segment_size: 312
    .language:       OpenCL C
    .language_version:
      - 2
      - 0
    .max_flat_workgroup_size: 256
    .name:           _ZN7rocprim17ROCPRIM_400000_NS6detail17trampoline_kernelINS0_14default_configENS1_27lower_bound_config_selectorIflEEZNS1_14transform_implILb0ES3_S5_N6thrust23THRUST_200600_302600_NS6detail15normal_iteratorINS8_7pointerIfNS8_11hip_rocprim5par_tENS8_11use_defaultESE_EEEENSA_INSB_IlSD_SE_SE_EEEEZNS1_13binary_searchIS3_S5_NSA_INS8_10device_ptrIfEEEESG_SI_NS1_21lower_bound_search_opENS9_16wrapped_functionINS8_6system6detail7generic6detail18binary_search_lessEbEEEE10hipError_tPvRmT1_T2_T3_mmT4_T5_P12ihipStream_tbEUlRKfE_EESV_SZ_S10_mS11_S14_bEUlT_E_NS1_11comp_targetILNS1_3genE2ELNS1_11target_archE906ELNS1_3gpuE6ELNS1_3repE0EEENS1_30default_config_static_selectorELNS0_4arch9wavefront6targetE1EEEvSY_
    .private_segment_fixed_size: 0
    .sgpr_count:     24
    .sgpr_spill_count: 0
    .symbol:         _ZN7rocprim17ROCPRIM_400000_NS6detail17trampoline_kernelINS0_14default_configENS1_27lower_bound_config_selectorIflEEZNS1_14transform_implILb0ES3_S5_N6thrust23THRUST_200600_302600_NS6detail15normal_iteratorINS8_7pointerIfNS8_11hip_rocprim5par_tENS8_11use_defaultESE_EEEENSA_INSB_IlSD_SE_SE_EEEEZNS1_13binary_searchIS3_S5_NSA_INS8_10device_ptrIfEEEESG_SI_NS1_21lower_bound_search_opENS9_16wrapped_functionINS8_6system6detail7generic6detail18binary_search_lessEbEEEE10hipError_tPvRmT1_T2_T3_mmT4_T5_P12ihipStream_tbEUlRKfE_EESV_SZ_S10_mS11_S14_bEUlT_E_NS1_11comp_targetILNS1_3genE2ELNS1_11target_archE906ELNS1_3gpuE6ELNS1_3repE0EEENS1_30default_config_static_selectorELNS0_4arch9wavefront6targetE1EEEvSY_.kd
    .uniform_work_group_size: 1
    .uses_dynamic_stack: false
    .vgpr_count:     12
    .vgpr_spill_count: 0
    .wavefront_size: 64
  - .args:
      - .offset:         0
        .size:           56
        .value_kind:     by_value
    .group_segment_fixed_size: 0
    .kernarg_segment_align: 8
    .kernarg_segment_size: 56
    .language:       OpenCL C
    .language_version:
      - 2
      - 0
    .max_flat_workgroup_size: 128
    .name:           _ZN7rocprim17ROCPRIM_400000_NS6detail17trampoline_kernelINS0_14default_configENS1_27lower_bound_config_selectorIflEEZNS1_14transform_implILb0ES3_S5_N6thrust23THRUST_200600_302600_NS6detail15normal_iteratorINS8_7pointerIfNS8_11hip_rocprim5par_tENS8_11use_defaultESE_EEEENSA_INSB_IlSD_SE_SE_EEEEZNS1_13binary_searchIS3_S5_NSA_INS8_10device_ptrIfEEEESG_SI_NS1_21lower_bound_search_opENS9_16wrapped_functionINS8_6system6detail7generic6detail18binary_search_lessEbEEEE10hipError_tPvRmT1_T2_T3_mmT4_T5_P12ihipStream_tbEUlRKfE_EESV_SZ_S10_mS11_S14_bEUlT_E_NS1_11comp_targetILNS1_3genE10ELNS1_11target_archE1201ELNS1_3gpuE5ELNS1_3repE0EEENS1_30default_config_static_selectorELNS0_4arch9wavefront6targetE1EEEvSY_
    .private_segment_fixed_size: 0
    .sgpr_count:     4
    .sgpr_spill_count: 0
    .symbol:         _ZN7rocprim17ROCPRIM_400000_NS6detail17trampoline_kernelINS0_14default_configENS1_27lower_bound_config_selectorIflEEZNS1_14transform_implILb0ES3_S5_N6thrust23THRUST_200600_302600_NS6detail15normal_iteratorINS8_7pointerIfNS8_11hip_rocprim5par_tENS8_11use_defaultESE_EEEENSA_INSB_IlSD_SE_SE_EEEEZNS1_13binary_searchIS3_S5_NSA_INS8_10device_ptrIfEEEESG_SI_NS1_21lower_bound_search_opENS9_16wrapped_functionINS8_6system6detail7generic6detail18binary_search_lessEbEEEE10hipError_tPvRmT1_T2_T3_mmT4_T5_P12ihipStream_tbEUlRKfE_EESV_SZ_S10_mS11_S14_bEUlT_E_NS1_11comp_targetILNS1_3genE10ELNS1_11target_archE1201ELNS1_3gpuE5ELNS1_3repE0EEENS1_30default_config_static_selectorELNS0_4arch9wavefront6targetE1EEEvSY_.kd
    .uniform_work_group_size: 1
    .uses_dynamic_stack: false
    .vgpr_count:     0
    .vgpr_spill_count: 0
    .wavefront_size: 64
  - .args:
      - .offset:         0
        .size:           56
        .value_kind:     by_value
    .group_segment_fixed_size: 0
    .kernarg_segment_align: 8
    .kernarg_segment_size: 56
    .language:       OpenCL C
    .language_version:
      - 2
      - 0
    .max_flat_workgroup_size: 128
    .name:           _ZN7rocprim17ROCPRIM_400000_NS6detail17trampoline_kernelINS0_14default_configENS1_27lower_bound_config_selectorIflEEZNS1_14transform_implILb0ES3_S5_N6thrust23THRUST_200600_302600_NS6detail15normal_iteratorINS8_7pointerIfNS8_11hip_rocprim5par_tENS8_11use_defaultESE_EEEENSA_INSB_IlSD_SE_SE_EEEEZNS1_13binary_searchIS3_S5_NSA_INS8_10device_ptrIfEEEESG_SI_NS1_21lower_bound_search_opENS9_16wrapped_functionINS8_6system6detail7generic6detail18binary_search_lessEbEEEE10hipError_tPvRmT1_T2_T3_mmT4_T5_P12ihipStream_tbEUlRKfE_EESV_SZ_S10_mS11_S14_bEUlT_E_NS1_11comp_targetILNS1_3genE10ELNS1_11target_archE1200ELNS1_3gpuE4ELNS1_3repE0EEENS1_30default_config_static_selectorELNS0_4arch9wavefront6targetE1EEEvSY_
    .private_segment_fixed_size: 0
    .sgpr_count:     4
    .sgpr_spill_count: 0
    .symbol:         _ZN7rocprim17ROCPRIM_400000_NS6detail17trampoline_kernelINS0_14default_configENS1_27lower_bound_config_selectorIflEEZNS1_14transform_implILb0ES3_S5_N6thrust23THRUST_200600_302600_NS6detail15normal_iteratorINS8_7pointerIfNS8_11hip_rocprim5par_tENS8_11use_defaultESE_EEEENSA_INSB_IlSD_SE_SE_EEEEZNS1_13binary_searchIS3_S5_NSA_INS8_10device_ptrIfEEEESG_SI_NS1_21lower_bound_search_opENS9_16wrapped_functionINS8_6system6detail7generic6detail18binary_search_lessEbEEEE10hipError_tPvRmT1_T2_T3_mmT4_T5_P12ihipStream_tbEUlRKfE_EESV_SZ_S10_mS11_S14_bEUlT_E_NS1_11comp_targetILNS1_3genE10ELNS1_11target_archE1200ELNS1_3gpuE4ELNS1_3repE0EEENS1_30default_config_static_selectorELNS0_4arch9wavefront6targetE1EEEvSY_.kd
    .uniform_work_group_size: 1
    .uses_dynamic_stack: false
    .vgpr_count:     0
    .vgpr_spill_count: 0
    .wavefront_size: 64
  - .args:
      - .offset:         0
        .size:           56
        .value_kind:     by_value
    .group_segment_fixed_size: 0
    .kernarg_segment_align: 8
    .kernarg_segment_size: 56
    .language:       OpenCL C
    .language_version:
      - 2
      - 0
    .max_flat_workgroup_size: 256
    .name:           _ZN7rocprim17ROCPRIM_400000_NS6detail17trampoline_kernelINS0_14default_configENS1_27lower_bound_config_selectorIflEEZNS1_14transform_implILb0ES3_S5_N6thrust23THRUST_200600_302600_NS6detail15normal_iteratorINS8_7pointerIfNS8_11hip_rocprim5par_tENS8_11use_defaultESE_EEEENSA_INSB_IlSD_SE_SE_EEEEZNS1_13binary_searchIS3_S5_NSA_INS8_10device_ptrIfEEEESG_SI_NS1_21lower_bound_search_opENS9_16wrapped_functionINS8_6system6detail7generic6detail18binary_search_lessEbEEEE10hipError_tPvRmT1_T2_T3_mmT4_T5_P12ihipStream_tbEUlRKfE_EESV_SZ_S10_mS11_S14_bEUlT_E_NS1_11comp_targetILNS1_3genE9ELNS1_11target_archE1100ELNS1_3gpuE3ELNS1_3repE0EEENS1_30default_config_static_selectorELNS0_4arch9wavefront6targetE1EEEvSY_
    .private_segment_fixed_size: 0
    .sgpr_count:     4
    .sgpr_spill_count: 0
    .symbol:         _ZN7rocprim17ROCPRIM_400000_NS6detail17trampoline_kernelINS0_14default_configENS1_27lower_bound_config_selectorIflEEZNS1_14transform_implILb0ES3_S5_N6thrust23THRUST_200600_302600_NS6detail15normal_iteratorINS8_7pointerIfNS8_11hip_rocprim5par_tENS8_11use_defaultESE_EEEENSA_INSB_IlSD_SE_SE_EEEEZNS1_13binary_searchIS3_S5_NSA_INS8_10device_ptrIfEEEESG_SI_NS1_21lower_bound_search_opENS9_16wrapped_functionINS8_6system6detail7generic6detail18binary_search_lessEbEEEE10hipError_tPvRmT1_T2_T3_mmT4_T5_P12ihipStream_tbEUlRKfE_EESV_SZ_S10_mS11_S14_bEUlT_E_NS1_11comp_targetILNS1_3genE9ELNS1_11target_archE1100ELNS1_3gpuE3ELNS1_3repE0EEENS1_30default_config_static_selectorELNS0_4arch9wavefront6targetE1EEEvSY_.kd
    .uniform_work_group_size: 1
    .uses_dynamic_stack: false
    .vgpr_count:     0
    .vgpr_spill_count: 0
    .wavefront_size: 64
  - .args:
      - .offset:         0
        .size:           56
        .value_kind:     by_value
    .group_segment_fixed_size: 0
    .kernarg_segment_align: 8
    .kernarg_segment_size: 56
    .language:       OpenCL C
    .language_version:
      - 2
      - 0
    .max_flat_workgroup_size: 256
    .name:           _ZN7rocprim17ROCPRIM_400000_NS6detail17trampoline_kernelINS0_14default_configENS1_27lower_bound_config_selectorIflEEZNS1_14transform_implILb0ES3_S5_N6thrust23THRUST_200600_302600_NS6detail15normal_iteratorINS8_7pointerIfNS8_11hip_rocprim5par_tENS8_11use_defaultESE_EEEENSA_INSB_IlSD_SE_SE_EEEEZNS1_13binary_searchIS3_S5_NSA_INS8_10device_ptrIfEEEESG_SI_NS1_21lower_bound_search_opENS9_16wrapped_functionINS8_6system6detail7generic6detail18binary_search_lessEbEEEE10hipError_tPvRmT1_T2_T3_mmT4_T5_P12ihipStream_tbEUlRKfE_EESV_SZ_S10_mS11_S14_bEUlT_E_NS1_11comp_targetILNS1_3genE8ELNS1_11target_archE1030ELNS1_3gpuE2ELNS1_3repE0EEENS1_30default_config_static_selectorELNS0_4arch9wavefront6targetE1EEEvSY_
    .private_segment_fixed_size: 0
    .sgpr_count:     4
    .sgpr_spill_count: 0
    .symbol:         _ZN7rocprim17ROCPRIM_400000_NS6detail17trampoline_kernelINS0_14default_configENS1_27lower_bound_config_selectorIflEEZNS1_14transform_implILb0ES3_S5_N6thrust23THRUST_200600_302600_NS6detail15normal_iteratorINS8_7pointerIfNS8_11hip_rocprim5par_tENS8_11use_defaultESE_EEEENSA_INSB_IlSD_SE_SE_EEEEZNS1_13binary_searchIS3_S5_NSA_INS8_10device_ptrIfEEEESG_SI_NS1_21lower_bound_search_opENS9_16wrapped_functionINS8_6system6detail7generic6detail18binary_search_lessEbEEEE10hipError_tPvRmT1_T2_T3_mmT4_T5_P12ihipStream_tbEUlRKfE_EESV_SZ_S10_mS11_S14_bEUlT_E_NS1_11comp_targetILNS1_3genE8ELNS1_11target_archE1030ELNS1_3gpuE2ELNS1_3repE0EEENS1_30default_config_static_selectorELNS0_4arch9wavefront6targetE1EEEvSY_.kd
    .uniform_work_group_size: 1
    .uses_dynamic_stack: false
    .vgpr_count:     0
    .vgpr_spill_count: 0
    .wavefront_size: 64
  - .args:
      - .offset:         0
        .size:           56
        .value_kind:     by_value
    .group_segment_fixed_size: 0
    .kernarg_segment_align: 8
    .kernarg_segment_size: 56
    .language:       OpenCL C
    .language_version:
      - 2
      - 0
    .max_flat_workgroup_size: 128
    .name:           _ZN7rocprim17ROCPRIM_400000_NS6detail17trampoline_kernelINS0_14default_configENS1_27lower_bound_config_selectorIylEEZNS1_14transform_implILb0ES3_S5_N6thrust23THRUST_200600_302600_NS6detail15normal_iteratorINS8_7pointerIyNS8_11hip_rocprim5par_tENS8_11use_defaultESE_EEEENSA_INSB_IlSD_SE_SE_EEEEZNS1_13binary_searchIS3_S5_NSA_INS8_10device_ptrIyEEEESG_SI_NS1_21lower_bound_search_opENS9_16wrapped_functionINS8_6system6detail7generic6detail18binary_search_lessEbEEEE10hipError_tPvRmT1_T2_T3_mmT4_T5_P12ihipStream_tbEUlRKyE_EESV_SZ_S10_mS11_S14_bEUlT_E_NS1_11comp_targetILNS1_3genE0ELNS1_11target_archE4294967295ELNS1_3gpuE0ELNS1_3repE0EEENS1_30default_config_static_selectorELNS0_4arch9wavefront6targetE1EEEvSY_
    .private_segment_fixed_size: 0
    .sgpr_count:     4
    .sgpr_spill_count: 0
    .symbol:         _ZN7rocprim17ROCPRIM_400000_NS6detail17trampoline_kernelINS0_14default_configENS1_27lower_bound_config_selectorIylEEZNS1_14transform_implILb0ES3_S5_N6thrust23THRUST_200600_302600_NS6detail15normal_iteratorINS8_7pointerIyNS8_11hip_rocprim5par_tENS8_11use_defaultESE_EEEENSA_INSB_IlSD_SE_SE_EEEEZNS1_13binary_searchIS3_S5_NSA_INS8_10device_ptrIyEEEESG_SI_NS1_21lower_bound_search_opENS9_16wrapped_functionINS8_6system6detail7generic6detail18binary_search_lessEbEEEE10hipError_tPvRmT1_T2_T3_mmT4_T5_P12ihipStream_tbEUlRKyE_EESV_SZ_S10_mS11_S14_bEUlT_E_NS1_11comp_targetILNS1_3genE0ELNS1_11target_archE4294967295ELNS1_3gpuE0ELNS1_3repE0EEENS1_30default_config_static_selectorELNS0_4arch9wavefront6targetE1EEEvSY_.kd
    .uniform_work_group_size: 1
    .uses_dynamic_stack: false
    .vgpr_count:     0
    .vgpr_spill_count: 0
    .wavefront_size: 64
  - .args:
      - .offset:         0
        .size:           56
        .value_kind:     by_value
    .group_segment_fixed_size: 0
    .kernarg_segment_align: 8
    .kernarg_segment_size: 56
    .language:       OpenCL C
    .language_version:
      - 2
      - 0
    .max_flat_workgroup_size: 64
    .name:           _ZN7rocprim17ROCPRIM_400000_NS6detail17trampoline_kernelINS0_14default_configENS1_27lower_bound_config_selectorIylEEZNS1_14transform_implILb0ES3_S5_N6thrust23THRUST_200600_302600_NS6detail15normal_iteratorINS8_7pointerIyNS8_11hip_rocprim5par_tENS8_11use_defaultESE_EEEENSA_INSB_IlSD_SE_SE_EEEEZNS1_13binary_searchIS3_S5_NSA_INS8_10device_ptrIyEEEESG_SI_NS1_21lower_bound_search_opENS9_16wrapped_functionINS8_6system6detail7generic6detail18binary_search_lessEbEEEE10hipError_tPvRmT1_T2_T3_mmT4_T5_P12ihipStream_tbEUlRKyE_EESV_SZ_S10_mS11_S14_bEUlT_E_NS1_11comp_targetILNS1_3genE5ELNS1_11target_archE942ELNS1_3gpuE9ELNS1_3repE0EEENS1_30default_config_static_selectorELNS0_4arch9wavefront6targetE1EEEvSY_
    .private_segment_fixed_size: 0
    .sgpr_count:     4
    .sgpr_spill_count: 0
    .symbol:         _ZN7rocprim17ROCPRIM_400000_NS6detail17trampoline_kernelINS0_14default_configENS1_27lower_bound_config_selectorIylEEZNS1_14transform_implILb0ES3_S5_N6thrust23THRUST_200600_302600_NS6detail15normal_iteratorINS8_7pointerIyNS8_11hip_rocprim5par_tENS8_11use_defaultESE_EEEENSA_INSB_IlSD_SE_SE_EEEEZNS1_13binary_searchIS3_S5_NSA_INS8_10device_ptrIyEEEESG_SI_NS1_21lower_bound_search_opENS9_16wrapped_functionINS8_6system6detail7generic6detail18binary_search_lessEbEEEE10hipError_tPvRmT1_T2_T3_mmT4_T5_P12ihipStream_tbEUlRKyE_EESV_SZ_S10_mS11_S14_bEUlT_E_NS1_11comp_targetILNS1_3genE5ELNS1_11target_archE942ELNS1_3gpuE9ELNS1_3repE0EEENS1_30default_config_static_selectorELNS0_4arch9wavefront6targetE1EEEvSY_.kd
    .uniform_work_group_size: 1
    .uses_dynamic_stack: false
    .vgpr_count:     0
    .vgpr_spill_count: 0
    .wavefront_size: 64
  - .args:
      - .offset:         0
        .size:           56
        .value_kind:     by_value
    .group_segment_fixed_size: 0
    .kernarg_segment_align: 8
    .kernarg_segment_size: 56
    .language:       OpenCL C
    .language_version:
      - 2
      - 0
    .max_flat_workgroup_size: 64
    .name:           _ZN7rocprim17ROCPRIM_400000_NS6detail17trampoline_kernelINS0_14default_configENS1_27lower_bound_config_selectorIylEEZNS1_14transform_implILb0ES3_S5_N6thrust23THRUST_200600_302600_NS6detail15normal_iteratorINS8_7pointerIyNS8_11hip_rocprim5par_tENS8_11use_defaultESE_EEEENSA_INSB_IlSD_SE_SE_EEEEZNS1_13binary_searchIS3_S5_NSA_INS8_10device_ptrIyEEEESG_SI_NS1_21lower_bound_search_opENS9_16wrapped_functionINS8_6system6detail7generic6detail18binary_search_lessEbEEEE10hipError_tPvRmT1_T2_T3_mmT4_T5_P12ihipStream_tbEUlRKyE_EESV_SZ_S10_mS11_S14_bEUlT_E_NS1_11comp_targetILNS1_3genE4ELNS1_11target_archE910ELNS1_3gpuE8ELNS1_3repE0EEENS1_30default_config_static_selectorELNS0_4arch9wavefront6targetE1EEEvSY_
    .private_segment_fixed_size: 0
    .sgpr_count:     4
    .sgpr_spill_count: 0
    .symbol:         _ZN7rocprim17ROCPRIM_400000_NS6detail17trampoline_kernelINS0_14default_configENS1_27lower_bound_config_selectorIylEEZNS1_14transform_implILb0ES3_S5_N6thrust23THRUST_200600_302600_NS6detail15normal_iteratorINS8_7pointerIyNS8_11hip_rocprim5par_tENS8_11use_defaultESE_EEEENSA_INSB_IlSD_SE_SE_EEEEZNS1_13binary_searchIS3_S5_NSA_INS8_10device_ptrIyEEEESG_SI_NS1_21lower_bound_search_opENS9_16wrapped_functionINS8_6system6detail7generic6detail18binary_search_lessEbEEEE10hipError_tPvRmT1_T2_T3_mmT4_T5_P12ihipStream_tbEUlRKyE_EESV_SZ_S10_mS11_S14_bEUlT_E_NS1_11comp_targetILNS1_3genE4ELNS1_11target_archE910ELNS1_3gpuE8ELNS1_3repE0EEENS1_30default_config_static_selectorELNS0_4arch9wavefront6targetE1EEEvSY_.kd
    .uniform_work_group_size: 1
    .uses_dynamic_stack: false
    .vgpr_count:     0
    .vgpr_spill_count: 0
    .wavefront_size: 64
  - .args:
      - .offset:         0
        .size:           56
        .value_kind:     by_value
    .group_segment_fixed_size: 0
    .kernarg_segment_align: 8
    .kernarg_segment_size: 56
    .language:       OpenCL C
    .language_version:
      - 2
      - 0
    .max_flat_workgroup_size: 128
    .name:           _ZN7rocprim17ROCPRIM_400000_NS6detail17trampoline_kernelINS0_14default_configENS1_27lower_bound_config_selectorIylEEZNS1_14transform_implILb0ES3_S5_N6thrust23THRUST_200600_302600_NS6detail15normal_iteratorINS8_7pointerIyNS8_11hip_rocprim5par_tENS8_11use_defaultESE_EEEENSA_INSB_IlSD_SE_SE_EEEEZNS1_13binary_searchIS3_S5_NSA_INS8_10device_ptrIyEEEESG_SI_NS1_21lower_bound_search_opENS9_16wrapped_functionINS8_6system6detail7generic6detail18binary_search_lessEbEEEE10hipError_tPvRmT1_T2_T3_mmT4_T5_P12ihipStream_tbEUlRKyE_EESV_SZ_S10_mS11_S14_bEUlT_E_NS1_11comp_targetILNS1_3genE3ELNS1_11target_archE908ELNS1_3gpuE7ELNS1_3repE0EEENS1_30default_config_static_selectorELNS0_4arch9wavefront6targetE1EEEvSY_
    .private_segment_fixed_size: 0
    .sgpr_count:     4
    .sgpr_spill_count: 0
    .symbol:         _ZN7rocprim17ROCPRIM_400000_NS6detail17trampoline_kernelINS0_14default_configENS1_27lower_bound_config_selectorIylEEZNS1_14transform_implILb0ES3_S5_N6thrust23THRUST_200600_302600_NS6detail15normal_iteratorINS8_7pointerIyNS8_11hip_rocprim5par_tENS8_11use_defaultESE_EEEENSA_INSB_IlSD_SE_SE_EEEEZNS1_13binary_searchIS3_S5_NSA_INS8_10device_ptrIyEEEESG_SI_NS1_21lower_bound_search_opENS9_16wrapped_functionINS8_6system6detail7generic6detail18binary_search_lessEbEEEE10hipError_tPvRmT1_T2_T3_mmT4_T5_P12ihipStream_tbEUlRKyE_EESV_SZ_S10_mS11_S14_bEUlT_E_NS1_11comp_targetILNS1_3genE3ELNS1_11target_archE908ELNS1_3gpuE7ELNS1_3repE0EEENS1_30default_config_static_selectorELNS0_4arch9wavefront6targetE1EEEvSY_.kd
    .uniform_work_group_size: 1
    .uses_dynamic_stack: false
    .vgpr_count:     0
    .vgpr_spill_count: 0
    .wavefront_size: 64
  - .args:
      - .offset:         0
        .size:           56
        .value_kind:     by_value
      - .offset:         56
        .size:           4
        .value_kind:     hidden_block_count_x
      - .offset:         60
        .size:           4
        .value_kind:     hidden_block_count_y
      - .offset:         64
        .size:           4
        .value_kind:     hidden_block_count_z
      - .offset:         68
        .size:           2
        .value_kind:     hidden_group_size_x
      - .offset:         70
        .size:           2
        .value_kind:     hidden_group_size_y
      - .offset:         72
        .size:           2
        .value_kind:     hidden_group_size_z
      - .offset:         74
        .size:           2
        .value_kind:     hidden_remainder_x
      - .offset:         76
        .size:           2
        .value_kind:     hidden_remainder_y
      - .offset:         78
        .size:           2
        .value_kind:     hidden_remainder_z
      - .offset:         96
        .size:           8
        .value_kind:     hidden_global_offset_x
      - .offset:         104
        .size:           8
        .value_kind:     hidden_global_offset_y
      - .offset:         112
        .size:           8
        .value_kind:     hidden_global_offset_z
      - .offset:         120
        .size:           2
        .value_kind:     hidden_grid_dims
    .group_segment_fixed_size: 0
    .kernarg_segment_align: 8
    .kernarg_segment_size: 312
    .language:       OpenCL C
    .language_version:
      - 2
      - 0
    .max_flat_workgroup_size: 256
    .name:           _ZN7rocprim17ROCPRIM_400000_NS6detail17trampoline_kernelINS0_14default_configENS1_27lower_bound_config_selectorIylEEZNS1_14transform_implILb0ES3_S5_N6thrust23THRUST_200600_302600_NS6detail15normal_iteratorINS8_7pointerIyNS8_11hip_rocprim5par_tENS8_11use_defaultESE_EEEENSA_INSB_IlSD_SE_SE_EEEEZNS1_13binary_searchIS3_S5_NSA_INS8_10device_ptrIyEEEESG_SI_NS1_21lower_bound_search_opENS9_16wrapped_functionINS8_6system6detail7generic6detail18binary_search_lessEbEEEE10hipError_tPvRmT1_T2_T3_mmT4_T5_P12ihipStream_tbEUlRKyE_EESV_SZ_S10_mS11_S14_bEUlT_E_NS1_11comp_targetILNS1_3genE2ELNS1_11target_archE906ELNS1_3gpuE6ELNS1_3repE0EEENS1_30default_config_static_selectorELNS0_4arch9wavefront6targetE1EEEvSY_
    .private_segment_fixed_size: 0
    .sgpr_count:     22
    .sgpr_spill_count: 0
    .symbol:         _ZN7rocprim17ROCPRIM_400000_NS6detail17trampoline_kernelINS0_14default_configENS1_27lower_bound_config_selectorIylEEZNS1_14transform_implILb0ES3_S5_N6thrust23THRUST_200600_302600_NS6detail15normal_iteratorINS8_7pointerIyNS8_11hip_rocprim5par_tENS8_11use_defaultESE_EEEENSA_INSB_IlSD_SE_SE_EEEEZNS1_13binary_searchIS3_S5_NSA_INS8_10device_ptrIyEEEESG_SI_NS1_21lower_bound_search_opENS9_16wrapped_functionINS8_6system6detail7generic6detail18binary_search_lessEbEEEE10hipError_tPvRmT1_T2_T3_mmT4_T5_P12ihipStream_tbEUlRKyE_EESV_SZ_S10_mS11_S14_bEUlT_E_NS1_11comp_targetILNS1_3genE2ELNS1_11target_archE906ELNS1_3gpuE6ELNS1_3repE0EEENS1_30default_config_static_selectorELNS0_4arch9wavefront6targetE1EEEvSY_.kd
    .uniform_work_group_size: 1
    .uses_dynamic_stack: false
    .vgpr_count:     14
    .vgpr_spill_count: 0
    .wavefront_size: 64
  - .args:
      - .offset:         0
        .size:           56
        .value_kind:     by_value
    .group_segment_fixed_size: 0
    .kernarg_segment_align: 8
    .kernarg_segment_size: 56
    .language:       OpenCL C
    .language_version:
      - 2
      - 0
    .max_flat_workgroup_size: 128
    .name:           _ZN7rocprim17ROCPRIM_400000_NS6detail17trampoline_kernelINS0_14default_configENS1_27lower_bound_config_selectorIylEEZNS1_14transform_implILb0ES3_S5_N6thrust23THRUST_200600_302600_NS6detail15normal_iteratorINS8_7pointerIyNS8_11hip_rocprim5par_tENS8_11use_defaultESE_EEEENSA_INSB_IlSD_SE_SE_EEEEZNS1_13binary_searchIS3_S5_NSA_INS8_10device_ptrIyEEEESG_SI_NS1_21lower_bound_search_opENS9_16wrapped_functionINS8_6system6detail7generic6detail18binary_search_lessEbEEEE10hipError_tPvRmT1_T2_T3_mmT4_T5_P12ihipStream_tbEUlRKyE_EESV_SZ_S10_mS11_S14_bEUlT_E_NS1_11comp_targetILNS1_3genE10ELNS1_11target_archE1201ELNS1_3gpuE5ELNS1_3repE0EEENS1_30default_config_static_selectorELNS0_4arch9wavefront6targetE1EEEvSY_
    .private_segment_fixed_size: 0
    .sgpr_count:     4
    .sgpr_spill_count: 0
    .symbol:         _ZN7rocprim17ROCPRIM_400000_NS6detail17trampoline_kernelINS0_14default_configENS1_27lower_bound_config_selectorIylEEZNS1_14transform_implILb0ES3_S5_N6thrust23THRUST_200600_302600_NS6detail15normal_iteratorINS8_7pointerIyNS8_11hip_rocprim5par_tENS8_11use_defaultESE_EEEENSA_INSB_IlSD_SE_SE_EEEEZNS1_13binary_searchIS3_S5_NSA_INS8_10device_ptrIyEEEESG_SI_NS1_21lower_bound_search_opENS9_16wrapped_functionINS8_6system6detail7generic6detail18binary_search_lessEbEEEE10hipError_tPvRmT1_T2_T3_mmT4_T5_P12ihipStream_tbEUlRKyE_EESV_SZ_S10_mS11_S14_bEUlT_E_NS1_11comp_targetILNS1_3genE10ELNS1_11target_archE1201ELNS1_3gpuE5ELNS1_3repE0EEENS1_30default_config_static_selectorELNS0_4arch9wavefront6targetE1EEEvSY_.kd
    .uniform_work_group_size: 1
    .uses_dynamic_stack: false
    .vgpr_count:     0
    .vgpr_spill_count: 0
    .wavefront_size: 64
  - .args:
      - .offset:         0
        .size:           56
        .value_kind:     by_value
    .group_segment_fixed_size: 0
    .kernarg_segment_align: 8
    .kernarg_segment_size: 56
    .language:       OpenCL C
    .language_version:
      - 2
      - 0
    .max_flat_workgroup_size: 128
    .name:           _ZN7rocprim17ROCPRIM_400000_NS6detail17trampoline_kernelINS0_14default_configENS1_27lower_bound_config_selectorIylEEZNS1_14transform_implILb0ES3_S5_N6thrust23THRUST_200600_302600_NS6detail15normal_iteratorINS8_7pointerIyNS8_11hip_rocprim5par_tENS8_11use_defaultESE_EEEENSA_INSB_IlSD_SE_SE_EEEEZNS1_13binary_searchIS3_S5_NSA_INS8_10device_ptrIyEEEESG_SI_NS1_21lower_bound_search_opENS9_16wrapped_functionINS8_6system6detail7generic6detail18binary_search_lessEbEEEE10hipError_tPvRmT1_T2_T3_mmT4_T5_P12ihipStream_tbEUlRKyE_EESV_SZ_S10_mS11_S14_bEUlT_E_NS1_11comp_targetILNS1_3genE10ELNS1_11target_archE1200ELNS1_3gpuE4ELNS1_3repE0EEENS1_30default_config_static_selectorELNS0_4arch9wavefront6targetE1EEEvSY_
    .private_segment_fixed_size: 0
    .sgpr_count:     4
    .sgpr_spill_count: 0
    .symbol:         _ZN7rocprim17ROCPRIM_400000_NS6detail17trampoline_kernelINS0_14default_configENS1_27lower_bound_config_selectorIylEEZNS1_14transform_implILb0ES3_S5_N6thrust23THRUST_200600_302600_NS6detail15normal_iteratorINS8_7pointerIyNS8_11hip_rocprim5par_tENS8_11use_defaultESE_EEEENSA_INSB_IlSD_SE_SE_EEEEZNS1_13binary_searchIS3_S5_NSA_INS8_10device_ptrIyEEEESG_SI_NS1_21lower_bound_search_opENS9_16wrapped_functionINS8_6system6detail7generic6detail18binary_search_lessEbEEEE10hipError_tPvRmT1_T2_T3_mmT4_T5_P12ihipStream_tbEUlRKyE_EESV_SZ_S10_mS11_S14_bEUlT_E_NS1_11comp_targetILNS1_3genE10ELNS1_11target_archE1200ELNS1_3gpuE4ELNS1_3repE0EEENS1_30default_config_static_selectorELNS0_4arch9wavefront6targetE1EEEvSY_.kd
    .uniform_work_group_size: 1
    .uses_dynamic_stack: false
    .vgpr_count:     0
    .vgpr_spill_count: 0
    .wavefront_size: 64
  - .args:
      - .offset:         0
        .size:           56
        .value_kind:     by_value
    .group_segment_fixed_size: 0
    .kernarg_segment_align: 8
    .kernarg_segment_size: 56
    .language:       OpenCL C
    .language_version:
      - 2
      - 0
    .max_flat_workgroup_size: 256
    .name:           _ZN7rocprim17ROCPRIM_400000_NS6detail17trampoline_kernelINS0_14default_configENS1_27lower_bound_config_selectorIylEEZNS1_14transform_implILb0ES3_S5_N6thrust23THRUST_200600_302600_NS6detail15normal_iteratorINS8_7pointerIyNS8_11hip_rocprim5par_tENS8_11use_defaultESE_EEEENSA_INSB_IlSD_SE_SE_EEEEZNS1_13binary_searchIS3_S5_NSA_INS8_10device_ptrIyEEEESG_SI_NS1_21lower_bound_search_opENS9_16wrapped_functionINS8_6system6detail7generic6detail18binary_search_lessEbEEEE10hipError_tPvRmT1_T2_T3_mmT4_T5_P12ihipStream_tbEUlRKyE_EESV_SZ_S10_mS11_S14_bEUlT_E_NS1_11comp_targetILNS1_3genE9ELNS1_11target_archE1100ELNS1_3gpuE3ELNS1_3repE0EEENS1_30default_config_static_selectorELNS0_4arch9wavefront6targetE1EEEvSY_
    .private_segment_fixed_size: 0
    .sgpr_count:     4
    .sgpr_spill_count: 0
    .symbol:         _ZN7rocprim17ROCPRIM_400000_NS6detail17trampoline_kernelINS0_14default_configENS1_27lower_bound_config_selectorIylEEZNS1_14transform_implILb0ES3_S5_N6thrust23THRUST_200600_302600_NS6detail15normal_iteratorINS8_7pointerIyNS8_11hip_rocprim5par_tENS8_11use_defaultESE_EEEENSA_INSB_IlSD_SE_SE_EEEEZNS1_13binary_searchIS3_S5_NSA_INS8_10device_ptrIyEEEESG_SI_NS1_21lower_bound_search_opENS9_16wrapped_functionINS8_6system6detail7generic6detail18binary_search_lessEbEEEE10hipError_tPvRmT1_T2_T3_mmT4_T5_P12ihipStream_tbEUlRKyE_EESV_SZ_S10_mS11_S14_bEUlT_E_NS1_11comp_targetILNS1_3genE9ELNS1_11target_archE1100ELNS1_3gpuE3ELNS1_3repE0EEENS1_30default_config_static_selectorELNS0_4arch9wavefront6targetE1EEEvSY_.kd
    .uniform_work_group_size: 1
    .uses_dynamic_stack: false
    .vgpr_count:     0
    .vgpr_spill_count: 0
    .wavefront_size: 64
  - .args:
      - .offset:         0
        .size:           56
        .value_kind:     by_value
    .group_segment_fixed_size: 0
    .kernarg_segment_align: 8
    .kernarg_segment_size: 56
    .language:       OpenCL C
    .language_version:
      - 2
      - 0
    .max_flat_workgroup_size: 256
    .name:           _ZN7rocprim17ROCPRIM_400000_NS6detail17trampoline_kernelINS0_14default_configENS1_27lower_bound_config_selectorIylEEZNS1_14transform_implILb0ES3_S5_N6thrust23THRUST_200600_302600_NS6detail15normal_iteratorINS8_7pointerIyNS8_11hip_rocprim5par_tENS8_11use_defaultESE_EEEENSA_INSB_IlSD_SE_SE_EEEEZNS1_13binary_searchIS3_S5_NSA_INS8_10device_ptrIyEEEESG_SI_NS1_21lower_bound_search_opENS9_16wrapped_functionINS8_6system6detail7generic6detail18binary_search_lessEbEEEE10hipError_tPvRmT1_T2_T3_mmT4_T5_P12ihipStream_tbEUlRKyE_EESV_SZ_S10_mS11_S14_bEUlT_E_NS1_11comp_targetILNS1_3genE8ELNS1_11target_archE1030ELNS1_3gpuE2ELNS1_3repE0EEENS1_30default_config_static_selectorELNS0_4arch9wavefront6targetE1EEEvSY_
    .private_segment_fixed_size: 0
    .sgpr_count:     4
    .sgpr_spill_count: 0
    .symbol:         _ZN7rocprim17ROCPRIM_400000_NS6detail17trampoline_kernelINS0_14default_configENS1_27lower_bound_config_selectorIylEEZNS1_14transform_implILb0ES3_S5_N6thrust23THRUST_200600_302600_NS6detail15normal_iteratorINS8_7pointerIyNS8_11hip_rocprim5par_tENS8_11use_defaultESE_EEEENSA_INSB_IlSD_SE_SE_EEEEZNS1_13binary_searchIS3_S5_NSA_INS8_10device_ptrIyEEEESG_SI_NS1_21lower_bound_search_opENS9_16wrapped_functionINS8_6system6detail7generic6detail18binary_search_lessEbEEEE10hipError_tPvRmT1_T2_T3_mmT4_T5_P12ihipStream_tbEUlRKyE_EESV_SZ_S10_mS11_S14_bEUlT_E_NS1_11comp_targetILNS1_3genE8ELNS1_11target_archE1030ELNS1_3gpuE2ELNS1_3repE0EEENS1_30default_config_static_selectorELNS0_4arch9wavefront6targetE1EEEvSY_.kd
    .uniform_work_group_size: 1
    .uses_dynamic_stack: false
    .vgpr_count:     0
    .vgpr_spill_count: 0
    .wavefront_size: 64
  - .args:
      - .offset:         0
        .size:           56
        .value_kind:     by_value
    .group_segment_fixed_size: 0
    .kernarg_segment_align: 8
    .kernarg_segment_size: 56
    .language:       OpenCL C
    .language_version:
      - 2
      - 0
    .max_flat_workgroup_size: 256
    .name:           _ZN7rocprim17ROCPRIM_400000_NS6detail17trampoline_kernelINS0_14default_configENS1_27lower_bound_config_selectorIjlEEZNS1_14transform_implILb0ES3_S5_N6thrust23THRUST_200600_302600_NS6detail15normal_iteratorINS8_7pointerIjNS8_11hip_rocprim5par_tENS8_11use_defaultESE_EEEENSA_INSB_IlSD_SE_SE_EEEEZNS1_13binary_searchIS3_S5_NSA_INS8_10device_ptrIjEEEESG_SI_NS1_21lower_bound_search_opENS9_16wrapped_functionINS8_6system6detail7generic6detail18binary_search_lessEbEEEE10hipError_tPvRmT1_T2_T3_mmT4_T5_P12ihipStream_tbEUlRKjE_EESV_SZ_S10_mS11_S14_bEUlT_E_NS1_11comp_targetILNS1_3genE0ELNS1_11target_archE4294967295ELNS1_3gpuE0ELNS1_3repE0EEENS1_30default_config_static_selectorELNS0_4arch9wavefront6targetE1EEEvSY_
    .private_segment_fixed_size: 0
    .sgpr_count:     4
    .sgpr_spill_count: 0
    .symbol:         _ZN7rocprim17ROCPRIM_400000_NS6detail17trampoline_kernelINS0_14default_configENS1_27lower_bound_config_selectorIjlEEZNS1_14transform_implILb0ES3_S5_N6thrust23THRUST_200600_302600_NS6detail15normal_iteratorINS8_7pointerIjNS8_11hip_rocprim5par_tENS8_11use_defaultESE_EEEENSA_INSB_IlSD_SE_SE_EEEEZNS1_13binary_searchIS3_S5_NSA_INS8_10device_ptrIjEEEESG_SI_NS1_21lower_bound_search_opENS9_16wrapped_functionINS8_6system6detail7generic6detail18binary_search_lessEbEEEE10hipError_tPvRmT1_T2_T3_mmT4_T5_P12ihipStream_tbEUlRKjE_EESV_SZ_S10_mS11_S14_bEUlT_E_NS1_11comp_targetILNS1_3genE0ELNS1_11target_archE4294967295ELNS1_3gpuE0ELNS1_3repE0EEENS1_30default_config_static_selectorELNS0_4arch9wavefront6targetE1EEEvSY_.kd
    .uniform_work_group_size: 1
    .uses_dynamic_stack: false
    .vgpr_count:     0
    .vgpr_spill_count: 0
    .wavefront_size: 64
  - .args:
      - .offset:         0
        .size:           56
        .value_kind:     by_value
    .group_segment_fixed_size: 0
    .kernarg_segment_align: 8
    .kernarg_segment_size: 56
    .language:       OpenCL C
    .language_version:
      - 2
      - 0
    .max_flat_workgroup_size: 256
    .name:           _ZN7rocprim17ROCPRIM_400000_NS6detail17trampoline_kernelINS0_14default_configENS1_27lower_bound_config_selectorIjlEEZNS1_14transform_implILb0ES3_S5_N6thrust23THRUST_200600_302600_NS6detail15normal_iteratorINS8_7pointerIjNS8_11hip_rocprim5par_tENS8_11use_defaultESE_EEEENSA_INSB_IlSD_SE_SE_EEEEZNS1_13binary_searchIS3_S5_NSA_INS8_10device_ptrIjEEEESG_SI_NS1_21lower_bound_search_opENS9_16wrapped_functionINS8_6system6detail7generic6detail18binary_search_lessEbEEEE10hipError_tPvRmT1_T2_T3_mmT4_T5_P12ihipStream_tbEUlRKjE_EESV_SZ_S10_mS11_S14_bEUlT_E_NS1_11comp_targetILNS1_3genE5ELNS1_11target_archE942ELNS1_3gpuE9ELNS1_3repE0EEENS1_30default_config_static_selectorELNS0_4arch9wavefront6targetE1EEEvSY_
    .private_segment_fixed_size: 0
    .sgpr_count:     4
    .sgpr_spill_count: 0
    .symbol:         _ZN7rocprim17ROCPRIM_400000_NS6detail17trampoline_kernelINS0_14default_configENS1_27lower_bound_config_selectorIjlEEZNS1_14transform_implILb0ES3_S5_N6thrust23THRUST_200600_302600_NS6detail15normal_iteratorINS8_7pointerIjNS8_11hip_rocprim5par_tENS8_11use_defaultESE_EEEENSA_INSB_IlSD_SE_SE_EEEEZNS1_13binary_searchIS3_S5_NSA_INS8_10device_ptrIjEEEESG_SI_NS1_21lower_bound_search_opENS9_16wrapped_functionINS8_6system6detail7generic6detail18binary_search_lessEbEEEE10hipError_tPvRmT1_T2_T3_mmT4_T5_P12ihipStream_tbEUlRKjE_EESV_SZ_S10_mS11_S14_bEUlT_E_NS1_11comp_targetILNS1_3genE5ELNS1_11target_archE942ELNS1_3gpuE9ELNS1_3repE0EEENS1_30default_config_static_selectorELNS0_4arch9wavefront6targetE1EEEvSY_.kd
    .uniform_work_group_size: 1
    .uses_dynamic_stack: false
    .vgpr_count:     0
    .vgpr_spill_count: 0
    .wavefront_size: 64
  - .args:
      - .offset:         0
        .size:           56
        .value_kind:     by_value
    .group_segment_fixed_size: 0
    .kernarg_segment_align: 8
    .kernarg_segment_size: 56
    .language:       OpenCL C
    .language_version:
      - 2
      - 0
    .max_flat_workgroup_size: 256
    .name:           _ZN7rocprim17ROCPRIM_400000_NS6detail17trampoline_kernelINS0_14default_configENS1_27lower_bound_config_selectorIjlEEZNS1_14transform_implILb0ES3_S5_N6thrust23THRUST_200600_302600_NS6detail15normal_iteratorINS8_7pointerIjNS8_11hip_rocprim5par_tENS8_11use_defaultESE_EEEENSA_INSB_IlSD_SE_SE_EEEEZNS1_13binary_searchIS3_S5_NSA_INS8_10device_ptrIjEEEESG_SI_NS1_21lower_bound_search_opENS9_16wrapped_functionINS8_6system6detail7generic6detail18binary_search_lessEbEEEE10hipError_tPvRmT1_T2_T3_mmT4_T5_P12ihipStream_tbEUlRKjE_EESV_SZ_S10_mS11_S14_bEUlT_E_NS1_11comp_targetILNS1_3genE4ELNS1_11target_archE910ELNS1_3gpuE8ELNS1_3repE0EEENS1_30default_config_static_selectorELNS0_4arch9wavefront6targetE1EEEvSY_
    .private_segment_fixed_size: 0
    .sgpr_count:     4
    .sgpr_spill_count: 0
    .symbol:         _ZN7rocprim17ROCPRIM_400000_NS6detail17trampoline_kernelINS0_14default_configENS1_27lower_bound_config_selectorIjlEEZNS1_14transform_implILb0ES3_S5_N6thrust23THRUST_200600_302600_NS6detail15normal_iteratorINS8_7pointerIjNS8_11hip_rocprim5par_tENS8_11use_defaultESE_EEEENSA_INSB_IlSD_SE_SE_EEEEZNS1_13binary_searchIS3_S5_NSA_INS8_10device_ptrIjEEEESG_SI_NS1_21lower_bound_search_opENS9_16wrapped_functionINS8_6system6detail7generic6detail18binary_search_lessEbEEEE10hipError_tPvRmT1_T2_T3_mmT4_T5_P12ihipStream_tbEUlRKjE_EESV_SZ_S10_mS11_S14_bEUlT_E_NS1_11comp_targetILNS1_3genE4ELNS1_11target_archE910ELNS1_3gpuE8ELNS1_3repE0EEENS1_30default_config_static_selectorELNS0_4arch9wavefront6targetE1EEEvSY_.kd
    .uniform_work_group_size: 1
    .uses_dynamic_stack: false
    .vgpr_count:     0
    .vgpr_spill_count: 0
    .wavefront_size: 64
  - .args:
      - .offset:         0
        .size:           56
        .value_kind:     by_value
    .group_segment_fixed_size: 0
    .kernarg_segment_align: 8
    .kernarg_segment_size: 56
    .language:       OpenCL C
    .language_version:
      - 2
      - 0
    .max_flat_workgroup_size: 256
    .name:           _ZN7rocprim17ROCPRIM_400000_NS6detail17trampoline_kernelINS0_14default_configENS1_27lower_bound_config_selectorIjlEEZNS1_14transform_implILb0ES3_S5_N6thrust23THRUST_200600_302600_NS6detail15normal_iteratorINS8_7pointerIjNS8_11hip_rocprim5par_tENS8_11use_defaultESE_EEEENSA_INSB_IlSD_SE_SE_EEEEZNS1_13binary_searchIS3_S5_NSA_INS8_10device_ptrIjEEEESG_SI_NS1_21lower_bound_search_opENS9_16wrapped_functionINS8_6system6detail7generic6detail18binary_search_lessEbEEEE10hipError_tPvRmT1_T2_T3_mmT4_T5_P12ihipStream_tbEUlRKjE_EESV_SZ_S10_mS11_S14_bEUlT_E_NS1_11comp_targetILNS1_3genE3ELNS1_11target_archE908ELNS1_3gpuE7ELNS1_3repE0EEENS1_30default_config_static_selectorELNS0_4arch9wavefront6targetE1EEEvSY_
    .private_segment_fixed_size: 0
    .sgpr_count:     4
    .sgpr_spill_count: 0
    .symbol:         _ZN7rocprim17ROCPRIM_400000_NS6detail17trampoline_kernelINS0_14default_configENS1_27lower_bound_config_selectorIjlEEZNS1_14transform_implILb0ES3_S5_N6thrust23THRUST_200600_302600_NS6detail15normal_iteratorINS8_7pointerIjNS8_11hip_rocprim5par_tENS8_11use_defaultESE_EEEENSA_INSB_IlSD_SE_SE_EEEEZNS1_13binary_searchIS3_S5_NSA_INS8_10device_ptrIjEEEESG_SI_NS1_21lower_bound_search_opENS9_16wrapped_functionINS8_6system6detail7generic6detail18binary_search_lessEbEEEE10hipError_tPvRmT1_T2_T3_mmT4_T5_P12ihipStream_tbEUlRKjE_EESV_SZ_S10_mS11_S14_bEUlT_E_NS1_11comp_targetILNS1_3genE3ELNS1_11target_archE908ELNS1_3gpuE7ELNS1_3repE0EEENS1_30default_config_static_selectorELNS0_4arch9wavefront6targetE1EEEvSY_.kd
    .uniform_work_group_size: 1
    .uses_dynamic_stack: false
    .vgpr_count:     0
    .vgpr_spill_count: 0
    .wavefront_size: 64
  - .args:
      - .offset:         0
        .size:           56
        .value_kind:     by_value
      - .offset:         56
        .size:           4
        .value_kind:     hidden_block_count_x
      - .offset:         60
        .size:           4
        .value_kind:     hidden_block_count_y
      - .offset:         64
        .size:           4
        .value_kind:     hidden_block_count_z
      - .offset:         68
        .size:           2
        .value_kind:     hidden_group_size_x
      - .offset:         70
        .size:           2
        .value_kind:     hidden_group_size_y
      - .offset:         72
        .size:           2
        .value_kind:     hidden_group_size_z
      - .offset:         74
        .size:           2
        .value_kind:     hidden_remainder_x
      - .offset:         76
        .size:           2
        .value_kind:     hidden_remainder_y
      - .offset:         78
        .size:           2
        .value_kind:     hidden_remainder_z
      - .offset:         96
        .size:           8
        .value_kind:     hidden_global_offset_x
      - .offset:         104
        .size:           8
        .value_kind:     hidden_global_offset_y
      - .offset:         112
        .size:           8
        .value_kind:     hidden_global_offset_z
      - .offset:         120
        .size:           2
        .value_kind:     hidden_grid_dims
    .group_segment_fixed_size: 0
    .kernarg_segment_align: 8
    .kernarg_segment_size: 312
    .language:       OpenCL C
    .language_version:
      - 2
      - 0
    .max_flat_workgroup_size: 256
    .name:           _ZN7rocprim17ROCPRIM_400000_NS6detail17trampoline_kernelINS0_14default_configENS1_27lower_bound_config_selectorIjlEEZNS1_14transform_implILb0ES3_S5_N6thrust23THRUST_200600_302600_NS6detail15normal_iteratorINS8_7pointerIjNS8_11hip_rocprim5par_tENS8_11use_defaultESE_EEEENSA_INSB_IlSD_SE_SE_EEEEZNS1_13binary_searchIS3_S5_NSA_INS8_10device_ptrIjEEEESG_SI_NS1_21lower_bound_search_opENS9_16wrapped_functionINS8_6system6detail7generic6detail18binary_search_lessEbEEEE10hipError_tPvRmT1_T2_T3_mmT4_T5_P12ihipStream_tbEUlRKjE_EESV_SZ_S10_mS11_S14_bEUlT_E_NS1_11comp_targetILNS1_3genE2ELNS1_11target_archE906ELNS1_3gpuE6ELNS1_3repE0EEENS1_30default_config_static_selectorELNS0_4arch9wavefront6targetE1EEEvSY_
    .private_segment_fixed_size: 0
    .sgpr_count:     24
    .sgpr_spill_count: 0
    .symbol:         _ZN7rocprim17ROCPRIM_400000_NS6detail17trampoline_kernelINS0_14default_configENS1_27lower_bound_config_selectorIjlEEZNS1_14transform_implILb0ES3_S5_N6thrust23THRUST_200600_302600_NS6detail15normal_iteratorINS8_7pointerIjNS8_11hip_rocprim5par_tENS8_11use_defaultESE_EEEENSA_INSB_IlSD_SE_SE_EEEEZNS1_13binary_searchIS3_S5_NSA_INS8_10device_ptrIjEEEESG_SI_NS1_21lower_bound_search_opENS9_16wrapped_functionINS8_6system6detail7generic6detail18binary_search_lessEbEEEE10hipError_tPvRmT1_T2_T3_mmT4_T5_P12ihipStream_tbEUlRKjE_EESV_SZ_S10_mS11_S14_bEUlT_E_NS1_11comp_targetILNS1_3genE2ELNS1_11target_archE906ELNS1_3gpuE6ELNS1_3repE0EEENS1_30default_config_static_selectorELNS0_4arch9wavefront6targetE1EEEvSY_.kd
    .uniform_work_group_size: 1
    .uses_dynamic_stack: false
    .vgpr_count:     12
    .vgpr_spill_count: 0
    .wavefront_size: 64
  - .args:
      - .offset:         0
        .size:           56
        .value_kind:     by_value
    .group_segment_fixed_size: 0
    .kernarg_segment_align: 8
    .kernarg_segment_size: 56
    .language:       OpenCL C
    .language_version:
      - 2
      - 0
    .max_flat_workgroup_size: 128
    .name:           _ZN7rocprim17ROCPRIM_400000_NS6detail17trampoline_kernelINS0_14default_configENS1_27lower_bound_config_selectorIjlEEZNS1_14transform_implILb0ES3_S5_N6thrust23THRUST_200600_302600_NS6detail15normal_iteratorINS8_7pointerIjNS8_11hip_rocprim5par_tENS8_11use_defaultESE_EEEENSA_INSB_IlSD_SE_SE_EEEEZNS1_13binary_searchIS3_S5_NSA_INS8_10device_ptrIjEEEESG_SI_NS1_21lower_bound_search_opENS9_16wrapped_functionINS8_6system6detail7generic6detail18binary_search_lessEbEEEE10hipError_tPvRmT1_T2_T3_mmT4_T5_P12ihipStream_tbEUlRKjE_EESV_SZ_S10_mS11_S14_bEUlT_E_NS1_11comp_targetILNS1_3genE10ELNS1_11target_archE1201ELNS1_3gpuE5ELNS1_3repE0EEENS1_30default_config_static_selectorELNS0_4arch9wavefront6targetE1EEEvSY_
    .private_segment_fixed_size: 0
    .sgpr_count:     4
    .sgpr_spill_count: 0
    .symbol:         _ZN7rocprim17ROCPRIM_400000_NS6detail17trampoline_kernelINS0_14default_configENS1_27lower_bound_config_selectorIjlEEZNS1_14transform_implILb0ES3_S5_N6thrust23THRUST_200600_302600_NS6detail15normal_iteratorINS8_7pointerIjNS8_11hip_rocprim5par_tENS8_11use_defaultESE_EEEENSA_INSB_IlSD_SE_SE_EEEEZNS1_13binary_searchIS3_S5_NSA_INS8_10device_ptrIjEEEESG_SI_NS1_21lower_bound_search_opENS9_16wrapped_functionINS8_6system6detail7generic6detail18binary_search_lessEbEEEE10hipError_tPvRmT1_T2_T3_mmT4_T5_P12ihipStream_tbEUlRKjE_EESV_SZ_S10_mS11_S14_bEUlT_E_NS1_11comp_targetILNS1_3genE10ELNS1_11target_archE1201ELNS1_3gpuE5ELNS1_3repE0EEENS1_30default_config_static_selectorELNS0_4arch9wavefront6targetE1EEEvSY_.kd
    .uniform_work_group_size: 1
    .uses_dynamic_stack: false
    .vgpr_count:     0
    .vgpr_spill_count: 0
    .wavefront_size: 64
  - .args:
      - .offset:         0
        .size:           56
        .value_kind:     by_value
    .group_segment_fixed_size: 0
    .kernarg_segment_align: 8
    .kernarg_segment_size: 56
    .language:       OpenCL C
    .language_version:
      - 2
      - 0
    .max_flat_workgroup_size: 128
    .name:           _ZN7rocprim17ROCPRIM_400000_NS6detail17trampoline_kernelINS0_14default_configENS1_27lower_bound_config_selectorIjlEEZNS1_14transform_implILb0ES3_S5_N6thrust23THRUST_200600_302600_NS6detail15normal_iteratorINS8_7pointerIjNS8_11hip_rocprim5par_tENS8_11use_defaultESE_EEEENSA_INSB_IlSD_SE_SE_EEEEZNS1_13binary_searchIS3_S5_NSA_INS8_10device_ptrIjEEEESG_SI_NS1_21lower_bound_search_opENS9_16wrapped_functionINS8_6system6detail7generic6detail18binary_search_lessEbEEEE10hipError_tPvRmT1_T2_T3_mmT4_T5_P12ihipStream_tbEUlRKjE_EESV_SZ_S10_mS11_S14_bEUlT_E_NS1_11comp_targetILNS1_3genE10ELNS1_11target_archE1200ELNS1_3gpuE4ELNS1_3repE0EEENS1_30default_config_static_selectorELNS0_4arch9wavefront6targetE1EEEvSY_
    .private_segment_fixed_size: 0
    .sgpr_count:     4
    .sgpr_spill_count: 0
    .symbol:         _ZN7rocprim17ROCPRIM_400000_NS6detail17trampoline_kernelINS0_14default_configENS1_27lower_bound_config_selectorIjlEEZNS1_14transform_implILb0ES3_S5_N6thrust23THRUST_200600_302600_NS6detail15normal_iteratorINS8_7pointerIjNS8_11hip_rocprim5par_tENS8_11use_defaultESE_EEEENSA_INSB_IlSD_SE_SE_EEEEZNS1_13binary_searchIS3_S5_NSA_INS8_10device_ptrIjEEEESG_SI_NS1_21lower_bound_search_opENS9_16wrapped_functionINS8_6system6detail7generic6detail18binary_search_lessEbEEEE10hipError_tPvRmT1_T2_T3_mmT4_T5_P12ihipStream_tbEUlRKjE_EESV_SZ_S10_mS11_S14_bEUlT_E_NS1_11comp_targetILNS1_3genE10ELNS1_11target_archE1200ELNS1_3gpuE4ELNS1_3repE0EEENS1_30default_config_static_selectorELNS0_4arch9wavefront6targetE1EEEvSY_.kd
    .uniform_work_group_size: 1
    .uses_dynamic_stack: false
    .vgpr_count:     0
    .vgpr_spill_count: 0
    .wavefront_size: 64
  - .args:
      - .offset:         0
        .size:           56
        .value_kind:     by_value
    .group_segment_fixed_size: 0
    .kernarg_segment_align: 8
    .kernarg_segment_size: 56
    .language:       OpenCL C
    .language_version:
      - 2
      - 0
    .max_flat_workgroup_size: 256
    .name:           _ZN7rocprim17ROCPRIM_400000_NS6detail17trampoline_kernelINS0_14default_configENS1_27lower_bound_config_selectorIjlEEZNS1_14transform_implILb0ES3_S5_N6thrust23THRUST_200600_302600_NS6detail15normal_iteratorINS8_7pointerIjNS8_11hip_rocprim5par_tENS8_11use_defaultESE_EEEENSA_INSB_IlSD_SE_SE_EEEEZNS1_13binary_searchIS3_S5_NSA_INS8_10device_ptrIjEEEESG_SI_NS1_21lower_bound_search_opENS9_16wrapped_functionINS8_6system6detail7generic6detail18binary_search_lessEbEEEE10hipError_tPvRmT1_T2_T3_mmT4_T5_P12ihipStream_tbEUlRKjE_EESV_SZ_S10_mS11_S14_bEUlT_E_NS1_11comp_targetILNS1_3genE9ELNS1_11target_archE1100ELNS1_3gpuE3ELNS1_3repE0EEENS1_30default_config_static_selectorELNS0_4arch9wavefront6targetE1EEEvSY_
    .private_segment_fixed_size: 0
    .sgpr_count:     4
    .sgpr_spill_count: 0
    .symbol:         _ZN7rocprim17ROCPRIM_400000_NS6detail17trampoline_kernelINS0_14default_configENS1_27lower_bound_config_selectorIjlEEZNS1_14transform_implILb0ES3_S5_N6thrust23THRUST_200600_302600_NS6detail15normal_iteratorINS8_7pointerIjNS8_11hip_rocprim5par_tENS8_11use_defaultESE_EEEENSA_INSB_IlSD_SE_SE_EEEEZNS1_13binary_searchIS3_S5_NSA_INS8_10device_ptrIjEEEESG_SI_NS1_21lower_bound_search_opENS9_16wrapped_functionINS8_6system6detail7generic6detail18binary_search_lessEbEEEE10hipError_tPvRmT1_T2_T3_mmT4_T5_P12ihipStream_tbEUlRKjE_EESV_SZ_S10_mS11_S14_bEUlT_E_NS1_11comp_targetILNS1_3genE9ELNS1_11target_archE1100ELNS1_3gpuE3ELNS1_3repE0EEENS1_30default_config_static_selectorELNS0_4arch9wavefront6targetE1EEEvSY_.kd
    .uniform_work_group_size: 1
    .uses_dynamic_stack: false
    .vgpr_count:     0
    .vgpr_spill_count: 0
    .wavefront_size: 64
  - .args:
      - .offset:         0
        .size:           56
        .value_kind:     by_value
    .group_segment_fixed_size: 0
    .kernarg_segment_align: 8
    .kernarg_segment_size: 56
    .language:       OpenCL C
    .language_version:
      - 2
      - 0
    .max_flat_workgroup_size: 256
    .name:           _ZN7rocprim17ROCPRIM_400000_NS6detail17trampoline_kernelINS0_14default_configENS1_27lower_bound_config_selectorIjlEEZNS1_14transform_implILb0ES3_S5_N6thrust23THRUST_200600_302600_NS6detail15normal_iteratorINS8_7pointerIjNS8_11hip_rocprim5par_tENS8_11use_defaultESE_EEEENSA_INSB_IlSD_SE_SE_EEEEZNS1_13binary_searchIS3_S5_NSA_INS8_10device_ptrIjEEEESG_SI_NS1_21lower_bound_search_opENS9_16wrapped_functionINS8_6system6detail7generic6detail18binary_search_lessEbEEEE10hipError_tPvRmT1_T2_T3_mmT4_T5_P12ihipStream_tbEUlRKjE_EESV_SZ_S10_mS11_S14_bEUlT_E_NS1_11comp_targetILNS1_3genE8ELNS1_11target_archE1030ELNS1_3gpuE2ELNS1_3repE0EEENS1_30default_config_static_selectorELNS0_4arch9wavefront6targetE1EEEvSY_
    .private_segment_fixed_size: 0
    .sgpr_count:     4
    .sgpr_spill_count: 0
    .symbol:         _ZN7rocprim17ROCPRIM_400000_NS6detail17trampoline_kernelINS0_14default_configENS1_27lower_bound_config_selectorIjlEEZNS1_14transform_implILb0ES3_S5_N6thrust23THRUST_200600_302600_NS6detail15normal_iteratorINS8_7pointerIjNS8_11hip_rocprim5par_tENS8_11use_defaultESE_EEEENSA_INSB_IlSD_SE_SE_EEEEZNS1_13binary_searchIS3_S5_NSA_INS8_10device_ptrIjEEEESG_SI_NS1_21lower_bound_search_opENS9_16wrapped_functionINS8_6system6detail7generic6detail18binary_search_lessEbEEEE10hipError_tPvRmT1_T2_T3_mmT4_T5_P12ihipStream_tbEUlRKjE_EESV_SZ_S10_mS11_S14_bEUlT_E_NS1_11comp_targetILNS1_3genE8ELNS1_11target_archE1030ELNS1_3gpuE2ELNS1_3repE0EEENS1_30default_config_static_selectorELNS0_4arch9wavefront6targetE1EEEvSY_.kd
    .uniform_work_group_size: 1
    .uses_dynamic_stack: false
    .vgpr_count:     0
    .vgpr_spill_count: 0
    .wavefront_size: 64
  - .args:
      - .offset:         0
        .size:           56
        .value_kind:     by_value
    .group_segment_fixed_size: 0
    .kernarg_segment_align: 8
    .kernarg_segment_size: 56
    .language:       OpenCL C
    .language_version:
      - 2
      - 0
    .max_flat_workgroup_size: 256
    .name:           _ZN7rocprim17ROCPRIM_400000_NS6detail17trampoline_kernelINS0_14default_configENS1_27lower_bound_config_selectorItlEEZNS1_14transform_implILb0ES3_S5_N6thrust23THRUST_200600_302600_NS6detail15normal_iteratorINS8_7pointerItNS8_11hip_rocprim5par_tENS8_11use_defaultESE_EEEENSA_INSB_IlSD_SE_SE_EEEEZNS1_13binary_searchIS3_S5_NSA_INS8_10device_ptrItEEEESG_SI_NS1_21lower_bound_search_opENS9_16wrapped_functionINS8_6system6detail7generic6detail18binary_search_lessEbEEEE10hipError_tPvRmT1_T2_T3_mmT4_T5_P12ihipStream_tbEUlRKtE_EESV_SZ_S10_mS11_S14_bEUlT_E_NS1_11comp_targetILNS1_3genE0ELNS1_11target_archE4294967295ELNS1_3gpuE0ELNS1_3repE0EEENS1_30default_config_static_selectorELNS0_4arch9wavefront6targetE1EEEvSY_
    .private_segment_fixed_size: 0
    .sgpr_count:     4
    .sgpr_spill_count: 0
    .symbol:         _ZN7rocprim17ROCPRIM_400000_NS6detail17trampoline_kernelINS0_14default_configENS1_27lower_bound_config_selectorItlEEZNS1_14transform_implILb0ES3_S5_N6thrust23THRUST_200600_302600_NS6detail15normal_iteratorINS8_7pointerItNS8_11hip_rocprim5par_tENS8_11use_defaultESE_EEEENSA_INSB_IlSD_SE_SE_EEEEZNS1_13binary_searchIS3_S5_NSA_INS8_10device_ptrItEEEESG_SI_NS1_21lower_bound_search_opENS9_16wrapped_functionINS8_6system6detail7generic6detail18binary_search_lessEbEEEE10hipError_tPvRmT1_T2_T3_mmT4_T5_P12ihipStream_tbEUlRKtE_EESV_SZ_S10_mS11_S14_bEUlT_E_NS1_11comp_targetILNS1_3genE0ELNS1_11target_archE4294967295ELNS1_3gpuE0ELNS1_3repE0EEENS1_30default_config_static_selectorELNS0_4arch9wavefront6targetE1EEEvSY_.kd
    .uniform_work_group_size: 1
    .uses_dynamic_stack: false
    .vgpr_count:     0
    .vgpr_spill_count: 0
    .wavefront_size: 64
  - .args:
      - .offset:         0
        .size:           56
        .value_kind:     by_value
    .group_segment_fixed_size: 0
    .kernarg_segment_align: 8
    .kernarg_segment_size: 56
    .language:       OpenCL C
    .language_version:
      - 2
      - 0
    .max_flat_workgroup_size: 256
    .name:           _ZN7rocprim17ROCPRIM_400000_NS6detail17trampoline_kernelINS0_14default_configENS1_27lower_bound_config_selectorItlEEZNS1_14transform_implILb0ES3_S5_N6thrust23THRUST_200600_302600_NS6detail15normal_iteratorINS8_7pointerItNS8_11hip_rocprim5par_tENS8_11use_defaultESE_EEEENSA_INSB_IlSD_SE_SE_EEEEZNS1_13binary_searchIS3_S5_NSA_INS8_10device_ptrItEEEESG_SI_NS1_21lower_bound_search_opENS9_16wrapped_functionINS8_6system6detail7generic6detail18binary_search_lessEbEEEE10hipError_tPvRmT1_T2_T3_mmT4_T5_P12ihipStream_tbEUlRKtE_EESV_SZ_S10_mS11_S14_bEUlT_E_NS1_11comp_targetILNS1_3genE5ELNS1_11target_archE942ELNS1_3gpuE9ELNS1_3repE0EEENS1_30default_config_static_selectorELNS0_4arch9wavefront6targetE1EEEvSY_
    .private_segment_fixed_size: 0
    .sgpr_count:     4
    .sgpr_spill_count: 0
    .symbol:         _ZN7rocprim17ROCPRIM_400000_NS6detail17trampoline_kernelINS0_14default_configENS1_27lower_bound_config_selectorItlEEZNS1_14transform_implILb0ES3_S5_N6thrust23THRUST_200600_302600_NS6detail15normal_iteratorINS8_7pointerItNS8_11hip_rocprim5par_tENS8_11use_defaultESE_EEEENSA_INSB_IlSD_SE_SE_EEEEZNS1_13binary_searchIS3_S5_NSA_INS8_10device_ptrItEEEESG_SI_NS1_21lower_bound_search_opENS9_16wrapped_functionINS8_6system6detail7generic6detail18binary_search_lessEbEEEE10hipError_tPvRmT1_T2_T3_mmT4_T5_P12ihipStream_tbEUlRKtE_EESV_SZ_S10_mS11_S14_bEUlT_E_NS1_11comp_targetILNS1_3genE5ELNS1_11target_archE942ELNS1_3gpuE9ELNS1_3repE0EEENS1_30default_config_static_selectorELNS0_4arch9wavefront6targetE1EEEvSY_.kd
    .uniform_work_group_size: 1
    .uses_dynamic_stack: false
    .vgpr_count:     0
    .vgpr_spill_count: 0
    .wavefront_size: 64
  - .args:
      - .offset:         0
        .size:           56
        .value_kind:     by_value
    .group_segment_fixed_size: 0
    .kernarg_segment_align: 8
    .kernarg_segment_size: 56
    .language:       OpenCL C
    .language_version:
      - 2
      - 0
    .max_flat_workgroup_size: 256
    .name:           _ZN7rocprim17ROCPRIM_400000_NS6detail17trampoline_kernelINS0_14default_configENS1_27lower_bound_config_selectorItlEEZNS1_14transform_implILb0ES3_S5_N6thrust23THRUST_200600_302600_NS6detail15normal_iteratorINS8_7pointerItNS8_11hip_rocprim5par_tENS8_11use_defaultESE_EEEENSA_INSB_IlSD_SE_SE_EEEEZNS1_13binary_searchIS3_S5_NSA_INS8_10device_ptrItEEEESG_SI_NS1_21lower_bound_search_opENS9_16wrapped_functionINS8_6system6detail7generic6detail18binary_search_lessEbEEEE10hipError_tPvRmT1_T2_T3_mmT4_T5_P12ihipStream_tbEUlRKtE_EESV_SZ_S10_mS11_S14_bEUlT_E_NS1_11comp_targetILNS1_3genE4ELNS1_11target_archE910ELNS1_3gpuE8ELNS1_3repE0EEENS1_30default_config_static_selectorELNS0_4arch9wavefront6targetE1EEEvSY_
    .private_segment_fixed_size: 0
    .sgpr_count:     4
    .sgpr_spill_count: 0
    .symbol:         _ZN7rocprim17ROCPRIM_400000_NS6detail17trampoline_kernelINS0_14default_configENS1_27lower_bound_config_selectorItlEEZNS1_14transform_implILb0ES3_S5_N6thrust23THRUST_200600_302600_NS6detail15normal_iteratorINS8_7pointerItNS8_11hip_rocprim5par_tENS8_11use_defaultESE_EEEENSA_INSB_IlSD_SE_SE_EEEEZNS1_13binary_searchIS3_S5_NSA_INS8_10device_ptrItEEEESG_SI_NS1_21lower_bound_search_opENS9_16wrapped_functionINS8_6system6detail7generic6detail18binary_search_lessEbEEEE10hipError_tPvRmT1_T2_T3_mmT4_T5_P12ihipStream_tbEUlRKtE_EESV_SZ_S10_mS11_S14_bEUlT_E_NS1_11comp_targetILNS1_3genE4ELNS1_11target_archE910ELNS1_3gpuE8ELNS1_3repE0EEENS1_30default_config_static_selectorELNS0_4arch9wavefront6targetE1EEEvSY_.kd
    .uniform_work_group_size: 1
    .uses_dynamic_stack: false
    .vgpr_count:     0
    .vgpr_spill_count: 0
    .wavefront_size: 64
  - .args:
      - .offset:         0
        .size:           56
        .value_kind:     by_value
    .group_segment_fixed_size: 0
    .kernarg_segment_align: 8
    .kernarg_segment_size: 56
    .language:       OpenCL C
    .language_version:
      - 2
      - 0
    .max_flat_workgroup_size: 256
    .name:           _ZN7rocprim17ROCPRIM_400000_NS6detail17trampoline_kernelINS0_14default_configENS1_27lower_bound_config_selectorItlEEZNS1_14transform_implILb0ES3_S5_N6thrust23THRUST_200600_302600_NS6detail15normal_iteratorINS8_7pointerItNS8_11hip_rocprim5par_tENS8_11use_defaultESE_EEEENSA_INSB_IlSD_SE_SE_EEEEZNS1_13binary_searchIS3_S5_NSA_INS8_10device_ptrItEEEESG_SI_NS1_21lower_bound_search_opENS9_16wrapped_functionINS8_6system6detail7generic6detail18binary_search_lessEbEEEE10hipError_tPvRmT1_T2_T3_mmT4_T5_P12ihipStream_tbEUlRKtE_EESV_SZ_S10_mS11_S14_bEUlT_E_NS1_11comp_targetILNS1_3genE3ELNS1_11target_archE908ELNS1_3gpuE7ELNS1_3repE0EEENS1_30default_config_static_selectorELNS0_4arch9wavefront6targetE1EEEvSY_
    .private_segment_fixed_size: 0
    .sgpr_count:     4
    .sgpr_spill_count: 0
    .symbol:         _ZN7rocprim17ROCPRIM_400000_NS6detail17trampoline_kernelINS0_14default_configENS1_27lower_bound_config_selectorItlEEZNS1_14transform_implILb0ES3_S5_N6thrust23THRUST_200600_302600_NS6detail15normal_iteratorINS8_7pointerItNS8_11hip_rocprim5par_tENS8_11use_defaultESE_EEEENSA_INSB_IlSD_SE_SE_EEEEZNS1_13binary_searchIS3_S5_NSA_INS8_10device_ptrItEEEESG_SI_NS1_21lower_bound_search_opENS9_16wrapped_functionINS8_6system6detail7generic6detail18binary_search_lessEbEEEE10hipError_tPvRmT1_T2_T3_mmT4_T5_P12ihipStream_tbEUlRKtE_EESV_SZ_S10_mS11_S14_bEUlT_E_NS1_11comp_targetILNS1_3genE3ELNS1_11target_archE908ELNS1_3gpuE7ELNS1_3repE0EEENS1_30default_config_static_selectorELNS0_4arch9wavefront6targetE1EEEvSY_.kd
    .uniform_work_group_size: 1
    .uses_dynamic_stack: false
    .vgpr_count:     0
    .vgpr_spill_count: 0
    .wavefront_size: 64
  - .args:
      - .offset:         0
        .size:           56
        .value_kind:     by_value
      - .offset:         56
        .size:           4
        .value_kind:     hidden_block_count_x
      - .offset:         60
        .size:           4
        .value_kind:     hidden_block_count_y
      - .offset:         64
        .size:           4
        .value_kind:     hidden_block_count_z
      - .offset:         68
        .size:           2
        .value_kind:     hidden_group_size_x
      - .offset:         70
        .size:           2
        .value_kind:     hidden_group_size_y
      - .offset:         72
        .size:           2
        .value_kind:     hidden_group_size_z
      - .offset:         74
        .size:           2
        .value_kind:     hidden_remainder_x
      - .offset:         76
        .size:           2
        .value_kind:     hidden_remainder_y
      - .offset:         78
        .size:           2
        .value_kind:     hidden_remainder_z
      - .offset:         96
        .size:           8
        .value_kind:     hidden_global_offset_x
      - .offset:         104
        .size:           8
        .value_kind:     hidden_global_offset_y
      - .offset:         112
        .size:           8
        .value_kind:     hidden_global_offset_z
      - .offset:         120
        .size:           2
        .value_kind:     hidden_grid_dims
    .group_segment_fixed_size: 0
    .kernarg_segment_align: 8
    .kernarg_segment_size: 312
    .language:       OpenCL C
    .language_version:
      - 2
      - 0
    .max_flat_workgroup_size: 256
    .name:           _ZN7rocprim17ROCPRIM_400000_NS6detail17trampoline_kernelINS0_14default_configENS1_27lower_bound_config_selectorItlEEZNS1_14transform_implILb0ES3_S5_N6thrust23THRUST_200600_302600_NS6detail15normal_iteratorINS8_7pointerItNS8_11hip_rocprim5par_tENS8_11use_defaultESE_EEEENSA_INSB_IlSD_SE_SE_EEEEZNS1_13binary_searchIS3_S5_NSA_INS8_10device_ptrItEEEESG_SI_NS1_21lower_bound_search_opENS9_16wrapped_functionINS8_6system6detail7generic6detail18binary_search_lessEbEEEE10hipError_tPvRmT1_T2_T3_mmT4_T5_P12ihipStream_tbEUlRKtE_EESV_SZ_S10_mS11_S14_bEUlT_E_NS1_11comp_targetILNS1_3genE2ELNS1_11target_archE906ELNS1_3gpuE6ELNS1_3repE0EEENS1_30default_config_static_selectorELNS0_4arch9wavefront6targetE1EEEvSY_
    .private_segment_fixed_size: 0
    .sgpr_count:     26
    .sgpr_spill_count: 0
    .symbol:         _ZN7rocprim17ROCPRIM_400000_NS6detail17trampoline_kernelINS0_14default_configENS1_27lower_bound_config_selectorItlEEZNS1_14transform_implILb0ES3_S5_N6thrust23THRUST_200600_302600_NS6detail15normal_iteratorINS8_7pointerItNS8_11hip_rocprim5par_tENS8_11use_defaultESE_EEEENSA_INSB_IlSD_SE_SE_EEEEZNS1_13binary_searchIS3_S5_NSA_INS8_10device_ptrItEEEESG_SI_NS1_21lower_bound_search_opENS9_16wrapped_functionINS8_6system6detail7generic6detail18binary_search_lessEbEEEE10hipError_tPvRmT1_T2_T3_mmT4_T5_P12ihipStream_tbEUlRKtE_EESV_SZ_S10_mS11_S14_bEUlT_E_NS1_11comp_targetILNS1_3genE2ELNS1_11target_archE906ELNS1_3gpuE6ELNS1_3repE0EEENS1_30default_config_static_selectorELNS0_4arch9wavefront6targetE1EEEvSY_.kd
    .uniform_work_group_size: 1
    .uses_dynamic_stack: false
    .vgpr_count:     18
    .vgpr_spill_count: 0
    .wavefront_size: 64
  - .args:
      - .offset:         0
        .size:           56
        .value_kind:     by_value
    .group_segment_fixed_size: 0
    .kernarg_segment_align: 8
    .kernarg_segment_size: 56
    .language:       OpenCL C
    .language_version:
      - 2
      - 0
    .max_flat_workgroup_size: 256
    .name:           _ZN7rocprim17ROCPRIM_400000_NS6detail17trampoline_kernelINS0_14default_configENS1_27lower_bound_config_selectorItlEEZNS1_14transform_implILb0ES3_S5_N6thrust23THRUST_200600_302600_NS6detail15normal_iteratorINS8_7pointerItNS8_11hip_rocprim5par_tENS8_11use_defaultESE_EEEENSA_INSB_IlSD_SE_SE_EEEEZNS1_13binary_searchIS3_S5_NSA_INS8_10device_ptrItEEEESG_SI_NS1_21lower_bound_search_opENS9_16wrapped_functionINS8_6system6detail7generic6detail18binary_search_lessEbEEEE10hipError_tPvRmT1_T2_T3_mmT4_T5_P12ihipStream_tbEUlRKtE_EESV_SZ_S10_mS11_S14_bEUlT_E_NS1_11comp_targetILNS1_3genE10ELNS1_11target_archE1201ELNS1_3gpuE5ELNS1_3repE0EEENS1_30default_config_static_selectorELNS0_4arch9wavefront6targetE1EEEvSY_
    .private_segment_fixed_size: 0
    .sgpr_count:     4
    .sgpr_spill_count: 0
    .symbol:         _ZN7rocprim17ROCPRIM_400000_NS6detail17trampoline_kernelINS0_14default_configENS1_27lower_bound_config_selectorItlEEZNS1_14transform_implILb0ES3_S5_N6thrust23THRUST_200600_302600_NS6detail15normal_iteratorINS8_7pointerItNS8_11hip_rocprim5par_tENS8_11use_defaultESE_EEEENSA_INSB_IlSD_SE_SE_EEEEZNS1_13binary_searchIS3_S5_NSA_INS8_10device_ptrItEEEESG_SI_NS1_21lower_bound_search_opENS9_16wrapped_functionINS8_6system6detail7generic6detail18binary_search_lessEbEEEE10hipError_tPvRmT1_T2_T3_mmT4_T5_P12ihipStream_tbEUlRKtE_EESV_SZ_S10_mS11_S14_bEUlT_E_NS1_11comp_targetILNS1_3genE10ELNS1_11target_archE1201ELNS1_3gpuE5ELNS1_3repE0EEENS1_30default_config_static_selectorELNS0_4arch9wavefront6targetE1EEEvSY_.kd
    .uniform_work_group_size: 1
    .uses_dynamic_stack: false
    .vgpr_count:     0
    .vgpr_spill_count: 0
    .wavefront_size: 64
  - .args:
      - .offset:         0
        .size:           56
        .value_kind:     by_value
    .group_segment_fixed_size: 0
    .kernarg_segment_align: 8
    .kernarg_segment_size: 56
    .language:       OpenCL C
    .language_version:
      - 2
      - 0
    .max_flat_workgroup_size: 256
    .name:           _ZN7rocprim17ROCPRIM_400000_NS6detail17trampoline_kernelINS0_14default_configENS1_27lower_bound_config_selectorItlEEZNS1_14transform_implILb0ES3_S5_N6thrust23THRUST_200600_302600_NS6detail15normal_iteratorINS8_7pointerItNS8_11hip_rocprim5par_tENS8_11use_defaultESE_EEEENSA_INSB_IlSD_SE_SE_EEEEZNS1_13binary_searchIS3_S5_NSA_INS8_10device_ptrItEEEESG_SI_NS1_21lower_bound_search_opENS9_16wrapped_functionINS8_6system6detail7generic6detail18binary_search_lessEbEEEE10hipError_tPvRmT1_T2_T3_mmT4_T5_P12ihipStream_tbEUlRKtE_EESV_SZ_S10_mS11_S14_bEUlT_E_NS1_11comp_targetILNS1_3genE10ELNS1_11target_archE1200ELNS1_3gpuE4ELNS1_3repE0EEENS1_30default_config_static_selectorELNS0_4arch9wavefront6targetE1EEEvSY_
    .private_segment_fixed_size: 0
    .sgpr_count:     4
    .sgpr_spill_count: 0
    .symbol:         _ZN7rocprim17ROCPRIM_400000_NS6detail17trampoline_kernelINS0_14default_configENS1_27lower_bound_config_selectorItlEEZNS1_14transform_implILb0ES3_S5_N6thrust23THRUST_200600_302600_NS6detail15normal_iteratorINS8_7pointerItNS8_11hip_rocprim5par_tENS8_11use_defaultESE_EEEENSA_INSB_IlSD_SE_SE_EEEEZNS1_13binary_searchIS3_S5_NSA_INS8_10device_ptrItEEEESG_SI_NS1_21lower_bound_search_opENS9_16wrapped_functionINS8_6system6detail7generic6detail18binary_search_lessEbEEEE10hipError_tPvRmT1_T2_T3_mmT4_T5_P12ihipStream_tbEUlRKtE_EESV_SZ_S10_mS11_S14_bEUlT_E_NS1_11comp_targetILNS1_3genE10ELNS1_11target_archE1200ELNS1_3gpuE4ELNS1_3repE0EEENS1_30default_config_static_selectorELNS0_4arch9wavefront6targetE1EEEvSY_.kd
    .uniform_work_group_size: 1
    .uses_dynamic_stack: false
    .vgpr_count:     0
    .vgpr_spill_count: 0
    .wavefront_size: 64
  - .args:
      - .offset:         0
        .size:           56
        .value_kind:     by_value
    .group_segment_fixed_size: 0
    .kernarg_segment_align: 8
    .kernarg_segment_size: 56
    .language:       OpenCL C
    .language_version:
      - 2
      - 0
    .max_flat_workgroup_size: 64
    .name:           _ZN7rocprim17ROCPRIM_400000_NS6detail17trampoline_kernelINS0_14default_configENS1_27lower_bound_config_selectorItlEEZNS1_14transform_implILb0ES3_S5_N6thrust23THRUST_200600_302600_NS6detail15normal_iteratorINS8_7pointerItNS8_11hip_rocprim5par_tENS8_11use_defaultESE_EEEENSA_INSB_IlSD_SE_SE_EEEEZNS1_13binary_searchIS3_S5_NSA_INS8_10device_ptrItEEEESG_SI_NS1_21lower_bound_search_opENS9_16wrapped_functionINS8_6system6detail7generic6detail18binary_search_lessEbEEEE10hipError_tPvRmT1_T2_T3_mmT4_T5_P12ihipStream_tbEUlRKtE_EESV_SZ_S10_mS11_S14_bEUlT_E_NS1_11comp_targetILNS1_3genE9ELNS1_11target_archE1100ELNS1_3gpuE3ELNS1_3repE0EEENS1_30default_config_static_selectorELNS0_4arch9wavefront6targetE1EEEvSY_
    .private_segment_fixed_size: 0
    .sgpr_count:     4
    .sgpr_spill_count: 0
    .symbol:         _ZN7rocprim17ROCPRIM_400000_NS6detail17trampoline_kernelINS0_14default_configENS1_27lower_bound_config_selectorItlEEZNS1_14transform_implILb0ES3_S5_N6thrust23THRUST_200600_302600_NS6detail15normal_iteratorINS8_7pointerItNS8_11hip_rocprim5par_tENS8_11use_defaultESE_EEEENSA_INSB_IlSD_SE_SE_EEEEZNS1_13binary_searchIS3_S5_NSA_INS8_10device_ptrItEEEESG_SI_NS1_21lower_bound_search_opENS9_16wrapped_functionINS8_6system6detail7generic6detail18binary_search_lessEbEEEE10hipError_tPvRmT1_T2_T3_mmT4_T5_P12ihipStream_tbEUlRKtE_EESV_SZ_S10_mS11_S14_bEUlT_E_NS1_11comp_targetILNS1_3genE9ELNS1_11target_archE1100ELNS1_3gpuE3ELNS1_3repE0EEENS1_30default_config_static_selectorELNS0_4arch9wavefront6targetE1EEEvSY_.kd
    .uniform_work_group_size: 1
    .uses_dynamic_stack: false
    .vgpr_count:     0
    .vgpr_spill_count: 0
    .wavefront_size: 64
  - .args:
      - .offset:         0
        .size:           56
        .value_kind:     by_value
    .group_segment_fixed_size: 0
    .kernarg_segment_align: 8
    .kernarg_segment_size: 56
    .language:       OpenCL C
    .language_version:
      - 2
      - 0
    .max_flat_workgroup_size: 128
    .name:           _ZN7rocprim17ROCPRIM_400000_NS6detail17trampoline_kernelINS0_14default_configENS1_27lower_bound_config_selectorItlEEZNS1_14transform_implILb0ES3_S5_N6thrust23THRUST_200600_302600_NS6detail15normal_iteratorINS8_7pointerItNS8_11hip_rocprim5par_tENS8_11use_defaultESE_EEEENSA_INSB_IlSD_SE_SE_EEEEZNS1_13binary_searchIS3_S5_NSA_INS8_10device_ptrItEEEESG_SI_NS1_21lower_bound_search_opENS9_16wrapped_functionINS8_6system6detail7generic6detail18binary_search_lessEbEEEE10hipError_tPvRmT1_T2_T3_mmT4_T5_P12ihipStream_tbEUlRKtE_EESV_SZ_S10_mS11_S14_bEUlT_E_NS1_11comp_targetILNS1_3genE8ELNS1_11target_archE1030ELNS1_3gpuE2ELNS1_3repE0EEENS1_30default_config_static_selectorELNS0_4arch9wavefront6targetE1EEEvSY_
    .private_segment_fixed_size: 0
    .sgpr_count:     4
    .sgpr_spill_count: 0
    .symbol:         _ZN7rocprim17ROCPRIM_400000_NS6detail17trampoline_kernelINS0_14default_configENS1_27lower_bound_config_selectorItlEEZNS1_14transform_implILb0ES3_S5_N6thrust23THRUST_200600_302600_NS6detail15normal_iteratorINS8_7pointerItNS8_11hip_rocprim5par_tENS8_11use_defaultESE_EEEENSA_INSB_IlSD_SE_SE_EEEEZNS1_13binary_searchIS3_S5_NSA_INS8_10device_ptrItEEEESG_SI_NS1_21lower_bound_search_opENS9_16wrapped_functionINS8_6system6detail7generic6detail18binary_search_lessEbEEEE10hipError_tPvRmT1_T2_T3_mmT4_T5_P12ihipStream_tbEUlRKtE_EESV_SZ_S10_mS11_S14_bEUlT_E_NS1_11comp_targetILNS1_3genE8ELNS1_11target_archE1030ELNS1_3gpuE2ELNS1_3repE0EEENS1_30default_config_static_selectorELNS0_4arch9wavefront6targetE1EEEvSY_.kd
    .uniform_work_group_size: 1
    .uses_dynamic_stack: false
    .vgpr_count:     0
    .vgpr_spill_count: 0
    .wavefront_size: 64
  - .args:
      - .offset:         0
        .size:           56
        .value_kind:     by_value
    .group_segment_fixed_size: 0
    .kernarg_segment_align: 8
    .kernarg_segment_size: 56
    .language:       OpenCL C
    .language_version:
      - 2
      - 0
    .max_flat_workgroup_size: 128
    .name:           _ZN7rocprim17ROCPRIM_400000_NS6detail17trampoline_kernelINS0_14default_configENS1_27lower_bound_config_selectorIxlEEZNS1_14transform_implILb0ES3_S5_N6thrust23THRUST_200600_302600_NS6detail15normal_iteratorINS8_7pointerIxNS8_11hip_rocprim5par_tENS8_11use_defaultESE_EEEENSA_INSB_IlSD_SE_SE_EEEEZNS1_13binary_searchIS3_S5_NSA_INS8_10device_ptrIxEEEESG_SI_NS1_21lower_bound_search_opENS9_16wrapped_functionINS8_6system6detail7generic6detail18binary_search_lessEbEEEE10hipError_tPvRmT1_T2_T3_mmT4_T5_P12ihipStream_tbEUlRKxE_EESV_SZ_S10_mS11_S14_bEUlT_E_NS1_11comp_targetILNS1_3genE0ELNS1_11target_archE4294967295ELNS1_3gpuE0ELNS1_3repE0EEENS1_30default_config_static_selectorELNS0_4arch9wavefront6targetE1EEEvSY_
    .private_segment_fixed_size: 0
    .sgpr_count:     4
    .sgpr_spill_count: 0
    .symbol:         _ZN7rocprim17ROCPRIM_400000_NS6detail17trampoline_kernelINS0_14default_configENS1_27lower_bound_config_selectorIxlEEZNS1_14transform_implILb0ES3_S5_N6thrust23THRUST_200600_302600_NS6detail15normal_iteratorINS8_7pointerIxNS8_11hip_rocprim5par_tENS8_11use_defaultESE_EEEENSA_INSB_IlSD_SE_SE_EEEEZNS1_13binary_searchIS3_S5_NSA_INS8_10device_ptrIxEEEESG_SI_NS1_21lower_bound_search_opENS9_16wrapped_functionINS8_6system6detail7generic6detail18binary_search_lessEbEEEE10hipError_tPvRmT1_T2_T3_mmT4_T5_P12ihipStream_tbEUlRKxE_EESV_SZ_S10_mS11_S14_bEUlT_E_NS1_11comp_targetILNS1_3genE0ELNS1_11target_archE4294967295ELNS1_3gpuE0ELNS1_3repE0EEENS1_30default_config_static_selectorELNS0_4arch9wavefront6targetE1EEEvSY_.kd
    .uniform_work_group_size: 1
    .uses_dynamic_stack: false
    .vgpr_count:     0
    .vgpr_spill_count: 0
    .wavefront_size: 64
  - .args:
      - .offset:         0
        .size:           56
        .value_kind:     by_value
    .group_segment_fixed_size: 0
    .kernarg_segment_align: 8
    .kernarg_segment_size: 56
    .language:       OpenCL C
    .language_version:
      - 2
      - 0
    .max_flat_workgroup_size: 64
    .name:           _ZN7rocprim17ROCPRIM_400000_NS6detail17trampoline_kernelINS0_14default_configENS1_27lower_bound_config_selectorIxlEEZNS1_14transform_implILb0ES3_S5_N6thrust23THRUST_200600_302600_NS6detail15normal_iteratorINS8_7pointerIxNS8_11hip_rocprim5par_tENS8_11use_defaultESE_EEEENSA_INSB_IlSD_SE_SE_EEEEZNS1_13binary_searchIS3_S5_NSA_INS8_10device_ptrIxEEEESG_SI_NS1_21lower_bound_search_opENS9_16wrapped_functionINS8_6system6detail7generic6detail18binary_search_lessEbEEEE10hipError_tPvRmT1_T2_T3_mmT4_T5_P12ihipStream_tbEUlRKxE_EESV_SZ_S10_mS11_S14_bEUlT_E_NS1_11comp_targetILNS1_3genE5ELNS1_11target_archE942ELNS1_3gpuE9ELNS1_3repE0EEENS1_30default_config_static_selectorELNS0_4arch9wavefront6targetE1EEEvSY_
    .private_segment_fixed_size: 0
    .sgpr_count:     4
    .sgpr_spill_count: 0
    .symbol:         _ZN7rocprim17ROCPRIM_400000_NS6detail17trampoline_kernelINS0_14default_configENS1_27lower_bound_config_selectorIxlEEZNS1_14transform_implILb0ES3_S5_N6thrust23THRUST_200600_302600_NS6detail15normal_iteratorINS8_7pointerIxNS8_11hip_rocprim5par_tENS8_11use_defaultESE_EEEENSA_INSB_IlSD_SE_SE_EEEEZNS1_13binary_searchIS3_S5_NSA_INS8_10device_ptrIxEEEESG_SI_NS1_21lower_bound_search_opENS9_16wrapped_functionINS8_6system6detail7generic6detail18binary_search_lessEbEEEE10hipError_tPvRmT1_T2_T3_mmT4_T5_P12ihipStream_tbEUlRKxE_EESV_SZ_S10_mS11_S14_bEUlT_E_NS1_11comp_targetILNS1_3genE5ELNS1_11target_archE942ELNS1_3gpuE9ELNS1_3repE0EEENS1_30default_config_static_selectorELNS0_4arch9wavefront6targetE1EEEvSY_.kd
    .uniform_work_group_size: 1
    .uses_dynamic_stack: false
    .vgpr_count:     0
    .vgpr_spill_count: 0
    .wavefront_size: 64
  - .args:
      - .offset:         0
        .size:           56
        .value_kind:     by_value
    .group_segment_fixed_size: 0
    .kernarg_segment_align: 8
    .kernarg_segment_size: 56
    .language:       OpenCL C
    .language_version:
      - 2
      - 0
    .max_flat_workgroup_size: 64
    .name:           _ZN7rocprim17ROCPRIM_400000_NS6detail17trampoline_kernelINS0_14default_configENS1_27lower_bound_config_selectorIxlEEZNS1_14transform_implILb0ES3_S5_N6thrust23THRUST_200600_302600_NS6detail15normal_iteratorINS8_7pointerIxNS8_11hip_rocprim5par_tENS8_11use_defaultESE_EEEENSA_INSB_IlSD_SE_SE_EEEEZNS1_13binary_searchIS3_S5_NSA_INS8_10device_ptrIxEEEESG_SI_NS1_21lower_bound_search_opENS9_16wrapped_functionINS8_6system6detail7generic6detail18binary_search_lessEbEEEE10hipError_tPvRmT1_T2_T3_mmT4_T5_P12ihipStream_tbEUlRKxE_EESV_SZ_S10_mS11_S14_bEUlT_E_NS1_11comp_targetILNS1_3genE4ELNS1_11target_archE910ELNS1_3gpuE8ELNS1_3repE0EEENS1_30default_config_static_selectorELNS0_4arch9wavefront6targetE1EEEvSY_
    .private_segment_fixed_size: 0
    .sgpr_count:     4
    .sgpr_spill_count: 0
    .symbol:         _ZN7rocprim17ROCPRIM_400000_NS6detail17trampoline_kernelINS0_14default_configENS1_27lower_bound_config_selectorIxlEEZNS1_14transform_implILb0ES3_S5_N6thrust23THRUST_200600_302600_NS6detail15normal_iteratorINS8_7pointerIxNS8_11hip_rocprim5par_tENS8_11use_defaultESE_EEEENSA_INSB_IlSD_SE_SE_EEEEZNS1_13binary_searchIS3_S5_NSA_INS8_10device_ptrIxEEEESG_SI_NS1_21lower_bound_search_opENS9_16wrapped_functionINS8_6system6detail7generic6detail18binary_search_lessEbEEEE10hipError_tPvRmT1_T2_T3_mmT4_T5_P12ihipStream_tbEUlRKxE_EESV_SZ_S10_mS11_S14_bEUlT_E_NS1_11comp_targetILNS1_3genE4ELNS1_11target_archE910ELNS1_3gpuE8ELNS1_3repE0EEENS1_30default_config_static_selectorELNS0_4arch9wavefront6targetE1EEEvSY_.kd
    .uniform_work_group_size: 1
    .uses_dynamic_stack: false
    .vgpr_count:     0
    .vgpr_spill_count: 0
    .wavefront_size: 64
  - .args:
      - .offset:         0
        .size:           56
        .value_kind:     by_value
    .group_segment_fixed_size: 0
    .kernarg_segment_align: 8
    .kernarg_segment_size: 56
    .language:       OpenCL C
    .language_version:
      - 2
      - 0
    .max_flat_workgroup_size: 128
    .name:           _ZN7rocprim17ROCPRIM_400000_NS6detail17trampoline_kernelINS0_14default_configENS1_27lower_bound_config_selectorIxlEEZNS1_14transform_implILb0ES3_S5_N6thrust23THRUST_200600_302600_NS6detail15normal_iteratorINS8_7pointerIxNS8_11hip_rocprim5par_tENS8_11use_defaultESE_EEEENSA_INSB_IlSD_SE_SE_EEEEZNS1_13binary_searchIS3_S5_NSA_INS8_10device_ptrIxEEEESG_SI_NS1_21lower_bound_search_opENS9_16wrapped_functionINS8_6system6detail7generic6detail18binary_search_lessEbEEEE10hipError_tPvRmT1_T2_T3_mmT4_T5_P12ihipStream_tbEUlRKxE_EESV_SZ_S10_mS11_S14_bEUlT_E_NS1_11comp_targetILNS1_3genE3ELNS1_11target_archE908ELNS1_3gpuE7ELNS1_3repE0EEENS1_30default_config_static_selectorELNS0_4arch9wavefront6targetE1EEEvSY_
    .private_segment_fixed_size: 0
    .sgpr_count:     4
    .sgpr_spill_count: 0
    .symbol:         _ZN7rocprim17ROCPRIM_400000_NS6detail17trampoline_kernelINS0_14default_configENS1_27lower_bound_config_selectorIxlEEZNS1_14transform_implILb0ES3_S5_N6thrust23THRUST_200600_302600_NS6detail15normal_iteratorINS8_7pointerIxNS8_11hip_rocprim5par_tENS8_11use_defaultESE_EEEENSA_INSB_IlSD_SE_SE_EEEEZNS1_13binary_searchIS3_S5_NSA_INS8_10device_ptrIxEEEESG_SI_NS1_21lower_bound_search_opENS9_16wrapped_functionINS8_6system6detail7generic6detail18binary_search_lessEbEEEE10hipError_tPvRmT1_T2_T3_mmT4_T5_P12ihipStream_tbEUlRKxE_EESV_SZ_S10_mS11_S14_bEUlT_E_NS1_11comp_targetILNS1_3genE3ELNS1_11target_archE908ELNS1_3gpuE7ELNS1_3repE0EEENS1_30default_config_static_selectorELNS0_4arch9wavefront6targetE1EEEvSY_.kd
    .uniform_work_group_size: 1
    .uses_dynamic_stack: false
    .vgpr_count:     0
    .vgpr_spill_count: 0
    .wavefront_size: 64
  - .args:
      - .offset:         0
        .size:           56
        .value_kind:     by_value
      - .offset:         56
        .size:           4
        .value_kind:     hidden_block_count_x
      - .offset:         60
        .size:           4
        .value_kind:     hidden_block_count_y
      - .offset:         64
        .size:           4
        .value_kind:     hidden_block_count_z
      - .offset:         68
        .size:           2
        .value_kind:     hidden_group_size_x
      - .offset:         70
        .size:           2
        .value_kind:     hidden_group_size_y
      - .offset:         72
        .size:           2
        .value_kind:     hidden_group_size_z
      - .offset:         74
        .size:           2
        .value_kind:     hidden_remainder_x
      - .offset:         76
        .size:           2
        .value_kind:     hidden_remainder_y
      - .offset:         78
        .size:           2
        .value_kind:     hidden_remainder_z
      - .offset:         96
        .size:           8
        .value_kind:     hidden_global_offset_x
      - .offset:         104
        .size:           8
        .value_kind:     hidden_global_offset_y
      - .offset:         112
        .size:           8
        .value_kind:     hidden_global_offset_z
      - .offset:         120
        .size:           2
        .value_kind:     hidden_grid_dims
    .group_segment_fixed_size: 0
    .kernarg_segment_align: 8
    .kernarg_segment_size: 312
    .language:       OpenCL C
    .language_version:
      - 2
      - 0
    .max_flat_workgroup_size: 256
    .name:           _ZN7rocprim17ROCPRIM_400000_NS6detail17trampoline_kernelINS0_14default_configENS1_27lower_bound_config_selectorIxlEEZNS1_14transform_implILb0ES3_S5_N6thrust23THRUST_200600_302600_NS6detail15normal_iteratorINS8_7pointerIxNS8_11hip_rocprim5par_tENS8_11use_defaultESE_EEEENSA_INSB_IlSD_SE_SE_EEEEZNS1_13binary_searchIS3_S5_NSA_INS8_10device_ptrIxEEEESG_SI_NS1_21lower_bound_search_opENS9_16wrapped_functionINS8_6system6detail7generic6detail18binary_search_lessEbEEEE10hipError_tPvRmT1_T2_T3_mmT4_T5_P12ihipStream_tbEUlRKxE_EESV_SZ_S10_mS11_S14_bEUlT_E_NS1_11comp_targetILNS1_3genE2ELNS1_11target_archE906ELNS1_3gpuE6ELNS1_3repE0EEENS1_30default_config_static_selectorELNS0_4arch9wavefront6targetE1EEEvSY_
    .private_segment_fixed_size: 0
    .sgpr_count:     22
    .sgpr_spill_count: 0
    .symbol:         _ZN7rocprim17ROCPRIM_400000_NS6detail17trampoline_kernelINS0_14default_configENS1_27lower_bound_config_selectorIxlEEZNS1_14transform_implILb0ES3_S5_N6thrust23THRUST_200600_302600_NS6detail15normal_iteratorINS8_7pointerIxNS8_11hip_rocprim5par_tENS8_11use_defaultESE_EEEENSA_INSB_IlSD_SE_SE_EEEEZNS1_13binary_searchIS3_S5_NSA_INS8_10device_ptrIxEEEESG_SI_NS1_21lower_bound_search_opENS9_16wrapped_functionINS8_6system6detail7generic6detail18binary_search_lessEbEEEE10hipError_tPvRmT1_T2_T3_mmT4_T5_P12ihipStream_tbEUlRKxE_EESV_SZ_S10_mS11_S14_bEUlT_E_NS1_11comp_targetILNS1_3genE2ELNS1_11target_archE906ELNS1_3gpuE6ELNS1_3repE0EEENS1_30default_config_static_selectorELNS0_4arch9wavefront6targetE1EEEvSY_.kd
    .uniform_work_group_size: 1
    .uses_dynamic_stack: false
    .vgpr_count:     14
    .vgpr_spill_count: 0
    .wavefront_size: 64
  - .args:
      - .offset:         0
        .size:           56
        .value_kind:     by_value
    .group_segment_fixed_size: 0
    .kernarg_segment_align: 8
    .kernarg_segment_size: 56
    .language:       OpenCL C
    .language_version:
      - 2
      - 0
    .max_flat_workgroup_size: 128
    .name:           _ZN7rocprim17ROCPRIM_400000_NS6detail17trampoline_kernelINS0_14default_configENS1_27lower_bound_config_selectorIxlEEZNS1_14transform_implILb0ES3_S5_N6thrust23THRUST_200600_302600_NS6detail15normal_iteratorINS8_7pointerIxNS8_11hip_rocprim5par_tENS8_11use_defaultESE_EEEENSA_INSB_IlSD_SE_SE_EEEEZNS1_13binary_searchIS3_S5_NSA_INS8_10device_ptrIxEEEESG_SI_NS1_21lower_bound_search_opENS9_16wrapped_functionINS8_6system6detail7generic6detail18binary_search_lessEbEEEE10hipError_tPvRmT1_T2_T3_mmT4_T5_P12ihipStream_tbEUlRKxE_EESV_SZ_S10_mS11_S14_bEUlT_E_NS1_11comp_targetILNS1_3genE10ELNS1_11target_archE1201ELNS1_3gpuE5ELNS1_3repE0EEENS1_30default_config_static_selectorELNS0_4arch9wavefront6targetE1EEEvSY_
    .private_segment_fixed_size: 0
    .sgpr_count:     4
    .sgpr_spill_count: 0
    .symbol:         _ZN7rocprim17ROCPRIM_400000_NS6detail17trampoline_kernelINS0_14default_configENS1_27lower_bound_config_selectorIxlEEZNS1_14transform_implILb0ES3_S5_N6thrust23THRUST_200600_302600_NS6detail15normal_iteratorINS8_7pointerIxNS8_11hip_rocprim5par_tENS8_11use_defaultESE_EEEENSA_INSB_IlSD_SE_SE_EEEEZNS1_13binary_searchIS3_S5_NSA_INS8_10device_ptrIxEEEESG_SI_NS1_21lower_bound_search_opENS9_16wrapped_functionINS8_6system6detail7generic6detail18binary_search_lessEbEEEE10hipError_tPvRmT1_T2_T3_mmT4_T5_P12ihipStream_tbEUlRKxE_EESV_SZ_S10_mS11_S14_bEUlT_E_NS1_11comp_targetILNS1_3genE10ELNS1_11target_archE1201ELNS1_3gpuE5ELNS1_3repE0EEENS1_30default_config_static_selectorELNS0_4arch9wavefront6targetE1EEEvSY_.kd
    .uniform_work_group_size: 1
    .uses_dynamic_stack: false
    .vgpr_count:     0
    .vgpr_spill_count: 0
    .wavefront_size: 64
  - .args:
      - .offset:         0
        .size:           56
        .value_kind:     by_value
    .group_segment_fixed_size: 0
    .kernarg_segment_align: 8
    .kernarg_segment_size: 56
    .language:       OpenCL C
    .language_version:
      - 2
      - 0
    .max_flat_workgroup_size: 128
    .name:           _ZN7rocprim17ROCPRIM_400000_NS6detail17trampoline_kernelINS0_14default_configENS1_27lower_bound_config_selectorIxlEEZNS1_14transform_implILb0ES3_S5_N6thrust23THRUST_200600_302600_NS6detail15normal_iteratorINS8_7pointerIxNS8_11hip_rocprim5par_tENS8_11use_defaultESE_EEEENSA_INSB_IlSD_SE_SE_EEEEZNS1_13binary_searchIS3_S5_NSA_INS8_10device_ptrIxEEEESG_SI_NS1_21lower_bound_search_opENS9_16wrapped_functionINS8_6system6detail7generic6detail18binary_search_lessEbEEEE10hipError_tPvRmT1_T2_T3_mmT4_T5_P12ihipStream_tbEUlRKxE_EESV_SZ_S10_mS11_S14_bEUlT_E_NS1_11comp_targetILNS1_3genE10ELNS1_11target_archE1200ELNS1_3gpuE4ELNS1_3repE0EEENS1_30default_config_static_selectorELNS0_4arch9wavefront6targetE1EEEvSY_
    .private_segment_fixed_size: 0
    .sgpr_count:     4
    .sgpr_spill_count: 0
    .symbol:         _ZN7rocprim17ROCPRIM_400000_NS6detail17trampoline_kernelINS0_14default_configENS1_27lower_bound_config_selectorIxlEEZNS1_14transform_implILb0ES3_S5_N6thrust23THRUST_200600_302600_NS6detail15normal_iteratorINS8_7pointerIxNS8_11hip_rocprim5par_tENS8_11use_defaultESE_EEEENSA_INSB_IlSD_SE_SE_EEEEZNS1_13binary_searchIS3_S5_NSA_INS8_10device_ptrIxEEEESG_SI_NS1_21lower_bound_search_opENS9_16wrapped_functionINS8_6system6detail7generic6detail18binary_search_lessEbEEEE10hipError_tPvRmT1_T2_T3_mmT4_T5_P12ihipStream_tbEUlRKxE_EESV_SZ_S10_mS11_S14_bEUlT_E_NS1_11comp_targetILNS1_3genE10ELNS1_11target_archE1200ELNS1_3gpuE4ELNS1_3repE0EEENS1_30default_config_static_selectorELNS0_4arch9wavefront6targetE1EEEvSY_.kd
    .uniform_work_group_size: 1
    .uses_dynamic_stack: false
    .vgpr_count:     0
    .vgpr_spill_count: 0
    .wavefront_size: 64
  - .args:
      - .offset:         0
        .size:           56
        .value_kind:     by_value
    .group_segment_fixed_size: 0
    .kernarg_segment_align: 8
    .kernarg_segment_size: 56
    .language:       OpenCL C
    .language_version:
      - 2
      - 0
    .max_flat_workgroup_size: 256
    .name:           _ZN7rocprim17ROCPRIM_400000_NS6detail17trampoline_kernelINS0_14default_configENS1_27lower_bound_config_selectorIxlEEZNS1_14transform_implILb0ES3_S5_N6thrust23THRUST_200600_302600_NS6detail15normal_iteratorINS8_7pointerIxNS8_11hip_rocprim5par_tENS8_11use_defaultESE_EEEENSA_INSB_IlSD_SE_SE_EEEEZNS1_13binary_searchIS3_S5_NSA_INS8_10device_ptrIxEEEESG_SI_NS1_21lower_bound_search_opENS9_16wrapped_functionINS8_6system6detail7generic6detail18binary_search_lessEbEEEE10hipError_tPvRmT1_T2_T3_mmT4_T5_P12ihipStream_tbEUlRKxE_EESV_SZ_S10_mS11_S14_bEUlT_E_NS1_11comp_targetILNS1_3genE9ELNS1_11target_archE1100ELNS1_3gpuE3ELNS1_3repE0EEENS1_30default_config_static_selectorELNS0_4arch9wavefront6targetE1EEEvSY_
    .private_segment_fixed_size: 0
    .sgpr_count:     4
    .sgpr_spill_count: 0
    .symbol:         _ZN7rocprim17ROCPRIM_400000_NS6detail17trampoline_kernelINS0_14default_configENS1_27lower_bound_config_selectorIxlEEZNS1_14transform_implILb0ES3_S5_N6thrust23THRUST_200600_302600_NS6detail15normal_iteratorINS8_7pointerIxNS8_11hip_rocprim5par_tENS8_11use_defaultESE_EEEENSA_INSB_IlSD_SE_SE_EEEEZNS1_13binary_searchIS3_S5_NSA_INS8_10device_ptrIxEEEESG_SI_NS1_21lower_bound_search_opENS9_16wrapped_functionINS8_6system6detail7generic6detail18binary_search_lessEbEEEE10hipError_tPvRmT1_T2_T3_mmT4_T5_P12ihipStream_tbEUlRKxE_EESV_SZ_S10_mS11_S14_bEUlT_E_NS1_11comp_targetILNS1_3genE9ELNS1_11target_archE1100ELNS1_3gpuE3ELNS1_3repE0EEENS1_30default_config_static_selectorELNS0_4arch9wavefront6targetE1EEEvSY_.kd
    .uniform_work_group_size: 1
    .uses_dynamic_stack: false
    .vgpr_count:     0
    .vgpr_spill_count: 0
    .wavefront_size: 64
  - .args:
      - .offset:         0
        .size:           56
        .value_kind:     by_value
    .group_segment_fixed_size: 0
    .kernarg_segment_align: 8
    .kernarg_segment_size: 56
    .language:       OpenCL C
    .language_version:
      - 2
      - 0
    .max_flat_workgroup_size: 256
    .name:           _ZN7rocprim17ROCPRIM_400000_NS6detail17trampoline_kernelINS0_14default_configENS1_27lower_bound_config_selectorIxlEEZNS1_14transform_implILb0ES3_S5_N6thrust23THRUST_200600_302600_NS6detail15normal_iteratorINS8_7pointerIxNS8_11hip_rocprim5par_tENS8_11use_defaultESE_EEEENSA_INSB_IlSD_SE_SE_EEEEZNS1_13binary_searchIS3_S5_NSA_INS8_10device_ptrIxEEEESG_SI_NS1_21lower_bound_search_opENS9_16wrapped_functionINS8_6system6detail7generic6detail18binary_search_lessEbEEEE10hipError_tPvRmT1_T2_T3_mmT4_T5_P12ihipStream_tbEUlRKxE_EESV_SZ_S10_mS11_S14_bEUlT_E_NS1_11comp_targetILNS1_3genE8ELNS1_11target_archE1030ELNS1_3gpuE2ELNS1_3repE0EEENS1_30default_config_static_selectorELNS0_4arch9wavefront6targetE1EEEvSY_
    .private_segment_fixed_size: 0
    .sgpr_count:     4
    .sgpr_spill_count: 0
    .symbol:         _ZN7rocprim17ROCPRIM_400000_NS6detail17trampoline_kernelINS0_14default_configENS1_27lower_bound_config_selectorIxlEEZNS1_14transform_implILb0ES3_S5_N6thrust23THRUST_200600_302600_NS6detail15normal_iteratorINS8_7pointerIxNS8_11hip_rocprim5par_tENS8_11use_defaultESE_EEEENSA_INSB_IlSD_SE_SE_EEEEZNS1_13binary_searchIS3_S5_NSA_INS8_10device_ptrIxEEEESG_SI_NS1_21lower_bound_search_opENS9_16wrapped_functionINS8_6system6detail7generic6detail18binary_search_lessEbEEEE10hipError_tPvRmT1_T2_T3_mmT4_T5_P12ihipStream_tbEUlRKxE_EESV_SZ_S10_mS11_S14_bEUlT_E_NS1_11comp_targetILNS1_3genE8ELNS1_11target_archE1030ELNS1_3gpuE2ELNS1_3repE0EEENS1_30default_config_static_selectorELNS0_4arch9wavefront6targetE1EEEvSY_.kd
    .uniform_work_group_size: 1
    .uses_dynamic_stack: false
    .vgpr_count:     0
    .vgpr_spill_count: 0
    .wavefront_size: 64
  - .args:
      - .offset:         0
        .size:           56
        .value_kind:     by_value
    .group_segment_fixed_size: 0
    .kernarg_segment_align: 8
    .kernarg_segment_size: 56
    .language:       OpenCL C
    .language_version:
      - 2
      - 0
    .max_flat_workgroup_size: 256
    .name:           _ZN7rocprim17ROCPRIM_400000_NS6detail17trampoline_kernelINS0_14default_configENS1_27lower_bound_config_selectorIilEEZNS1_14transform_implILb0ES3_S5_N6thrust23THRUST_200600_302600_NS6detail15normal_iteratorINS8_7pointerIiNS8_11hip_rocprim12par_nosync_tENS8_11use_defaultESE_EEEENSA_INSB_IlSD_SE_SE_EEEEZNS1_13binary_searchIS3_S5_NSA_INS8_10device_ptrIiEEEESG_SI_NS1_21lower_bound_search_opENS9_16wrapped_functionINS8_6system6detail7generic6detail18binary_search_lessEbEEEE10hipError_tPvRmT1_T2_T3_mmT4_T5_P12ihipStream_tbEUlRKiE_EESV_SZ_S10_mS11_S14_bEUlT_E_NS1_11comp_targetILNS1_3genE0ELNS1_11target_archE4294967295ELNS1_3gpuE0ELNS1_3repE0EEENS1_30default_config_static_selectorELNS0_4arch9wavefront6targetE1EEEvSY_
    .private_segment_fixed_size: 0
    .sgpr_count:     4
    .sgpr_spill_count: 0
    .symbol:         _ZN7rocprim17ROCPRIM_400000_NS6detail17trampoline_kernelINS0_14default_configENS1_27lower_bound_config_selectorIilEEZNS1_14transform_implILb0ES3_S5_N6thrust23THRUST_200600_302600_NS6detail15normal_iteratorINS8_7pointerIiNS8_11hip_rocprim12par_nosync_tENS8_11use_defaultESE_EEEENSA_INSB_IlSD_SE_SE_EEEEZNS1_13binary_searchIS3_S5_NSA_INS8_10device_ptrIiEEEESG_SI_NS1_21lower_bound_search_opENS9_16wrapped_functionINS8_6system6detail7generic6detail18binary_search_lessEbEEEE10hipError_tPvRmT1_T2_T3_mmT4_T5_P12ihipStream_tbEUlRKiE_EESV_SZ_S10_mS11_S14_bEUlT_E_NS1_11comp_targetILNS1_3genE0ELNS1_11target_archE4294967295ELNS1_3gpuE0ELNS1_3repE0EEENS1_30default_config_static_selectorELNS0_4arch9wavefront6targetE1EEEvSY_.kd
    .uniform_work_group_size: 1
    .uses_dynamic_stack: false
    .vgpr_count:     0
    .vgpr_spill_count: 0
    .wavefront_size: 64
  - .args:
      - .offset:         0
        .size:           56
        .value_kind:     by_value
    .group_segment_fixed_size: 0
    .kernarg_segment_align: 8
    .kernarg_segment_size: 56
    .language:       OpenCL C
    .language_version:
      - 2
      - 0
    .max_flat_workgroup_size: 256
    .name:           _ZN7rocprim17ROCPRIM_400000_NS6detail17trampoline_kernelINS0_14default_configENS1_27lower_bound_config_selectorIilEEZNS1_14transform_implILb0ES3_S5_N6thrust23THRUST_200600_302600_NS6detail15normal_iteratorINS8_7pointerIiNS8_11hip_rocprim12par_nosync_tENS8_11use_defaultESE_EEEENSA_INSB_IlSD_SE_SE_EEEEZNS1_13binary_searchIS3_S5_NSA_INS8_10device_ptrIiEEEESG_SI_NS1_21lower_bound_search_opENS9_16wrapped_functionINS8_6system6detail7generic6detail18binary_search_lessEbEEEE10hipError_tPvRmT1_T2_T3_mmT4_T5_P12ihipStream_tbEUlRKiE_EESV_SZ_S10_mS11_S14_bEUlT_E_NS1_11comp_targetILNS1_3genE5ELNS1_11target_archE942ELNS1_3gpuE9ELNS1_3repE0EEENS1_30default_config_static_selectorELNS0_4arch9wavefront6targetE1EEEvSY_
    .private_segment_fixed_size: 0
    .sgpr_count:     4
    .sgpr_spill_count: 0
    .symbol:         _ZN7rocprim17ROCPRIM_400000_NS6detail17trampoline_kernelINS0_14default_configENS1_27lower_bound_config_selectorIilEEZNS1_14transform_implILb0ES3_S5_N6thrust23THRUST_200600_302600_NS6detail15normal_iteratorINS8_7pointerIiNS8_11hip_rocprim12par_nosync_tENS8_11use_defaultESE_EEEENSA_INSB_IlSD_SE_SE_EEEEZNS1_13binary_searchIS3_S5_NSA_INS8_10device_ptrIiEEEESG_SI_NS1_21lower_bound_search_opENS9_16wrapped_functionINS8_6system6detail7generic6detail18binary_search_lessEbEEEE10hipError_tPvRmT1_T2_T3_mmT4_T5_P12ihipStream_tbEUlRKiE_EESV_SZ_S10_mS11_S14_bEUlT_E_NS1_11comp_targetILNS1_3genE5ELNS1_11target_archE942ELNS1_3gpuE9ELNS1_3repE0EEENS1_30default_config_static_selectorELNS0_4arch9wavefront6targetE1EEEvSY_.kd
    .uniform_work_group_size: 1
    .uses_dynamic_stack: false
    .vgpr_count:     0
    .vgpr_spill_count: 0
    .wavefront_size: 64
  - .args:
      - .offset:         0
        .size:           56
        .value_kind:     by_value
    .group_segment_fixed_size: 0
    .kernarg_segment_align: 8
    .kernarg_segment_size: 56
    .language:       OpenCL C
    .language_version:
      - 2
      - 0
    .max_flat_workgroup_size: 256
    .name:           _ZN7rocprim17ROCPRIM_400000_NS6detail17trampoline_kernelINS0_14default_configENS1_27lower_bound_config_selectorIilEEZNS1_14transform_implILb0ES3_S5_N6thrust23THRUST_200600_302600_NS6detail15normal_iteratorINS8_7pointerIiNS8_11hip_rocprim12par_nosync_tENS8_11use_defaultESE_EEEENSA_INSB_IlSD_SE_SE_EEEEZNS1_13binary_searchIS3_S5_NSA_INS8_10device_ptrIiEEEESG_SI_NS1_21lower_bound_search_opENS9_16wrapped_functionINS8_6system6detail7generic6detail18binary_search_lessEbEEEE10hipError_tPvRmT1_T2_T3_mmT4_T5_P12ihipStream_tbEUlRKiE_EESV_SZ_S10_mS11_S14_bEUlT_E_NS1_11comp_targetILNS1_3genE4ELNS1_11target_archE910ELNS1_3gpuE8ELNS1_3repE0EEENS1_30default_config_static_selectorELNS0_4arch9wavefront6targetE1EEEvSY_
    .private_segment_fixed_size: 0
    .sgpr_count:     4
    .sgpr_spill_count: 0
    .symbol:         _ZN7rocprim17ROCPRIM_400000_NS6detail17trampoline_kernelINS0_14default_configENS1_27lower_bound_config_selectorIilEEZNS1_14transform_implILb0ES3_S5_N6thrust23THRUST_200600_302600_NS6detail15normal_iteratorINS8_7pointerIiNS8_11hip_rocprim12par_nosync_tENS8_11use_defaultESE_EEEENSA_INSB_IlSD_SE_SE_EEEEZNS1_13binary_searchIS3_S5_NSA_INS8_10device_ptrIiEEEESG_SI_NS1_21lower_bound_search_opENS9_16wrapped_functionINS8_6system6detail7generic6detail18binary_search_lessEbEEEE10hipError_tPvRmT1_T2_T3_mmT4_T5_P12ihipStream_tbEUlRKiE_EESV_SZ_S10_mS11_S14_bEUlT_E_NS1_11comp_targetILNS1_3genE4ELNS1_11target_archE910ELNS1_3gpuE8ELNS1_3repE0EEENS1_30default_config_static_selectorELNS0_4arch9wavefront6targetE1EEEvSY_.kd
    .uniform_work_group_size: 1
    .uses_dynamic_stack: false
    .vgpr_count:     0
    .vgpr_spill_count: 0
    .wavefront_size: 64
  - .args:
      - .offset:         0
        .size:           56
        .value_kind:     by_value
    .group_segment_fixed_size: 0
    .kernarg_segment_align: 8
    .kernarg_segment_size: 56
    .language:       OpenCL C
    .language_version:
      - 2
      - 0
    .max_flat_workgroup_size: 256
    .name:           _ZN7rocprim17ROCPRIM_400000_NS6detail17trampoline_kernelINS0_14default_configENS1_27lower_bound_config_selectorIilEEZNS1_14transform_implILb0ES3_S5_N6thrust23THRUST_200600_302600_NS6detail15normal_iteratorINS8_7pointerIiNS8_11hip_rocprim12par_nosync_tENS8_11use_defaultESE_EEEENSA_INSB_IlSD_SE_SE_EEEEZNS1_13binary_searchIS3_S5_NSA_INS8_10device_ptrIiEEEESG_SI_NS1_21lower_bound_search_opENS9_16wrapped_functionINS8_6system6detail7generic6detail18binary_search_lessEbEEEE10hipError_tPvRmT1_T2_T3_mmT4_T5_P12ihipStream_tbEUlRKiE_EESV_SZ_S10_mS11_S14_bEUlT_E_NS1_11comp_targetILNS1_3genE3ELNS1_11target_archE908ELNS1_3gpuE7ELNS1_3repE0EEENS1_30default_config_static_selectorELNS0_4arch9wavefront6targetE1EEEvSY_
    .private_segment_fixed_size: 0
    .sgpr_count:     4
    .sgpr_spill_count: 0
    .symbol:         _ZN7rocprim17ROCPRIM_400000_NS6detail17trampoline_kernelINS0_14default_configENS1_27lower_bound_config_selectorIilEEZNS1_14transform_implILb0ES3_S5_N6thrust23THRUST_200600_302600_NS6detail15normal_iteratorINS8_7pointerIiNS8_11hip_rocprim12par_nosync_tENS8_11use_defaultESE_EEEENSA_INSB_IlSD_SE_SE_EEEEZNS1_13binary_searchIS3_S5_NSA_INS8_10device_ptrIiEEEESG_SI_NS1_21lower_bound_search_opENS9_16wrapped_functionINS8_6system6detail7generic6detail18binary_search_lessEbEEEE10hipError_tPvRmT1_T2_T3_mmT4_T5_P12ihipStream_tbEUlRKiE_EESV_SZ_S10_mS11_S14_bEUlT_E_NS1_11comp_targetILNS1_3genE3ELNS1_11target_archE908ELNS1_3gpuE7ELNS1_3repE0EEENS1_30default_config_static_selectorELNS0_4arch9wavefront6targetE1EEEvSY_.kd
    .uniform_work_group_size: 1
    .uses_dynamic_stack: false
    .vgpr_count:     0
    .vgpr_spill_count: 0
    .wavefront_size: 64
  - .args:
      - .offset:         0
        .size:           56
        .value_kind:     by_value
      - .offset:         56
        .size:           4
        .value_kind:     hidden_block_count_x
      - .offset:         60
        .size:           4
        .value_kind:     hidden_block_count_y
      - .offset:         64
        .size:           4
        .value_kind:     hidden_block_count_z
      - .offset:         68
        .size:           2
        .value_kind:     hidden_group_size_x
      - .offset:         70
        .size:           2
        .value_kind:     hidden_group_size_y
      - .offset:         72
        .size:           2
        .value_kind:     hidden_group_size_z
      - .offset:         74
        .size:           2
        .value_kind:     hidden_remainder_x
      - .offset:         76
        .size:           2
        .value_kind:     hidden_remainder_y
      - .offset:         78
        .size:           2
        .value_kind:     hidden_remainder_z
      - .offset:         96
        .size:           8
        .value_kind:     hidden_global_offset_x
      - .offset:         104
        .size:           8
        .value_kind:     hidden_global_offset_y
      - .offset:         112
        .size:           8
        .value_kind:     hidden_global_offset_z
      - .offset:         120
        .size:           2
        .value_kind:     hidden_grid_dims
    .group_segment_fixed_size: 0
    .kernarg_segment_align: 8
    .kernarg_segment_size: 312
    .language:       OpenCL C
    .language_version:
      - 2
      - 0
    .max_flat_workgroup_size: 256
    .name:           _ZN7rocprim17ROCPRIM_400000_NS6detail17trampoline_kernelINS0_14default_configENS1_27lower_bound_config_selectorIilEEZNS1_14transform_implILb0ES3_S5_N6thrust23THRUST_200600_302600_NS6detail15normal_iteratorINS8_7pointerIiNS8_11hip_rocprim12par_nosync_tENS8_11use_defaultESE_EEEENSA_INSB_IlSD_SE_SE_EEEEZNS1_13binary_searchIS3_S5_NSA_INS8_10device_ptrIiEEEESG_SI_NS1_21lower_bound_search_opENS9_16wrapped_functionINS8_6system6detail7generic6detail18binary_search_lessEbEEEE10hipError_tPvRmT1_T2_T3_mmT4_T5_P12ihipStream_tbEUlRKiE_EESV_SZ_S10_mS11_S14_bEUlT_E_NS1_11comp_targetILNS1_3genE2ELNS1_11target_archE906ELNS1_3gpuE6ELNS1_3repE0EEENS1_30default_config_static_selectorELNS0_4arch9wavefront6targetE1EEEvSY_
    .private_segment_fixed_size: 0
    .sgpr_count:     24
    .sgpr_spill_count: 0
    .symbol:         _ZN7rocprim17ROCPRIM_400000_NS6detail17trampoline_kernelINS0_14default_configENS1_27lower_bound_config_selectorIilEEZNS1_14transform_implILb0ES3_S5_N6thrust23THRUST_200600_302600_NS6detail15normal_iteratorINS8_7pointerIiNS8_11hip_rocprim12par_nosync_tENS8_11use_defaultESE_EEEENSA_INSB_IlSD_SE_SE_EEEEZNS1_13binary_searchIS3_S5_NSA_INS8_10device_ptrIiEEEESG_SI_NS1_21lower_bound_search_opENS9_16wrapped_functionINS8_6system6detail7generic6detail18binary_search_lessEbEEEE10hipError_tPvRmT1_T2_T3_mmT4_T5_P12ihipStream_tbEUlRKiE_EESV_SZ_S10_mS11_S14_bEUlT_E_NS1_11comp_targetILNS1_3genE2ELNS1_11target_archE906ELNS1_3gpuE6ELNS1_3repE0EEENS1_30default_config_static_selectorELNS0_4arch9wavefront6targetE1EEEvSY_.kd
    .uniform_work_group_size: 1
    .uses_dynamic_stack: false
    .vgpr_count:     12
    .vgpr_spill_count: 0
    .wavefront_size: 64
  - .args:
      - .offset:         0
        .size:           56
        .value_kind:     by_value
    .group_segment_fixed_size: 0
    .kernarg_segment_align: 8
    .kernarg_segment_size: 56
    .language:       OpenCL C
    .language_version:
      - 2
      - 0
    .max_flat_workgroup_size: 128
    .name:           _ZN7rocprim17ROCPRIM_400000_NS6detail17trampoline_kernelINS0_14default_configENS1_27lower_bound_config_selectorIilEEZNS1_14transform_implILb0ES3_S5_N6thrust23THRUST_200600_302600_NS6detail15normal_iteratorINS8_7pointerIiNS8_11hip_rocprim12par_nosync_tENS8_11use_defaultESE_EEEENSA_INSB_IlSD_SE_SE_EEEEZNS1_13binary_searchIS3_S5_NSA_INS8_10device_ptrIiEEEESG_SI_NS1_21lower_bound_search_opENS9_16wrapped_functionINS8_6system6detail7generic6detail18binary_search_lessEbEEEE10hipError_tPvRmT1_T2_T3_mmT4_T5_P12ihipStream_tbEUlRKiE_EESV_SZ_S10_mS11_S14_bEUlT_E_NS1_11comp_targetILNS1_3genE10ELNS1_11target_archE1201ELNS1_3gpuE5ELNS1_3repE0EEENS1_30default_config_static_selectorELNS0_4arch9wavefront6targetE1EEEvSY_
    .private_segment_fixed_size: 0
    .sgpr_count:     4
    .sgpr_spill_count: 0
    .symbol:         _ZN7rocprim17ROCPRIM_400000_NS6detail17trampoline_kernelINS0_14default_configENS1_27lower_bound_config_selectorIilEEZNS1_14transform_implILb0ES3_S5_N6thrust23THRUST_200600_302600_NS6detail15normal_iteratorINS8_7pointerIiNS8_11hip_rocprim12par_nosync_tENS8_11use_defaultESE_EEEENSA_INSB_IlSD_SE_SE_EEEEZNS1_13binary_searchIS3_S5_NSA_INS8_10device_ptrIiEEEESG_SI_NS1_21lower_bound_search_opENS9_16wrapped_functionINS8_6system6detail7generic6detail18binary_search_lessEbEEEE10hipError_tPvRmT1_T2_T3_mmT4_T5_P12ihipStream_tbEUlRKiE_EESV_SZ_S10_mS11_S14_bEUlT_E_NS1_11comp_targetILNS1_3genE10ELNS1_11target_archE1201ELNS1_3gpuE5ELNS1_3repE0EEENS1_30default_config_static_selectorELNS0_4arch9wavefront6targetE1EEEvSY_.kd
    .uniform_work_group_size: 1
    .uses_dynamic_stack: false
    .vgpr_count:     0
    .vgpr_spill_count: 0
    .wavefront_size: 64
  - .args:
      - .offset:         0
        .size:           56
        .value_kind:     by_value
    .group_segment_fixed_size: 0
    .kernarg_segment_align: 8
    .kernarg_segment_size: 56
    .language:       OpenCL C
    .language_version:
      - 2
      - 0
    .max_flat_workgroup_size: 128
    .name:           _ZN7rocprim17ROCPRIM_400000_NS6detail17trampoline_kernelINS0_14default_configENS1_27lower_bound_config_selectorIilEEZNS1_14transform_implILb0ES3_S5_N6thrust23THRUST_200600_302600_NS6detail15normal_iteratorINS8_7pointerIiNS8_11hip_rocprim12par_nosync_tENS8_11use_defaultESE_EEEENSA_INSB_IlSD_SE_SE_EEEEZNS1_13binary_searchIS3_S5_NSA_INS8_10device_ptrIiEEEESG_SI_NS1_21lower_bound_search_opENS9_16wrapped_functionINS8_6system6detail7generic6detail18binary_search_lessEbEEEE10hipError_tPvRmT1_T2_T3_mmT4_T5_P12ihipStream_tbEUlRKiE_EESV_SZ_S10_mS11_S14_bEUlT_E_NS1_11comp_targetILNS1_3genE10ELNS1_11target_archE1200ELNS1_3gpuE4ELNS1_3repE0EEENS1_30default_config_static_selectorELNS0_4arch9wavefront6targetE1EEEvSY_
    .private_segment_fixed_size: 0
    .sgpr_count:     4
    .sgpr_spill_count: 0
    .symbol:         _ZN7rocprim17ROCPRIM_400000_NS6detail17trampoline_kernelINS0_14default_configENS1_27lower_bound_config_selectorIilEEZNS1_14transform_implILb0ES3_S5_N6thrust23THRUST_200600_302600_NS6detail15normal_iteratorINS8_7pointerIiNS8_11hip_rocprim12par_nosync_tENS8_11use_defaultESE_EEEENSA_INSB_IlSD_SE_SE_EEEEZNS1_13binary_searchIS3_S5_NSA_INS8_10device_ptrIiEEEESG_SI_NS1_21lower_bound_search_opENS9_16wrapped_functionINS8_6system6detail7generic6detail18binary_search_lessEbEEEE10hipError_tPvRmT1_T2_T3_mmT4_T5_P12ihipStream_tbEUlRKiE_EESV_SZ_S10_mS11_S14_bEUlT_E_NS1_11comp_targetILNS1_3genE10ELNS1_11target_archE1200ELNS1_3gpuE4ELNS1_3repE0EEENS1_30default_config_static_selectorELNS0_4arch9wavefront6targetE1EEEvSY_.kd
    .uniform_work_group_size: 1
    .uses_dynamic_stack: false
    .vgpr_count:     0
    .vgpr_spill_count: 0
    .wavefront_size: 64
  - .args:
      - .offset:         0
        .size:           56
        .value_kind:     by_value
    .group_segment_fixed_size: 0
    .kernarg_segment_align: 8
    .kernarg_segment_size: 56
    .language:       OpenCL C
    .language_version:
      - 2
      - 0
    .max_flat_workgroup_size: 256
    .name:           _ZN7rocprim17ROCPRIM_400000_NS6detail17trampoline_kernelINS0_14default_configENS1_27lower_bound_config_selectorIilEEZNS1_14transform_implILb0ES3_S5_N6thrust23THRUST_200600_302600_NS6detail15normal_iteratorINS8_7pointerIiNS8_11hip_rocprim12par_nosync_tENS8_11use_defaultESE_EEEENSA_INSB_IlSD_SE_SE_EEEEZNS1_13binary_searchIS3_S5_NSA_INS8_10device_ptrIiEEEESG_SI_NS1_21lower_bound_search_opENS9_16wrapped_functionINS8_6system6detail7generic6detail18binary_search_lessEbEEEE10hipError_tPvRmT1_T2_T3_mmT4_T5_P12ihipStream_tbEUlRKiE_EESV_SZ_S10_mS11_S14_bEUlT_E_NS1_11comp_targetILNS1_3genE9ELNS1_11target_archE1100ELNS1_3gpuE3ELNS1_3repE0EEENS1_30default_config_static_selectorELNS0_4arch9wavefront6targetE1EEEvSY_
    .private_segment_fixed_size: 0
    .sgpr_count:     4
    .sgpr_spill_count: 0
    .symbol:         _ZN7rocprim17ROCPRIM_400000_NS6detail17trampoline_kernelINS0_14default_configENS1_27lower_bound_config_selectorIilEEZNS1_14transform_implILb0ES3_S5_N6thrust23THRUST_200600_302600_NS6detail15normal_iteratorINS8_7pointerIiNS8_11hip_rocprim12par_nosync_tENS8_11use_defaultESE_EEEENSA_INSB_IlSD_SE_SE_EEEEZNS1_13binary_searchIS3_S5_NSA_INS8_10device_ptrIiEEEESG_SI_NS1_21lower_bound_search_opENS9_16wrapped_functionINS8_6system6detail7generic6detail18binary_search_lessEbEEEE10hipError_tPvRmT1_T2_T3_mmT4_T5_P12ihipStream_tbEUlRKiE_EESV_SZ_S10_mS11_S14_bEUlT_E_NS1_11comp_targetILNS1_3genE9ELNS1_11target_archE1100ELNS1_3gpuE3ELNS1_3repE0EEENS1_30default_config_static_selectorELNS0_4arch9wavefront6targetE1EEEvSY_.kd
    .uniform_work_group_size: 1
    .uses_dynamic_stack: false
    .vgpr_count:     0
    .vgpr_spill_count: 0
    .wavefront_size: 64
  - .args:
      - .offset:         0
        .size:           56
        .value_kind:     by_value
    .group_segment_fixed_size: 0
    .kernarg_segment_align: 8
    .kernarg_segment_size: 56
    .language:       OpenCL C
    .language_version:
      - 2
      - 0
    .max_flat_workgroup_size: 256
    .name:           _ZN7rocprim17ROCPRIM_400000_NS6detail17trampoline_kernelINS0_14default_configENS1_27lower_bound_config_selectorIilEEZNS1_14transform_implILb0ES3_S5_N6thrust23THRUST_200600_302600_NS6detail15normal_iteratorINS8_7pointerIiNS8_11hip_rocprim12par_nosync_tENS8_11use_defaultESE_EEEENSA_INSB_IlSD_SE_SE_EEEEZNS1_13binary_searchIS3_S5_NSA_INS8_10device_ptrIiEEEESG_SI_NS1_21lower_bound_search_opENS9_16wrapped_functionINS8_6system6detail7generic6detail18binary_search_lessEbEEEE10hipError_tPvRmT1_T2_T3_mmT4_T5_P12ihipStream_tbEUlRKiE_EESV_SZ_S10_mS11_S14_bEUlT_E_NS1_11comp_targetILNS1_3genE8ELNS1_11target_archE1030ELNS1_3gpuE2ELNS1_3repE0EEENS1_30default_config_static_selectorELNS0_4arch9wavefront6targetE1EEEvSY_
    .private_segment_fixed_size: 0
    .sgpr_count:     4
    .sgpr_spill_count: 0
    .symbol:         _ZN7rocprim17ROCPRIM_400000_NS6detail17trampoline_kernelINS0_14default_configENS1_27lower_bound_config_selectorIilEEZNS1_14transform_implILb0ES3_S5_N6thrust23THRUST_200600_302600_NS6detail15normal_iteratorINS8_7pointerIiNS8_11hip_rocprim12par_nosync_tENS8_11use_defaultESE_EEEENSA_INSB_IlSD_SE_SE_EEEEZNS1_13binary_searchIS3_S5_NSA_INS8_10device_ptrIiEEEESG_SI_NS1_21lower_bound_search_opENS9_16wrapped_functionINS8_6system6detail7generic6detail18binary_search_lessEbEEEE10hipError_tPvRmT1_T2_T3_mmT4_T5_P12ihipStream_tbEUlRKiE_EESV_SZ_S10_mS11_S14_bEUlT_E_NS1_11comp_targetILNS1_3genE8ELNS1_11target_archE1030ELNS1_3gpuE2ELNS1_3repE0EEENS1_30default_config_static_selectorELNS0_4arch9wavefront6targetE1EEEvSY_.kd
    .uniform_work_group_size: 1
    .uses_dynamic_stack: false
    .vgpr_count:     0
    .vgpr_spill_count: 0
    .wavefront_size: 64
  - .args:
      - .offset:         0
        .size:           56
        .value_kind:     by_value
    .group_segment_fixed_size: 0
    .kernarg_segment_align: 8
    .kernarg_segment_size: 56
    .language:       OpenCL C
    .language_version:
      - 2
      - 0
    .max_flat_workgroup_size: 256
    .name:           _ZN7rocprim17ROCPRIM_400000_NS6detail17trampoline_kernelINS0_14default_configENS1_27lower_bound_config_selectorIilEEZNS1_14transform_implILb0ES3_S5_N6thrust23THRUST_200600_302600_NS6detail15normal_iteratorINS8_7pointerIiNS8_11hip_rocprim5par_tENS8_11use_defaultESE_EEEENSA_INSB_IlSD_SE_SE_EEEEZNS1_13binary_searchIS3_S5_NSA_INS8_10device_ptrIiEEEESG_SI_NS1_21lower_bound_search_opENS9_16wrapped_functionINS8_6system6detail7generic6detail18binary_search_lessEbEEEE10hipError_tPvRmT1_T2_T3_mmT4_T5_P12ihipStream_tbEUlRKiE_EESV_SZ_S10_mS11_S14_bEUlT_E_NS1_11comp_targetILNS1_3genE0ELNS1_11target_archE4294967295ELNS1_3gpuE0ELNS1_3repE0EEENS1_30default_config_static_selectorELNS0_4arch9wavefront6targetE1EEEvSY_
    .private_segment_fixed_size: 0
    .sgpr_count:     4
    .sgpr_spill_count: 0
    .symbol:         _ZN7rocprim17ROCPRIM_400000_NS6detail17trampoline_kernelINS0_14default_configENS1_27lower_bound_config_selectorIilEEZNS1_14transform_implILb0ES3_S5_N6thrust23THRUST_200600_302600_NS6detail15normal_iteratorINS8_7pointerIiNS8_11hip_rocprim5par_tENS8_11use_defaultESE_EEEENSA_INSB_IlSD_SE_SE_EEEEZNS1_13binary_searchIS3_S5_NSA_INS8_10device_ptrIiEEEESG_SI_NS1_21lower_bound_search_opENS9_16wrapped_functionINS8_6system6detail7generic6detail18binary_search_lessEbEEEE10hipError_tPvRmT1_T2_T3_mmT4_T5_P12ihipStream_tbEUlRKiE_EESV_SZ_S10_mS11_S14_bEUlT_E_NS1_11comp_targetILNS1_3genE0ELNS1_11target_archE4294967295ELNS1_3gpuE0ELNS1_3repE0EEENS1_30default_config_static_selectorELNS0_4arch9wavefront6targetE1EEEvSY_.kd
    .uniform_work_group_size: 1
    .uses_dynamic_stack: false
    .vgpr_count:     0
    .vgpr_spill_count: 0
    .wavefront_size: 64
  - .args:
      - .offset:         0
        .size:           56
        .value_kind:     by_value
    .group_segment_fixed_size: 0
    .kernarg_segment_align: 8
    .kernarg_segment_size: 56
    .language:       OpenCL C
    .language_version:
      - 2
      - 0
    .max_flat_workgroup_size: 256
    .name:           _ZN7rocprim17ROCPRIM_400000_NS6detail17trampoline_kernelINS0_14default_configENS1_27lower_bound_config_selectorIilEEZNS1_14transform_implILb0ES3_S5_N6thrust23THRUST_200600_302600_NS6detail15normal_iteratorINS8_7pointerIiNS8_11hip_rocprim5par_tENS8_11use_defaultESE_EEEENSA_INSB_IlSD_SE_SE_EEEEZNS1_13binary_searchIS3_S5_NSA_INS8_10device_ptrIiEEEESG_SI_NS1_21lower_bound_search_opENS9_16wrapped_functionINS8_6system6detail7generic6detail18binary_search_lessEbEEEE10hipError_tPvRmT1_T2_T3_mmT4_T5_P12ihipStream_tbEUlRKiE_EESV_SZ_S10_mS11_S14_bEUlT_E_NS1_11comp_targetILNS1_3genE5ELNS1_11target_archE942ELNS1_3gpuE9ELNS1_3repE0EEENS1_30default_config_static_selectorELNS0_4arch9wavefront6targetE1EEEvSY_
    .private_segment_fixed_size: 0
    .sgpr_count:     4
    .sgpr_spill_count: 0
    .symbol:         _ZN7rocprim17ROCPRIM_400000_NS6detail17trampoline_kernelINS0_14default_configENS1_27lower_bound_config_selectorIilEEZNS1_14transform_implILb0ES3_S5_N6thrust23THRUST_200600_302600_NS6detail15normal_iteratorINS8_7pointerIiNS8_11hip_rocprim5par_tENS8_11use_defaultESE_EEEENSA_INSB_IlSD_SE_SE_EEEEZNS1_13binary_searchIS3_S5_NSA_INS8_10device_ptrIiEEEESG_SI_NS1_21lower_bound_search_opENS9_16wrapped_functionINS8_6system6detail7generic6detail18binary_search_lessEbEEEE10hipError_tPvRmT1_T2_T3_mmT4_T5_P12ihipStream_tbEUlRKiE_EESV_SZ_S10_mS11_S14_bEUlT_E_NS1_11comp_targetILNS1_3genE5ELNS1_11target_archE942ELNS1_3gpuE9ELNS1_3repE0EEENS1_30default_config_static_selectorELNS0_4arch9wavefront6targetE1EEEvSY_.kd
    .uniform_work_group_size: 1
    .uses_dynamic_stack: false
    .vgpr_count:     0
    .vgpr_spill_count: 0
    .wavefront_size: 64
  - .args:
      - .offset:         0
        .size:           56
        .value_kind:     by_value
    .group_segment_fixed_size: 0
    .kernarg_segment_align: 8
    .kernarg_segment_size: 56
    .language:       OpenCL C
    .language_version:
      - 2
      - 0
    .max_flat_workgroup_size: 256
    .name:           _ZN7rocprim17ROCPRIM_400000_NS6detail17trampoline_kernelINS0_14default_configENS1_27lower_bound_config_selectorIilEEZNS1_14transform_implILb0ES3_S5_N6thrust23THRUST_200600_302600_NS6detail15normal_iteratorINS8_7pointerIiNS8_11hip_rocprim5par_tENS8_11use_defaultESE_EEEENSA_INSB_IlSD_SE_SE_EEEEZNS1_13binary_searchIS3_S5_NSA_INS8_10device_ptrIiEEEESG_SI_NS1_21lower_bound_search_opENS9_16wrapped_functionINS8_6system6detail7generic6detail18binary_search_lessEbEEEE10hipError_tPvRmT1_T2_T3_mmT4_T5_P12ihipStream_tbEUlRKiE_EESV_SZ_S10_mS11_S14_bEUlT_E_NS1_11comp_targetILNS1_3genE4ELNS1_11target_archE910ELNS1_3gpuE8ELNS1_3repE0EEENS1_30default_config_static_selectorELNS0_4arch9wavefront6targetE1EEEvSY_
    .private_segment_fixed_size: 0
    .sgpr_count:     4
    .sgpr_spill_count: 0
    .symbol:         _ZN7rocprim17ROCPRIM_400000_NS6detail17trampoline_kernelINS0_14default_configENS1_27lower_bound_config_selectorIilEEZNS1_14transform_implILb0ES3_S5_N6thrust23THRUST_200600_302600_NS6detail15normal_iteratorINS8_7pointerIiNS8_11hip_rocprim5par_tENS8_11use_defaultESE_EEEENSA_INSB_IlSD_SE_SE_EEEEZNS1_13binary_searchIS3_S5_NSA_INS8_10device_ptrIiEEEESG_SI_NS1_21lower_bound_search_opENS9_16wrapped_functionINS8_6system6detail7generic6detail18binary_search_lessEbEEEE10hipError_tPvRmT1_T2_T3_mmT4_T5_P12ihipStream_tbEUlRKiE_EESV_SZ_S10_mS11_S14_bEUlT_E_NS1_11comp_targetILNS1_3genE4ELNS1_11target_archE910ELNS1_3gpuE8ELNS1_3repE0EEENS1_30default_config_static_selectorELNS0_4arch9wavefront6targetE1EEEvSY_.kd
    .uniform_work_group_size: 1
    .uses_dynamic_stack: false
    .vgpr_count:     0
    .vgpr_spill_count: 0
    .wavefront_size: 64
  - .args:
      - .offset:         0
        .size:           56
        .value_kind:     by_value
    .group_segment_fixed_size: 0
    .kernarg_segment_align: 8
    .kernarg_segment_size: 56
    .language:       OpenCL C
    .language_version:
      - 2
      - 0
    .max_flat_workgroup_size: 256
    .name:           _ZN7rocprim17ROCPRIM_400000_NS6detail17trampoline_kernelINS0_14default_configENS1_27lower_bound_config_selectorIilEEZNS1_14transform_implILb0ES3_S5_N6thrust23THRUST_200600_302600_NS6detail15normal_iteratorINS8_7pointerIiNS8_11hip_rocprim5par_tENS8_11use_defaultESE_EEEENSA_INSB_IlSD_SE_SE_EEEEZNS1_13binary_searchIS3_S5_NSA_INS8_10device_ptrIiEEEESG_SI_NS1_21lower_bound_search_opENS9_16wrapped_functionINS8_6system6detail7generic6detail18binary_search_lessEbEEEE10hipError_tPvRmT1_T2_T3_mmT4_T5_P12ihipStream_tbEUlRKiE_EESV_SZ_S10_mS11_S14_bEUlT_E_NS1_11comp_targetILNS1_3genE3ELNS1_11target_archE908ELNS1_3gpuE7ELNS1_3repE0EEENS1_30default_config_static_selectorELNS0_4arch9wavefront6targetE1EEEvSY_
    .private_segment_fixed_size: 0
    .sgpr_count:     4
    .sgpr_spill_count: 0
    .symbol:         _ZN7rocprim17ROCPRIM_400000_NS6detail17trampoline_kernelINS0_14default_configENS1_27lower_bound_config_selectorIilEEZNS1_14transform_implILb0ES3_S5_N6thrust23THRUST_200600_302600_NS6detail15normal_iteratorINS8_7pointerIiNS8_11hip_rocprim5par_tENS8_11use_defaultESE_EEEENSA_INSB_IlSD_SE_SE_EEEEZNS1_13binary_searchIS3_S5_NSA_INS8_10device_ptrIiEEEESG_SI_NS1_21lower_bound_search_opENS9_16wrapped_functionINS8_6system6detail7generic6detail18binary_search_lessEbEEEE10hipError_tPvRmT1_T2_T3_mmT4_T5_P12ihipStream_tbEUlRKiE_EESV_SZ_S10_mS11_S14_bEUlT_E_NS1_11comp_targetILNS1_3genE3ELNS1_11target_archE908ELNS1_3gpuE7ELNS1_3repE0EEENS1_30default_config_static_selectorELNS0_4arch9wavefront6targetE1EEEvSY_.kd
    .uniform_work_group_size: 1
    .uses_dynamic_stack: false
    .vgpr_count:     0
    .vgpr_spill_count: 0
    .wavefront_size: 64
  - .args:
      - .offset:         0
        .size:           56
        .value_kind:     by_value
      - .offset:         56
        .size:           4
        .value_kind:     hidden_block_count_x
      - .offset:         60
        .size:           4
        .value_kind:     hidden_block_count_y
      - .offset:         64
        .size:           4
        .value_kind:     hidden_block_count_z
      - .offset:         68
        .size:           2
        .value_kind:     hidden_group_size_x
      - .offset:         70
        .size:           2
        .value_kind:     hidden_group_size_y
      - .offset:         72
        .size:           2
        .value_kind:     hidden_group_size_z
      - .offset:         74
        .size:           2
        .value_kind:     hidden_remainder_x
      - .offset:         76
        .size:           2
        .value_kind:     hidden_remainder_y
      - .offset:         78
        .size:           2
        .value_kind:     hidden_remainder_z
      - .offset:         96
        .size:           8
        .value_kind:     hidden_global_offset_x
      - .offset:         104
        .size:           8
        .value_kind:     hidden_global_offset_y
      - .offset:         112
        .size:           8
        .value_kind:     hidden_global_offset_z
      - .offset:         120
        .size:           2
        .value_kind:     hidden_grid_dims
    .group_segment_fixed_size: 0
    .kernarg_segment_align: 8
    .kernarg_segment_size: 312
    .language:       OpenCL C
    .language_version:
      - 2
      - 0
    .max_flat_workgroup_size: 256
    .name:           _ZN7rocprim17ROCPRIM_400000_NS6detail17trampoline_kernelINS0_14default_configENS1_27lower_bound_config_selectorIilEEZNS1_14transform_implILb0ES3_S5_N6thrust23THRUST_200600_302600_NS6detail15normal_iteratorINS8_7pointerIiNS8_11hip_rocprim5par_tENS8_11use_defaultESE_EEEENSA_INSB_IlSD_SE_SE_EEEEZNS1_13binary_searchIS3_S5_NSA_INS8_10device_ptrIiEEEESG_SI_NS1_21lower_bound_search_opENS9_16wrapped_functionINS8_6system6detail7generic6detail18binary_search_lessEbEEEE10hipError_tPvRmT1_T2_T3_mmT4_T5_P12ihipStream_tbEUlRKiE_EESV_SZ_S10_mS11_S14_bEUlT_E_NS1_11comp_targetILNS1_3genE2ELNS1_11target_archE906ELNS1_3gpuE6ELNS1_3repE0EEENS1_30default_config_static_selectorELNS0_4arch9wavefront6targetE1EEEvSY_
    .private_segment_fixed_size: 0
    .sgpr_count:     24
    .sgpr_spill_count: 0
    .symbol:         _ZN7rocprim17ROCPRIM_400000_NS6detail17trampoline_kernelINS0_14default_configENS1_27lower_bound_config_selectorIilEEZNS1_14transform_implILb0ES3_S5_N6thrust23THRUST_200600_302600_NS6detail15normal_iteratorINS8_7pointerIiNS8_11hip_rocprim5par_tENS8_11use_defaultESE_EEEENSA_INSB_IlSD_SE_SE_EEEEZNS1_13binary_searchIS3_S5_NSA_INS8_10device_ptrIiEEEESG_SI_NS1_21lower_bound_search_opENS9_16wrapped_functionINS8_6system6detail7generic6detail18binary_search_lessEbEEEE10hipError_tPvRmT1_T2_T3_mmT4_T5_P12ihipStream_tbEUlRKiE_EESV_SZ_S10_mS11_S14_bEUlT_E_NS1_11comp_targetILNS1_3genE2ELNS1_11target_archE906ELNS1_3gpuE6ELNS1_3repE0EEENS1_30default_config_static_selectorELNS0_4arch9wavefront6targetE1EEEvSY_.kd
    .uniform_work_group_size: 1
    .uses_dynamic_stack: false
    .vgpr_count:     12
    .vgpr_spill_count: 0
    .wavefront_size: 64
  - .args:
      - .offset:         0
        .size:           56
        .value_kind:     by_value
    .group_segment_fixed_size: 0
    .kernarg_segment_align: 8
    .kernarg_segment_size: 56
    .language:       OpenCL C
    .language_version:
      - 2
      - 0
    .max_flat_workgroup_size: 128
    .name:           _ZN7rocprim17ROCPRIM_400000_NS6detail17trampoline_kernelINS0_14default_configENS1_27lower_bound_config_selectorIilEEZNS1_14transform_implILb0ES3_S5_N6thrust23THRUST_200600_302600_NS6detail15normal_iteratorINS8_7pointerIiNS8_11hip_rocprim5par_tENS8_11use_defaultESE_EEEENSA_INSB_IlSD_SE_SE_EEEEZNS1_13binary_searchIS3_S5_NSA_INS8_10device_ptrIiEEEESG_SI_NS1_21lower_bound_search_opENS9_16wrapped_functionINS8_6system6detail7generic6detail18binary_search_lessEbEEEE10hipError_tPvRmT1_T2_T3_mmT4_T5_P12ihipStream_tbEUlRKiE_EESV_SZ_S10_mS11_S14_bEUlT_E_NS1_11comp_targetILNS1_3genE10ELNS1_11target_archE1201ELNS1_3gpuE5ELNS1_3repE0EEENS1_30default_config_static_selectorELNS0_4arch9wavefront6targetE1EEEvSY_
    .private_segment_fixed_size: 0
    .sgpr_count:     4
    .sgpr_spill_count: 0
    .symbol:         _ZN7rocprim17ROCPRIM_400000_NS6detail17trampoline_kernelINS0_14default_configENS1_27lower_bound_config_selectorIilEEZNS1_14transform_implILb0ES3_S5_N6thrust23THRUST_200600_302600_NS6detail15normal_iteratorINS8_7pointerIiNS8_11hip_rocprim5par_tENS8_11use_defaultESE_EEEENSA_INSB_IlSD_SE_SE_EEEEZNS1_13binary_searchIS3_S5_NSA_INS8_10device_ptrIiEEEESG_SI_NS1_21lower_bound_search_opENS9_16wrapped_functionINS8_6system6detail7generic6detail18binary_search_lessEbEEEE10hipError_tPvRmT1_T2_T3_mmT4_T5_P12ihipStream_tbEUlRKiE_EESV_SZ_S10_mS11_S14_bEUlT_E_NS1_11comp_targetILNS1_3genE10ELNS1_11target_archE1201ELNS1_3gpuE5ELNS1_3repE0EEENS1_30default_config_static_selectorELNS0_4arch9wavefront6targetE1EEEvSY_.kd
    .uniform_work_group_size: 1
    .uses_dynamic_stack: false
    .vgpr_count:     0
    .vgpr_spill_count: 0
    .wavefront_size: 64
  - .args:
      - .offset:         0
        .size:           56
        .value_kind:     by_value
    .group_segment_fixed_size: 0
    .kernarg_segment_align: 8
    .kernarg_segment_size: 56
    .language:       OpenCL C
    .language_version:
      - 2
      - 0
    .max_flat_workgroup_size: 128
    .name:           _ZN7rocprim17ROCPRIM_400000_NS6detail17trampoline_kernelINS0_14default_configENS1_27lower_bound_config_selectorIilEEZNS1_14transform_implILb0ES3_S5_N6thrust23THRUST_200600_302600_NS6detail15normal_iteratorINS8_7pointerIiNS8_11hip_rocprim5par_tENS8_11use_defaultESE_EEEENSA_INSB_IlSD_SE_SE_EEEEZNS1_13binary_searchIS3_S5_NSA_INS8_10device_ptrIiEEEESG_SI_NS1_21lower_bound_search_opENS9_16wrapped_functionINS8_6system6detail7generic6detail18binary_search_lessEbEEEE10hipError_tPvRmT1_T2_T3_mmT4_T5_P12ihipStream_tbEUlRKiE_EESV_SZ_S10_mS11_S14_bEUlT_E_NS1_11comp_targetILNS1_3genE10ELNS1_11target_archE1200ELNS1_3gpuE4ELNS1_3repE0EEENS1_30default_config_static_selectorELNS0_4arch9wavefront6targetE1EEEvSY_
    .private_segment_fixed_size: 0
    .sgpr_count:     4
    .sgpr_spill_count: 0
    .symbol:         _ZN7rocprim17ROCPRIM_400000_NS6detail17trampoline_kernelINS0_14default_configENS1_27lower_bound_config_selectorIilEEZNS1_14transform_implILb0ES3_S5_N6thrust23THRUST_200600_302600_NS6detail15normal_iteratorINS8_7pointerIiNS8_11hip_rocprim5par_tENS8_11use_defaultESE_EEEENSA_INSB_IlSD_SE_SE_EEEEZNS1_13binary_searchIS3_S5_NSA_INS8_10device_ptrIiEEEESG_SI_NS1_21lower_bound_search_opENS9_16wrapped_functionINS8_6system6detail7generic6detail18binary_search_lessEbEEEE10hipError_tPvRmT1_T2_T3_mmT4_T5_P12ihipStream_tbEUlRKiE_EESV_SZ_S10_mS11_S14_bEUlT_E_NS1_11comp_targetILNS1_3genE10ELNS1_11target_archE1200ELNS1_3gpuE4ELNS1_3repE0EEENS1_30default_config_static_selectorELNS0_4arch9wavefront6targetE1EEEvSY_.kd
    .uniform_work_group_size: 1
    .uses_dynamic_stack: false
    .vgpr_count:     0
    .vgpr_spill_count: 0
    .wavefront_size: 64
  - .args:
      - .offset:         0
        .size:           56
        .value_kind:     by_value
    .group_segment_fixed_size: 0
    .kernarg_segment_align: 8
    .kernarg_segment_size: 56
    .language:       OpenCL C
    .language_version:
      - 2
      - 0
    .max_flat_workgroup_size: 256
    .name:           _ZN7rocprim17ROCPRIM_400000_NS6detail17trampoline_kernelINS0_14default_configENS1_27lower_bound_config_selectorIilEEZNS1_14transform_implILb0ES3_S5_N6thrust23THRUST_200600_302600_NS6detail15normal_iteratorINS8_7pointerIiNS8_11hip_rocprim5par_tENS8_11use_defaultESE_EEEENSA_INSB_IlSD_SE_SE_EEEEZNS1_13binary_searchIS3_S5_NSA_INS8_10device_ptrIiEEEESG_SI_NS1_21lower_bound_search_opENS9_16wrapped_functionINS8_6system6detail7generic6detail18binary_search_lessEbEEEE10hipError_tPvRmT1_T2_T3_mmT4_T5_P12ihipStream_tbEUlRKiE_EESV_SZ_S10_mS11_S14_bEUlT_E_NS1_11comp_targetILNS1_3genE9ELNS1_11target_archE1100ELNS1_3gpuE3ELNS1_3repE0EEENS1_30default_config_static_selectorELNS0_4arch9wavefront6targetE1EEEvSY_
    .private_segment_fixed_size: 0
    .sgpr_count:     4
    .sgpr_spill_count: 0
    .symbol:         _ZN7rocprim17ROCPRIM_400000_NS6detail17trampoline_kernelINS0_14default_configENS1_27lower_bound_config_selectorIilEEZNS1_14transform_implILb0ES3_S5_N6thrust23THRUST_200600_302600_NS6detail15normal_iteratorINS8_7pointerIiNS8_11hip_rocprim5par_tENS8_11use_defaultESE_EEEENSA_INSB_IlSD_SE_SE_EEEEZNS1_13binary_searchIS3_S5_NSA_INS8_10device_ptrIiEEEESG_SI_NS1_21lower_bound_search_opENS9_16wrapped_functionINS8_6system6detail7generic6detail18binary_search_lessEbEEEE10hipError_tPvRmT1_T2_T3_mmT4_T5_P12ihipStream_tbEUlRKiE_EESV_SZ_S10_mS11_S14_bEUlT_E_NS1_11comp_targetILNS1_3genE9ELNS1_11target_archE1100ELNS1_3gpuE3ELNS1_3repE0EEENS1_30default_config_static_selectorELNS0_4arch9wavefront6targetE1EEEvSY_.kd
    .uniform_work_group_size: 1
    .uses_dynamic_stack: false
    .vgpr_count:     0
    .vgpr_spill_count: 0
    .wavefront_size: 64
  - .args:
      - .offset:         0
        .size:           56
        .value_kind:     by_value
    .group_segment_fixed_size: 0
    .kernarg_segment_align: 8
    .kernarg_segment_size: 56
    .language:       OpenCL C
    .language_version:
      - 2
      - 0
    .max_flat_workgroup_size: 256
    .name:           _ZN7rocprim17ROCPRIM_400000_NS6detail17trampoline_kernelINS0_14default_configENS1_27lower_bound_config_selectorIilEEZNS1_14transform_implILb0ES3_S5_N6thrust23THRUST_200600_302600_NS6detail15normal_iteratorINS8_7pointerIiNS8_11hip_rocprim5par_tENS8_11use_defaultESE_EEEENSA_INSB_IlSD_SE_SE_EEEEZNS1_13binary_searchIS3_S5_NSA_INS8_10device_ptrIiEEEESG_SI_NS1_21lower_bound_search_opENS9_16wrapped_functionINS8_6system6detail7generic6detail18binary_search_lessEbEEEE10hipError_tPvRmT1_T2_T3_mmT4_T5_P12ihipStream_tbEUlRKiE_EESV_SZ_S10_mS11_S14_bEUlT_E_NS1_11comp_targetILNS1_3genE8ELNS1_11target_archE1030ELNS1_3gpuE2ELNS1_3repE0EEENS1_30default_config_static_selectorELNS0_4arch9wavefront6targetE1EEEvSY_
    .private_segment_fixed_size: 0
    .sgpr_count:     4
    .sgpr_spill_count: 0
    .symbol:         _ZN7rocprim17ROCPRIM_400000_NS6detail17trampoline_kernelINS0_14default_configENS1_27lower_bound_config_selectorIilEEZNS1_14transform_implILb0ES3_S5_N6thrust23THRUST_200600_302600_NS6detail15normal_iteratorINS8_7pointerIiNS8_11hip_rocprim5par_tENS8_11use_defaultESE_EEEENSA_INSB_IlSD_SE_SE_EEEEZNS1_13binary_searchIS3_S5_NSA_INS8_10device_ptrIiEEEESG_SI_NS1_21lower_bound_search_opENS9_16wrapped_functionINS8_6system6detail7generic6detail18binary_search_lessEbEEEE10hipError_tPvRmT1_T2_T3_mmT4_T5_P12ihipStream_tbEUlRKiE_EESV_SZ_S10_mS11_S14_bEUlT_E_NS1_11comp_targetILNS1_3genE8ELNS1_11target_archE1030ELNS1_3gpuE2ELNS1_3repE0EEENS1_30default_config_static_selectorELNS0_4arch9wavefront6targetE1EEEvSY_.kd
    .uniform_work_group_size: 1
    .uses_dynamic_stack: false
    .vgpr_count:     0
    .vgpr_spill_count: 0
    .wavefront_size: 64
  - .args:
      - .offset:         0
        .size:           56
        .value_kind:     by_value
    .group_segment_fixed_size: 0
    .kernarg_segment_align: 8
    .kernarg_segment_size: 56
    .language:       OpenCL C
    .language_version:
      - 2
      - 0
    .max_flat_workgroup_size: 256
    .name:           _ZN7rocprim17ROCPRIM_400000_NS6detail17trampoline_kernelINS0_14default_configENS1_27lower_bound_config_selectorIslEEZNS1_14transform_implILb0ES3_S5_N6thrust23THRUST_200600_302600_NS6detail15normal_iteratorINS8_7pointerIsNS8_11hip_rocprim5par_tENS8_11use_defaultESE_EEEENSA_INSB_IlSD_SE_SE_EEEEZNS1_13binary_searchIS3_S5_NSA_INS8_10device_ptrIsEEEESG_SI_NS1_21lower_bound_search_opENS9_16wrapped_functionINS8_6system6detail7generic6detail18binary_search_lessEbEEEE10hipError_tPvRmT1_T2_T3_mmT4_T5_P12ihipStream_tbEUlRKsE_EESV_SZ_S10_mS11_S14_bEUlT_E_NS1_11comp_targetILNS1_3genE0ELNS1_11target_archE4294967295ELNS1_3gpuE0ELNS1_3repE0EEENS1_30default_config_static_selectorELNS0_4arch9wavefront6targetE1EEEvSY_
    .private_segment_fixed_size: 0
    .sgpr_count:     4
    .sgpr_spill_count: 0
    .symbol:         _ZN7rocprim17ROCPRIM_400000_NS6detail17trampoline_kernelINS0_14default_configENS1_27lower_bound_config_selectorIslEEZNS1_14transform_implILb0ES3_S5_N6thrust23THRUST_200600_302600_NS6detail15normal_iteratorINS8_7pointerIsNS8_11hip_rocprim5par_tENS8_11use_defaultESE_EEEENSA_INSB_IlSD_SE_SE_EEEEZNS1_13binary_searchIS3_S5_NSA_INS8_10device_ptrIsEEEESG_SI_NS1_21lower_bound_search_opENS9_16wrapped_functionINS8_6system6detail7generic6detail18binary_search_lessEbEEEE10hipError_tPvRmT1_T2_T3_mmT4_T5_P12ihipStream_tbEUlRKsE_EESV_SZ_S10_mS11_S14_bEUlT_E_NS1_11comp_targetILNS1_3genE0ELNS1_11target_archE4294967295ELNS1_3gpuE0ELNS1_3repE0EEENS1_30default_config_static_selectorELNS0_4arch9wavefront6targetE1EEEvSY_.kd
    .uniform_work_group_size: 1
    .uses_dynamic_stack: false
    .vgpr_count:     0
    .vgpr_spill_count: 0
    .wavefront_size: 64
  - .args:
      - .offset:         0
        .size:           56
        .value_kind:     by_value
    .group_segment_fixed_size: 0
    .kernarg_segment_align: 8
    .kernarg_segment_size: 56
    .language:       OpenCL C
    .language_version:
      - 2
      - 0
    .max_flat_workgroup_size: 256
    .name:           _ZN7rocprim17ROCPRIM_400000_NS6detail17trampoline_kernelINS0_14default_configENS1_27lower_bound_config_selectorIslEEZNS1_14transform_implILb0ES3_S5_N6thrust23THRUST_200600_302600_NS6detail15normal_iteratorINS8_7pointerIsNS8_11hip_rocprim5par_tENS8_11use_defaultESE_EEEENSA_INSB_IlSD_SE_SE_EEEEZNS1_13binary_searchIS3_S5_NSA_INS8_10device_ptrIsEEEESG_SI_NS1_21lower_bound_search_opENS9_16wrapped_functionINS8_6system6detail7generic6detail18binary_search_lessEbEEEE10hipError_tPvRmT1_T2_T3_mmT4_T5_P12ihipStream_tbEUlRKsE_EESV_SZ_S10_mS11_S14_bEUlT_E_NS1_11comp_targetILNS1_3genE5ELNS1_11target_archE942ELNS1_3gpuE9ELNS1_3repE0EEENS1_30default_config_static_selectorELNS0_4arch9wavefront6targetE1EEEvSY_
    .private_segment_fixed_size: 0
    .sgpr_count:     4
    .sgpr_spill_count: 0
    .symbol:         _ZN7rocprim17ROCPRIM_400000_NS6detail17trampoline_kernelINS0_14default_configENS1_27lower_bound_config_selectorIslEEZNS1_14transform_implILb0ES3_S5_N6thrust23THRUST_200600_302600_NS6detail15normal_iteratorINS8_7pointerIsNS8_11hip_rocprim5par_tENS8_11use_defaultESE_EEEENSA_INSB_IlSD_SE_SE_EEEEZNS1_13binary_searchIS3_S5_NSA_INS8_10device_ptrIsEEEESG_SI_NS1_21lower_bound_search_opENS9_16wrapped_functionINS8_6system6detail7generic6detail18binary_search_lessEbEEEE10hipError_tPvRmT1_T2_T3_mmT4_T5_P12ihipStream_tbEUlRKsE_EESV_SZ_S10_mS11_S14_bEUlT_E_NS1_11comp_targetILNS1_3genE5ELNS1_11target_archE942ELNS1_3gpuE9ELNS1_3repE0EEENS1_30default_config_static_selectorELNS0_4arch9wavefront6targetE1EEEvSY_.kd
    .uniform_work_group_size: 1
    .uses_dynamic_stack: false
    .vgpr_count:     0
    .vgpr_spill_count: 0
    .wavefront_size: 64
  - .args:
      - .offset:         0
        .size:           56
        .value_kind:     by_value
    .group_segment_fixed_size: 0
    .kernarg_segment_align: 8
    .kernarg_segment_size: 56
    .language:       OpenCL C
    .language_version:
      - 2
      - 0
    .max_flat_workgroup_size: 256
    .name:           _ZN7rocprim17ROCPRIM_400000_NS6detail17trampoline_kernelINS0_14default_configENS1_27lower_bound_config_selectorIslEEZNS1_14transform_implILb0ES3_S5_N6thrust23THRUST_200600_302600_NS6detail15normal_iteratorINS8_7pointerIsNS8_11hip_rocprim5par_tENS8_11use_defaultESE_EEEENSA_INSB_IlSD_SE_SE_EEEEZNS1_13binary_searchIS3_S5_NSA_INS8_10device_ptrIsEEEESG_SI_NS1_21lower_bound_search_opENS9_16wrapped_functionINS8_6system6detail7generic6detail18binary_search_lessEbEEEE10hipError_tPvRmT1_T2_T3_mmT4_T5_P12ihipStream_tbEUlRKsE_EESV_SZ_S10_mS11_S14_bEUlT_E_NS1_11comp_targetILNS1_3genE4ELNS1_11target_archE910ELNS1_3gpuE8ELNS1_3repE0EEENS1_30default_config_static_selectorELNS0_4arch9wavefront6targetE1EEEvSY_
    .private_segment_fixed_size: 0
    .sgpr_count:     4
    .sgpr_spill_count: 0
    .symbol:         _ZN7rocprim17ROCPRIM_400000_NS6detail17trampoline_kernelINS0_14default_configENS1_27lower_bound_config_selectorIslEEZNS1_14transform_implILb0ES3_S5_N6thrust23THRUST_200600_302600_NS6detail15normal_iteratorINS8_7pointerIsNS8_11hip_rocprim5par_tENS8_11use_defaultESE_EEEENSA_INSB_IlSD_SE_SE_EEEEZNS1_13binary_searchIS3_S5_NSA_INS8_10device_ptrIsEEEESG_SI_NS1_21lower_bound_search_opENS9_16wrapped_functionINS8_6system6detail7generic6detail18binary_search_lessEbEEEE10hipError_tPvRmT1_T2_T3_mmT4_T5_P12ihipStream_tbEUlRKsE_EESV_SZ_S10_mS11_S14_bEUlT_E_NS1_11comp_targetILNS1_3genE4ELNS1_11target_archE910ELNS1_3gpuE8ELNS1_3repE0EEENS1_30default_config_static_selectorELNS0_4arch9wavefront6targetE1EEEvSY_.kd
    .uniform_work_group_size: 1
    .uses_dynamic_stack: false
    .vgpr_count:     0
    .vgpr_spill_count: 0
    .wavefront_size: 64
  - .args:
      - .offset:         0
        .size:           56
        .value_kind:     by_value
    .group_segment_fixed_size: 0
    .kernarg_segment_align: 8
    .kernarg_segment_size: 56
    .language:       OpenCL C
    .language_version:
      - 2
      - 0
    .max_flat_workgroup_size: 256
    .name:           _ZN7rocprim17ROCPRIM_400000_NS6detail17trampoline_kernelINS0_14default_configENS1_27lower_bound_config_selectorIslEEZNS1_14transform_implILb0ES3_S5_N6thrust23THRUST_200600_302600_NS6detail15normal_iteratorINS8_7pointerIsNS8_11hip_rocprim5par_tENS8_11use_defaultESE_EEEENSA_INSB_IlSD_SE_SE_EEEEZNS1_13binary_searchIS3_S5_NSA_INS8_10device_ptrIsEEEESG_SI_NS1_21lower_bound_search_opENS9_16wrapped_functionINS8_6system6detail7generic6detail18binary_search_lessEbEEEE10hipError_tPvRmT1_T2_T3_mmT4_T5_P12ihipStream_tbEUlRKsE_EESV_SZ_S10_mS11_S14_bEUlT_E_NS1_11comp_targetILNS1_3genE3ELNS1_11target_archE908ELNS1_3gpuE7ELNS1_3repE0EEENS1_30default_config_static_selectorELNS0_4arch9wavefront6targetE1EEEvSY_
    .private_segment_fixed_size: 0
    .sgpr_count:     4
    .sgpr_spill_count: 0
    .symbol:         _ZN7rocprim17ROCPRIM_400000_NS6detail17trampoline_kernelINS0_14default_configENS1_27lower_bound_config_selectorIslEEZNS1_14transform_implILb0ES3_S5_N6thrust23THRUST_200600_302600_NS6detail15normal_iteratorINS8_7pointerIsNS8_11hip_rocprim5par_tENS8_11use_defaultESE_EEEENSA_INSB_IlSD_SE_SE_EEEEZNS1_13binary_searchIS3_S5_NSA_INS8_10device_ptrIsEEEESG_SI_NS1_21lower_bound_search_opENS9_16wrapped_functionINS8_6system6detail7generic6detail18binary_search_lessEbEEEE10hipError_tPvRmT1_T2_T3_mmT4_T5_P12ihipStream_tbEUlRKsE_EESV_SZ_S10_mS11_S14_bEUlT_E_NS1_11comp_targetILNS1_3genE3ELNS1_11target_archE908ELNS1_3gpuE7ELNS1_3repE0EEENS1_30default_config_static_selectorELNS0_4arch9wavefront6targetE1EEEvSY_.kd
    .uniform_work_group_size: 1
    .uses_dynamic_stack: false
    .vgpr_count:     0
    .vgpr_spill_count: 0
    .wavefront_size: 64
  - .args:
      - .offset:         0
        .size:           56
        .value_kind:     by_value
      - .offset:         56
        .size:           4
        .value_kind:     hidden_block_count_x
      - .offset:         60
        .size:           4
        .value_kind:     hidden_block_count_y
      - .offset:         64
        .size:           4
        .value_kind:     hidden_block_count_z
      - .offset:         68
        .size:           2
        .value_kind:     hidden_group_size_x
      - .offset:         70
        .size:           2
        .value_kind:     hidden_group_size_y
      - .offset:         72
        .size:           2
        .value_kind:     hidden_group_size_z
      - .offset:         74
        .size:           2
        .value_kind:     hidden_remainder_x
      - .offset:         76
        .size:           2
        .value_kind:     hidden_remainder_y
      - .offset:         78
        .size:           2
        .value_kind:     hidden_remainder_z
      - .offset:         96
        .size:           8
        .value_kind:     hidden_global_offset_x
      - .offset:         104
        .size:           8
        .value_kind:     hidden_global_offset_y
      - .offset:         112
        .size:           8
        .value_kind:     hidden_global_offset_z
      - .offset:         120
        .size:           2
        .value_kind:     hidden_grid_dims
    .group_segment_fixed_size: 0
    .kernarg_segment_align: 8
    .kernarg_segment_size: 312
    .language:       OpenCL C
    .language_version:
      - 2
      - 0
    .max_flat_workgroup_size: 256
    .name:           _ZN7rocprim17ROCPRIM_400000_NS6detail17trampoline_kernelINS0_14default_configENS1_27lower_bound_config_selectorIslEEZNS1_14transform_implILb0ES3_S5_N6thrust23THRUST_200600_302600_NS6detail15normal_iteratorINS8_7pointerIsNS8_11hip_rocprim5par_tENS8_11use_defaultESE_EEEENSA_INSB_IlSD_SE_SE_EEEEZNS1_13binary_searchIS3_S5_NSA_INS8_10device_ptrIsEEEESG_SI_NS1_21lower_bound_search_opENS9_16wrapped_functionINS8_6system6detail7generic6detail18binary_search_lessEbEEEE10hipError_tPvRmT1_T2_T3_mmT4_T5_P12ihipStream_tbEUlRKsE_EESV_SZ_S10_mS11_S14_bEUlT_E_NS1_11comp_targetILNS1_3genE2ELNS1_11target_archE906ELNS1_3gpuE6ELNS1_3repE0EEENS1_30default_config_static_selectorELNS0_4arch9wavefront6targetE1EEEvSY_
    .private_segment_fixed_size: 0
    .sgpr_count:     26
    .sgpr_spill_count: 0
    .symbol:         _ZN7rocprim17ROCPRIM_400000_NS6detail17trampoline_kernelINS0_14default_configENS1_27lower_bound_config_selectorIslEEZNS1_14transform_implILb0ES3_S5_N6thrust23THRUST_200600_302600_NS6detail15normal_iteratorINS8_7pointerIsNS8_11hip_rocprim5par_tENS8_11use_defaultESE_EEEENSA_INSB_IlSD_SE_SE_EEEEZNS1_13binary_searchIS3_S5_NSA_INS8_10device_ptrIsEEEESG_SI_NS1_21lower_bound_search_opENS9_16wrapped_functionINS8_6system6detail7generic6detail18binary_search_lessEbEEEE10hipError_tPvRmT1_T2_T3_mmT4_T5_P12ihipStream_tbEUlRKsE_EESV_SZ_S10_mS11_S14_bEUlT_E_NS1_11comp_targetILNS1_3genE2ELNS1_11target_archE906ELNS1_3gpuE6ELNS1_3repE0EEENS1_30default_config_static_selectorELNS0_4arch9wavefront6targetE1EEEvSY_.kd
    .uniform_work_group_size: 1
    .uses_dynamic_stack: false
    .vgpr_count:     18
    .vgpr_spill_count: 0
    .wavefront_size: 64
  - .args:
      - .offset:         0
        .size:           56
        .value_kind:     by_value
    .group_segment_fixed_size: 0
    .kernarg_segment_align: 8
    .kernarg_segment_size: 56
    .language:       OpenCL C
    .language_version:
      - 2
      - 0
    .max_flat_workgroup_size: 256
    .name:           _ZN7rocprim17ROCPRIM_400000_NS6detail17trampoline_kernelINS0_14default_configENS1_27lower_bound_config_selectorIslEEZNS1_14transform_implILb0ES3_S5_N6thrust23THRUST_200600_302600_NS6detail15normal_iteratorINS8_7pointerIsNS8_11hip_rocprim5par_tENS8_11use_defaultESE_EEEENSA_INSB_IlSD_SE_SE_EEEEZNS1_13binary_searchIS3_S5_NSA_INS8_10device_ptrIsEEEESG_SI_NS1_21lower_bound_search_opENS9_16wrapped_functionINS8_6system6detail7generic6detail18binary_search_lessEbEEEE10hipError_tPvRmT1_T2_T3_mmT4_T5_P12ihipStream_tbEUlRKsE_EESV_SZ_S10_mS11_S14_bEUlT_E_NS1_11comp_targetILNS1_3genE10ELNS1_11target_archE1201ELNS1_3gpuE5ELNS1_3repE0EEENS1_30default_config_static_selectorELNS0_4arch9wavefront6targetE1EEEvSY_
    .private_segment_fixed_size: 0
    .sgpr_count:     4
    .sgpr_spill_count: 0
    .symbol:         _ZN7rocprim17ROCPRIM_400000_NS6detail17trampoline_kernelINS0_14default_configENS1_27lower_bound_config_selectorIslEEZNS1_14transform_implILb0ES3_S5_N6thrust23THRUST_200600_302600_NS6detail15normal_iteratorINS8_7pointerIsNS8_11hip_rocprim5par_tENS8_11use_defaultESE_EEEENSA_INSB_IlSD_SE_SE_EEEEZNS1_13binary_searchIS3_S5_NSA_INS8_10device_ptrIsEEEESG_SI_NS1_21lower_bound_search_opENS9_16wrapped_functionINS8_6system6detail7generic6detail18binary_search_lessEbEEEE10hipError_tPvRmT1_T2_T3_mmT4_T5_P12ihipStream_tbEUlRKsE_EESV_SZ_S10_mS11_S14_bEUlT_E_NS1_11comp_targetILNS1_3genE10ELNS1_11target_archE1201ELNS1_3gpuE5ELNS1_3repE0EEENS1_30default_config_static_selectorELNS0_4arch9wavefront6targetE1EEEvSY_.kd
    .uniform_work_group_size: 1
    .uses_dynamic_stack: false
    .vgpr_count:     0
    .vgpr_spill_count: 0
    .wavefront_size: 64
  - .args:
      - .offset:         0
        .size:           56
        .value_kind:     by_value
    .group_segment_fixed_size: 0
    .kernarg_segment_align: 8
    .kernarg_segment_size: 56
    .language:       OpenCL C
    .language_version:
      - 2
      - 0
    .max_flat_workgroup_size: 256
    .name:           _ZN7rocprim17ROCPRIM_400000_NS6detail17trampoline_kernelINS0_14default_configENS1_27lower_bound_config_selectorIslEEZNS1_14transform_implILb0ES3_S5_N6thrust23THRUST_200600_302600_NS6detail15normal_iteratorINS8_7pointerIsNS8_11hip_rocprim5par_tENS8_11use_defaultESE_EEEENSA_INSB_IlSD_SE_SE_EEEEZNS1_13binary_searchIS3_S5_NSA_INS8_10device_ptrIsEEEESG_SI_NS1_21lower_bound_search_opENS9_16wrapped_functionINS8_6system6detail7generic6detail18binary_search_lessEbEEEE10hipError_tPvRmT1_T2_T3_mmT4_T5_P12ihipStream_tbEUlRKsE_EESV_SZ_S10_mS11_S14_bEUlT_E_NS1_11comp_targetILNS1_3genE10ELNS1_11target_archE1200ELNS1_3gpuE4ELNS1_3repE0EEENS1_30default_config_static_selectorELNS0_4arch9wavefront6targetE1EEEvSY_
    .private_segment_fixed_size: 0
    .sgpr_count:     4
    .sgpr_spill_count: 0
    .symbol:         _ZN7rocprim17ROCPRIM_400000_NS6detail17trampoline_kernelINS0_14default_configENS1_27lower_bound_config_selectorIslEEZNS1_14transform_implILb0ES3_S5_N6thrust23THRUST_200600_302600_NS6detail15normal_iteratorINS8_7pointerIsNS8_11hip_rocprim5par_tENS8_11use_defaultESE_EEEENSA_INSB_IlSD_SE_SE_EEEEZNS1_13binary_searchIS3_S5_NSA_INS8_10device_ptrIsEEEESG_SI_NS1_21lower_bound_search_opENS9_16wrapped_functionINS8_6system6detail7generic6detail18binary_search_lessEbEEEE10hipError_tPvRmT1_T2_T3_mmT4_T5_P12ihipStream_tbEUlRKsE_EESV_SZ_S10_mS11_S14_bEUlT_E_NS1_11comp_targetILNS1_3genE10ELNS1_11target_archE1200ELNS1_3gpuE4ELNS1_3repE0EEENS1_30default_config_static_selectorELNS0_4arch9wavefront6targetE1EEEvSY_.kd
    .uniform_work_group_size: 1
    .uses_dynamic_stack: false
    .vgpr_count:     0
    .vgpr_spill_count: 0
    .wavefront_size: 64
  - .args:
      - .offset:         0
        .size:           56
        .value_kind:     by_value
    .group_segment_fixed_size: 0
    .kernarg_segment_align: 8
    .kernarg_segment_size: 56
    .language:       OpenCL C
    .language_version:
      - 2
      - 0
    .max_flat_workgroup_size: 64
    .name:           _ZN7rocprim17ROCPRIM_400000_NS6detail17trampoline_kernelINS0_14default_configENS1_27lower_bound_config_selectorIslEEZNS1_14transform_implILb0ES3_S5_N6thrust23THRUST_200600_302600_NS6detail15normal_iteratorINS8_7pointerIsNS8_11hip_rocprim5par_tENS8_11use_defaultESE_EEEENSA_INSB_IlSD_SE_SE_EEEEZNS1_13binary_searchIS3_S5_NSA_INS8_10device_ptrIsEEEESG_SI_NS1_21lower_bound_search_opENS9_16wrapped_functionINS8_6system6detail7generic6detail18binary_search_lessEbEEEE10hipError_tPvRmT1_T2_T3_mmT4_T5_P12ihipStream_tbEUlRKsE_EESV_SZ_S10_mS11_S14_bEUlT_E_NS1_11comp_targetILNS1_3genE9ELNS1_11target_archE1100ELNS1_3gpuE3ELNS1_3repE0EEENS1_30default_config_static_selectorELNS0_4arch9wavefront6targetE1EEEvSY_
    .private_segment_fixed_size: 0
    .sgpr_count:     4
    .sgpr_spill_count: 0
    .symbol:         _ZN7rocprim17ROCPRIM_400000_NS6detail17trampoline_kernelINS0_14default_configENS1_27lower_bound_config_selectorIslEEZNS1_14transform_implILb0ES3_S5_N6thrust23THRUST_200600_302600_NS6detail15normal_iteratorINS8_7pointerIsNS8_11hip_rocprim5par_tENS8_11use_defaultESE_EEEENSA_INSB_IlSD_SE_SE_EEEEZNS1_13binary_searchIS3_S5_NSA_INS8_10device_ptrIsEEEESG_SI_NS1_21lower_bound_search_opENS9_16wrapped_functionINS8_6system6detail7generic6detail18binary_search_lessEbEEEE10hipError_tPvRmT1_T2_T3_mmT4_T5_P12ihipStream_tbEUlRKsE_EESV_SZ_S10_mS11_S14_bEUlT_E_NS1_11comp_targetILNS1_3genE9ELNS1_11target_archE1100ELNS1_3gpuE3ELNS1_3repE0EEENS1_30default_config_static_selectorELNS0_4arch9wavefront6targetE1EEEvSY_.kd
    .uniform_work_group_size: 1
    .uses_dynamic_stack: false
    .vgpr_count:     0
    .vgpr_spill_count: 0
    .wavefront_size: 64
  - .args:
      - .offset:         0
        .size:           56
        .value_kind:     by_value
    .group_segment_fixed_size: 0
    .kernarg_segment_align: 8
    .kernarg_segment_size: 56
    .language:       OpenCL C
    .language_version:
      - 2
      - 0
    .max_flat_workgroup_size: 128
    .name:           _ZN7rocprim17ROCPRIM_400000_NS6detail17trampoline_kernelINS0_14default_configENS1_27lower_bound_config_selectorIslEEZNS1_14transform_implILb0ES3_S5_N6thrust23THRUST_200600_302600_NS6detail15normal_iteratorINS8_7pointerIsNS8_11hip_rocprim5par_tENS8_11use_defaultESE_EEEENSA_INSB_IlSD_SE_SE_EEEEZNS1_13binary_searchIS3_S5_NSA_INS8_10device_ptrIsEEEESG_SI_NS1_21lower_bound_search_opENS9_16wrapped_functionINS8_6system6detail7generic6detail18binary_search_lessEbEEEE10hipError_tPvRmT1_T2_T3_mmT4_T5_P12ihipStream_tbEUlRKsE_EESV_SZ_S10_mS11_S14_bEUlT_E_NS1_11comp_targetILNS1_3genE8ELNS1_11target_archE1030ELNS1_3gpuE2ELNS1_3repE0EEENS1_30default_config_static_selectorELNS0_4arch9wavefront6targetE1EEEvSY_
    .private_segment_fixed_size: 0
    .sgpr_count:     4
    .sgpr_spill_count: 0
    .symbol:         _ZN7rocprim17ROCPRIM_400000_NS6detail17trampoline_kernelINS0_14default_configENS1_27lower_bound_config_selectorIslEEZNS1_14transform_implILb0ES3_S5_N6thrust23THRUST_200600_302600_NS6detail15normal_iteratorINS8_7pointerIsNS8_11hip_rocprim5par_tENS8_11use_defaultESE_EEEENSA_INSB_IlSD_SE_SE_EEEEZNS1_13binary_searchIS3_S5_NSA_INS8_10device_ptrIsEEEESG_SI_NS1_21lower_bound_search_opENS9_16wrapped_functionINS8_6system6detail7generic6detail18binary_search_lessEbEEEE10hipError_tPvRmT1_T2_T3_mmT4_T5_P12ihipStream_tbEUlRKsE_EESV_SZ_S10_mS11_S14_bEUlT_E_NS1_11comp_targetILNS1_3genE8ELNS1_11target_archE1030ELNS1_3gpuE2ELNS1_3repE0EEENS1_30default_config_static_selectorELNS0_4arch9wavefront6targetE1EEEvSY_.kd
    .uniform_work_group_size: 1
    .uses_dynamic_stack: false
    .vgpr_count:     0
    .vgpr_spill_count: 0
    .wavefront_size: 64
  - .args:
      - .offset:         0
        .size:           16
        .value_kind:     by_value
      - .offset:         16
        .size:           8
        .value_kind:     by_value
      - .offset:         24
        .size:           8
        .value_kind:     by_value
    .group_segment_fixed_size: 0
    .kernarg_segment_align: 8
    .kernarg_segment_size: 32
    .language:       OpenCL C
    .language_version:
      - 2
      - 0
    .max_flat_workgroup_size: 256
    .name:           _ZN6thrust23THRUST_200600_302600_NS11hip_rocprim14__parallel_for6kernelILj256ENS1_10for_each_fINS0_10device_ptrINS0_5tupleIiiNS0_9null_typeES7_S7_S7_S7_S7_S7_S7_EEEENS0_6detail16wrapped_functionINSA_23allocator_traits_detail24construct1_via_allocatorINS0_16device_allocatorIS8_EEEEvEEEEmLj1EEEvT0_T1_SK_
    .private_segment_fixed_size: 0
    .sgpr_count:     16
    .sgpr_spill_count: 0
    .symbol:         _ZN6thrust23THRUST_200600_302600_NS11hip_rocprim14__parallel_for6kernelILj256ENS1_10for_each_fINS0_10device_ptrINS0_5tupleIiiNS0_9null_typeES7_S7_S7_S7_S7_S7_S7_EEEENS0_6detail16wrapped_functionINSA_23allocator_traits_detail24construct1_via_allocatorINS0_16device_allocatorIS8_EEEEvEEEEmLj1EEEvT0_T1_SK_.kd
    .uniform_work_group_size: 1
    .uses_dynamic_stack: false
    .vgpr_count:     5
    .vgpr_spill_count: 0
    .wavefront_size: 64
  - .args:
      - .offset:         0
        .size:           16
        .value_kind:     by_value
      - .offset:         16
        .size:           8
        .value_kind:     by_value
      - .offset:         24
        .size:           8
        .value_kind:     by_value
    .group_segment_fixed_size: 0
    .kernarg_segment_align: 8
    .kernarg_segment_size: 32
    .language:       OpenCL C
    .language_version:
      - 2
      - 0
    .max_flat_workgroup_size: 256
    .name:           _ZN6thrust23THRUST_200600_302600_NS11hip_rocprim14__parallel_for6kernelILj256ENS1_10for_each_fINS0_10device_ptrINS0_5tupleIiiNS0_9null_typeES7_S7_S7_S7_S7_S7_S7_EEEENS0_6detail16wrapped_functionINSA_23allocator_traits_detail5gozerEvEEEElLj1EEEvT0_T1_SH_
    .private_segment_fixed_size: 0
    .sgpr_count:     4
    .sgpr_spill_count: 0
    .symbol:         _ZN6thrust23THRUST_200600_302600_NS11hip_rocprim14__parallel_for6kernelILj256ENS1_10for_each_fINS0_10device_ptrINS0_5tupleIiiNS0_9null_typeES7_S7_S7_S7_S7_S7_S7_EEEENS0_6detail16wrapped_functionINSA_23allocator_traits_detail5gozerEvEEEElLj1EEEvT0_T1_SH_.kd
    .uniform_work_group_size: 1
    .uses_dynamic_stack: false
    .vgpr_count:     0
    .vgpr_spill_count: 0
    .wavefront_size: 64
  - .args:
      - .offset:         0
        .size:           16
        .value_kind:     by_value
      - .offset:         16
        .size:           8
        .value_kind:     by_value
      - .offset:         24
        .size:           8
        .value_kind:     by_value
    .group_segment_fixed_size: 0
    .kernarg_segment_align: 8
    .kernarg_segment_size: 32
    .language:       OpenCL C
    .language_version:
      - 2
      - 0
    .max_flat_workgroup_size: 256
    .name:           _ZN6thrust23THRUST_200600_302600_NS11hip_rocprim14__parallel_for6kernelILj256ENS1_10for_each_fINS0_7pointerINS0_5tupleIiiNS0_9null_typeES7_S7_S7_S7_S7_S7_S7_EENS1_3tagENS0_11use_defaultESA_EENS0_6detail16wrapped_functionINSC_23allocator_traits_detail24construct1_via_allocatorINSC_18no_throw_allocatorINSC_19temporary_allocatorIS8_S9_EEEEEEvEEEEmLj1EEEvT0_T1_SO_
    .private_segment_fixed_size: 0
    .sgpr_count:     16
    .sgpr_spill_count: 0
    .symbol:         _ZN6thrust23THRUST_200600_302600_NS11hip_rocprim14__parallel_for6kernelILj256ENS1_10for_each_fINS0_7pointerINS0_5tupleIiiNS0_9null_typeES7_S7_S7_S7_S7_S7_S7_EENS1_3tagENS0_11use_defaultESA_EENS0_6detail16wrapped_functionINSC_23allocator_traits_detail24construct1_via_allocatorINSC_18no_throw_allocatorINSC_19temporary_allocatorIS8_S9_EEEEEEvEEEEmLj1EEEvT0_T1_SO_.kd
    .uniform_work_group_size: 1
    .uses_dynamic_stack: false
    .vgpr_count:     5
    .vgpr_spill_count: 0
    .wavefront_size: 64
  - .args:
      - .offset:         0
        .size:           16
        .value_kind:     by_value
      - .offset:         16
        .size:           8
        .value_kind:     by_value
      - .offset:         24
        .size:           8
        .value_kind:     by_value
    .group_segment_fixed_size: 0
    .kernarg_segment_align: 8
    .kernarg_segment_size: 32
    .language:       OpenCL C
    .language_version:
      - 2
      - 0
    .max_flat_workgroup_size: 256
    .name:           _ZN6thrust23THRUST_200600_302600_NS11hip_rocprim14__parallel_for6kernelILj256ENS1_10for_each_fINS0_7pointerINS0_5tupleIiiNS0_9null_typeES7_S7_S7_S7_S7_S7_S7_EENS1_3tagENS0_11use_defaultESA_EENS0_6detail16wrapped_functionINSC_23allocator_traits_detail5gozerEvEEEElLj1EEEvT0_T1_SJ_
    .private_segment_fixed_size: 0
    .sgpr_count:     4
    .sgpr_spill_count: 0
    .symbol:         _ZN6thrust23THRUST_200600_302600_NS11hip_rocprim14__parallel_for6kernelILj256ENS1_10for_each_fINS0_7pointerINS0_5tupleIiiNS0_9null_typeES7_S7_S7_S7_S7_S7_S7_EENS1_3tagENS0_11use_defaultESA_EENS0_6detail16wrapped_functionINSC_23allocator_traits_detail5gozerEvEEEElLj1EEEvT0_T1_SJ_.kd
    .uniform_work_group_size: 1
    .uses_dynamic_stack: false
    .vgpr_count:     0
    .vgpr_spill_count: 0
    .wavefront_size: 64
  - .args:
      - .offset:         0
        .size:           24
        .value_kind:     by_value
      - .offset:         24
        .size:           8
        .value_kind:     by_value
      - .offset:         32
        .size:           8
        .value_kind:     by_value
    .group_segment_fixed_size: 0
    .kernarg_segment_align: 8
    .kernarg_segment_size: 40
    .language:       OpenCL C
    .language_version:
      - 2
      - 0
    .max_flat_workgroup_size: 256
    .name:           _ZN6thrust23THRUST_200600_302600_NS11hip_rocprim14__parallel_for6kernelILj256ENS1_11__transform17unary_transform_fINS0_7pointerINS0_5tupleIiiNS0_9null_typeES8_S8_S8_S8_S8_S8_S8_EENS1_3tagENS0_11use_defaultESB_EENS0_10device_ptrIS9_EENS4_14no_stencil_tagENS0_8identityIS9_EENS4_21always_true_predicateEEElLj1EEEvT0_T1_SL_
    .private_segment_fixed_size: 0
    .sgpr_count:     14
    .sgpr_spill_count: 0
    .symbol:         _ZN6thrust23THRUST_200600_302600_NS11hip_rocprim14__parallel_for6kernelILj256ENS1_11__transform17unary_transform_fINS0_7pointerINS0_5tupleIiiNS0_9null_typeES8_S8_S8_S8_S8_S8_S8_EENS1_3tagENS0_11use_defaultESB_EENS0_10device_ptrIS9_EENS4_14no_stencil_tagENS0_8identityIS9_EENS4_21always_true_predicateEEElLj1EEEvT0_T1_SL_.kd
    .uniform_work_group_size: 1
    .uses_dynamic_stack: false
    .vgpr_count:     6
    .vgpr_spill_count: 0
    .wavefront_size: 64
  - .args:
      - .offset:         0
        .size:           16
        .value_kind:     by_value
      - .offset:         16
        .size:           8
        .value_kind:     by_value
      - .offset:         24
        .size:           8
        .value_kind:     by_value
    .group_segment_fixed_size: 0
    .kernarg_segment_align: 8
    .kernarg_segment_size: 32
    .language:       OpenCL C
    .language_version:
      - 2
      - 0
    .max_flat_workgroup_size: 256
    .name:           _ZN6thrust23THRUST_200600_302600_NS11hip_rocprim14__parallel_for6kernelILj256ENS1_20__uninitialized_copy7functorINS0_7pointerINS0_5tupleIiiNS0_9null_typeES8_S8_S8_S8_S8_S8_S8_EENS1_3tagENS0_11use_defaultESB_EESC_EEmLj1EEEvT0_T1_SF_
    .private_segment_fixed_size: 0
    .sgpr_count:     20
    .sgpr_spill_count: 0
    .symbol:         _ZN6thrust23THRUST_200600_302600_NS11hip_rocprim14__parallel_for6kernelILj256ENS1_20__uninitialized_copy7functorINS0_7pointerINS0_5tupleIiiNS0_9null_typeES8_S8_S8_S8_S8_S8_S8_EENS1_3tagENS0_11use_defaultESB_EESC_EEmLj1EEEvT0_T1_SF_.kd
    .uniform_work_group_size: 1
    .uses_dynamic_stack: false
    .vgpr_count:     6
    .vgpr_spill_count: 0
    .wavefront_size: 64
  - .args:
      - .offset:         0
        .size:           16
        .value_kind:     by_value
      - .offset:         16
        .size:           8
        .value_kind:     by_value
      - .offset:         24
        .size:           8
        .value_kind:     by_value
    .group_segment_fixed_size: 0
    .kernarg_segment_align: 8
    .kernarg_segment_size: 32
    .language:       OpenCL C
    .language_version:
      - 2
      - 0
    .max_flat_workgroup_size: 256
    .name:           _ZN6thrust23THRUST_200600_302600_NS11hip_rocprim14__parallel_for6kernelILj256ENS1_10for_each_fINS0_7pointerINS0_5tupleIiiNS0_9null_typeES7_S7_S7_S7_S7_S7_S7_EENS1_5par_tENS0_11use_defaultESA_EENS0_6detail16wrapped_functionINSC_23allocator_traits_detail24construct1_via_allocatorINSC_18no_throw_allocatorINSC_19temporary_allocatorIS8_S9_EEEEEEvEEEEmLj1EEEvT0_T1_SO_
    .private_segment_fixed_size: 0
    .sgpr_count:     16
    .sgpr_spill_count: 0
    .symbol:         _ZN6thrust23THRUST_200600_302600_NS11hip_rocprim14__parallel_for6kernelILj256ENS1_10for_each_fINS0_7pointerINS0_5tupleIiiNS0_9null_typeES7_S7_S7_S7_S7_S7_S7_EENS1_5par_tENS0_11use_defaultESA_EENS0_6detail16wrapped_functionINSC_23allocator_traits_detail24construct1_via_allocatorINSC_18no_throw_allocatorINSC_19temporary_allocatorIS8_S9_EEEEEEvEEEEmLj1EEEvT0_T1_SO_.kd
    .uniform_work_group_size: 1
    .uses_dynamic_stack: false
    .vgpr_count:     5
    .vgpr_spill_count: 0
    .wavefront_size: 64
  - .args:
      - .offset:         0
        .size:           16
        .value_kind:     by_value
      - .offset:         16
        .size:           8
        .value_kind:     by_value
      - .offset:         24
        .size:           8
        .value_kind:     by_value
    .group_segment_fixed_size: 0
    .kernarg_segment_align: 8
    .kernarg_segment_size: 32
    .language:       OpenCL C
    .language_version:
      - 2
      - 0
    .max_flat_workgroup_size: 256
    .name:           _ZN6thrust23THRUST_200600_302600_NS11hip_rocprim14__parallel_for6kernelILj256ENS1_10for_each_fINS0_7pointerINS0_5tupleIiiNS0_9null_typeES7_S7_S7_S7_S7_S7_S7_EENS1_5par_tENS0_11use_defaultESA_EENS0_6detail16wrapped_functionINSC_23allocator_traits_detail5gozerEvEEEElLj1EEEvT0_T1_SJ_
    .private_segment_fixed_size: 0
    .sgpr_count:     4
    .sgpr_spill_count: 0
    .symbol:         _ZN6thrust23THRUST_200600_302600_NS11hip_rocprim14__parallel_for6kernelILj256ENS1_10for_each_fINS0_7pointerINS0_5tupleIiiNS0_9null_typeES7_S7_S7_S7_S7_S7_S7_EENS1_5par_tENS0_11use_defaultESA_EENS0_6detail16wrapped_functionINSC_23allocator_traits_detail5gozerEvEEEElLj1EEEvT0_T1_SJ_.kd
    .uniform_work_group_size: 1
    .uses_dynamic_stack: false
    .vgpr_count:     0
    .vgpr_spill_count: 0
    .wavefront_size: 64
  - .args:
      - .offset:         0
        .size:           24
        .value_kind:     by_value
      - .offset:         24
        .size:           8
        .value_kind:     by_value
      - .offset:         32
        .size:           8
        .value_kind:     by_value
    .group_segment_fixed_size: 0
    .kernarg_segment_align: 8
    .kernarg_segment_size: 40
    .language:       OpenCL C
    .language_version:
      - 2
      - 0
    .max_flat_workgroup_size: 256
    .name:           _ZN6thrust23THRUST_200600_302600_NS11hip_rocprim14__parallel_for6kernelILj256ENS1_11__transform17unary_transform_fINS0_7pointerINS0_5tupleIiiNS0_9null_typeES8_S8_S8_S8_S8_S8_S8_EENS1_5par_tENS0_11use_defaultESB_EENS0_6detail15normal_iteratorISC_EENS4_14no_stencil_tagENS0_8identityIS9_EENS4_21always_true_predicateEEElLj1EEEvT0_T1_SM_
    .private_segment_fixed_size: 0
    .sgpr_count:     14
    .sgpr_spill_count: 0
    .symbol:         _ZN6thrust23THRUST_200600_302600_NS11hip_rocprim14__parallel_for6kernelILj256ENS1_11__transform17unary_transform_fINS0_7pointerINS0_5tupleIiiNS0_9null_typeES8_S8_S8_S8_S8_S8_S8_EENS1_5par_tENS0_11use_defaultESB_EENS0_6detail15normal_iteratorISC_EENS4_14no_stencil_tagENS0_8identityIS9_EENS4_21always_true_predicateEEElLj1EEEvT0_T1_SM_.kd
    .uniform_work_group_size: 1
    .uses_dynamic_stack: false
    .vgpr_count:     6
    .vgpr_spill_count: 0
    .wavefront_size: 64
  - .args:
      - .offset:         0
        .size:           24
        .value_kind:     by_value
      - .offset:         24
        .size:           8
        .value_kind:     by_value
      - .offset:         32
        .size:           8
        .value_kind:     by_value
    .group_segment_fixed_size: 0
    .kernarg_segment_align: 8
    .kernarg_segment_size: 40
    .language:       OpenCL C
    .language_version:
      - 2
      - 0
    .max_flat_workgroup_size: 256
    .name:           _ZN6thrust23THRUST_200600_302600_NS11hip_rocprim14__parallel_for6kernelILj256ENS1_11__transform17unary_transform_fINS0_7pointerINS0_5tupleIiiNS0_9null_typeES8_S8_S8_S8_S8_S8_S8_EENS1_5par_tENS0_11use_defaultESB_EESC_NS4_14no_stencil_tagENS0_8identityIS9_EENS4_21always_true_predicateEEElLj1EEEvT0_T1_SJ_
    .private_segment_fixed_size: 0
    .sgpr_count:     14
    .sgpr_spill_count: 0
    .symbol:         _ZN6thrust23THRUST_200600_302600_NS11hip_rocprim14__parallel_for6kernelILj256ENS1_11__transform17unary_transform_fINS0_7pointerINS0_5tupleIiiNS0_9null_typeES8_S8_S8_S8_S8_S8_S8_EENS1_5par_tENS0_11use_defaultESB_EESC_NS4_14no_stencil_tagENS0_8identityIS9_EENS4_21always_true_predicateEEElLj1EEEvT0_T1_SJ_.kd
    .uniform_work_group_size: 1
    .uses_dynamic_stack: false
    .vgpr_count:     6
    .vgpr_spill_count: 0
    .wavefront_size: 64
  - .args:
      - .offset:         0
        .size:           56
        .value_kind:     by_value
    .group_segment_fixed_size: 0
    .kernarg_segment_align: 8
    .kernarg_segment_size: 56
    .language:       OpenCL C
    .language_version:
      - 2
      - 0
    .max_flat_workgroup_size: 128
    .name:           _ZN7rocprim17ROCPRIM_400000_NS6detail17trampoline_kernelINS0_14default_configENS1_27lower_bound_config_selectorIN6thrust23THRUST_200600_302600_NS5tupleIiiNS6_9null_typeES8_S8_S8_S8_S8_S8_S8_EElEEZNS1_14transform_implILb0ES3_SA_NS6_6detail15normal_iteratorINS6_7pointerIS9_NS6_11hip_rocprim5par_tENS6_11use_defaultESH_EEEENSD_INSE_IlSG_SH_SH_EEEEZNS1_13binary_searchIS3_SA_NSD_INS6_10device_ptrIS9_EEEESJ_SL_NS1_21lower_bound_search_opENSC_16wrapped_functionINS6_6system6detail7generic6detail18binary_search_lessEbEEEE10hipError_tPvRmT1_T2_T3_mmT4_T5_P12ihipStream_tbEUlRKS9_E_EESY_S12_S13_mS14_S17_bEUlT_E_NS1_11comp_targetILNS1_3genE0ELNS1_11target_archE4294967295ELNS1_3gpuE0ELNS1_3repE0EEENS1_30default_config_static_selectorELNS0_4arch9wavefront6targetE1EEEvS11_
    .private_segment_fixed_size: 0
    .sgpr_count:     4
    .sgpr_spill_count: 0
    .symbol:         _ZN7rocprim17ROCPRIM_400000_NS6detail17trampoline_kernelINS0_14default_configENS1_27lower_bound_config_selectorIN6thrust23THRUST_200600_302600_NS5tupleIiiNS6_9null_typeES8_S8_S8_S8_S8_S8_S8_EElEEZNS1_14transform_implILb0ES3_SA_NS6_6detail15normal_iteratorINS6_7pointerIS9_NS6_11hip_rocprim5par_tENS6_11use_defaultESH_EEEENSD_INSE_IlSG_SH_SH_EEEEZNS1_13binary_searchIS3_SA_NSD_INS6_10device_ptrIS9_EEEESJ_SL_NS1_21lower_bound_search_opENSC_16wrapped_functionINS6_6system6detail7generic6detail18binary_search_lessEbEEEE10hipError_tPvRmT1_T2_T3_mmT4_T5_P12ihipStream_tbEUlRKS9_E_EESY_S12_S13_mS14_S17_bEUlT_E_NS1_11comp_targetILNS1_3genE0ELNS1_11target_archE4294967295ELNS1_3gpuE0ELNS1_3repE0EEENS1_30default_config_static_selectorELNS0_4arch9wavefront6targetE1EEEvS11_.kd
    .uniform_work_group_size: 1
    .uses_dynamic_stack: false
    .vgpr_count:     0
    .vgpr_spill_count: 0
    .wavefront_size: 64
  - .args:
      - .offset:         0
        .size:           56
        .value_kind:     by_value
    .group_segment_fixed_size: 0
    .kernarg_segment_align: 8
    .kernarg_segment_size: 56
    .language:       OpenCL C
    .language_version:
      - 2
      - 0
    .max_flat_workgroup_size: 64
    .name:           _ZN7rocprim17ROCPRIM_400000_NS6detail17trampoline_kernelINS0_14default_configENS1_27lower_bound_config_selectorIN6thrust23THRUST_200600_302600_NS5tupleIiiNS6_9null_typeES8_S8_S8_S8_S8_S8_S8_EElEEZNS1_14transform_implILb0ES3_SA_NS6_6detail15normal_iteratorINS6_7pointerIS9_NS6_11hip_rocprim5par_tENS6_11use_defaultESH_EEEENSD_INSE_IlSG_SH_SH_EEEEZNS1_13binary_searchIS3_SA_NSD_INS6_10device_ptrIS9_EEEESJ_SL_NS1_21lower_bound_search_opENSC_16wrapped_functionINS6_6system6detail7generic6detail18binary_search_lessEbEEEE10hipError_tPvRmT1_T2_T3_mmT4_T5_P12ihipStream_tbEUlRKS9_E_EESY_S12_S13_mS14_S17_bEUlT_E_NS1_11comp_targetILNS1_3genE5ELNS1_11target_archE942ELNS1_3gpuE9ELNS1_3repE0EEENS1_30default_config_static_selectorELNS0_4arch9wavefront6targetE1EEEvS11_
    .private_segment_fixed_size: 0
    .sgpr_count:     4
    .sgpr_spill_count: 0
    .symbol:         _ZN7rocprim17ROCPRIM_400000_NS6detail17trampoline_kernelINS0_14default_configENS1_27lower_bound_config_selectorIN6thrust23THRUST_200600_302600_NS5tupleIiiNS6_9null_typeES8_S8_S8_S8_S8_S8_S8_EElEEZNS1_14transform_implILb0ES3_SA_NS6_6detail15normal_iteratorINS6_7pointerIS9_NS6_11hip_rocprim5par_tENS6_11use_defaultESH_EEEENSD_INSE_IlSG_SH_SH_EEEEZNS1_13binary_searchIS3_SA_NSD_INS6_10device_ptrIS9_EEEESJ_SL_NS1_21lower_bound_search_opENSC_16wrapped_functionINS6_6system6detail7generic6detail18binary_search_lessEbEEEE10hipError_tPvRmT1_T2_T3_mmT4_T5_P12ihipStream_tbEUlRKS9_E_EESY_S12_S13_mS14_S17_bEUlT_E_NS1_11comp_targetILNS1_3genE5ELNS1_11target_archE942ELNS1_3gpuE9ELNS1_3repE0EEENS1_30default_config_static_selectorELNS0_4arch9wavefront6targetE1EEEvS11_.kd
    .uniform_work_group_size: 1
    .uses_dynamic_stack: false
    .vgpr_count:     0
    .vgpr_spill_count: 0
    .wavefront_size: 64
  - .args:
      - .offset:         0
        .size:           56
        .value_kind:     by_value
    .group_segment_fixed_size: 0
    .kernarg_segment_align: 8
    .kernarg_segment_size: 56
    .language:       OpenCL C
    .language_version:
      - 2
      - 0
    .max_flat_workgroup_size: 64
    .name:           _ZN7rocprim17ROCPRIM_400000_NS6detail17trampoline_kernelINS0_14default_configENS1_27lower_bound_config_selectorIN6thrust23THRUST_200600_302600_NS5tupleIiiNS6_9null_typeES8_S8_S8_S8_S8_S8_S8_EElEEZNS1_14transform_implILb0ES3_SA_NS6_6detail15normal_iteratorINS6_7pointerIS9_NS6_11hip_rocprim5par_tENS6_11use_defaultESH_EEEENSD_INSE_IlSG_SH_SH_EEEEZNS1_13binary_searchIS3_SA_NSD_INS6_10device_ptrIS9_EEEESJ_SL_NS1_21lower_bound_search_opENSC_16wrapped_functionINS6_6system6detail7generic6detail18binary_search_lessEbEEEE10hipError_tPvRmT1_T2_T3_mmT4_T5_P12ihipStream_tbEUlRKS9_E_EESY_S12_S13_mS14_S17_bEUlT_E_NS1_11comp_targetILNS1_3genE4ELNS1_11target_archE910ELNS1_3gpuE8ELNS1_3repE0EEENS1_30default_config_static_selectorELNS0_4arch9wavefront6targetE1EEEvS11_
    .private_segment_fixed_size: 0
    .sgpr_count:     4
    .sgpr_spill_count: 0
    .symbol:         _ZN7rocprim17ROCPRIM_400000_NS6detail17trampoline_kernelINS0_14default_configENS1_27lower_bound_config_selectorIN6thrust23THRUST_200600_302600_NS5tupleIiiNS6_9null_typeES8_S8_S8_S8_S8_S8_S8_EElEEZNS1_14transform_implILb0ES3_SA_NS6_6detail15normal_iteratorINS6_7pointerIS9_NS6_11hip_rocprim5par_tENS6_11use_defaultESH_EEEENSD_INSE_IlSG_SH_SH_EEEEZNS1_13binary_searchIS3_SA_NSD_INS6_10device_ptrIS9_EEEESJ_SL_NS1_21lower_bound_search_opENSC_16wrapped_functionINS6_6system6detail7generic6detail18binary_search_lessEbEEEE10hipError_tPvRmT1_T2_T3_mmT4_T5_P12ihipStream_tbEUlRKS9_E_EESY_S12_S13_mS14_S17_bEUlT_E_NS1_11comp_targetILNS1_3genE4ELNS1_11target_archE910ELNS1_3gpuE8ELNS1_3repE0EEENS1_30default_config_static_selectorELNS0_4arch9wavefront6targetE1EEEvS11_.kd
    .uniform_work_group_size: 1
    .uses_dynamic_stack: false
    .vgpr_count:     0
    .vgpr_spill_count: 0
    .wavefront_size: 64
  - .args:
      - .offset:         0
        .size:           56
        .value_kind:     by_value
    .group_segment_fixed_size: 0
    .kernarg_segment_align: 8
    .kernarg_segment_size: 56
    .language:       OpenCL C
    .language_version:
      - 2
      - 0
    .max_flat_workgroup_size: 128
    .name:           _ZN7rocprim17ROCPRIM_400000_NS6detail17trampoline_kernelINS0_14default_configENS1_27lower_bound_config_selectorIN6thrust23THRUST_200600_302600_NS5tupleIiiNS6_9null_typeES8_S8_S8_S8_S8_S8_S8_EElEEZNS1_14transform_implILb0ES3_SA_NS6_6detail15normal_iteratorINS6_7pointerIS9_NS6_11hip_rocprim5par_tENS6_11use_defaultESH_EEEENSD_INSE_IlSG_SH_SH_EEEEZNS1_13binary_searchIS3_SA_NSD_INS6_10device_ptrIS9_EEEESJ_SL_NS1_21lower_bound_search_opENSC_16wrapped_functionINS6_6system6detail7generic6detail18binary_search_lessEbEEEE10hipError_tPvRmT1_T2_T3_mmT4_T5_P12ihipStream_tbEUlRKS9_E_EESY_S12_S13_mS14_S17_bEUlT_E_NS1_11comp_targetILNS1_3genE3ELNS1_11target_archE908ELNS1_3gpuE7ELNS1_3repE0EEENS1_30default_config_static_selectorELNS0_4arch9wavefront6targetE1EEEvS11_
    .private_segment_fixed_size: 0
    .sgpr_count:     4
    .sgpr_spill_count: 0
    .symbol:         _ZN7rocprim17ROCPRIM_400000_NS6detail17trampoline_kernelINS0_14default_configENS1_27lower_bound_config_selectorIN6thrust23THRUST_200600_302600_NS5tupleIiiNS6_9null_typeES8_S8_S8_S8_S8_S8_S8_EElEEZNS1_14transform_implILb0ES3_SA_NS6_6detail15normal_iteratorINS6_7pointerIS9_NS6_11hip_rocprim5par_tENS6_11use_defaultESH_EEEENSD_INSE_IlSG_SH_SH_EEEEZNS1_13binary_searchIS3_SA_NSD_INS6_10device_ptrIS9_EEEESJ_SL_NS1_21lower_bound_search_opENSC_16wrapped_functionINS6_6system6detail7generic6detail18binary_search_lessEbEEEE10hipError_tPvRmT1_T2_T3_mmT4_T5_P12ihipStream_tbEUlRKS9_E_EESY_S12_S13_mS14_S17_bEUlT_E_NS1_11comp_targetILNS1_3genE3ELNS1_11target_archE908ELNS1_3gpuE7ELNS1_3repE0EEENS1_30default_config_static_selectorELNS0_4arch9wavefront6targetE1EEEvS11_.kd
    .uniform_work_group_size: 1
    .uses_dynamic_stack: false
    .vgpr_count:     0
    .vgpr_spill_count: 0
    .wavefront_size: 64
  - .args:
      - .offset:         0
        .size:           56
        .value_kind:     by_value
      - .offset:         56
        .size:           4
        .value_kind:     hidden_block_count_x
      - .offset:         60
        .size:           4
        .value_kind:     hidden_block_count_y
      - .offset:         64
        .size:           4
        .value_kind:     hidden_block_count_z
      - .offset:         68
        .size:           2
        .value_kind:     hidden_group_size_x
      - .offset:         70
        .size:           2
        .value_kind:     hidden_group_size_y
      - .offset:         72
        .size:           2
        .value_kind:     hidden_group_size_z
      - .offset:         74
        .size:           2
        .value_kind:     hidden_remainder_x
      - .offset:         76
        .size:           2
        .value_kind:     hidden_remainder_y
      - .offset:         78
        .size:           2
        .value_kind:     hidden_remainder_z
      - .offset:         96
        .size:           8
        .value_kind:     hidden_global_offset_x
      - .offset:         104
        .size:           8
        .value_kind:     hidden_global_offset_y
      - .offset:         112
        .size:           8
        .value_kind:     hidden_global_offset_z
      - .offset:         120
        .size:           2
        .value_kind:     hidden_grid_dims
    .group_segment_fixed_size: 0
    .kernarg_segment_align: 8
    .kernarg_segment_size: 312
    .language:       OpenCL C
    .language_version:
      - 2
      - 0
    .max_flat_workgroup_size: 256
    .name:           _ZN7rocprim17ROCPRIM_400000_NS6detail17trampoline_kernelINS0_14default_configENS1_27lower_bound_config_selectorIN6thrust23THRUST_200600_302600_NS5tupleIiiNS6_9null_typeES8_S8_S8_S8_S8_S8_S8_EElEEZNS1_14transform_implILb0ES3_SA_NS6_6detail15normal_iteratorINS6_7pointerIS9_NS6_11hip_rocprim5par_tENS6_11use_defaultESH_EEEENSD_INSE_IlSG_SH_SH_EEEEZNS1_13binary_searchIS3_SA_NSD_INS6_10device_ptrIS9_EEEESJ_SL_NS1_21lower_bound_search_opENSC_16wrapped_functionINS6_6system6detail7generic6detail18binary_search_lessEbEEEE10hipError_tPvRmT1_T2_T3_mmT4_T5_P12ihipStream_tbEUlRKS9_E_EESY_S12_S13_mS14_S17_bEUlT_E_NS1_11comp_targetILNS1_3genE2ELNS1_11target_archE906ELNS1_3gpuE6ELNS1_3repE0EEENS1_30default_config_static_selectorELNS0_4arch9wavefront6targetE1EEEvS11_
    .private_segment_fixed_size: 0
    .sgpr_count:     22
    .sgpr_spill_count: 0
    .symbol:         _ZN7rocprim17ROCPRIM_400000_NS6detail17trampoline_kernelINS0_14default_configENS1_27lower_bound_config_selectorIN6thrust23THRUST_200600_302600_NS5tupleIiiNS6_9null_typeES8_S8_S8_S8_S8_S8_S8_EElEEZNS1_14transform_implILb0ES3_SA_NS6_6detail15normal_iteratorINS6_7pointerIS9_NS6_11hip_rocprim5par_tENS6_11use_defaultESH_EEEENSD_INSE_IlSG_SH_SH_EEEEZNS1_13binary_searchIS3_SA_NSD_INS6_10device_ptrIS9_EEEESJ_SL_NS1_21lower_bound_search_opENSC_16wrapped_functionINS6_6system6detail7generic6detail18binary_search_lessEbEEEE10hipError_tPvRmT1_T2_T3_mmT4_T5_P12ihipStream_tbEUlRKS9_E_EESY_S12_S13_mS14_S17_bEUlT_E_NS1_11comp_targetILNS1_3genE2ELNS1_11target_archE906ELNS1_3gpuE6ELNS1_3repE0EEENS1_30default_config_static_selectorELNS0_4arch9wavefront6targetE1EEEvS11_.kd
    .uniform_work_group_size: 1
    .uses_dynamic_stack: false
    .vgpr_count:     14
    .vgpr_spill_count: 0
    .wavefront_size: 64
  - .args:
      - .offset:         0
        .size:           16
        .value_kind:     by_value
      - .offset:         16
        .size:           8
        .value_kind:     by_value
      - .offset:         24
        .size:           8
        .value_kind:     by_value
    .group_segment_fixed_size: 0
    .kernarg_segment_align: 8
    .kernarg_segment_size: 32
    .language:       OpenCL C
    .language_version:
      - 2
      - 0
    .max_flat_workgroup_size: 256
    .name:           _ZN6thrust23THRUST_200600_302600_NS11hip_rocprim14__parallel_for6kernelILj256ENS1_20__uninitialized_copy7functorINS0_7pointerINS0_5tupleIiiNS0_9null_typeES8_S8_S8_S8_S8_S8_S8_EENS1_5par_tENS0_11use_defaultESB_EESC_EEmLj1EEEvT0_T1_SF_
    .private_segment_fixed_size: 0
    .sgpr_count:     20
    .sgpr_spill_count: 0
    .symbol:         _ZN6thrust23THRUST_200600_302600_NS11hip_rocprim14__parallel_for6kernelILj256ENS1_20__uninitialized_copy7functorINS0_7pointerINS0_5tupleIiiNS0_9null_typeES8_S8_S8_S8_S8_S8_S8_EENS1_5par_tENS0_11use_defaultESB_EESC_EEmLj1EEEvT0_T1_SF_.kd
    .uniform_work_group_size: 1
    .uses_dynamic_stack: false
    .vgpr_count:     6
    .vgpr_spill_count: 0
    .wavefront_size: 64
  - .args:
      - .offset:         0
        .size:           56
        .value_kind:     by_value
    .group_segment_fixed_size: 0
    .kernarg_segment_align: 8
    .kernarg_segment_size: 56
    .language:       OpenCL C
    .language_version:
      - 2
      - 0
    .max_flat_workgroup_size: 128
    .name:           _ZN7rocprim17ROCPRIM_400000_NS6detail17trampoline_kernelINS0_14default_configENS1_27lower_bound_config_selectorIN6thrust23THRUST_200600_302600_NS5tupleIiiNS6_9null_typeES8_S8_S8_S8_S8_S8_S8_EElEEZNS1_14transform_implILb0ES3_SA_NS6_6detail15normal_iteratorINS6_7pointerIS9_NS6_11hip_rocprim5par_tENS6_11use_defaultESH_EEEENSD_INSE_IlSG_SH_SH_EEEEZNS1_13binary_searchIS3_SA_NSD_INS6_10device_ptrIS9_EEEESJ_SL_NS1_21lower_bound_search_opENSC_16wrapped_functionINS6_6system6detail7generic6detail18binary_search_lessEbEEEE10hipError_tPvRmT1_T2_T3_mmT4_T5_P12ihipStream_tbEUlRKS9_E_EESY_S12_S13_mS14_S17_bEUlT_E_NS1_11comp_targetILNS1_3genE10ELNS1_11target_archE1201ELNS1_3gpuE5ELNS1_3repE0EEENS1_30default_config_static_selectorELNS0_4arch9wavefront6targetE1EEEvS11_
    .private_segment_fixed_size: 0
    .sgpr_count:     4
    .sgpr_spill_count: 0
    .symbol:         _ZN7rocprim17ROCPRIM_400000_NS6detail17trampoline_kernelINS0_14default_configENS1_27lower_bound_config_selectorIN6thrust23THRUST_200600_302600_NS5tupleIiiNS6_9null_typeES8_S8_S8_S8_S8_S8_S8_EElEEZNS1_14transform_implILb0ES3_SA_NS6_6detail15normal_iteratorINS6_7pointerIS9_NS6_11hip_rocprim5par_tENS6_11use_defaultESH_EEEENSD_INSE_IlSG_SH_SH_EEEEZNS1_13binary_searchIS3_SA_NSD_INS6_10device_ptrIS9_EEEESJ_SL_NS1_21lower_bound_search_opENSC_16wrapped_functionINS6_6system6detail7generic6detail18binary_search_lessEbEEEE10hipError_tPvRmT1_T2_T3_mmT4_T5_P12ihipStream_tbEUlRKS9_E_EESY_S12_S13_mS14_S17_bEUlT_E_NS1_11comp_targetILNS1_3genE10ELNS1_11target_archE1201ELNS1_3gpuE5ELNS1_3repE0EEENS1_30default_config_static_selectorELNS0_4arch9wavefront6targetE1EEEvS11_.kd
    .uniform_work_group_size: 1
    .uses_dynamic_stack: false
    .vgpr_count:     0
    .vgpr_spill_count: 0
    .wavefront_size: 64
  - .args:
      - .offset:         0
        .size:           56
        .value_kind:     by_value
    .group_segment_fixed_size: 0
    .kernarg_segment_align: 8
    .kernarg_segment_size: 56
    .language:       OpenCL C
    .language_version:
      - 2
      - 0
    .max_flat_workgroup_size: 128
    .name:           _ZN7rocprim17ROCPRIM_400000_NS6detail17trampoline_kernelINS0_14default_configENS1_27lower_bound_config_selectorIN6thrust23THRUST_200600_302600_NS5tupleIiiNS6_9null_typeES8_S8_S8_S8_S8_S8_S8_EElEEZNS1_14transform_implILb0ES3_SA_NS6_6detail15normal_iteratorINS6_7pointerIS9_NS6_11hip_rocprim5par_tENS6_11use_defaultESH_EEEENSD_INSE_IlSG_SH_SH_EEEEZNS1_13binary_searchIS3_SA_NSD_INS6_10device_ptrIS9_EEEESJ_SL_NS1_21lower_bound_search_opENSC_16wrapped_functionINS6_6system6detail7generic6detail18binary_search_lessEbEEEE10hipError_tPvRmT1_T2_T3_mmT4_T5_P12ihipStream_tbEUlRKS9_E_EESY_S12_S13_mS14_S17_bEUlT_E_NS1_11comp_targetILNS1_3genE10ELNS1_11target_archE1200ELNS1_3gpuE4ELNS1_3repE0EEENS1_30default_config_static_selectorELNS0_4arch9wavefront6targetE1EEEvS11_
    .private_segment_fixed_size: 0
    .sgpr_count:     4
    .sgpr_spill_count: 0
    .symbol:         _ZN7rocprim17ROCPRIM_400000_NS6detail17trampoline_kernelINS0_14default_configENS1_27lower_bound_config_selectorIN6thrust23THRUST_200600_302600_NS5tupleIiiNS6_9null_typeES8_S8_S8_S8_S8_S8_S8_EElEEZNS1_14transform_implILb0ES3_SA_NS6_6detail15normal_iteratorINS6_7pointerIS9_NS6_11hip_rocprim5par_tENS6_11use_defaultESH_EEEENSD_INSE_IlSG_SH_SH_EEEEZNS1_13binary_searchIS3_SA_NSD_INS6_10device_ptrIS9_EEEESJ_SL_NS1_21lower_bound_search_opENSC_16wrapped_functionINS6_6system6detail7generic6detail18binary_search_lessEbEEEE10hipError_tPvRmT1_T2_T3_mmT4_T5_P12ihipStream_tbEUlRKS9_E_EESY_S12_S13_mS14_S17_bEUlT_E_NS1_11comp_targetILNS1_3genE10ELNS1_11target_archE1200ELNS1_3gpuE4ELNS1_3repE0EEENS1_30default_config_static_selectorELNS0_4arch9wavefront6targetE1EEEvS11_.kd
    .uniform_work_group_size: 1
    .uses_dynamic_stack: false
    .vgpr_count:     0
    .vgpr_spill_count: 0
    .wavefront_size: 64
  - .args:
      - .offset:         0
        .size:           56
        .value_kind:     by_value
    .group_segment_fixed_size: 0
    .kernarg_segment_align: 8
    .kernarg_segment_size: 56
    .language:       OpenCL C
    .language_version:
      - 2
      - 0
    .max_flat_workgroup_size: 256
    .name:           _ZN7rocprim17ROCPRIM_400000_NS6detail17trampoline_kernelINS0_14default_configENS1_27lower_bound_config_selectorIN6thrust23THRUST_200600_302600_NS5tupleIiiNS6_9null_typeES8_S8_S8_S8_S8_S8_S8_EElEEZNS1_14transform_implILb0ES3_SA_NS6_6detail15normal_iteratorINS6_7pointerIS9_NS6_11hip_rocprim5par_tENS6_11use_defaultESH_EEEENSD_INSE_IlSG_SH_SH_EEEEZNS1_13binary_searchIS3_SA_NSD_INS6_10device_ptrIS9_EEEESJ_SL_NS1_21lower_bound_search_opENSC_16wrapped_functionINS6_6system6detail7generic6detail18binary_search_lessEbEEEE10hipError_tPvRmT1_T2_T3_mmT4_T5_P12ihipStream_tbEUlRKS9_E_EESY_S12_S13_mS14_S17_bEUlT_E_NS1_11comp_targetILNS1_3genE9ELNS1_11target_archE1100ELNS1_3gpuE3ELNS1_3repE0EEENS1_30default_config_static_selectorELNS0_4arch9wavefront6targetE1EEEvS11_
    .private_segment_fixed_size: 0
    .sgpr_count:     4
    .sgpr_spill_count: 0
    .symbol:         _ZN7rocprim17ROCPRIM_400000_NS6detail17trampoline_kernelINS0_14default_configENS1_27lower_bound_config_selectorIN6thrust23THRUST_200600_302600_NS5tupleIiiNS6_9null_typeES8_S8_S8_S8_S8_S8_S8_EElEEZNS1_14transform_implILb0ES3_SA_NS6_6detail15normal_iteratorINS6_7pointerIS9_NS6_11hip_rocprim5par_tENS6_11use_defaultESH_EEEENSD_INSE_IlSG_SH_SH_EEEEZNS1_13binary_searchIS3_SA_NSD_INS6_10device_ptrIS9_EEEESJ_SL_NS1_21lower_bound_search_opENSC_16wrapped_functionINS6_6system6detail7generic6detail18binary_search_lessEbEEEE10hipError_tPvRmT1_T2_T3_mmT4_T5_P12ihipStream_tbEUlRKS9_E_EESY_S12_S13_mS14_S17_bEUlT_E_NS1_11comp_targetILNS1_3genE9ELNS1_11target_archE1100ELNS1_3gpuE3ELNS1_3repE0EEENS1_30default_config_static_selectorELNS0_4arch9wavefront6targetE1EEEvS11_.kd
    .uniform_work_group_size: 1
    .uses_dynamic_stack: false
    .vgpr_count:     0
    .vgpr_spill_count: 0
    .wavefront_size: 64
  - .args:
      - .offset:         0
        .size:           56
        .value_kind:     by_value
    .group_segment_fixed_size: 0
    .kernarg_segment_align: 8
    .kernarg_segment_size: 56
    .language:       OpenCL C
    .language_version:
      - 2
      - 0
    .max_flat_workgroup_size: 256
    .name:           _ZN7rocprim17ROCPRIM_400000_NS6detail17trampoline_kernelINS0_14default_configENS1_27lower_bound_config_selectorIN6thrust23THRUST_200600_302600_NS5tupleIiiNS6_9null_typeES8_S8_S8_S8_S8_S8_S8_EElEEZNS1_14transform_implILb0ES3_SA_NS6_6detail15normal_iteratorINS6_7pointerIS9_NS6_11hip_rocprim5par_tENS6_11use_defaultESH_EEEENSD_INSE_IlSG_SH_SH_EEEEZNS1_13binary_searchIS3_SA_NSD_INS6_10device_ptrIS9_EEEESJ_SL_NS1_21lower_bound_search_opENSC_16wrapped_functionINS6_6system6detail7generic6detail18binary_search_lessEbEEEE10hipError_tPvRmT1_T2_T3_mmT4_T5_P12ihipStream_tbEUlRKS9_E_EESY_S12_S13_mS14_S17_bEUlT_E_NS1_11comp_targetILNS1_3genE8ELNS1_11target_archE1030ELNS1_3gpuE2ELNS1_3repE0EEENS1_30default_config_static_selectorELNS0_4arch9wavefront6targetE1EEEvS11_
    .private_segment_fixed_size: 0
    .sgpr_count:     4
    .sgpr_spill_count: 0
    .symbol:         _ZN7rocprim17ROCPRIM_400000_NS6detail17trampoline_kernelINS0_14default_configENS1_27lower_bound_config_selectorIN6thrust23THRUST_200600_302600_NS5tupleIiiNS6_9null_typeES8_S8_S8_S8_S8_S8_S8_EElEEZNS1_14transform_implILb0ES3_SA_NS6_6detail15normal_iteratorINS6_7pointerIS9_NS6_11hip_rocprim5par_tENS6_11use_defaultESH_EEEENSD_INSE_IlSG_SH_SH_EEEEZNS1_13binary_searchIS3_SA_NSD_INS6_10device_ptrIS9_EEEESJ_SL_NS1_21lower_bound_search_opENSC_16wrapped_functionINS6_6system6detail7generic6detail18binary_search_lessEbEEEE10hipError_tPvRmT1_T2_T3_mmT4_T5_P12ihipStream_tbEUlRKS9_E_EESY_S12_S13_mS14_S17_bEUlT_E_NS1_11comp_targetILNS1_3genE8ELNS1_11target_archE1030ELNS1_3gpuE2ELNS1_3repE0EEENS1_30default_config_static_selectorELNS0_4arch9wavefront6targetE1EEEvS11_.kd
    .uniform_work_group_size: 1
    .uses_dynamic_stack: false
    .vgpr_count:     0
    .vgpr_spill_count: 0
    .wavefront_size: 64
  - .args:
      - .offset:         0
        .size:           56
        .value_kind:     by_value
    .group_segment_fixed_size: 0
    .kernarg_segment_align: 8
    .kernarg_segment_size: 56
    .language:       OpenCL C
    .language_version:
      - 2
      - 0
    .max_flat_workgroup_size: 64
    .name:           _ZN7rocprim17ROCPRIM_400000_NS6detail17trampoline_kernelINS0_14default_configENS1_27lower_bound_config_selectorIiiEEZNS1_14transform_implILb0ES3_S5_N6thrust23THRUST_200600_302600_NS6detail15normal_iteratorINS8_10device_ptrIiEEEESD_ZNS1_13binary_searchIS3_S5_SD_SD_SD_NS1_21lower_bound_search_opENS9_16wrapped_functionINS0_4lessIvEEbEEEE10hipError_tPvRmT1_T2_T3_mmT4_T5_P12ihipStream_tbEUlRKiE_EESK_SO_SP_mSQ_ST_bEUlT_E_NS1_11comp_targetILNS1_3genE0ELNS1_11target_archE4294967295ELNS1_3gpuE0ELNS1_3repE0EEENS1_30default_config_static_selectorELNS0_4arch9wavefront6targetE1EEEvSN_
    .private_segment_fixed_size: 0
    .sgpr_count:     4
    .sgpr_spill_count: 0
    .symbol:         _ZN7rocprim17ROCPRIM_400000_NS6detail17trampoline_kernelINS0_14default_configENS1_27lower_bound_config_selectorIiiEEZNS1_14transform_implILb0ES3_S5_N6thrust23THRUST_200600_302600_NS6detail15normal_iteratorINS8_10device_ptrIiEEEESD_ZNS1_13binary_searchIS3_S5_SD_SD_SD_NS1_21lower_bound_search_opENS9_16wrapped_functionINS0_4lessIvEEbEEEE10hipError_tPvRmT1_T2_T3_mmT4_T5_P12ihipStream_tbEUlRKiE_EESK_SO_SP_mSQ_ST_bEUlT_E_NS1_11comp_targetILNS1_3genE0ELNS1_11target_archE4294967295ELNS1_3gpuE0ELNS1_3repE0EEENS1_30default_config_static_selectorELNS0_4arch9wavefront6targetE1EEEvSN_.kd
    .uniform_work_group_size: 1
    .uses_dynamic_stack: false
    .vgpr_count:     0
    .vgpr_spill_count: 0
    .wavefront_size: 64
  - .args:
      - .offset:         0
        .size:           56
        .value_kind:     by_value
    .group_segment_fixed_size: 0
    .kernarg_segment_align: 8
    .kernarg_segment_size: 56
    .language:       OpenCL C
    .language_version:
      - 2
      - 0
    .max_flat_workgroup_size: 256
    .name:           _ZN7rocprim17ROCPRIM_400000_NS6detail17trampoline_kernelINS0_14default_configENS1_27lower_bound_config_selectorIiiEEZNS1_14transform_implILb0ES3_S5_N6thrust23THRUST_200600_302600_NS6detail15normal_iteratorINS8_10device_ptrIiEEEESD_ZNS1_13binary_searchIS3_S5_SD_SD_SD_NS1_21lower_bound_search_opENS9_16wrapped_functionINS0_4lessIvEEbEEEE10hipError_tPvRmT1_T2_T3_mmT4_T5_P12ihipStream_tbEUlRKiE_EESK_SO_SP_mSQ_ST_bEUlT_E_NS1_11comp_targetILNS1_3genE5ELNS1_11target_archE942ELNS1_3gpuE9ELNS1_3repE0EEENS1_30default_config_static_selectorELNS0_4arch9wavefront6targetE1EEEvSN_
    .private_segment_fixed_size: 0
    .sgpr_count:     4
    .sgpr_spill_count: 0
    .symbol:         _ZN7rocprim17ROCPRIM_400000_NS6detail17trampoline_kernelINS0_14default_configENS1_27lower_bound_config_selectorIiiEEZNS1_14transform_implILb0ES3_S5_N6thrust23THRUST_200600_302600_NS6detail15normal_iteratorINS8_10device_ptrIiEEEESD_ZNS1_13binary_searchIS3_S5_SD_SD_SD_NS1_21lower_bound_search_opENS9_16wrapped_functionINS0_4lessIvEEbEEEE10hipError_tPvRmT1_T2_T3_mmT4_T5_P12ihipStream_tbEUlRKiE_EESK_SO_SP_mSQ_ST_bEUlT_E_NS1_11comp_targetILNS1_3genE5ELNS1_11target_archE942ELNS1_3gpuE9ELNS1_3repE0EEENS1_30default_config_static_selectorELNS0_4arch9wavefront6targetE1EEEvSN_.kd
    .uniform_work_group_size: 1
    .uses_dynamic_stack: false
    .vgpr_count:     0
    .vgpr_spill_count: 0
    .wavefront_size: 64
  - .args:
      - .offset:         0
        .size:           56
        .value_kind:     by_value
    .group_segment_fixed_size: 0
    .kernarg_segment_align: 8
    .kernarg_segment_size: 56
    .language:       OpenCL C
    .language_version:
      - 2
      - 0
    .max_flat_workgroup_size: 256
    .name:           _ZN7rocprim17ROCPRIM_400000_NS6detail17trampoline_kernelINS0_14default_configENS1_27lower_bound_config_selectorIiiEEZNS1_14transform_implILb0ES3_S5_N6thrust23THRUST_200600_302600_NS6detail15normal_iteratorINS8_10device_ptrIiEEEESD_ZNS1_13binary_searchIS3_S5_SD_SD_SD_NS1_21lower_bound_search_opENS9_16wrapped_functionINS0_4lessIvEEbEEEE10hipError_tPvRmT1_T2_T3_mmT4_T5_P12ihipStream_tbEUlRKiE_EESK_SO_SP_mSQ_ST_bEUlT_E_NS1_11comp_targetILNS1_3genE4ELNS1_11target_archE910ELNS1_3gpuE8ELNS1_3repE0EEENS1_30default_config_static_selectorELNS0_4arch9wavefront6targetE1EEEvSN_
    .private_segment_fixed_size: 0
    .sgpr_count:     4
    .sgpr_spill_count: 0
    .symbol:         _ZN7rocprim17ROCPRIM_400000_NS6detail17trampoline_kernelINS0_14default_configENS1_27lower_bound_config_selectorIiiEEZNS1_14transform_implILb0ES3_S5_N6thrust23THRUST_200600_302600_NS6detail15normal_iteratorINS8_10device_ptrIiEEEESD_ZNS1_13binary_searchIS3_S5_SD_SD_SD_NS1_21lower_bound_search_opENS9_16wrapped_functionINS0_4lessIvEEbEEEE10hipError_tPvRmT1_T2_T3_mmT4_T5_P12ihipStream_tbEUlRKiE_EESK_SO_SP_mSQ_ST_bEUlT_E_NS1_11comp_targetILNS1_3genE4ELNS1_11target_archE910ELNS1_3gpuE8ELNS1_3repE0EEENS1_30default_config_static_selectorELNS0_4arch9wavefront6targetE1EEEvSN_.kd
    .uniform_work_group_size: 1
    .uses_dynamic_stack: false
    .vgpr_count:     0
    .vgpr_spill_count: 0
    .wavefront_size: 64
  - .args:
      - .offset:         0
        .size:           56
        .value_kind:     by_value
    .group_segment_fixed_size: 0
    .kernarg_segment_align: 8
    .kernarg_segment_size: 56
    .language:       OpenCL C
    .language_version:
      - 2
      - 0
    .max_flat_workgroup_size: 64
    .name:           _ZN7rocprim17ROCPRIM_400000_NS6detail17trampoline_kernelINS0_14default_configENS1_27lower_bound_config_selectorIiiEEZNS1_14transform_implILb0ES3_S5_N6thrust23THRUST_200600_302600_NS6detail15normal_iteratorINS8_10device_ptrIiEEEESD_ZNS1_13binary_searchIS3_S5_SD_SD_SD_NS1_21lower_bound_search_opENS9_16wrapped_functionINS0_4lessIvEEbEEEE10hipError_tPvRmT1_T2_T3_mmT4_T5_P12ihipStream_tbEUlRKiE_EESK_SO_SP_mSQ_ST_bEUlT_E_NS1_11comp_targetILNS1_3genE3ELNS1_11target_archE908ELNS1_3gpuE7ELNS1_3repE0EEENS1_30default_config_static_selectorELNS0_4arch9wavefront6targetE1EEEvSN_
    .private_segment_fixed_size: 0
    .sgpr_count:     4
    .sgpr_spill_count: 0
    .symbol:         _ZN7rocprim17ROCPRIM_400000_NS6detail17trampoline_kernelINS0_14default_configENS1_27lower_bound_config_selectorIiiEEZNS1_14transform_implILb0ES3_S5_N6thrust23THRUST_200600_302600_NS6detail15normal_iteratorINS8_10device_ptrIiEEEESD_ZNS1_13binary_searchIS3_S5_SD_SD_SD_NS1_21lower_bound_search_opENS9_16wrapped_functionINS0_4lessIvEEbEEEE10hipError_tPvRmT1_T2_T3_mmT4_T5_P12ihipStream_tbEUlRKiE_EESK_SO_SP_mSQ_ST_bEUlT_E_NS1_11comp_targetILNS1_3genE3ELNS1_11target_archE908ELNS1_3gpuE7ELNS1_3repE0EEENS1_30default_config_static_selectorELNS0_4arch9wavefront6targetE1EEEvSN_.kd
    .uniform_work_group_size: 1
    .uses_dynamic_stack: false
    .vgpr_count:     0
    .vgpr_spill_count: 0
    .wavefront_size: 64
  - .args:
      - .offset:         0
        .size:           56
        .value_kind:     by_value
      - .offset:         56
        .size:           4
        .value_kind:     hidden_block_count_x
      - .offset:         60
        .size:           4
        .value_kind:     hidden_block_count_y
      - .offset:         64
        .size:           4
        .value_kind:     hidden_block_count_z
      - .offset:         68
        .size:           2
        .value_kind:     hidden_group_size_x
      - .offset:         70
        .size:           2
        .value_kind:     hidden_group_size_y
      - .offset:         72
        .size:           2
        .value_kind:     hidden_group_size_z
      - .offset:         74
        .size:           2
        .value_kind:     hidden_remainder_x
      - .offset:         76
        .size:           2
        .value_kind:     hidden_remainder_y
      - .offset:         78
        .size:           2
        .value_kind:     hidden_remainder_z
      - .offset:         96
        .size:           8
        .value_kind:     hidden_global_offset_x
      - .offset:         104
        .size:           8
        .value_kind:     hidden_global_offset_y
      - .offset:         112
        .size:           8
        .value_kind:     hidden_global_offset_z
      - .offset:         120
        .size:           2
        .value_kind:     hidden_grid_dims
    .group_segment_fixed_size: 0
    .kernarg_segment_align: 8
    .kernarg_segment_size: 312
    .language:       OpenCL C
    .language_version:
      - 2
      - 0
    .max_flat_workgroup_size: 256
    .name:           _ZN7rocprim17ROCPRIM_400000_NS6detail17trampoline_kernelINS0_14default_configENS1_27lower_bound_config_selectorIiiEEZNS1_14transform_implILb0ES3_S5_N6thrust23THRUST_200600_302600_NS6detail15normal_iteratorINS8_10device_ptrIiEEEESD_ZNS1_13binary_searchIS3_S5_SD_SD_SD_NS1_21lower_bound_search_opENS9_16wrapped_functionINS0_4lessIvEEbEEEE10hipError_tPvRmT1_T2_T3_mmT4_T5_P12ihipStream_tbEUlRKiE_EESK_SO_SP_mSQ_ST_bEUlT_E_NS1_11comp_targetILNS1_3genE2ELNS1_11target_archE906ELNS1_3gpuE6ELNS1_3repE0EEENS1_30default_config_static_selectorELNS0_4arch9wavefront6targetE1EEEvSN_
    .private_segment_fixed_size: 0
    .sgpr_count:     24
    .sgpr_spill_count: 0
    .symbol:         _ZN7rocprim17ROCPRIM_400000_NS6detail17trampoline_kernelINS0_14default_configENS1_27lower_bound_config_selectorIiiEEZNS1_14transform_implILb0ES3_S5_N6thrust23THRUST_200600_302600_NS6detail15normal_iteratorINS8_10device_ptrIiEEEESD_ZNS1_13binary_searchIS3_S5_SD_SD_SD_NS1_21lower_bound_search_opENS9_16wrapped_functionINS0_4lessIvEEbEEEE10hipError_tPvRmT1_T2_T3_mmT4_T5_P12ihipStream_tbEUlRKiE_EESK_SO_SP_mSQ_ST_bEUlT_E_NS1_11comp_targetILNS1_3genE2ELNS1_11target_archE906ELNS1_3gpuE6ELNS1_3repE0EEENS1_30default_config_static_selectorELNS0_4arch9wavefront6targetE1EEEvSN_.kd
    .uniform_work_group_size: 1
    .uses_dynamic_stack: false
    .vgpr_count:     13
    .vgpr_spill_count: 0
    .wavefront_size: 64
  - .args:
      - .offset:         0
        .size:           56
        .value_kind:     by_value
    .group_segment_fixed_size: 0
    .kernarg_segment_align: 8
    .kernarg_segment_size: 56
    .language:       OpenCL C
    .language_version:
      - 2
      - 0
    .max_flat_workgroup_size: 128
    .name:           _ZN7rocprim17ROCPRIM_400000_NS6detail17trampoline_kernelINS0_14default_configENS1_27lower_bound_config_selectorIiiEEZNS1_14transform_implILb0ES3_S5_N6thrust23THRUST_200600_302600_NS6detail15normal_iteratorINS8_10device_ptrIiEEEESD_ZNS1_13binary_searchIS3_S5_SD_SD_SD_NS1_21lower_bound_search_opENS9_16wrapped_functionINS0_4lessIvEEbEEEE10hipError_tPvRmT1_T2_T3_mmT4_T5_P12ihipStream_tbEUlRKiE_EESK_SO_SP_mSQ_ST_bEUlT_E_NS1_11comp_targetILNS1_3genE10ELNS1_11target_archE1201ELNS1_3gpuE5ELNS1_3repE0EEENS1_30default_config_static_selectorELNS0_4arch9wavefront6targetE1EEEvSN_
    .private_segment_fixed_size: 0
    .sgpr_count:     4
    .sgpr_spill_count: 0
    .symbol:         _ZN7rocprim17ROCPRIM_400000_NS6detail17trampoline_kernelINS0_14default_configENS1_27lower_bound_config_selectorIiiEEZNS1_14transform_implILb0ES3_S5_N6thrust23THRUST_200600_302600_NS6detail15normal_iteratorINS8_10device_ptrIiEEEESD_ZNS1_13binary_searchIS3_S5_SD_SD_SD_NS1_21lower_bound_search_opENS9_16wrapped_functionINS0_4lessIvEEbEEEE10hipError_tPvRmT1_T2_T3_mmT4_T5_P12ihipStream_tbEUlRKiE_EESK_SO_SP_mSQ_ST_bEUlT_E_NS1_11comp_targetILNS1_3genE10ELNS1_11target_archE1201ELNS1_3gpuE5ELNS1_3repE0EEENS1_30default_config_static_selectorELNS0_4arch9wavefront6targetE1EEEvSN_.kd
    .uniform_work_group_size: 1
    .uses_dynamic_stack: false
    .vgpr_count:     0
    .vgpr_spill_count: 0
    .wavefront_size: 64
  - .args:
      - .offset:         0
        .size:           56
        .value_kind:     by_value
    .group_segment_fixed_size: 0
    .kernarg_segment_align: 8
    .kernarg_segment_size: 56
    .language:       OpenCL C
    .language_version:
      - 2
      - 0
    .max_flat_workgroup_size: 128
    .name:           _ZN7rocprim17ROCPRIM_400000_NS6detail17trampoline_kernelINS0_14default_configENS1_27lower_bound_config_selectorIiiEEZNS1_14transform_implILb0ES3_S5_N6thrust23THRUST_200600_302600_NS6detail15normal_iteratorINS8_10device_ptrIiEEEESD_ZNS1_13binary_searchIS3_S5_SD_SD_SD_NS1_21lower_bound_search_opENS9_16wrapped_functionINS0_4lessIvEEbEEEE10hipError_tPvRmT1_T2_T3_mmT4_T5_P12ihipStream_tbEUlRKiE_EESK_SO_SP_mSQ_ST_bEUlT_E_NS1_11comp_targetILNS1_3genE10ELNS1_11target_archE1200ELNS1_3gpuE4ELNS1_3repE0EEENS1_30default_config_static_selectorELNS0_4arch9wavefront6targetE1EEEvSN_
    .private_segment_fixed_size: 0
    .sgpr_count:     4
    .sgpr_spill_count: 0
    .symbol:         _ZN7rocprim17ROCPRIM_400000_NS6detail17trampoline_kernelINS0_14default_configENS1_27lower_bound_config_selectorIiiEEZNS1_14transform_implILb0ES3_S5_N6thrust23THRUST_200600_302600_NS6detail15normal_iteratorINS8_10device_ptrIiEEEESD_ZNS1_13binary_searchIS3_S5_SD_SD_SD_NS1_21lower_bound_search_opENS9_16wrapped_functionINS0_4lessIvEEbEEEE10hipError_tPvRmT1_T2_T3_mmT4_T5_P12ihipStream_tbEUlRKiE_EESK_SO_SP_mSQ_ST_bEUlT_E_NS1_11comp_targetILNS1_3genE10ELNS1_11target_archE1200ELNS1_3gpuE4ELNS1_3repE0EEENS1_30default_config_static_selectorELNS0_4arch9wavefront6targetE1EEEvSN_.kd
    .uniform_work_group_size: 1
    .uses_dynamic_stack: false
    .vgpr_count:     0
    .vgpr_spill_count: 0
    .wavefront_size: 64
  - .args:
      - .offset:         0
        .size:           56
        .value_kind:     by_value
    .group_segment_fixed_size: 0
    .kernarg_segment_align: 8
    .kernarg_segment_size: 56
    .language:       OpenCL C
    .language_version:
      - 2
      - 0
    .max_flat_workgroup_size: 128
    .name:           _ZN7rocprim17ROCPRIM_400000_NS6detail17trampoline_kernelINS0_14default_configENS1_27lower_bound_config_selectorIiiEEZNS1_14transform_implILb0ES3_S5_N6thrust23THRUST_200600_302600_NS6detail15normal_iteratorINS8_10device_ptrIiEEEESD_ZNS1_13binary_searchIS3_S5_SD_SD_SD_NS1_21lower_bound_search_opENS9_16wrapped_functionINS0_4lessIvEEbEEEE10hipError_tPvRmT1_T2_T3_mmT4_T5_P12ihipStream_tbEUlRKiE_EESK_SO_SP_mSQ_ST_bEUlT_E_NS1_11comp_targetILNS1_3genE9ELNS1_11target_archE1100ELNS1_3gpuE3ELNS1_3repE0EEENS1_30default_config_static_selectorELNS0_4arch9wavefront6targetE1EEEvSN_
    .private_segment_fixed_size: 0
    .sgpr_count:     4
    .sgpr_spill_count: 0
    .symbol:         _ZN7rocprim17ROCPRIM_400000_NS6detail17trampoline_kernelINS0_14default_configENS1_27lower_bound_config_selectorIiiEEZNS1_14transform_implILb0ES3_S5_N6thrust23THRUST_200600_302600_NS6detail15normal_iteratorINS8_10device_ptrIiEEEESD_ZNS1_13binary_searchIS3_S5_SD_SD_SD_NS1_21lower_bound_search_opENS9_16wrapped_functionINS0_4lessIvEEbEEEE10hipError_tPvRmT1_T2_T3_mmT4_T5_P12ihipStream_tbEUlRKiE_EESK_SO_SP_mSQ_ST_bEUlT_E_NS1_11comp_targetILNS1_3genE9ELNS1_11target_archE1100ELNS1_3gpuE3ELNS1_3repE0EEENS1_30default_config_static_selectorELNS0_4arch9wavefront6targetE1EEEvSN_.kd
    .uniform_work_group_size: 1
    .uses_dynamic_stack: false
    .vgpr_count:     0
    .vgpr_spill_count: 0
    .wavefront_size: 64
  - .args:
      - .offset:         0
        .size:           56
        .value_kind:     by_value
    .group_segment_fixed_size: 0
    .kernarg_segment_align: 8
    .kernarg_segment_size: 56
    .language:       OpenCL C
    .language_version:
      - 2
      - 0
    .max_flat_workgroup_size: 256
    .name:           _ZN7rocprim17ROCPRIM_400000_NS6detail17trampoline_kernelINS0_14default_configENS1_27lower_bound_config_selectorIiiEEZNS1_14transform_implILb0ES3_S5_N6thrust23THRUST_200600_302600_NS6detail15normal_iteratorINS8_10device_ptrIiEEEESD_ZNS1_13binary_searchIS3_S5_SD_SD_SD_NS1_21lower_bound_search_opENS9_16wrapped_functionINS0_4lessIvEEbEEEE10hipError_tPvRmT1_T2_T3_mmT4_T5_P12ihipStream_tbEUlRKiE_EESK_SO_SP_mSQ_ST_bEUlT_E_NS1_11comp_targetILNS1_3genE8ELNS1_11target_archE1030ELNS1_3gpuE2ELNS1_3repE0EEENS1_30default_config_static_selectorELNS0_4arch9wavefront6targetE1EEEvSN_
    .private_segment_fixed_size: 0
    .sgpr_count:     4
    .sgpr_spill_count: 0
    .symbol:         _ZN7rocprim17ROCPRIM_400000_NS6detail17trampoline_kernelINS0_14default_configENS1_27lower_bound_config_selectorIiiEEZNS1_14transform_implILb0ES3_S5_N6thrust23THRUST_200600_302600_NS6detail15normal_iteratorINS8_10device_ptrIiEEEESD_ZNS1_13binary_searchIS3_S5_SD_SD_SD_NS1_21lower_bound_search_opENS9_16wrapped_functionINS0_4lessIvEEbEEEE10hipError_tPvRmT1_T2_T3_mmT4_T5_P12ihipStream_tbEUlRKiE_EESK_SO_SP_mSQ_ST_bEUlT_E_NS1_11comp_targetILNS1_3genE8ELNS1_11target_archE1030ELNS1_3gpuE2ELNS1_3repE0EEENS1_30default_config_static_selectorELNS0_4arch9wavefront6targetE1EEEvSN_.kd
    .uniform_work_group_size: 1
    .uses_dynamic_stack: false
    .vgpr_count:     0
    .vgpr_spill_count: 0
    .wavefront_size: 64
  - .args:
      - .offset:         0
        .size:           72
        .value_kind:     by_value
    .group_segment_fixed_size: 0
    .kernarg_segment_align: 8
    .kernarg_segment_size: 72
    .language:       OpenCL C
    .language_version:
      - 2
      - 0
    .max_flat_workgroup_size: 128
    .name:           _ZN7rocprim17ROCPRIM_400000_NS6detail17trampoline_kernelINS0_14default_configENS1_22reduce_config_selectorIN6thrust23THRUST_200600_302600_NS5tupleIblNS6_9null_typeES8_S8_S8_S8_S8_S8_S8_EEEEZNS1_11reduce_implILb1ES3_PS9_SC_S9_NS6_11hip_rocprim9__find_if7functorIS9_EEEE10hipError_tPvRmT1_T2_T3_mT4_P12ihipStream_tbEUlT_E0_NS1_11comp_targetILNS1_3genE0ELNS1_11target_archE4294967295ELNS1_3gpuE0ELNS1_3repE0EEENS1_30default_config_static_selectorELNS0_4arch9wavefront6targetE1EEEvSK_
    .private_segment_fixed_size: 0
    .sgpr_count:     4
    .sgpr_spill_count: 0
    .symbol:         _ZN7rocprim17ROCPRIM_400000_NS6detail17trampoline_kernelINS0_14default_configENS1_22reduce_config_selectorIN6thrust23THRUST_200600_302600_NS5tupleIblNS6_9null_typeES8_S8_S8_S8_S8_S8_S8_EEEEZNS1_11reduce_implILb1ES3_PS9_SC_S9_NS6_11hip_rocprim9__find_if7functorIS9_EEEE10hipError_tPvRmT1_T2_T3_mT4_P12ihipStream_tbEUlT_E0_NS1_11comp_targetILNS1_3genE0ELNS1_11target_archE4294967295ELNS1_3gpuE0ELNS1_3repE0EEENS1_30default_config_static_selectorELNS0_4arch9wavefront6targetE1EEEvSK_.kd
    .uniform_work_group_size: 1
    .uses_dynamic_stack: false
    .vgpr_count:     0
    .vgpr_spill_count: 0
    .wavefront_size: 64
  - .args:
      - .offset:         0
        .size:           72
        .value_kind:     by_value
    .group_segment_fixed_size: 0
    .kernarg_segment_align: 8
    .kernarg_segment_size: 72
    .language:       OpenCL C
    .language_version:
      - 2
      - 0
    .max_flat_workgroup_size: 256
    .name:           _ZN7rocprim17ROCPRIM_400000_NS6detail17trampoline_kernelINS0_14default_configENS1_22reduce_config_selectorIN6thrust23THRUST_200600_302600_NS5tupleIblNS6_9null_typeES8_S8_S8_S8_S8_S8_S8_EEEEZNS1_11reduce_implILb1ES3_PS9_SC_S9_NS6_11hip_rocprim9__find_if7functorIS9_EEEE10hipError_tPvRmT1_T2_T3_mT4_P12ihipStream_tbEUlT_E0_NS1_11comp_targetILNS1_3genE5ELNS1_11target_archE942ELNS1_3gpuE9ELNS1_3repE0EEENS1_30default_config_static_selectorELNS0_4arch9wavefront6targetE1EEEvSK_
    .private_segment_fixed_size: 0
    .sgpr_count:     4
    .sgpr_spill_count: 0
    .symbol:         _ZN7rocprim17ROCPRIM_400000_NS6detail17trampoline_kernelINS0_14default_configENS1_22reduce_config_selectorIN6thrust23THRUST_200600_302600_NS5tupleIblNS6_9null_typeES8_S8_S8_S8_S8_S8_S8_EEEEZNS1_11reduce_implILb1ES3_PS9_SC_S9_NS6_11hip_rocprim9__find_if7functorIS9_EEEE10hipError_tPvRmT1_T2_T3_mT4_P12ihipStream_tbEUlT_E0_NS1_11comp_targetILNS1_3genE5ELNS1_11target_archE942ELNS1_3gpuE9ELNS1_3repE0EEENS1_30default_config_static_selectorELNS0_4arch9wavefront6targetE1EEEvSK_.kd
    .uniform_work_group_size: 1
    .uses_dynamic_stack: false
    .vgpr_count:     0
    .vgpr_spill_count: 0
    .wavefront_size: 64
  - .args:
      - .offset:         0
        .size:           72
        .value_kind:     by_value
    .group_segment_fixed_size: 0
    .kernarg_segment_align: 8
    .kernarg_segment_size: 72
    .language:       OpenCL C
    .language_version:
      - 2
      - 0
    .max_flat_workgroup_size: 256
    .name:           _ZN7rocprim17ROCPRIM_400000_NS6detail17trampoline_kernelINS0_14default_configENS1_22reduce_config_selectorIN6thrust23THRUST_200600_302600_NS5tupleIblNS6_9null_typeES8_S8_S8_S8_S8_S8_S8_EEEEZNS1_11reduce_implILb1ES3_PS9_SC_S9_NS6_11hip_rocprim9__find_if7functorIS9_EEEE10hipError_tPvRmT1_T2_T3_mT4_P12ihipStream_tbEUlT_E0_NS1_11comp_targetILNS1_3genE4ELNS1_11target_archE910ELNS1_3gpuE8ELNS1_3repE0EEENS1_30default_config_static_selectorELNS0_4arch9wavefront6targetE1EEEvSK_
    .private_segment_fixed_size: 0
    .sgpr_count:     4
    .sgpr_spill_count: 0
    .symbol:         _ZN7rocprim17ROCPRIM_400000_NS6detail17trampoline_kernelINS0_14default_configENS1_22reduce_config_selectorIN6thrust23THRUST_200600_302600_NS5tupleIblNS6_9null_typeES8_S8_S8_S8_S8_S8_S8_EEEEZNS1_11reduce_implILb1ES3_PS9_SC_S9_NS6_11hip_rocprim9__find_if7functorIS9_EEEE10hipError_tPvRmT1_T2_T3_mT4_P12ihipStream_tbEUlT_E0_NS1_11comp_targetILNS1_3genE4ELNS1_11target_archE910ELNS1_3gpuE8ELNS1_3repE0EEENS1_30default_config_static_selectorELNS0_4arch9wavefront6targetE1EEEvSK_.kd
    .uniform_work_group_size: 1
    .uses_dynamic_stack: false
    .vgpr_count:     0
    .vgpr_spill_count: 0
    .wavefront_size: 64
  - .args:
      - .offset:         0
        .size:           72
        .value_kind:     by_value
    .group_segment_fixed_size: 0
    .kernarg_segment_align: 8
    .kernarg_segment_size: 72
    .language:       OpenCL C
    .language_version:
      - 2
      - 0
    .max_flat_workgroup_size: 128
    .name:           _ZN7rocprim17ROCPRIM_400000_NS6detail17trampoline_kernelINS0_14default_configENS1_22reduce_config_selectorIN6thrust23THRUST_200600_302600_NS5tupleIblNS6_9null_typeES8_S8_S8_S8_S8_S8_S8_EEEEZNS1_11reduce_implILb1ES3_PS9_SC_S9_NS6_11hip_rocprim9__find_if7functorIS9_EEEE10hipError_tPvRmT1_T2_T3_mT4_P12ihipStream_tbEUlT_E0_NS1_11comp_targetILNS1_3genE3ELNS1_11target_archE908ELNS1_3gpuE7ELNS1_3repE0EEENS1_30default_config_static_selectorELNS0_4arch9wavefront6targetE1EEEvSK_
    .private_segment_fixed_size: 0
    .sgpr_count:     4
    .sgpr_spill_count: 0
    .symbol:         _ZN7rocprim17ROCPRIM_400000_NS6detail17trampoline_kernelINS0_14default_configENS1_22reduce_config_selectorIN6thrust23THRUST_200600_302600_NS5tupleIblNS6_9null_typeES8_S8_S8_S8_S8_S8_S8_EEEEZNS1_11reduce_implILb1ES3_PS9_SC_S9_NS6_11hip_rocprim9__find_if7functorIS9_EEEE10hipError_tPvRmT1_T2_T3_mT4_P12ihipStream_tbEUlT_E0_NS1_11comp_targetILNS1_3genE3ELNS1_11target_archE908ELNS1_3gpuE7ELNS1_3repE0EEENS1_30default_config_static_selectorELNS0_4arch9wavefront6targetE1EEEvSK_.kd
    .uniform_work_group_size: 1
    .uses_dynamic_stack: false
    .vgpr_count:     0
    .vgpr_spill_count: 0
    .wavefront_size: 64
  - .args:
      - .offset:         0
        .size:           72
        .value_kind:     by_value
    .group_segment_fixed_size: 64
    .kernarg_segment_align: 8
    .kernarg_segment_size: 72
    .language:       OpenCL C
    .language_version:
      - 2
      - 0
    .max_flat_workgroup_size: 128
    .name:           _ZN7rocprim17ROCPRIM_400000_NS6detail17trampoline_kernelINS0_14default_configENS1_22reduce_config_selectorIN6thrust23THRUST_200600_302600_NS5tupleIblNS6_9null_typeES8_S8_S8_S8_S8_S8_S8_EEEEZNS1_11reduce_implILb1ES3_PS9_SC_S9_NS6_11hip_rocprim9__find_if7functorIS9_EEEE10hipError_tPvRmT1_T2_T3_mT4_P12ihipStream_tbEUlT_E0_NS1_11comp_targetILNS1_3genE2ELNS1_11target_archE906ELNS1_3gpuE6ELNS1_3repE0EEENS1_30default_config_static_selectorELNS0_4arch9wavefront6targetE1EEEvSK_
    .private_segment_fixed_size: 0
    .sgpr_count:     30
    .sgpr_spill_count: 0
    .symbol:         _ZN7rocprim17ROCPRIM_400000_NS6detail17trampoline_kernelINS0_14default_configENS1_22reduce_config_selectorIN6thrust23THRUST_200600_302600_NS5tupleIblNS6_9null_typeES8_S8_S8_S8_S8_S8_S8_EEEEZNS1_11reduce_implILb1ES3_PS9_SC_S9_NS6_11hip_rocprim9__find_if7functorIS9_EEEE10hipError_tPvRmT1_T2_T3_mT4_P12ihipStream_tbEUlT_E0_NS1_11comp_targetILNS1_3genE2ELNS1_11target_archE906ELNS1_3gpuE6ELNS1_3repE0EEENS1_30default_config_static_selectorELNS0_4arch9wavefront6targetE1EEEvSK_.kd
    .uniform_work_group_size: 1
    .uses_dynamic_stack: false
    .vgpr_count:     13
    .vgpr_spill_count: 0
    .wavefront_size: 64
  - .args:
      - .offset:         0
        .size:           72
        .value_kind:     by_value
    .group_segment_fixed_size: 0
    .kernarg_segment_align: 8
    .kernarg_segment_size: 72
    .language:       OpenCL C
    .language_version:
      - 2
      - 0
    .max_flat_workgroup_size: 256
    .name:           _ZN7rocprim17ROCPRIM_400000_NS6detail17trampoline_kernelINS0_14default_configENS1_22reduce_config_selectorIN6thrust23THRUST_200600_302600_NS5tupleIblNS6_9null_typeES8_S8_S8_S8_S8_S8_S8_EEEEZNS1_11reduce_implILb1ES3_PS9_SC_S9_NS6_11hip_rocprim9__find_if7functorIS9_EEEE10hipError_tPvRmT1_T2_T3_mT4_P12ihipStream_tbEUlT_E0_NS1_11comp_targetILNS1_3genE10ELNS1_11target_archE1201ELNS1_3gpuE5ELNS1_3repE0EEENS1_30default_config_static_selectorELNS0_4arch9wavefront6targetE1EEEvSK_
    .private_segment_fixed_size: 0
    .sgpr_count:     4
    .sgpr_spill_count: 0
    .symbol:         _ZN7rocprim17ROCPRIM_400000_NS6detail17trampoline_kernelINS0_14default_configENS1_22reduce_config_selectorIN6thrust23THRUST_200600_302600_NS5tupleIblNS6_9null_typeES8_S8_S8_S8_S8_S8_S8_EEEEZNS1_11reduce_implILb1ES3_PS9_SC_S9_NS6_11hip_rocprim9__find_if7functorIS9_EEEE10hipError_tPvRmT1_T2_T3_mT4_P12ihipStream_tbEUlT_E0_NS1_11comp_targetILNS1_3genE10ELNS1_11target_archE1201ELNS1_3gpuE5ELNS1_3repE0EEENS1_30default_config_static_selectorELNS0_4arch9wavefront6targetE1EEEvSK_.kd
    .uniform_work_group_size: 1
    .uses_dynamic_stack: false
    .vgpr_count:     0
    .vgpr_spill_count: 0
    .wavefront_size: 64
  - .args:
      - .offset:         0
        .size:           72
        .value_kind:     by_value
    .group_segment_fixed_size: 0
    .kernarg_segment_align: 8
    .kernarg_segment_size: 72
    .language:       OpenCL C
    .language_version:
      - 2
      - 0
    .max_flat_workgroup_size: 256
    .name:           _ZN7rocprim17ROCPRIM_400000_NS6detail17trampoline_kernelINS0_14default_configENS1_22reduce_config_selectorIN6thrust23THRUST_200600_302600_NS5tupleIblNS6_9null_typeES8_S8_S8_S8_S8_S8_S8_EEEEZNS1_11reduce_implILb1ES3_PS9_SC_S9_NS6_11hip_rocprim9__find_if7functorIS9_EEEE10hipError_tPvRmT1_T2_T3_mT4_P12ihipStream_tbEUlT_E0_NS1_11comp_targetILNS1_3genE10ELNS1_11target_archE1200ELNS1_3gpuE4ELNS1_3repE0EEENS1_30default_config_static_selectorELNS0_4arch9wavefront6targetE1EEEvSK_
    .private_segment_fixed_size: 0
    .sgpr_count:     4
    .sgpr_spill_count: 0
    .symbol:         _ZN7rocprim17ROCPRIM_400000_NS6detail17trampoline_kernelINS0_14default_configENS1_22reduce_config_selectorIN6thrust23THRUST_200600_302600_NS5tupleIblNS6_9null_typeES8_S8_S8_S8_S8_S8_S8_EEEEZNS1_11reduce_implILb1ES3_PS9_SC_S9_NS6_11hip_rocprim9__find_if7functorIS9_EEEE10hipError_tPvRmT1_T2_T3_mT4_P12ihipStream_tbEUlT_E0_NS1_11comp_targetILNS1_3genE10ELNS1_11target_archE1200ELNS1_3gpuE4ELNS1_3repE0EEENS1_30default_config_static_selectorELNS0_4arch9wavefront6targetE1EEEvSK_.kd
    .uniform_work_group_size: 1
    .uses_dynamic_stack: false
    .vgpr_count:     0
    .vgpr_spill_count: 0
    .wavefront_size: 64
  - .args:
      - .offset:         0
        .size:           72
        .value_kind:     by_value
    .group_segment_fixed_size: 0
    .kernarg_segment_align: 8
    .kernarg_segment_size: 72
    .language:       OpenCL C
    .language_version:
      - 2
      - 0
    .max_flat_workgroup_size: 256
    .name:           _ZN7rocprim17ROCPRIM_400000_NS6detail17trampoline_kernelINS0_14default_configENS1_22reduce_config_selectorIN6thrust23THRUST_200600_302600_NS5tupleIblNS6_9null_typeES8_S8_S8_S8_S8_S8_S8_EEEEZNS1_11reduce_implILb1ES3_PS9_SC_S9_NS6_11hip_rocprim9__find_if7functorIS9_EEEE10hipError_tPvRmT1_T2_T3_mT4_P12ihipStream_tbEUlT_E0_NS1_11comp_targetILNS1_3genE9ELNS1_11target_archE1100ELNS1_3gpuE3ELNS1_3repE0EEENS1_30default_config_static_selectorELNS0_4arch9wavefront6targetE1EEEvSK_
    .private_segment_fixed_size: 0
    .sgpr_count:     4
    .sgpr_spill_count: 0
    .symbol:         _ZN7rocprim17ROCPRIM_400000_NS6detail17trampoline_kernelINS0_14default_configENS1_22reduce_config_selectorIN6thrust23THRUST_200600_302600_NS5tupleIblNS6_9null_typeES8_S8_S8_S8_S8_S8_S8_EEEEZNS1_11reduce_implILb1ES3_PS9_SC_S9_NS6_11hip_rocprim9__find_if7functorIS9_EEEE10hipError_tPvRmT1_T2_T3_mT4_P12ihipStream_tbEUlT_E0_NS1_11comp_targetILNS1_3genE9ELNS1_11target_archE1100ELNS1_3gpuE3ELNS1_3repE0EEENS1_30default_config_static_selectorELNS0_4arch9wavefront6targetE1EEEvSK_.kd
    .uniform_work_group_size: 1
    .uses_dynamic_stack: false
    .vgpr_count:     0
    .vgpr_spill_count: 0
    .wavefront_size: 64
  - .args:
      - .offset:         0
        .size:           72
        .value_kind:     by_value
    .group_segment_fixed_size: 0
    .kernarg_segment_align: 8
    .kernarg_segment_size: 72
    .language:       OpenCL C
    .language_version:
      - 2
      - 0
    .max_flat_workgroup_size: 256
    .name:           _ZN7rocprim17ROCPRIM_400000_NS6detail17trampoline_kernelINS0_14default_configENS1_22reduce_config_selectorIN6thrust23THRUST_200600_302600_NS5tupleIblNS6_9null_typeES8_S8_S8_S8_S8_S8_S8_EEEEZNS1_11reduce_implILb1ES3_PS9_SC_S9_NS6_11hip_rocprim9__find_if7functorIS9_EEEE10hipError_tPvRmT1_T2_T3_mT4_P12ihipStream_tbEUlT_E0_NS1_11comp_targetILNS1_3genE8ELNS1_11target_archE1030ELNS1_3gpuE2ELNS1_3repE0EEENS1_30default_config_static_selectorELNS0_4arch9wavefront6targetE1EEEvSK_
    .private_segment_fixed_size: 0
    .sgpr_count:     4
    .sgpr_spill_count: 0
    .symbol:         _ZN7rocprim17ROCPRIM_400000_NS6detail17trampoline_kernelINS0_14default_configENS1_22reduce_config_selectorIN6thrust23THRUST_200600_302600_NS5tupleIblNS6_9null_typeES8_S8_S8_S8_S8_S8_S8_EEEEZNS1_11reduce_implILb1ES3_PS9_SC_S9_NS6_11hip_rocprim9__find_if7functorIS9_EEEE10hipError_tPvRmT1_T2_T3_mT4_P12ihipStream_tbEUlT_E0_NS1_11comp_targetILNS1_3genE8ELNS1_11target_archE1030ELNS1_3gpuE2ELNS1_3repE0EEENS1_30default_config_static_selectorELNS0_4arch9wavefront6targetE1EEEvSK_.kd
    .uniform_work_group_size: 1
    .uses_dynamic_stack: false
    .vgpr_count:     0
    .vgpr_spill_count: 0
    .wavefront_size: 64
  - .args:
      - .offset:         0
        .size:           56
        .value_kind:     by_value
    .group_segment_fixed_size: 0
    .kernarg_segment_align: 8
    .kernarg_segment_size: 56
    .language:       OpenCL C
    .language_version:
      - 2
      - 0
    .max_flat_workgroup_size: 128
    .name:           _ZN7rocprim17ROCPRIM_400000_NS6detail17trampoline_kernelINS0_14default_configENS1_22reduce_config_selectorIN6thrust23THRUST_200600_302600_NS5tupleIblNS6_9null_typeES8_S8_S8_S8_S8_S8_S8_EEEEZNS1_11reduce_implILb1ES3_PS9_SC_S9_NS6_11hip_rocprim9__find_if7functorIS9_EEEE10hipError_tPvRmT1_T2_T3_mT4_P12ihipStream_tbEUlT_E1_NS1_11comp_targetILNS1_3genE0ELNS1_11target_archE4294967295ELNS1_3gpuE0ELNS1_3repE0EEENS1_30default_config_static_selectorELNS0_4arch9wavefront6targetE1EEEvSK_
    .private_segment_fixed_size: 0
    .sgpr_count:     4
    .sgpr_spill_count: 0
    .symbol:         _ZN7rocprim17ROCPRIM_400000_NS6detail17trampoline_kernelINS0_14default_configENS1_22reduce_config_selectorIN6thrust23THRUST_200600_302600_NS5tupleIblNS6_9null_typeES8_S8_S8_S8_S8_S8_S8_EEEEZNS1_11reduce_implILb1ES3_PS9_SC_S9_NS6_11hip_rocprim9__find_if7functorIS9_EEEE10hipError_tPvRmT1_T2_T3_mT4_P12ihipStream_tbEUlT_E1_NS1_11comp_targetILNS1_3genE0ELNS1_11target_archE4294967295ELNS1_3gpuE0ELNS1_3repE0EEENS1_30default_config_static_selectorELNS0_4arch9wavefront6targetE1EEEvSK_.kd
    .uniform_work_group_size: 1
    .uses_dynamic_stack: false
    .vgpr_count:     0
    .vgpr_spill_count: 0
    .wavefront_size: 64
  - .args:
      - .offset:         0
        .size:           56
        .value_kind:     by_value
    .group_segment_fixed_size: 0
    .kernarg_segment_align: 8
    .kernarg_segment_size: 56
    .language:       OpenCL C
    .language_version:
      - 2
      - 0
    .max_flat_workgroup_size: 256
    .name:           _ZN7rocprim17ROCPRIM_400000_NS6detail17trampoline_kernelINS0_14default_configENS1_22reduce_config_selectorIN6thrust23THRUST_200600_302600_NS5tupleIblNS6_9null_typeES8_S8_S8_S8_S8_S8_S8_EEEEZNS1_11reduce_implILb1ES3_PS9_SC_S9_NS6_11hip_rocprim9__find_if7functorIS9_EEEE10hipError_tPvRmT1_T2_T3_mT4_P12ihipStream_tbEUlT_E1_NS1_11comp_targetILNS1_3genE5ELNS1_11target_archE942ELNS1_3gpuE9ELNS1_3repE0EEENS1_30default_config_static_selectorELNS0_4arch9wavefront6targetE1EEEvSK_
    .private_segment_fixed_size: 0
    .sgpr_count:     4
    .sgpr_spill_count: 0
    .symbol:         _ZN7rocprim17ROCPRIM_400000_NS6detail17trampoline_kernelINS0_14default_configENS1_22reduce_config_selectorIN6thrust23THRUST_200600_302600_NS5tupleIblNS6_9null_typeES8_S8_S8_S8_S8_S8_S8_EEEEZNS1_11reduce_implILb1ES3_PS9_SC_S9_NS6_11hip_rocprim9__find_if7functorIS9_EEEE10hipError_tPvRmT1_T2_T3_mT4_P12ihipStream_tbEUlT_E1_NS1_11comp_targetILNS1_3genE5ELNS1_11target_archE942ELNS1_3gpuE9ELNS1_3repE0EEENS1_30default_config_static_selectorELNS0_4arch9wavefront6targetE1EEEvSK_.kd
    .uniform_work_group_size: 1
    .uses_dynamic_stack: false
    .vgpr_count:     0
    .vgpr_spill_count: 0
    .wavefront_size: 64
  - .args:
      - .offset:         0
        .size:           56
        .value_kind:     by_value
    .group_segment_fixed_size: 0
    .kernarg_segment_align: 8
    .kernarg_segment_size: 56
    .language:       OpenCL C
    .language_version:
      - 2
      - 0
    .max_flat_workgroup_size: 256
    .name:           _ZN7rocprim17ROCPRIM_400000_NS6detail17trampoline_kernelINS0_14default_configENS1_22reduce_config_selectorIN6thrust23THRUST_200600_302600_NS5tupleIblNS6_9null_typeES8_S8_S8_S8_S8_S8_S8_EEEEZNS1_11reduce_implILb1ES3_PS9_SC_S9_NS6_11hip_rocprim9__find_if7functorIS9_EEEE10hipError_tPvRmT1_T2_T3_mT4_P12ihipStream_tbEUlT_E1_NS1_11comp_targetILNS1_3genE4ELNS1_11target_archE910ELNS1_3gpuE8ELNS1_3repE0EEENS1_30default_config_static_selectorELNS0_4arch9wavefront6targetE1EEEvSK_
    .private_segment_fixed_size: 0
    .sgpr_count:     4
    .sgpr_spill_count: 0
    .symbol:         _ZN7rocprim17ROCPRIM_400000_NS6detail17trampoline_kernelINS0_14default_configENS1_22reduce_config_selectorIN6thrust23THRUST_200600_302600_NS5tupleIblNS6_9null_typeES8_S8_S8_S8_S8_S8_S8_EEEEZNS1_11reduce_implILb1ES3_PS9_SC_S9_NS6_11hip_rocprim9__find_if7functorIS9_EEEE10hipError_tPvRmT1_T2_T3_mT4_P12ihipStream_tbEUlT_E1_NS1_11comp_targetILNS1_3genE4ELNS1_11target_archE910ELNS1_3gpuE8ELNS1_3repE0EEENS1_30default_config_static_selectorELNS0_4arch9wavefront6targetE1EEEvSK_.kd
    .uniform_work_group_size: 1
    .uses_dynamic_stack: false
    .vgpr_count:     0
    .vgpr_spill_count: 0
    .wavefront_size: 64
  - .args:
      - .offset:         0
        .size:           56
        .value_kind:     by_value
    .group_segment_fixed_size: 0
    .kernarg_segment_align: 8
    .kernarg_segment_size: 56
    .language:       OpenCL C
    .language_version:
      - 2
      - 0
    .max_flat_workgroup_size: 128
    .name:           _ZN7rocprim17ROCPRIM_400000_NS6detail17trampoline_kernelINS0_14default_configENS1_22reduce_config_selectorIN6thrust23THRUST_200600_302600_NS5tupleIblNS6_9null_typeES8_S8_S8_S8_S8_S8_S8_EEEEZNS1_11reduce_implILb1ES3_PS9_SC_S9_NS6_11hip_rocprim9__find_if7functorIS9_EEEE10hipError_tPvRmT1_T2_T3_mT4_P12ihipStream_tbEUlT_E1_NS1_11comp_targetILNS1_3genE3ELNS1_11target_archE908ELNS1_3gpuE7ELNS1_3repE0EEENS1_30default_config_static_selectorELNS0_4arch9wavefront6targetE1EEEvSK_
    .private_segment_fixed_size: 0
    .sgpr_count:     4
    .sgpr_spill_count: 0
    .symbol:         _ZN7rocprim17ROCPRIM_400000_NS6detail17trampoline_kernelINS0_14default_configENS1_22reduce_config_selectorIN6thrust23THRUST_200600_302600_NS5tupleIblNS6_9null_typeES8_S8_S8_S8_S8_S8_S8_EEEEZNS1_11reduce_implILb1ES3_PS9_SC_S9_NS6_11hip_rocprim9__find_if7functorIS9_EEEE10hipError_tPvRmT1_T2_T3_mT4_P12ihipStream_tbEUlT_E1_NS1_11comp_targetILNS1_3genE3ELNS1_11target_archE908ELNS1_3gpuE7ELNS1_3repE0EEENS1_30default_config_static_selectorELNS0_4arch9wavefront6targetE1EEEvSK_.kd
    .uniform_work_group_size: 1
    .uses_dynamic_stack: false
    .vgpr_count:     0
    .vgpr_spill_count: 0
    .wavefront_size: 64
  - .args:
      - .offset:         0
        .size:           56
        .value_kind:     by_value
    .group_segment_fixed_size: 160
    .kernarg_segment_align: 8
    .kernarg_segment_size: 56
    .language:       OpenCL C
    .language_version:
      - 2
      - 0
    .max_flat_workgroup_size: 128
    .name:           _ZN7rocprim17ROCPRIM_400000_NS6detail17trampoline_kernelINS0_14default_configENS1_22reduce_config_selectorIN6thrust23THRUST_200600_302600_NS5tupleIblNS6_9null_typeES8_S8_S8_S8_S8_S8_S8_EEEEZNS1_11reduce_implILb1ES3_PS9_SC_S9_NS6_11hip_rocprim9__find_if7functorIS9_EEEE10hipError_tPvRmT1_T2_T3_mT4_P12ihipStream_tbEUlT_E1_NS1_11comp_targetILNS1_3genE2ELNS1_11target_archE906ELNS1_3gpuE6ELNS1_3repE0EEENS1_30default_config_static_selectorELNS0_4arch9wavefront6targetE1EEEvSK_
    .private_segment_fixed_size: 0
    .sgpr_count:     40
    .sgpr_spill_count: 0
    .symbol:         _ZN7rocprim17ROCPRIM_400000_NS6detail17trampoline_kernelINS0_14default_configENS1_22reduce_config_selectorIN6thrust23THRUST_200600_302600_NS5tupleIblNS6_9null_typeES8_S8_S8_S8_S8_S8_S8_EEEEZNS1_11reduce_implILb1ES3_PS9_SC_S9_NS6_11hip_rocprim9__find_if7functorIS9_EEEE10hipError_tPvRmT1_T2_T3_mT4_P12ihipStream_tbEUlT_E1_NS1_11comp_targetILNS1_3genE2ELNS1_11target_archE906ELNS1_3gpuE6ELNS1_3repE0EEENS1_30default_config_static_selectorELNS0_4arch9wavefront6targetE1EEEvSK_.kd
    .uniform_work_group_size: 1
    .uses_dynamic_stack: false
    .vgpr_count:     27
    .vgpr_spill_count: 0
    .wavefront_size: 64
  - .args:
      - .offset:         0
        .size:           56
        .value_kind:     by_value
    .group_segment_fixed_size: 0
    .kernarg_segment_align: 8
    .kernarg_segment_size: 56
    .language:       OpenCL C
    .language_version:
      - 2
      - 0
    .max_flat_workgroup_size: 256
    .name:           _ZN7rocprim17ROCPRIM_400000_NS6detail17trampoline_kernelINS0_14default_configENS1_22reduce_config_selectorIN6thrust23THRUST_200600_302600_NS5tupleIblNS6_9null_typeES8_S8_S8_S8_S8_S8_S8_EEEEZNS1_11reduce_implILb1ES3_PS9_SC_S9_NS6_11hip_rocprim9__find_if7functorIS9_EEEE10hipError_tPvRmT1_T2_T3_mT4_P12ihipStream_tbEUlT_E1_NS1_11comp_targetILNS1_3genE10ELNS1_11target_archE1201ELNS1_3gpuE5ELNS1_3repE0EEENS1_30default_config_static_selectorELNS0_4arch9wavefront6targetE1EEEvSK_
    .private_segment_fixed_size: 0
    .sgpr_count:     4
    .sgpr_spill_count: 0
    .symbol:         _ZN7rocprim17ROCPRIM_400000_NS6detail17trampoline_kernelINS0_14default_configENS1_22reduce_config_selectorIN6thrust23THRUST_200600_302600_NS5tupleIblNS6_9null_typeES8_S8_S8_S8_S8_S8_S8_EEEEZNS1_11reduce_implILb1ES3_PS9_SC_S9_NS6_11hip_rocprim9__find_if7functorIS9_EEEE10hipError_tPvRmT1_T2_T3_mT4_P12ihipStream_tbEUlT_E1_NS1_11comp_targetILNS1_3genE10ELNS1_11target_archE1201ELNS1_3gpuE5ELNS1_3repE0EEENS1_30default_config_static_selectorELNS0_4arch9wavefront6targetE1EEEvSK_.kd
    .uniform_work_group_size: 1
    .uses_dynamic_stack: false
    .vgpr_count:     0
    .vgpr_spill_count: 0
    .wavefront_size: 64
  - .args:
      - .offset:         0
        .size:           56
        .value_kind:     by_value
    .group_segment_fixed_size: 0
    .kernarg_segment_align: 8
    .kernarg_segment_size: 56
    .language:       OpenCL C
    .language_version:
      - 2
      - 0
    .max_flat_workgroup_size: 256
    .name:           _ZN7rocprim17ROCPRIM_400000_NS6detail17trampoline_kernelINS0_14default_configENS1_22reduce_config_selectorIN6thrust23THRUST_200600_302600_NS5tupleIblNS6_9null_typeES8_S8_S8_S8_S8_S8_S8_EEEEZNS1_11reduce_implILb1ES3_PS9_SC_S9_NS6_11hip_rocprim9__find_if7functorIS9_EEEE10hipError_tPvRmT1_T2_T3_mT4_P12ihipStream_tbEUlT_E1_NS1_11comp_targetILNS1_3genE10ELNS1_11target_archE1200ELNS1_3gpuE4ELNS1_3repE0EEENS1_30default_config_static_selectorELNS0_4arch9wavefront6targetE1EEEvSK_
    .private_segment_fixed_size: 0
    .sgpr_count:     4
    .sgpr_spill_count: 0
    .symbol:         _ZN7rocprim17ROCPRIM_400000_NS6detail17trampoline_kernelINS0_14default_configENS1_22reduce_config_selectorIN6thrust23THRUST_200600_302600_NS5tupleIblNS6_9null_typeES8_S8_S8_S8_S8_S8_S8_EEEEZNS1_11reduce_implILb1ES3_PS9_SC_S9_NS6_11hip_rocprim9__find_if7functorIS9_EEEE10hipError_tPvRmT1_T2_T3_mT4_P12ihipStream_tbEUlT_E1_NS1_11comp_targetILNS1_3genE10ELNS1_11target_archE1200ELNS1_3gpuE4ELNS1_3repE0EEENS1_30default_config_static_selectorELNS0_4arch9wavefront6targetE1EEEvSK_.kd
    .uniform_work_group_size: 1
    .uses_dynamic_stack: false
    .vgpr_count:     0
    .vgpr_spill_count: 0
    .wavefront_size: 64
  - .args:
      - .offset:         0
        .size:           56
        .value_kind:     by_value
    .group_segment_fixed_size: 0
    .kernarg_segment_align: 8
    .kernarg_segment_size: 56
    .language:       OpenCL C
    .language_version:
      - 2
      - 0
    .max_flat_workgroup_size: 256
    .name:           _ZN7rocprim17ROCPRIM_400000_NS6detail17trampoline_kernelINS0_14default_configENS1_22reduce_config_selectorIN6thrust23THRUST_200600_302600_NS5tupleIblNS6_9null_typeES8_S8_S8_S8_S8_S8_S8_EEEEZNS1_11reduce_implILb1ES3_PS9_SC_S9_NS6_11hip_rocprim9__find_if7functorIS9_EEEE10hipError_tPvRmT1_T2_T3_mT4_P12ihipStream_tbEUlT_E1_NS1_11comp_targetILNS1_3genE9ELNS1_11target_archE1100ELNS1_3gpuE3ELNS1_3repE0EEENS1_30default_config_static_selectorELNS0_4arch9wavefront6targetE1EEEvSK_
    .private_segment_fixed_size: 0
    .sgpr_count:     4
    .sgpr_spill_count: 0
    .symbol:         _ZN7rocprim17ROCPRIM_400000_NS6detail17trampoline_kernelINS0_14default_configENS1_22reduce_config_selectorIN6thrust23THRUST_200600_302600_NS5tupleIblNS6_9null_typeES8_S8_S8_S8_S8_S8_S8_EEEEZNS1_11reduce_implILb1ES3_PS9_SC_S9_NS6_11hip_rocprim9__find_if7functorIS9_EEEE10hipError_tPvRmT1_T2_T3_mT4_P12ihipStream_tbEUlT_E1_NS1_11comp_targetILNS1_3genE9ELNS1_11target_archE1100ELNS1_3gpuE3ELNS1_3repE0EEENS1_30default_config_static_selectorELNS0_4arch9wavefront6targetE1EEEvSK_.kd
    .uniform_work_group_size: 1
    .uses_dynamic_stack: false
    .vgpr_count:     0
    .vgpr_spill_count: 0
    .wavefront_size: 64
  - .args:
      - .offset:         0
        .size:           56
        .value_kind:     by_value
    .group_segment_fixed_size: 0
    .kernarg_segment_align: 8
    .kernarg_segment_size: 56
    .language:       OpenCL C
    .language_version:
      - 2
      - 0
    .max_flat_workgroup_size: 256
    .name:           _ZN7rocprim17ROCPRIM_400000_NS6detail17trampoline_kernelINS0_14default_configENS1_22reduce_config_selectorIN6thrust23THRUST_200600_302600_NS5tupleIblNS6_9null_typeES8_S8_S8_S8_S8_S8_S8_EEEEZNS1_11reduce_implILb1ES3_PS9_SC_S9_NS6_11hip_rocprim9__find_if7functorIS9_EEEE10hipError_tPvRmT1_T2_T3_mT4_P12ihipStream_tbEUlT_E1_NS1_11comp_targetILNS1_3genE8ELNS1_11target_archE1030ELNS1_3gpuE2ELNS1_3repE0EEENS1_30default_config_static_selectorELNS0_4arch9wavefront6targetE1EEEvSK_
    .private_segment_fixed_size: 0
    .sgpr_count:     4
    .sgpr_spill_count: 0
    .symbol:         _ZN7rocprim17ROCPRIM_400000_NS6detail17trampoline_kernelINS0_14default_configENS1_22reduce_config_selectorIN6thrust23THRUST_200600_302600_NS5tupleIblNS6_9null_typeES8_S8_S8_S8_S8_S8_S8_EEEEZNS1_11reduce_implILb1ES3_PS9_SC_S9_NS6_11hip_rocprim9__find_if7functorIS9_EEEE10hipError_tPvRmT1_T2_T3_mT4_P12ihipStream_tbEUlT_E1_NS1_11comp_targetILNS1_3genE8ELNS1_11target_archE1030ELNS1_3gpuE2ELNS1_3repE0EEENS1_30default_config_static_selectorELNS0_4arch9wavefront6targetE1EEEvSK_.kd
    .uniform_work_group_size: 1
    .uses_dynamic_stack: false
    .vgpr_count:     0
    .vgpr_spill_count: 0
    .wavefront_size: 64
  - .args:
      - .offset:         0
        .size:           104
        .value_kind:     by_value
    .group_segment_fixed_size: 0
    .kernarg_segment_align: 8
    .kernarg_segment_size: 104
    .language:       OpenCL C
    .language_version:
      - 2
      - 0
    .max_flat_workgroup_size: 128
    .name:           _ZN7rocprim17ROCPRIM_400000_NS6detail17trampoline_kernelINS0_14default_configENS1_22reduce_config_selectorIN6thrust23THRUST_200600_302600_NS5tupleIblNS6_9null_typeES8_S8_S8_S8_S8_S8_S8_EEEEZNS1_11reduce_implILb1ES3_NS6_12zip_iteratorINS7_INS6_11hip_rocprim26transform_input_iterator_tIbNSD_35transform_pair_of_input_iterators_tIbNS6_6detail15normal_iteratorINS6_10device_ptrIKiEEEESL_NS6_8equal_toIiEEEENSG_9not_fun_tINSD_8identityEEEEENSD_19counting_iterator_tIlEES8_S8_S8_S8_S8_S8_S8_S8_EEEEPS9_S9_NSD_9__find_if7functorIS9_EEEE10hipError_tPvRmT1_T2_T3_mT4_P12ihipStream_tbEUlT_E0_NS1_11comp_targetILNS1_3genE0ELNS1_11target_archE4294967295ELNS1_3gpuE0ELNS1_3repE0EEENS1_30default_config_static_selectorELNS0_4arch9wavefront6targetE1EEEvS14_
    .private_segment_fixed_size: 0
    .sgpr_count:     4
    .sgpr_spill_count: 0
    .symbol:         _ZN7rocprim17ROCPRIM_400000_NS6detail17trampoline_kernelINS0_14default_configENS1_22reduce_config_selectorIN6thrust23THRUST_200600_302600_NS5tupleIblNS6_9null_typeES8_S8_S8_S8_S8_S8_S8_EEEEZNS1_11reduce_implILb1ES3_NS6_12zip_iteratorINS7_INS6_11hip_rocprim26transform_input_iterator_tIbNSD_35transform_pair_of_input_iterators_tIbNS6_6detail15normal_iteratorINS6_10device_ptrIKiEEEESL_NS6_8equal_toIiEEEENSG_9not_fun_tINSD_8identityEEEEENSD_19counting_iterator_tIlEES8_S8_S8_S8_S8_S8_S8_S8_EEEEPS9_S9_NSD_9__find_if7functorIS9_EEEE10hipError_tPvRmT1_T2_T3_mT4_P12ihipStream_tbEUlT_E0_NS1_11comp_targetILNS1_3genE0ELNS1_11target_archE4294967295ELNS1_3gpuE0ELNS1_3repE0EEENS1_30default_config_static_selectorELNS0_4arch9wavefront6targetE1EEEvS14_.kd
    .uniform_work_group_size: 1
    .uses_dynamic_stack: false
    .vgpr_count:     0
    .vgpr_spill_count: 0
    .wavefront_size: 64
  - .args:
      - .offset:         0
        .size:           104
        .value_kind:     by_value
    .group_segment_fixed_size: 0
    .kernarg_segment_align: 8
    .kernarg_segment_size: 104
    .language:       OpenCL C
    .language_version:
      - 2
      - 0
    .max_flat_workgroup_size: 256
    .name:           _ZN7rocprim17ROCPRIM_400000_NS6detail17trampoline_kernelINS0_14default_configENS1_22reduce_config_selectorIN6thrust23THRUST_200600_302600_NS5tupleIblNS6_9null_typeES8_S8_S8_S8_S8_S8_S8_EEEEZNS1_11reduce_implILb1ES3_NS6_12zip_iteratorINS7_INS6_11hip_rocprim26transform_input_iterator_tIbNSD_35transform_pair_of_input_iterators_tIbNS6_6detail15normal_iteratorINS6_10device_ptrIKiEEEESL_NS6_8equal_toIiEEEENSG_9not_fun_tINSD_8identityEEEEENSD_19counting_iterator_tIlEES8_S8_S8_S8_S8_S8_S8_S8_EEEEPS9_S9_NSD_9__find_if7functorIS9_EEEE10hipError_tPvRmT1_T2_T3_mT4_P12ihipStream_tbEUlT_E0_NS1_11comp_targetILNS1_3genE5ELNS1_11target_archE942ELNS1_3gpuE9ELNS1_3repE0EEENS1_30default_config_static_selectorELNS0_4arch9wavefront6targetE1EEEvS14_
    .private_segment_fixed_size: 0
    .sgpr_count:     4
    .sgpr_spill_count: 0
    .symbol:         _ZN7rocprim17ROCPRIM_400000_NS6detail17trampoline_kernelINS0_14default_configENS1_22reduce_config_selectorIN6thrust23THRUST_200600_302600_NS5tupleIblNS6_9null_typeES8_S8_S8_S8_S8_S8_S8_EEEEZNS1_11reduce_implILb1ES3_NS6_12zip_iteratorINS7_INS6_11hip_rocprim26transform_input_iterator_tIbNSD_35transform_pair_of_input_iterators_tIbNS6_6detail15normal_iteratorINS6_10device_ptrIKiEEEESL_NS6_8equal_toIiEEEENSG_9not_fun_tINSD_8identityEEEEENSD_19counting_iterator_tIlEES8_S8_S8_S8_S8_S8_S8_S8_EEEEPS9_S9_NSD_9__find_if7functorIS9_EEEE10hipError_tPvRmT1_T2_T3_mT4_P12ihipStream_tbEUlT_E0_NS1_11comp_targetILNS1_3genE5ELNS1_11target_archE942ELNS1_3gpuE9ELNS1_3repE0EEENS1_30default_config_static_selectorELNS0_4arch9wavefront6targetE1EEEvS14_.kd
    .uniform_work_group_size: 1
    .uses_dynamic_stack: false
    .vgpr_count:     0
    .vgpr_spill_count: 0
    .wavefront_size: 64
  - .args:
      - .offset:         0
        .size:           104
        .value_kind:     by_value
    .group_segment_fixed_size: 0
    .kernarg_segment_align: 8
    .kernarg_segment_size: 104
    .language:       OpenCL C
    .language_version:
      - 2
      - 0
    .max_flat_workgroup_size: 256
    .name:           _ZN7rocprim17ROCPRIM_400000_NS6detail17trampoline_kernelINS0_14default_configENS1_22reduce_config_selectorIN6thrust23THRUST_200600_302600_NS5tupleIblNS6_9null_typeES8_S8_S8_S8_S8_S8_S8_EEEEZNS1_11reduce_implILb1ES3_NS6_12zip_iteratorINS7_INS6_11hip_rocprim26transform_input_iterator_tIbNSD_35transform_pair_of_input_iterators_tIbNS6_6detail15normal_iteratorINS6_10device_ptrIKiEEEESL_NS6_8equal_toIiEEEENSG_9not_fun_tINSD_8identityEEEEENSD_19counting_iterator_tIlEES8_S8_S8_S8_S8_S8_S8_S8_EEEEPS9_S9_NSD_9__find_if7functorIS9_EEEE10hipError_tPvRmT1_T2_T3_mT4_P12ihipStream_tbEUlT_E0_NS1_11comp_targetILNS1_3genE4ELNS1_11target_archE910ELNS1_3gpuE8ELNS1_3repE0EEENS1_30default_config_static_selectorELNS0_4arch9wavefront6targetE1EEEvS14_
    .private_segment_fixed_size: 0
    .sgpr_count:     4
    .sgpr_spill_count: 0
    .symbol:         _ZN7rocprim17ROCPRIM_400000_NS6detail17trampoline_kernelINS0_14default_configENS1_22reduce_config_selectorIN6thrust23THRUST_200600_302600_NS5tupleIblNS6_9null_typeES8_S8_S8_S8_S8_S8_S8_EEEEZNS1_11reduce_implILb1ES3_NS6_12zip_iteratorINS7_INS6_11hip_rocprim26transform_input_iterator_tIbNSD_35transform_pair_of_input_iterators_tIbNS6_6detail15normal_iteratorINS6_10device_ptrIKiEEEESL_NS6_8equal_toIiEEEENSG_9not_fun_tINSD_8identityEEEEENSD_19counting_iterator_tIlEES8_S8_S8_S8_S8_S8_S8_S8_EEEEPS9_S9_NSD_9__find_if7functorIS9_EEEE10hipError_tPvRmT1_T2_T3_mT4_P12ihipStream_tbEUlT_E0_NS1_11comp_targetILNS1_3genE4ELNS1_11target_archE910ELNS1_3gpuE8ELNS1_3repE0EEENS1_30default_config_static_selectorELNS0_4arch9wavefront6targetE1EEEvS14_.kd
    .uniform_work_group_size: 1
    .uses_dynamic_stack: false
    .vgpr_count:     0
    .vgpr_spill_count: 0
    .wavefront_size: 64
  - .args:
      - .offset:         0
        .size:           104
        .value_kind:     by_value
    .group_segment_fixed_size: 0
    .kernarg_segment_align: 8
    .kernarg_segment_size: 104
    .language:       OpenCL C
    .language_version:
      - 2
      - 0
    .max_flat_workgroup_size: 128
    .name:           _ZN7rocprim17ROCPRIM_400000_NS6detail17trampoline_kernelINS0_14default_configENS1_22reduce_config_selectorIN6thrust23THRUST_200600_302600_NS5tupleIblNS6_9null_typeES8_S8_S8_S8_S8_S8_S8_EEEEZNS1_11reduce_implILb1ES3_NS6_12zip_iteratorINS7_INS6_11hip_rocprim26transform_input_iterator_tIbNSD_35transform_pair_of_input_iterators_tIbNS6_6detail15normal_iteratorINS6_10device_ptrIKiEEEESL_NS6_8equal_toIiEEEENSG_9not_fun_tINSD_8identityEEEEENSD_19counting_iterator_tIlEES8_S8_S8_S8_S8_S8_S8_S8_EEEEPS9_S9_NSD_9__find_if7functorIS9_EEEE10hipError_tPvRmT1_T2_T3_mT4_P12ihipStream_tbEUlT_E0_NS1_11comp_targetILNS1_3genE3ELNS1_11target_archE908ELNS1_3gpuE7ELNS1_3repE0EEENS1_30default_config_static_selectorELNS0_4arch9wavefront6targetE1EEEvS14_
    .private_segment_fixed_size: 0
    .sgpr_count:     4
    .sgpr_spill_count: 0
    .symbol:         _ZN7rocprim17ROCPRIM_400000_NS6detail17trampoline_kernelINS0_14default_configENS1_22reduce_config_selectorIN6thrust23THRUST_200600_302600_NS5tupleIblNS6_9null_typeES8_S8_S8_S8_S8_S8_S8_EEEEZNS1_11reduce_implILb1ES3_NS6_12zip_iteratorINS7_INS6_11hip_rocprim26transform_input_iterator_tIbNSD_35transform_pair_of_input_iterators_tIbNS6_6detail15normal_iteratorINS6_10device_ptrIKiEEEESL_NS6_8equal_toIiEEEENSG_9not_fun_tINSD_8identityEEEEENSD_19counting_iterator_tIlEES8_S8_S8_S8_S8_S8_S8_S8_EEEEPS9_S9_NSD_9__find_if7functorIS9_EEEE10hipError_tPvRmT1_T2_T3_mT4_P12ihipStream_tbEUlT_E0_NS1_11comp_targetILNS1_3genE3ELNS1_11target_archE908ELNS1_3gpuE7ELNS1_3repE0EEENS1_30default_config_static_selectorELNS0_4arch9wavefront6targetE1EEEvS14_.kd
    .uniform_work_group_size: 1
    .uses_dynamic_stack: false
    .vgpr_count:     0
    .vgpr_spill_count: 0
    .wavefront_size: 64
  - .args:
      - .offset:         0
        .size:           104
        .value_kind:     by_value
    .group_segment_fixed_size: 64
    .kernarg_segment_align: 8
    .kernarg_segment_size: 104
    .language:       OpenCL C
    .language_version:
      - 2
      - 0
    .max_flat_workgroup_size: 128
    .name:           _ZN7rocprim17ROCPRIM_400000_NS6detail17trampoline_kernelINS0_14default_configENS1_22reduce_config_selectorIN6thrust23THRUST_200600_302600_NS5tupleIblNS6_9null_typeES8_S8_S8_S8_S8_S8_S8_EEEEZNS1_11reduce_implILb1ES3_NS6_12zip_iteratorINS7_INS6_11hip_rocprim26transform_input_iterator_tIbNSD_35transform_pair_of_input_iterators_tIbNS6_6detail15normal_iteratorINS6_10device_ptrIKiEEEESL_NS6_8equal_toIiEEEENSG_9not_fun_tINSD_8identityEEEEENSD_19counting_iterator_tIlEES8_S8_S8_S8_S8_S8_S8_S8_EEEEPS9_S9_NSD_9__find_if7functorIS9_EEEE10hipError_tPvRmT1_T2_T3_mT4_P12ihipStream_tbEUlT_E0_NS1_11comp_targetILNS1_3genE2ELNS1_11target_archE906ELNS1_3gpuE6ELNS1_3repE0EEENS1_30default_config_static_selectorELNS0_4arch9wavefront6targetE1EEEvS14_
    .private_segment_fixed_size: 0
    .sgpr_count:     34
    .sgpr_spill_count: 0
    .symbol:         _ZN7rocprim17ROCPRIM_400000_NS6detail17trampoline_kernelINS0_14default_configENS1_22reduce_config_selectorIN6thrust23THRUST_200600_302600_NS5tupleIblNS6_9null_typeES8_S8_S8_S8_S8_S8_S8_EEEEZNS1_11reduce_implILb1ES3_NS6_12zip_iteratorINS7_INS6_11hip_rocprim26transform_input_iterator_tIbNSD_35transform_pair_of_input_iterators_tIbNS6_6detail15normal_iteratorINS6_10device_ptrIKiEEEESL_NS6_8equal_toIiEEEENSG_9not_fun_tINSD_8identityEEEEENSD_19counting_iterator_tIlEES8_S8_S8_S8_S8_S8_S8_S8_EEEEPS9_S9_NSD_9__find_if7functorIS9_EEEE10hipError_tPvRmT1_T2_T3_mT4_P12ihipStream_tbEUlT_E0_NS1_11comp_targetILNS1_3genE2ELNS1_11target_archE906ELNS1_3gpuE6ELNS1_3repE0EEENS1_30default_config_static_selectorELNS0_4arch9wavefront6targetE1EEEvS14_.kd
    .uniform_work_group_size: 1
    .uses_dynamic_stack: false
    .vgpr_count:     14
    .vgpr_spill_count: 0
    .wavefront_size: 64
  - .args:
      - .offset:         0
        .size:           104
        .value_kind:     by_value
    .group_segment_fixed_size: 0
    .kernarg_segment_align: 8
    .kernarg_segment_size: 104
    .language:       OpenCL C
    .language_version:
      - 2
      - 0
    .max_flat_workgroup_size: 256
    .name:           _ZN7rocprim17ROCPRIM_400000_NS6detail17trampoline_kernelINS0_14default_configENS1_22reduce_config_selectorIN6thrust23THRUST_200600_302600_NS5tupleIblNS6_9null_typeES8_S8_S8_S8_S8_S8_S8_EEEEZNS1_11reduce_implILb1ES3_NS6_12zip_iteratorINS7_INS6_11hip_rocprim26transform_input_iterator_tIbNSD_35transform_pair_of_input_iterators_tIbNS6_6detail15normal_iteratorINS6_10device_ptrIKiEEEESL_NS6_8equal_toIiEEEENSG_9not_fun_tINSD_8identityEEEEENSD_19counting_iterator_tIlEES8_S8_S8_S8_S8_S8_S8_S8_EEEEPS9_S9_NSD_9__find_if7functorIS9_EEEE10hipError_tPvRmT1_T2_T3_mT4_P12ihipStream_tbEUlT_E0_NS1_11comp_targetILNS1_3genE10ELNS1_11target_archE1201ELNS1_3gpuE5ELNS1_3repE0EEENS1_30default_config_static_selectorELNS0_4arch9wavefront6targetE1EEEvS14_
    .private_segment_fixed_size: 0
    .sgpr_count:     4
    .sgpr_spill_count: 0
    .symbol:         _ZN7rocprim17ROCPRIM_400000_NS6detail17trampoline_kernelINS0_14default_configENS1_22reduce_config_selectorIN6thrust23THRUST_200600_302600_NS5tupleIblNS6_9null_typeES8_S8_S8_S8_S8_S8_S8_EEEEZNS1_11reduce_implILb1ES3_NS6_12zip_iteratorINS7_INS6_11hip_rocprim26transform_input_iterator_tIbNSD_35transform_pair_of_input_iterators_tIbNS6_6detail15normal_iteratorINS6_10device_ptrIKiEEEESL_NS6_8equal_toIiEEEENSG_9not_fun_tINSD_8identityEEEEENSD_19counting_iterator_tIlEES8_S8_S8_S8_S8_S8_S8_S8_EEEEPS9_S9_NSD_9__find_if7functorIS9_EEEE10hipError_tPvRmT1_T2_T3_mT4_P12ihipStream_tbEUlT_E0_NS1_11comp_targetILNS1_3genE10ELNS1_11target_archE1201ELNS1_3gpuE5ELNS1_3repE0EEENS1_30default_config_static_selectorELNS0_4arch9wavefront6targetE1EEEvS14_.kd
    .uniform_work_group_size: 1
    .uses_dynamic_stack: false
    .vgpr_count:     0
    .vgpr_spill_count: 0
    .wavefront_size: 64
  - .args:
      - .offset:         0
        .size:           104
        .value_kind:     by_value
    .group_segment_fixed_size: 0
    .kernarg_segment_align: 8
    .kernarg_segment_size: 104
    .language:       OpenCL C
    .language_version:
      - 2
      - 0
    .max_flat_workgroup_size: 256
    .name:           _ZN7rocprim17ROCPRIM_400000_NS6detail17trampoline_kernelINS0_14default_configENS1_22reduce_config_selectorIN6thrust23THRUST_200600_302600_NS5tupleIblNS6_9null_typeES8_S8_S8_S8_S8_S8_S8_EEEEZNS1_11reduce_implILb1ES3_NS6_12zip_iteratorINS7_INS6_11hip_rocprim26transform_input_iterator_tIbNSD_35transform_pair_of_input_iterators_tIbNS6_6detail15normal_iteratorINS6_10device_ptrIKiEEEESL_NS6_8equal_toIiEEEENSG_9not_fun_tINSD_8identityEEEEENSD_19counting_iterator_tIlEES8_S8_S8_S8_S8_S8_S8_S8_EEEEPS9_S9_NSD_9__find_if7functorIS9_EEEE10hipError_tPvRmT1_T2_T3_mT4_P12ihipStream_tbEUlT_E0_NS1_11comp_targetILNS1_3genE10ELNS1_11target_archE1200ELNS1_3gpuE4ELNS1_3repE0EEENS1_30default_config_static_selectorELNS0_4arch9wavefront6targetE1EEEvS14_
    .private_segment_fixed_size: 0
    .sgpr_count:     4
    .sgpr_spill_count: 0
    .symbol:         _ZN7rocprim17ROCPRIM_400000_NS6detail17trampoline_kernelINS0_14default_configENS1_22reduce_config_selectorIN6thrust23THRUST_200600_302600_NS5tupleIblNS6_9null_typeES8_S8_S8_S8_S8_S8_S8_EEEEZNS1_11reduce_implILb1ES3_NS6_12zip_iteratorINS7_INS6_11hip_rocprim26transform_input_iterator_tIbNSD_35transform_pair_of_input_iterators_tIbNS6_6detail15normal_iteratorINS6_10device_ptrIKiEEEESL_NS6_8equal_toIiEEEENSG_9not_fun_tINSD_8identityEEEEENSD_19counting_iterator_tIlEES8_S8_S8_S8_S8_S8_S8_S8_EEEEPS9_S9_NSD_9__find_if7functorIS9_EEEE10hipError_tPvRmT1_T2_T3_mT4_P12ihipStream_tbEUlT_E0_NS1_11comp_targetILNS1_3genE10ELNS1_11target_archE1200ELNS1_3gpuE4ELNS1_3repE0EEENS1_30default_config_static_selectorELNS0_4arch9wavefront6targetE1EEEvS14_.kd
    .uniform_work_group_size: 1
    .uses_dynamic_stack: false
    .vgpr_count:     0
    .vgpr_spill_count: 0
    .wavefront_size: 64
  - .args:
      - .offset:         0
        .size:           104
        .value_kind:     by_value
    .group_segment_fixed_size: 0
    .kernarg_segment_align: 8
    .kernarg_segment_size: 104
    .language:       OpenCL C
    .language_version:
      - 2
      - 0
    .max_flat_workgroup_size: 256
    .name:           _ZN7rocprim17ROCPRIM_400000_NS6detail17trampoline_kernelINS0_14default_configENS1_22reduce_config_selectorIN6thrust23THRUST_200600_302600_NS5tupleIblNS6_9null_typeES8_S8_S8_S8_S8_S8_S8_EEEEZNS1_11reduce_implILb1ES3_NS6_12zip_iteratorINS7_INS6_11hip_rocprim26transform_input_iterator_tIbNSD_35transform_pair_of_input_iterators_tIbNS6_6detail15normal_iteratorINS6_10device_ptrIKiEEEESL_NS6_8equal_toIiEEEENSG_9not_fun_tINSD_8identityEEEEENSD_19counting_iterator_tIlEES8_S8_S8_S8_S8_S8_S8_S8_EEEEPS9_S9_NSD_9__find_if7functorIS9_EEEE10hipError_tPvRmT1_T2_T3_mT4_P12ihipStream_tbEUlT_E0_NS1_11comp_targetILNS1_3genE9ELNS1_11target_archE1100ELNS1_3gpuE3ELNS1_3repE0EEENS1_30default_config_static_selectorELNS0_4arch9wavefront6targetE1EEEvS14_
    .private_segment_fixed_size: 0
    .sgpr_count:     4
    .sgpr_spill_count: 0
    .symbol:         _ZN7rocprim17ROCPRIM_400000_NS6detail17trampoline_kernelINS0_14default_configENS1_22reduce_config_selectorIN6thrust23THRUST_200600_302600_NS5tupleIblNS6_9null_typeES8_S8_S8_S8_S8_S8_S8_EEEEZNS1_11reduce_implILb1ES3_NS6_12zip_iteratorINS7_INS6_11hip_rocprim26transform_input_iterator_tIbNSD_35transform_pair_of_input_iterators_tIbNS6_6detail15normal_iteratorINS6_10device_ptrIKiEEEESL_NS6_8equal_toIiEEEENSG_9not_fun_tINSD_8identityEEEEENSD_19counting_iterator_tIlEES8_S8_S8_S8_S8_S8_S8_S8_EEEEPS9_S9_NSD_9__find_if7functorIS9_EEEE10hipError_tPvRmT1_T2_T3_mT4_P12ihipStream_tbEUlT_E0_NS1_11comp_targetILNS1_3genE9ELNS1_11target_archE1100ELNS1_3gpuE3ELNS1_3repE0EEENS1_30default_config_static_selectorELNS0_4arch9wavefront6targetE1EEEvS14_.kd
    .uniform_work_group_size: 1
    .uses_dynamic_stack: false
    .vgpr_count:     0
    .vgpr_spill_count: 0
    .wavefront_size: 64
  - .args:
      - .offset:         0
        .size:           104
        .value_kind:     by_value
    .group_segment_fixed_size: 0
    .kernarg_segment_align: 8
    .kernarg_segment_size: 104
    .language:       OpenCL C
    .language_version:
      - 2
      - 0
    .max_flat_workgroup_size: 256
    .name:           _ZN7rocprim17ROCPRIM_400000_NS6detail17trampoline_kernelINS0_14default_configENS1_22reduce_config_selectorIN6thrust23THRUST_200600_302600_NS5tupleIblNS6_9null_typeES8_S8_S8_S8_S8_S8_S8_EEEEZNS1_11reduce_implILb1ES3_NS6_12zip_iteratorINS7_INS6_11hip_rocprim26transform_input_iterator_tIbNSD_35transform_pair_of_input_iterators_tIbNS6_6detail15normal_iteratorINS6_10device_ptrIKiEEEESL_NS6_8equal_toIiEEEENSG_9not_fun_tINSD_8identityEEEEENSD_19counting_iterator_tIlEES8_S8_S8_S8_S8_S8_S8_S8_EEEEPS9_S9_NSD_9__find_if7functorIS9_EEEE10hipError_tPvRmT1_T2_T3_mT4_P12ihipStream_tbEUlT_E0_NS1_11comp_targetILNS1_3genE8ELNS1_11target_archE1030ELNS1_3gpuE2ELNS1_3repE0EEENS1_30default_config_static_selectorELNS0_4arch9wavefront6targetE1EEEvS14_
    .private_segment_fixed_size: 0
    .sgpr_count:     4
    .sgpr_spill_count: 0
    .symbol:         _ZN7rocprim17ROCPRIM_400000_NS6detail17trampoline_kernelINS0_14default_configENS1_22reduce_config_selectorIN6thrust23THRUST_200600_302600_NS5tupleIblNS6_9null_typeES8_S8_S8_S8_S8_S8_S8_EEEEZNS1_11reduce_implILb1ES3_NS6_12zip_iteratorINS7_INS6_11hip_rocprim26transform_input_iterator_tIbNSD_35transform_pair_of_input_iterators_tIbNS6_6detail15normal_iteratorINS6_10device_ptrIKiEEEESL_NS6_8equal_toIiEEEENSG_9not_fun_tINSD_8identityEEEEENSD_19counting_iterator_tIlEES8_S8_S8_S8_S8_S8_S8_S8_EEEEPS9_S9_NSD_9__find_if7functorIS9_EEEE10hipError_tPvRmT1_T2_T3_mT4_P12ihipStream_tbEUlT_E0_NS1_11comp_targetILNS1_3genE8ELNS1_11target_archE1030ELNS1_3gpuE2ELNS1_3repE0EEENS1_30default_config_static_selectorELNS0_4arch9wavefront6targetE1EEEvS14_.kd
    .uniform_work_group_size: 1
    .uses_dynamic_stack: false
    .vgpr_count:     0
    .vgpr_spill_count: 0
    .wavefront_size: 64
  - .args:
      - .offset:         0
        .size:           88
        .value_kind:     by_value
    .group_segment_fixed_size: 0
    .kernarg_segment_align: 8
    .kernarg_segment_size: 88
    .language:       OpenCL C
    .language_version:
      - 2
      - 0
    .max_flat_workgroup_size: 128
    .name:           _ZN7rocprim17ROCPRIM_400000_NS6detail17trampoline_kernelINS0_14default_configENS1_22reduce_config_selectorIN6thrust23THRUST_200600_302600_NS5tupleIblNS6_9null_typeES8_S8_S8_S8_S8_S8_S8_EEEEZNS1_11reduce_implILb1ES3_NS6_12zip_iteratorINS7_INS6_11hip_rocprim26transform_input_iterator_tIbNSD_35transform_pair_of_input_iterators_tIbNS6_6detail15normal_iteratorINS6_10device_ptrIKiEEEESL_NS6_8equal_toIiEEEENSG_9not_fun_tINSD_8identityEEEEENSD_19counting_iterator_tIlEES8_S8_S8_S8_S8_S8_S8_S8_EEEEPS9_S9_NSD_9__find_if7functorIS9_EEEE10hipError_tPvRmT1_T2_T3_mT4_P12ihipStream_tbEUlT_E1_NS1_11comp_targetILNS1_3genE0ELNS1_11target_archE4294967295ELNS1_3gpuE0ELNS1_3repE0EEENS1_30default_config_static_selectorELNS0_4arch9wavefront6targetE1EEEvS14_
    .private_segment_fixed_size: 0
    .sgpr_count:     4
    .sgpr_spill_count: 0
    .symbol:         _ZN7rocprim17ROCPRIM_400000_NS6detail17trampoline_kernelINS0_14default_configENS1_22reduce_config_selectorIN6thrust23THRUST_200600_302600_NS5tupleIblNS6_9null_typeES8_S8_S8_S8_S8_S8_S8_EEEEZNS1_11reduce_implILb1ES3_NS6_12zip_iteratorINS7_INS6_11hip_rocprim26transform_input_iterator_tIbNSD_35transform_pair_of_input_iterators_tIbNS6_6detail15normal_iteratorINS6_10device_ptrIKiEEEESL_NS6_8equal_toIiEEEENSG_9not_fun_tINSD_8identityEEEEENSD_19counting_iterator_tIlEES8_S8_S8_S8_S8_S8_S8_S8_EEEEPS9_S9_NSD_9__find_if7functorIS9_EEEE10hipError_tPvRmT1_T2_T3_mT4_P12ihipStream_tbEUlT_E1_NS1_11comp_targetILNS1_3genE0ELNS1_11target_archE4294967295ELNS1_3gpuE0ELNS1_3repE0EEENS1_30default_config_static_selectorELNS0_4arch9wavefront6targetE1EEEvS14_.kd
    .uniform_work_group_size: 1
    .uses_dynamic_stack: false
    .vgpr_count:     0
    .vgpr_spill_count: 0
    .wavefront_size: 64
  - .args:
      - .offset:         0
        .size:           88
        .value_kind:     by_value
    .group_segment_fixed_size: 0
    .kernarg_segment_align: 8
    .kernarg_segment_size: 88
    .language:       OpenCL C
    .language_version:
      - 2
      - 0
    .max_flat_workgroup_size: 256
    .name:           _ZN7rocprim17ROCPRIM_400000_NS6detail17trampoline_kernelINS0_14default_configENS1_22reduce_config_selectorIN6thrust23THRUST_200600_302600_NS5tupleIblNS6_9null_typeES8_S8_S8_S8_S8_S8_S8_EEEEZNS1_11reduce_implILb1ES3_NS6_12zip_iteratorINS7_INS6_11hip_rocprim26transform_input_iterator_tIbNSD_35transform_pair_of_input_iterators_tIbNS6_6detail15normal_iteratorINS6_10device_ptrIKiEEEESL_NS6_8equal_toIiEEEENSG_9not_fun_tINSD_8identityEEEEENSD_19counting_iterator_tIlEES8_S8_S8_S8_S8_S8_S8_S8_EEEEPS9_S9_NSD_9__find_if7functorIS9_EEEE10hipError_tPvRmT1_T2_T3_mT4_P12ihipStream_tbEUlT_E1_NS1_11comp_targetILNS1_3genE5ELNS1_11target_archE942ELNS1_3gpuE9ELNS1_3repE0EEENS1_30default_config_static_selectorELNS0_4arch9wavefront6targetE1EEEvS14_
    .private_segment_fixed_size: 0
    .sgpr_count:     4
    .sgpr_spill_count: 0
    .symbol:         _ZN7rocprim17ROCPRIM_400000_NS6detail17trampoline_kernelINS0_14default_configENS1_22reduce_config_selectorIN6thrust23THRUST_200600_302600_NS5tupleIblNS6_9null_typeES8_S8_S8_S8_S8_S8_S8_EEEEZNS1_11reduce_implILb1ES3_NS6_12zip_iteratorINS7_INS6_11hip_rocprim26transform_input_iterator_tIbNSD_35transform_pair_of_input_iterators_tIbNS6_6detail15normal_iteratorINS6_10device_ptrIKiEEEESL_NS6_8equal_toIiEEEENSG_9not_fun_tINSD_8identityEEEEENSD_19counting_iterator_tIlEES8_S8_S8_S8_S8_S8_S8_S8_EEEEPS9_S9_NSD_9__find_if7functorIS9_EEEE10hipError_tPvRmT1_T2_T3_mT4_P12ihipStream_tbEUlT_E1_NS1_11comp_targetILNS1_3genE5ELNS1_11target_archE942ELNS1_3gpuE9ELNS1_3repE0EEENS1_30default_config_static_selectorELNS0_4arch9wavefront6targetE1EEEvS14_.kd
    .uniform_work_group_size: 1
    .uses_dynamic_stack: false
    .vgpr_count:     0
    .vgpr_spill_count: 0
    .wavefront_size: 64
  - .args:
      - .offset:         0
        .size:           88
        .value_kind:     by_value
    .group_segment_fixed_size: 0
    .kernarg_segment_align: 8
    .kernarg_segment_size: 88
    .language:       OpenCL C
    .language_version:
      - 2
      - 0
    .max_flat_workgroup_size: 256
    .name:           _ZN7rocprim17ROCPRIM_400000_NS6detail17trampoline_kernelINS0_14default_configENS1_22reduce_config_selectorIN6thrust23THRUST_200600_302600_NS5tupleIblNS6_9null_typeES8_S8_S8_S8_S8_S8_S8_EEEEZNS1_11reduce_implILb1ES3_NS6_12zip_iteratorINS7_INS6_11hip_rocprim26transform_input_iterator_tIbNSD_35transform_pair_of_input_iterators_tIbNS6_6detail15normal_iteratorINS6_10device_ptrIKiEEEESL_NS6_8equal_toIiEEEENSG_9not_fun_tINSD_8identityEEEEENSD_19counting_iterator_tIlEES8_S8_S8_S8_S8_S8_S8_S8_EEEEPS9_S9_NSD_9__find_if7functorIS9_EEEE10hipError_tPvRmT1_T2_T3_mT4_P12ihipStream_tbEUlT_E1_NS1_11comp_targetILNS1_3genE4ELNS1_11target_archE910ELNS1_3gpuE8ELNS1_3repE0EEENS1_30default_config_static_selectorELNS0_4arch9wavefront6targetE1EEEvS14_
    .private_segment_fixed_size: 0
    .sgpr_count:     4
    .sgpr_spill_count: 0
    .symbol:         _ZN7rocprim17ROCPRIM_400000_NS6detail17trampoline_kernelINS0_14default_configENS1_22reduce_config_selectorIN6thrust23THRUST_200600_302600_NS5tupleIblNS6_9null_typeES8_S8_S8_S8_S8_S8_S8_EEEEZNS1_11reduce_implILb1ES3_NS6_12zip_iteratorINS7_INS6_11hip_rocprim26transform_input_iterator_tIbNSD_35transform_pair_of_input_iterators_tIbNS6_6detail15normal_iteratorINS6_10device_ptrIKiEEEESL_NS6_8equal_toIiEEEENSG_9not_fun_tINSD_8identityEEEEENSD_19counting_iterator_tIlEES8_S8_S8_S8_S8_S8_S8_S8_EEEEPS9_S9_NSD_9__find_if7functorIS9_EEEE10hipError_tPvRmT1_T2_T3_mT4_P12ihipStream_tbEUlT_E1_NS1_11comp_targetILNS1_3genE4ELNS1_11target_archE910ELNS1_3gpuE8ELNS1_3repE0EEENS1_30default_config_static_selectorELNS0_4arch9wavefront6targetE1EEEvS14_.kd
    .uniform_work_group_size: 1
    .uses_dynamic_stack: false
    .vgpr_count:     0
    .vgpr_spill_count: 0
    .wavefront_size: 64
  - .args:
      - .offset:         0
        .size:           88
        .value_kind:     by_value
    .group_segment_fixed_size: 0
    .kernarg_segment_align: 8
    .kernarg_segment_size: 88
    .language:       OpenCL C
    .language_version:
      - 2
      - 0
    .max_flat_workgroup_size: 128
    .name:           _ZN7rocprim17ROCPRIM_400000_NS6detail17trampoline_kernelINS0_14default_configENS1_22reduce_config_selectorIN6thrust23THRUST_200600_302600_NS5tupleIblNS6_9null_typeES8_S8_S8_S8_S8_S8_S8_EEEEZNS1_11reduce_implILb1ES3_NS6_12zip_iteratorINS7_INS6_11hip_rocprim26transform_input_iterator_tIbNSD_35transform_pair_of_input_iterators_tIbNS6_6detail15normal_iteratorINS6_10device_ptrIKiEEEESL_NS6_8equal_toIiEEEENSG_9not_fun_tINSD_8identityEEEEENSD_19counting_iterator_tIlEES8_S8_S8_S8_S8_S8_S8_S8_EEEEPS9_S9_NSD_9__find_if7functorIS9_EEEE10hipError_tPvRmT1_T2_T3_mT4_P12ihipStream_tbEUlT_E1_NS1_11comp_targetILNS1_3genE3ELNS1_11target_archE908ELNS1_3gpuE7ELNS1_3repE0EEENS1_30default_config_static_selectorELNS0_4arch9wavefront6targetE1EEEvS14_
    .private_segment_fixed_size: 0
    .sgpr_count:     4
    .sgpr_spill_count: 0
    .symbol:         _ZN7rocprim17ROCPRIM_400000_NS6detail17trampoline_kernelINS0_14default_configENS1_22reduce_config_selectorIN6thrust23THRUST_200600_302600_NS5tupleIblNS6_9null_typeES8_S8_S8_S8_S8_S8_S8_EEEEZNS1_11reduce_implILb1ES3_NS6_12zip_iteratorINS7_INS6_11hip_rocprim26transform_input_iterator_tIbNSD_35transform_pair_of_input_iterators_tIbNS6_6detail15normal_iteratorINS6_10device_ptrIKiEEEESL_NS6_8equal_toIiEEEENSG_9not_fun_tINSD_8identityEEEEENSD_19counting_iterator_tIlEES8_S8_S8_S8_S8_S8_S8_S8_EEEEPS9_S9_NSD_9__find_if7functorIS9_EEEE10hipError_tPvRmT1_T2_T3_mT4_P12ihipStream_tbEUlT_E1_NS1_11comp_targetILNS1_3genE3ELNS1_11target_archE908ELNS1_3gpuE7ELNS1_3repE0EEENS1_30default_config_static_selectorELNS0_4arch9wavefront6targetE1EEEvS14_.kd
    .uniform_work_group_size: 1
    .uses_dynamic_stack: false
    .vgpr_count:     0
    .vgpr_spill_count: 0
    .wavefront_size: 64
  - .args:
      - .offset:         0
        .size:           88
        .value_kind:     by_value
    .group_segment_fixed_size: 160
    .kernarg_segment_align: 8
    .kernarg_segment_size: 88
    .language:       OpenCL C
    .language_version:
      - 2
      - 0
    .max_flat_workgroup_size: 128
    .name:           _ZN7rocprim17ROCPRIM_400000_NS6detail17trampoline_kernelINS0_14default_configENS1_22reduce_config_selectorIN6thrust23THRUST_200600_302600_NS5tupleIblNS6_9null_typeES8_S8_S8_S8_S8_S8_S8_EEEEZNS1_11reduce_implILb1ES3_NS6_12zip_iteratorINS7_INS6_11hip_rocprim26transform_input_iterator_tIbNSD_35transform_pair_of_input_iterators_tIbNS6_6detail15normal_iteratorINS6_10device_ptrIKiEEEESL_NS6_8equal_toIiEEEENSG_9not_fun_tINSD_8identityEEEEENSD_19counting_iterator_tIlEES8_S8_S8_S8_S8_S8_S8_S8_EEEEPS9_S9_NSD_9__find_if7functorIS9_EEEE10hipError_tPvRmT1_T2_T3_mT4_P12ihipStream_tbEUlT_E1_NS1_11comp_targetILNS1_3genE2ELNS1_11target_archE906ELNS1_3gpuE6ELNS1_3repE0EEENS1_30default_config_static_selectorELNS0_4arch9wavefront6targetE1EEEvS14_
    .private_segment_fixed_size: 0
    .sgpr_count:     46
    .sgpr_spill_count: 0
    .symbol:         _ZN7rocprim17ROCPRIM_400000_NS6detail17trampoline_kernelINS0_14default_configENS1_22reduce_config_selectorIN6thrust23THRUST_200600_302600_NS5tupleIblNS6_9null_typeES8_S8_S8_S8_S8_S8_S8_EEEEZNS1_11reduce_implILb1ES3_NS6_12zip_iteratorINS7_INS6_11hip_rocprim26transform_input_iterator_tIbNSD_35transform_pair_of_input_iterators_tIbNS6_6detail15normal_iteratorINS6_10device_ptrIKiEEEESL_NS6_8equal_toIiEEEENSG_9not_fun_tINSD_8identityEEEEENSD_19counting_iterator_tIlEES8_S8_S8_S8_S8_S8_S8_S8_EEEEPS9_S9_NSD_9__find_if7functorIS9_EEEE10hipError_tPvRmT1_T2_T3_mT4_P12ihipStream_tbEUlT_E1_NS1_11comp_targetILNS1_3genE2ELNS1_11target_archE906ELNS1_3gpuE6ELNS1_3repE0EEENS1_30default_config_static_selectorELNS0_4arch9wavefront6targetE1EEEvS14_.kd
    .uniform_work_group_size: 1
    .uses_dynamic_stack: false
    .vgpr_count:     27
    .vgpr_spill_count: 0
    .wavefront_size: 64
  - .args:
      - .offset:         0
        .size:           88
        .value_kind:     by_value
    .group_segment_fixed_size: 0
    .kernarg_segment_align: 8
    .kernarg_segment_size: 88
    .language:       OpenCL C
    .language_version:
      - 2
      - 0
    .max_flat_workgroup_size: 256
    .name:           _ZN7rocprim17ROCPRIM_400000_NS6detail17trampoline_kernelINS0_14default_configENS1_22reduce_config_selectorIN6thrust23THRUST_200600_302600_NS5tupleIblNS6_9null_typeES8_S8_S8_S8_S8_S8_S8_EEEEZNS1_11reduce_implILb1ES3_NS6_12zip_iteratorINS7_INS6_11hip_rocprim26transform_input_iterator_tIbNSD_35transform_pair_of_input_iterators_tIbNS6_6detail15normal_iteratorINS6_10device_ptrIKiEEEESL_NS6_8equal_toIiEEEENSG_9not_fun_tINSD_8identityEEEEENSD_19counting_iterator_tIlEES8_S8_S8_S8_S8_S8_S8_S8_EEEEPS9_S9_NSD_9__find_if7functorIS9_EEEE10hipError_tPvRmT1_T2_T3_mT4_P12ihipStream_tbEUlT_E1_NS1_11comp_targetILNS1_3genE10ELNS1_11target_archE1201ELNS1_3gpuE5ELNS1_3repE0EEENS1_30default_config_static_selectorELNS0_4arch9wavefront6targetE1EEEvS14_
    .private_segment_fixed_size: 0
    .sgpr_count:     4
    .sgpr_spill_count: 0
    .symbol:         _ZN7rocprim17ROCPRIM_400000_NS6detail17trampoline_kernelINS0_14default_configENS1_22reduce_config_selectorIN6thrust23THRUST_200600_302600_NS5tupleIblNS6_9null_typeES8_S8_S8_S8_S8_S8_S8_EEEEZNS1_11reduce_implILb1ES3_NS6_12zip_iteratorINS7_INS6_11hip_rocprim26transform_input_iterator_tIbNSD_35transform_pair_of_input_iterators_tIbNS6_6detail15normal_iteratorINS6_10device_ptrIKiEEEESL_NS6_8equal_toIiEEEENSG_9not_fun_tINSD_8identityEEEEENSD_19counting_iterator_tIlEES8_S8_S8_S8_S8_S8_S8_S8_EEEEPS9_S9_NSD_9__find_if7functorIS9_EEEE10hipError_tPvRmT1_T2_T3_mT4_P12ihipStream_tbEUlT_E1_NS1_11comp_targetILNS1_3genE10ELNS1_11target_archE1201ELNS1_3gpuE5ELNS1_3repE0EEENS1_30default_config_static_selectorELNS0_4arch9wavefront6targetE1EEEvS14_.kd
    .uniform_work_group_size: 1
    .uses_dynamic_stack: false
    .vgpr_count:     0
    .vgpr_spill_count: 0
    .wavefront_size: 64
  - .args:
      - .offset:         0
        .size:           88
        .value_kind:     by_value
    .group_segment_fixed_size: 0
    .kernarg_segment_align: 8
    .kernarg_segment_size: 88
    .language:       OpenCL C
    .language_version:
      - 2
      - 0
    .max_flat_workgroup_size: 256
    .name:           _ZN7rocprim17ROCPRIM_400000_NS6detail17trampoline_kernelINS0_14default_configENS1_22reduce_config_selectorIN6thrust23THRUST_200600_302600_NS5tupleIblNS6_9null_typeES8_S8_S8_S8_S8_S8_S8_EEEEZNS1_11reduce_implILb1ES3_NS6_12zip_iteratorINS7_INS6_11hip_rocprim26transform_input_iterator_tIbNSD_35transform_pair_of_input_iterators_tIbNS6_6detail15normal_iteratorINS6_10device_ptrIKiEEEESL_NS6_8equal_toIiEEEENSG_9not_fun_tINSD_8identityEEEEENSD_19counting_iterator_tIlEES8_S8_S8_S8_S8_S8_S8_S8_EEEEPS9_S9_NSD_9__find_if7functorIS9_EEEE10hipError_tPvRmT1_T2_T3_mT4_P12ihipStream_tbEUlT_E1_NS1_11comp_targetILNS1_3genE10ELNS1_11target_archE1200ELNS1_3gpuE4ELNS1_3repE0EEENS1_30default_config_static_selectorELNS0_4arch9wavefront6targetE1EEEvS14_
    .private_segment_fixed_size: 0
    .sgpr_count:     4
    .sgpr_spill_count: 0
    .symbol:         _ZN7rocprim17ROCPRIM_400000_NS6detail17trampoline_kernelINS0_14default_configENS1_22reduce_config_selectorIN6thrust23THRUST_200600_302600_NS5tupleIblNS6_9null_typeES8_S8_S8_S8_S8_S8_S8_EEEEZNS1_11reduce_implILb1ES3_NS6_12zip_iteratorINS7_INS6_11hip_rocprim26transform_input_iterator_tIbNSD_35transform_pair_of_input_iterators_tIbNS6_6detail15normal_iteratorINS6_10device_ptrIKiEEEESL_NS6_8equal_toIiEEEENSG_9not_fun_tINSD_8identityEEEEENSD_19counting_iterator_tIlEES8_S8_S8_S8_S8_S8_S8_S8_EEEEPS9_S9_NSD_9__find_if7functorIS9_EEEE10hipError_tPvRmT1_T2_T3_mT4_P12ihipStream_tbEUlT_E1_NS1_11comp_targetILNS1_3genE10ELNS1_11target_archE1200ELNS1_3gpuE4ELNS1_3repE0EEENS1_30default_config_static_selectorELNS0_4arch9wavefront6targetE1EEEvS14_.kd
    .uniform_work_group_size: 1
    .uses_dynamic_stack: false
    .vgpr_count:     0
    .vgpr_spill_count: 0
    .wavefront_size: 64
  - .args:
      - .offset:         0
        .size:           88
        .value_kind:     by_value
    .group_segment_fixed_size: 0
    .kernarg_segment_align: 8
    .kernarg_segment_size: 88
    .language:       OpenCL C
    .language_version:
      - 2
      - 0
    .max_flat_workgroup_size: 256
    .name:           _ZN7rocprim17ROCPRIM_400000_NS6detail17trampoline_kernelINS0_14default_configENS1_22reduce_config_selectorIN6thrust23THRUST_200600_302600_NS5tupleIblNS6_9null_typeES8_S8_S8_S8_S8_S8_S8_EEEEZNS1_11reduce_implILb1ES3_NS6_12zip_iteratorINS7_INS6_11hip_rocprim26transform_input_iterator_tIbNSD_35transform_pair_of_input_iterators_tIbNS6_6detail15normal_iteratorINS6_10device_ptrIKiEEEESL_NS6_8equal_toIiEEEENSG_9not_fun_tINSD_8identityEEEEENSD_19counting_iterator_tIlEES8_S8_S8_S8_S8_S8_S8_S8_EEEEPS9_S9_NSD_9__find_if7functorIS9_EEEE10hipError_tPvRmT1_T2_T3_mT4_P12ihipStream_tbEUlT_E1_NS1_11comp_targetILNS1_3genE9ELNS1_11target_archE1100ELNS1_3gpuE3ELNS1_3repE0EEENS1_30default_config_static_selectorELNS0_4arch9wavefront6targetE1EEEvS14_
    .private_segment_fixed_size: 0
    .sgpr_count:     4
    .sgpr_spill_count: 0
    .symbol:         _ZN7rocprim17ROCPRIM_400000_NS6detail17trampoline_kernelINS0_14default_configENS1_22reduce_config_selectorIN6thrust23THRUST_200600_302600_NS5tupleIblNS6_9null_typeES8_S8_S8_S8_S8_S8_S8_EEEEZNS1_11reduce_implILb1ES3_NS6_12zip_iteratorINS7_INS6_11hip_rocprim26transform_input_iterator_tIbNSD_35transform_pair_of_input_iterators_tIbNS6_6detail15normal_iteratorINS6_10device_ptrIKiEEEESL_NS6_8equal_toIiEEEENSG_9not_fun_tINSD_8identityEEEEENSD_19counting_iterator_tIlEES8_S8_S8_S8_S8_S8_S8_S8_EEEEPS9_S9_NSD_9__find_if7functorIS9_EEEE10hipError_tPvRmT1_T2_T3_mT4_P12ihipStream_tbEUlT_E1_NS1_11comp_targetILNS1_3genE9ELNS1_11target_archE1100ELNS1_3gpuE3ELNS1_3repE0EEENS1_30default_config_static_selectorELNS0_4arch9wavefront6targetE1EEEvS14_.kd
    .uniform_work_group_size: 1
    .uses_dynamic_stack: false
    .vgpr_count:     0
    .vgpr_spill_count: 0
    .wavefront_size: 64
  - .args:
      - .offset:         0
        .size:           88
        .value_kind:     by_value
    .group_segment_fixed_size: 0
    .kernarg_segment_align: 8
    .kernarg_segment_size: 88
    .language:       OpenCL C
    .language_version:
      - 2
      - 0
    .max_flat_workgroup_size: 256
    .name:           _ZN7rocprim17ROCPRIM_400000_NS6detail17trampoline_kernelINS0_14default_configENS1_22reduce_config_selectorIN6thrust23THRUST_200600_302600_NS5tupleIblNS6_9null_typeES8_S8_S8_S8_S8_S8_S8_EEEEZNS1_11reduce_implILb1ES3_NS6_12zip_iteratorINS7_INS6_11hip_rocprim26transform_input_iterator_tIbNSD_35transform_pair_of_input_iterators_tIbNS6_6detail15normal_iteratorINS6_10device_ptrIKiEEEESL_NS6_8equal_toIiEEEENSG_9not_fun_tINSD_8identityEEEEENSD_19counting_iterator_tIlEES8_S8_S8_S8_S8_S8_S8_S8_EEEEPS9_S9_NSD_9__find_if7functorIS9_EEEE10hipError_tPvRmT1_T2_T3_mT4_P12ihipStream_tbEUlT_E1_NS1_11comp_targetILNS1_3genE8ELNS1_11target_archE1030ELNS1_3gpuE2ELNS1_3repE0EEENS1_30default_config_static_selectorELNS0_4arch9wavefront6targetE1EEEvS14_
    .private_segment_fixed_size: 0
    .sgpr_count:     4
    .sgpr_spill_count: 0
    .symbol:         _ZN7rocprim17ROCPRIM_400000_NS6detail17trampoline_kernelINS0_14default_configENS1_22reduce_config_selectorIN6thrust23THRUST_200600_302600_NS5tupleIblNS6_9null_typeES8_S8_S8_S8_S8_S8_S8_EEEEZNS1_11reduce_implILb1ES3_NS6_12zip_iteratorINS7_INS6_11hip_rocprim26transform_input_iterator_tIbNSD_35transform_pair_of_input_iterators_tIbNS6_6detail15normal_iteratorINS6_10device_ptrIKiEEEESL_NS6_8equal_toIiEEEENSG_9not_fun_tINSD_8identityEEEEENSD_19counting_iterator_tIlEES8_S8_S8_S8_S8_S8_S8_S8_EEEEPS9_S9_NSD_9__find_if7functorIS9_EEEE10hipError_tPvRmT1_T2_T3_mT4_P12ihipStream_tbEUlT_E1_NS1_11comp_targetILNS1_3genE8ELNS1_11target_archE1030ELNS1_3gpuE2ELNS1_3repE0EEENS1_30default_config_static_selectorELNS0_4arch9wavefront6targetE1EEEvS14_.kd
    .uniform_work_group_size: 1
    .uses_dynamic_stack: false
    .vgpr_count:     0
    .vgpr_spill_count: 0
    .wavefront_size: 64
  - .args:
      - .offset:         0
        .size:           16
        .value_kind:     by_value
      - .offset:         16
        .size:           8
        .value_kind:     by_value
      - .offset:         24
        .size:           8
        .value_kind:     by_value
    .group_segment_fixed_size: 0
    .kernarg_segment_align: 8
    .kernarg_segment_size: 32
    .language:       OpenCL C
    .language_version:
      - 2
      - 0
    .max_flat_workgroup_size: 256
    .name:           _ZN6thrust23THRUST_200600_302600_NS11hip_rocprim14__parallel_for6kernelILj256ENS1_10for_each_fINS0_7pointerINS0_5tupleIblNS0_9null_typeES7_S7_S7_S7_S7_S7_S7_EENS1_3tagENS0_11use_defaultESA_EENS0_6detail16wrapped_functionINSC_23allocator_traits_detail24construct1_via_allocatorINSC_18no_throw_allocatorINSC_19temporary_allocatorIS8_S9_EEEEEEvEEEEmLj1EEEvT0_T1_SO_
    .private_segment_fixed_size: 0
    .sgpr_count:     16
    .sgpr_spill_count: 0
    .symbol:         _ZN6thrust23THRUST_200600_302600_NS11hip_rocprim14__parallel_for6kernelILj256ENS1_10for_each_fINS0_7pointerINS0_5tupleIblNS0_9null_typeES7_S7_S7_S7_S7_S7_S7_EENS1_3tagENS0_11use_defaultESA_EENS0_6detail16wrapped_functionINSC_23allocator_traits_detail24construct1_via_allocatorINSC_18no_throw_allocatorINSC_19temporary_allocatorIS8_S9_EEEEEEvEEEEmLj1EEEvT0_T1_SO_.kd
    .uniform_work_group_size: 1
    .uses_dynamic_stack: false
    .vgpr_count:     5
    .vgpr_spill_count: 0
    .wavefront_size: 64
  - .args:
      - .offset:         0
        .size:           16
        .value_kind:     by_value
      - .offset:         16
        .size:           8
        .value_kind:     by_value
      - .offset:         24
        .size:           8
        .value_kind:     by_value
    .group_segment_fixed_size: 0
    .kernarg_segment_align: 8
    .kernarg_segment_size: 32
    .language:       OpenCL C
    .language_version:
      - 2
      - 0
    .max_flat_workgroup_size: 256
    .name:           _ZN6thrust23THRUST_200600_302600_NS11hip_rocprim14__parallel_for6kernelILj256ENS1_10for_each_fINS0_7pointerINS0_5tupleIblNS0_9null_typeES7_S7_S7_S7_S7_S7_S7_EENS1_3tagENS0_11use_defaultESA_EENS0_6detail16wrapped_functionINSC_23allocator_traits_detail5gozerEvEEEElLj1EEEvT0_T1_SJ_
    .private_segment_fixed_size: 0
    .sgpr_count:     4
    .sgpr_spill_count: 0
    .symbol:         _ZN6thrust23THRUST_200600_302600_NS11hip_rocprim14__parallel_for6kernelILj256ENS1_10for_each_fINS0_7pointerINS0_5tupleIblNS0_9null_typeES7_S7_S7_S7_S7_S7_S7_EENS1_3tagENS0_11use_defaultESA_EENS0_6detail16wrapped_functionINSC_23allocator_traits_detail5gozerEvEEEElLj1EEEvT0_T1_SJ_.kd
    .uniform_work_group_size: 1
    .uses_dynamic_stack: false
    .vgpr_count:     0
    .vgpr_spill_count: 0
    .wavefront_size: 64
  - .args:
      - .offset:         0
        .size:           16
        .value_kind:     by_value
      - .offset:         16
        .size:           8
        .value_kind:     by_value
      - .offset:         24
        .size:           8
        .value_kind:     by_value
    .group_segment_fixed_size: 0
    .kernarg_segment_align: 8
    .kernarg_segment_size: 32
    .language:       OpenCL C
    .language_version:
      - 2
      - 0
    .max_flat_workgroup_size: 256
    .name:           _ZN6thrust23THRUST_200600_302600_NS11hip_rocprim14__parallel_for6kernelILj256ENS1_20__uninitialized_copy7functorIPNS0_5tupleIblNS0_9null_typeES7_S7_S7_S7_S7_S7_S7_EENS0_7pointerIS8_NS1_3tagENS0_11use_defaultESC_EEEEmLj1EEEvT0_T1_SG_
    .private_segment_fixed_size: 0
    .sgpr_count:     20
    .sgpr_spill_count: 0
    .symbol:         _ZN6thrust23THRUST_200600_302600_NS11hip_rocprim14__parallel_for6kernelILj256ENS1_20__uninitialized_copy7functorIPNS0_5tupleIblNS0_9null_typeES7_S7_S7_S7_S7_S7_S7_EENS0_7pointerIS8_NS1_3tagENS0_11use_defaultESC_EEEEmLj1EEEvT0_T1_SG_.kd
    .uniform_work_group_size: 1
    .uses_dynamic_stack: false
    .vgpr_count:     7
    .vgpr_spill_count: 0
    .wavefront_size: 64
  - .args:
      - .offset:         0
        .size:           56
        .value_kind:     by_value
    .group_segment_fixed_size: 0
    .kernarg_segment_align: 8
    .kernarg_segment_size: 56
    .language:       OpenCL C
    .language_version:
      - 2
      - 0
    .max_flat_workgroup_size: 256
    .name:           _ZN7rocprim17ROCPRIM_400000_NS6detail17trampoline_kernelINS0_14default_configENS1_27lower_bound_config_selectorIN6thrust23THRUST_200600_302600_NS5tupleIiiNS6_9null_typeES8_S8_S8_S8_S8_S8_S8_EEiEEZNS1_14transform_implILb0ES3_SA_NS6_6detail15normal_iteratorINS6_10device_ptrIS9_EEEENSD_INSE_IiEEEEZNS1_13binary_searchIS3_SA_SG_SG_SI_NS1_21lower_bound_search_opENSC_16wrapped_functionINS0_4lessIvEEbEEEE10hipError_tPvRmT1_T2_T3_mmT4_T5_P12ihipStream_tbEUlRKS9_E_EESP_ST_SU_mSV_SY_bEUlT_E_NS1_11comp_targetILNS1_3genE0ELNS1_11target_archE4294967295ELNS1_3gpuE0ELNS1_3repE0EEENS1_30default_config_static_selectorELNS0_4arch9wavefront6targetE1EEEvSS_
    .private_segment_fixed_size: 0
    .sgpr_count:     4
    .sgpr_spill_count: 0
    .symbol:         _ZN7rocprim17ROCPRIM_400000_NS6detail17trampoline_kernelINS0_14default_configENS1_27lower_bound_config_selectorIN6thrust23THRUST_200600_302600_NS5tupleIiiNS6_9null_typeES8_S8_S8_S8_S8_S8_S8_EEiEEZNS1_14transform_implILb0ES3_SA_NS6_6detail15normal_iteratorINS6_10device_ptrIS9_EEEENSD_INSE_IiEEEEZNS1_13binary_searchIS3_SA_SG_SG_SI_NS1_21lower_bound_search_opENSC_16wrapped_functionINS0_4lessIvEEbEEEE10hipError_tPvRmT1_T2_T3_mmT4_T5_P12ihipStream_tbEUlRKS9_E_EESP_ST_SU_mSV_SY_bEUlT_E_NS1_11comp_targetILNS1_3genE0ELNS1_11target_archE4294967295ELNS1_3gpuE0ELNS1_3repE0EEENS1_30default_config_static_selectorELNS0_4arch9wavefront6targetE1EEEvSS_.kd
    .uniform_work_group_size: 1
    .uses_dynamic_stack: false
    .vgpr_count:     0
    .vgpr_spill_count: 0
    .wavefront_size: 64
  - .args:
      - .offset:         0
        .size:           56
        .value_kind:     by_value
    .group_segment_fixed_size: 0
    .kernarg_segment_align: 8
    .kernarg_segment_size: 56
    .language:       OpenCL C
    .language_version:
      - 2
      - 0
    .max_flat_workgroup_size: 64
    .name:           _ZN7rocprim17ROCPRIM_400000_NS6detail17trampoline_kernelINS0_14default_configENS1_27lower_bound_config_selectorIN6thrust23THRUST_200600_302600_NS5tupleIiiNS6_9null_typeES8_S8_S8_S8_S8_S8_S8_EEiEEZNS1_14transform_implILb0ES3_SA_NS6_6detail15normal_iteratorINS6_10device_ptrIS9_EEEENSD_INSE_IiEEEEZNS1_13binary_searchIS3_SA_SG_SG_SI_NS1_21lower_bound_search_opENSC_16wrapped_functionINS0_4lessIvEEbEEEE10hipError_tPvRmT1_T2_T3_mmT4_T5_P12ihipStream_tbEUlRKS9_E_EESP_ST_SU_mSV_SY_bEUlT_E_NS1_11comp_targetILNS1_3genE5ELNS1_11target_archE942ELNS1_3gpuE9ELNS1_3repE0EEENS1_30default_config_static_selectorELNS0_4arch9wavefront6targetE1EEEvSS_
    .private_segment_fixed_size: 0
    .sgpr_count:     4
    .sgpr_spill_count: 0
    .symbol:         _ZN7rocprim17ROCPRIM_400000_NS6detail17trampoline_kernelINS0_14default_configENS1_27lower_bound_config_selectorIN6thrust23THRUST_200600_302600_NS5tupleIiiNS6_9null_typeES8_S8_S8_S8_S8_S8_S8_EEiEEZNS1_14transform_implILb0ES3_SA_NS6_6detail15normal_iteratorINS6_10device_ptrIS9_EEEENSD_INSE_IiEEEEZNS1_13binary_searchIS3_SA_SG_SG_SI_NS1_21lower_bound_search_opENSC_16wrapped_functionINS0_4lessIvEEbEEEE10hipError_tPvRmT1_T2_T3_mmT4_T5_P12ihipStream_tbEUlRKS9_E_EESP_ST_SU_mSV_SY_bEUlT_E_NS1_11comp_targetILNS1_3genE5ELNS1_11target_archE942ELNS1_3gpuE9ELNS1_3repE0EEENS1_30default_config_static_selectorELNS0_4arch9wavefront6targetE1EEEvSS_.kd
    .uniform_work_group_size: 1
    .uses_dynamic_stack: false
    .vgpr_count:     0
    .vgpr_spill_count: 0
    .wavefront_size: 64
  - .args:
      - .offset:         0
        .size:           56
        .value_kind:     by_value
    .group_segment_fixed_size: 0
    .kernarg_segment_align: 8
    .kernarg_segment_size: 56
    .language:       OpenCL C
    .language_version:
      - 2
      - 0
    .max_flat_workgroup_size: 64
    .name:           _ZN7rocprim17ROCPRIM_400000_NS6detail17trampoline_kernelINS0_14default_configENS1_27lower_bound_config_selectorIN6thrust23THRUST_200600_302600_NS5tupleIiiNS6_9null_typeES8_S8_S8_S8_S8_S8_S8_EEiEEZNS1_14transform_implILb0ES3_SA_NS6_6detail15normal_iteratorINS6_10device_ptrIS9_EEEENSD_INSE_IiEEEEZNS1_13binary_searchIS3_SA_SG_SG_SI_NS1_21lower_bound_search_opENSC_16wrapped_functionINS0_4lessIvEEbEEEE10hipError_tPvRmT1_T2_T3_mmT4_T5_P12ihipStream_tbEUlRKS9_E_EESP_ST_SU_mSV_SY_bEUlT_E_NS1_11comp_targetILNS1_3genE4ELNS1_11target_archE910ELNS1_3gpuE8ELNS1_3repE0EEENS1_30default_config_static_selectorELNS0_4arch9wavefront6targetE1EEEvSS_
    .private_segment_fixed_size: 0
    .sgpr_count:     4
    .sgpr_spill_count: 0
    .symbol:         _ZN7rocprim17ROCPRIM_400000_NS6detail17trampoline_kernelINS0_14default_configENS1_27lower_bound_config_selectorIN6thrust23THRUST_200600_302600_NS5tupleIiiNS6_9null_typeES8_S8_S8_S8_S8_S8_S8_EEiEEZNS1_14transform_implILb0ES3_SA_NS6_6detail15normal_iteratorINS6_10device_ptrIS9_EEEENSD_INSE_IiEEEEZNS1_13binary_searchIS3_SA_SG_SG_SI_NS1_21lower_bound_search_opENSC_16wrapped_functionINS0_4lessIvEEbEEEE10hipError_tPvRmT1_T2_T3_mmT4_T5_P12ihipStream_tbEUlRKS9_E_EESP_ST_SU_mSV_SY_bEUlT_E_NS1_11comp_targetILNS1_3genE4ELNS1_11target_archE910ELNS1_3gpuE8ELNS1_3repE0EEENS1_30default_config_static_selectorELNS0_4arch9wavefront6targetE1EEEvSS_.kd
    .uniform_work_group_size: 1
    .uses_dynamic_stack: false
    .vgpr_count:     0
    .vgpr_spill_count: 0
    .wavefront_size: 64
  - .args:
      - .offset:         0
        .size:           56
        .value_kind:     by_value
    .group_segment_fixed_size: 0
    .kernarg_segment_align: 8
    .kernarg_segment_size: 56
    .language:       OpenCL C
    .language_version:
      - 2
      - 0
    .max_flat_workgroup_size: 256
    .name:           _ZN7rocprim17ROCPRIM_400000_NS6detail17trampoline_kernelINS0_14default_configENS1_27lower_bound_config_selectorIN6thrust23THRUST_200600_302600_NS5tupleIiiNS6_9null_typeES8_S8_S8_S8_S8_S8_S8_EEiEEZNS1_14transform_implILb0ES3_SA_NS6_6detail15normal_iteratorINS6_10device_ptrIS9_EEEENSD_INSE_IiEEEEZNS1_13binary_searchIS3_SA_SG_SG_SI_NS1_21lower_bound_search_opENSC_16wrapped_functionINS0_4lessIvEEbEEEE10hipError_tPvRmT1_T2_T3_mmT4_T5_P12ihipStream_tbEUlRKS9_E_EESP_ST_SU_mSV_SY_bEUlT_E_NS1_11comp_targetILNS1_3genE3ELNS1_11target_archE908ELNS1_3gpuE7ELNS1_3repE0EEENS1_30default_config_static_selectorELNS0_4arch9wavefront6targetE1EEEvSS_
    .private_segment_fixed_size: 0
    .sgpr_count:     4
    .sgpr_spill_count: 0
    .symbol:         _ZN7rocprim17ROCPRIM_400000_NS6detail17trampoline_kernelINS0_14default_configENS1_27lower_bound_config_selectorIN6thrust23THRUST_200600_302600_NS5tupleIiiNS6_9null_typeES8_S8_S8_S8_S8_S8_S8_EEiEEZNS1_14transform_implILb0ES3_SA_NS6_6detail15normal_iteratorINS6_10device_ptrIS9_EEEENSD_INSE_IiEEEEZNS1_13binary_searchIS3_SA_SG_SG_SI_NS1_21lower_bound_search_opENSC_16wrapped_functionINS0_4lessIvEEbEEEE10hipError_tPvRmT1_T2_T3_mmT4_T5_P12ihipStream_tbEUlRKS9_E_EESP_ST_SU_mSV_SY_bEUlT_E_NS1_11comp_targetILNS1_3genE3ELNS1_11target_archE908ELNS1_3gpuE7ELNS1_3repE0EEENS1_30default_config_static_selectorELNS0_4arch9wavefront6targetE1EEEvSS_.kd
    .uniform_work_group_size: 1
    .uses_dynamic_stack: false
    .vgpr_count:     0
    .vgpr_spill_count: 0
    .wavefront_size: 64
  - .args:
      - .offset:         0
        .size:           56
        .value_kind:     by_value
      - .offset:         56
        .size:           4
        .value_kind:     hidden_block_count_x
      - .offset:         60
        .size:           4
        .value_kind:     hidden_block_count_y
      - .offset:         64
        .size:           4
        .value_kind:     hidden_block_count_z
      - .offset:         68
        .size:           2
        .value_kind:     hidden_group_size_x
      - .offset:         70
        .size:           2
        .value_kind:     hidden_group_size_y
      - .offset:         72
        .size:           2
        .value_kind:     hidden_group_size_z
      - .offset:         74
        .size:           2
        .value_kind:     hidden_remainder_x
      - .offset:         76
        .size:           2
        .value_kind:     hidden_remainder_y
      - .offset:         78
        .size:           2
        .value_kind:     hidden_remainder_z
      - .offset:         96
        .size:           8
        .value_kind:     hidden_global_offset_x
      - .offset:         104
        .size:           8
        .value_kind:     hidden_global_offset_y
      - .offset:         112
        .size:           8
        .value_kind:     hidden_global_offset_z
      - .offset:         120
        .size:           2
        .value_kind:     hidden_grid_dims
    .group_segment_fixed_size: 0
    .kernarg_segment_align: 8
    .kernarg_segment_size: 312
    .language:       OpenCL C
    .language_version:
      - 2
      - 0
    .max_flat_workgroup_size: 256
    .name:           _ZN7rocprim17ROCPRIM_400000_NS6detail17trampoline_kernelINS0_14default_configENS1_27lower_bound_config_selectorIN6thrust23THRUST_200600_302600_NS5tupleIiiNS6_9null_typeES8_S8_S8_S8_S8_S8_S8_EEiEEZNS1_14transform_implILb0ES3_SA_NS6_6detail15normal_iteratorINS6_10device_ptrIS9_EEEENSD_INSE_IiEEEEZNS1_13binary_searchIS3_SA_SG_SG_SI_NS1_21lower_bound_search_opENSC_16wrapped_functionINS0_4lessIvEEbEEEE10hipError_tPvRmT1_T2_T3_mmT4_T5_P12ihipStream_tbEUlRKS9_E_EESP_ST_SU_mSV_SY_bEUlT_E_NS1_11comp_targetILNS1_3genE2ELNS1_11target_archE906ELNS1_3gpuE6ELNS1_3repE0EEENS1_30default_config_static_selectorELNS0_4arch9wavefront6targetE1EEEvSS_
    .private_segment_fixed_size: 0
    .sgpr_count:     26
    .sgpr_spill_count: 0
    .symbol:         _ZN7rocprim17ROCPRIM_400000_NS6detail17trampoline_kernelINS0_14default_configENS1_27lower_bound_config_selectorIN6thrust23THRUST_200600_302600_NS5tupleIiiNS6_9null_typeES8_S8_S8_S8_S8_S8_S8_EEiEEZNS1_14transform_implILb0ES3_SA_NS6_6detail15normal_iteratorINS6_10device_ptrIS9_EEEENSD_INSE_IiEEEEZNS1_13binary_searchIS3_SA_SG_SG_SI_NS1_21lower_bound_search_opENSC_16wrapped_functionINS0_4lessIvEEbEEEE10hipError_tPvRmT1_T2_T3_mmT4_T5_P12ihipStream_tbEUlRKS9_E_EESP_ST_SU_mSV_SY_bEUlT_E_NS1_11comp_targetILNS1_3genE2ELNS1_11target_archE906ELNS1_3gpuE6ELNS1_3repE0EEENS1_30default_config_static_selectorELNS0_4arch9wavefront6targetE1EEEvSS_.kd
    .uniform_work_group_size: 1
    .uses_dynamic_stack: false
    .vgpr_count:     15
    .vgpr_spill_count: 0
    .wavefront_size: 64
  - .args:
      - .offset:         0
        .size:           16
        .value_kind:     by_value
      - .offset:         16
        .size:           8
        .value_kind:     by_value
      - .offset:         24
        .size:           8
        .value_kind:     by_value
    .group_segment_fixed_size: 0
    .kernarg_segment_align: 8
    .kernarg_segment_size: 32
    .language:       OpenCL C
    .language_version:
      - 2
      - 0
    .max_flat_workgroup_size: 256
    .name:           _ZN6thrust23THRUST_200600_302600_NS11hip_rocprim14__parallel_for6kernelILj256ENS1_20__uninitialized_copy7functorINS0_10device_ptrINS0_5tupleIiiNS0_9null_typeES8_S8_S8_S8_S8_S8_S8_EEEENS0_7pointerIS9_NS1_3tagENS0_11use_defaultESD_EEEEmLj1EEEvT0_T1_SH_
    .private_segment_fixed_size: 0
    .sgpr_count:     20
    .sgpr_spill_count: 0
    .symbol:         _ZN6thrust23THRUST_200600_302600_NS11hip_rocprim14__parallel_for6kernelILj256ENS1_20__uninitialized_copy7functorINS0_10device_ptrINS0_5tupleIiiNS0_9null_typeES8_S8_S8_S8_S8_S8_S8_EEEENS0_7pointerIS9_NS1_3tagENS0_11use_defaultESD_EEEEmLj1EEEvT0_T1_SH_.kd
    .uniform_work_group_size: 1
    .uses_dynamic_stack: false
    .vgpr_count:     6
    .vgpr_spill_count: 0
    .wavefront_size: 64
  - .args:
      - .offset:         0
        .size:           56
        .value_kind:     by_value
    .group_segment_fixed_size: 0
    .kernarg_segment_align: 8
    .kernarg_segment_size: 56
    .language:       OpenCL C
    .language_version:
      - 2
      - 0
    .max_flat_workgroup_size: 128
    .name:           _ZN7rocprim17ROCPRIM_400000_NS6detail17trampoline_kernelINS0_14default_configENS1_27lower_bound_config_selectorIN6thrust23THRUST_200600_302600_NS5tupleIiiNS6_9null_typeES8_S8_S8_S8_S8_S8_S8_EEiEEZNS1_14transform_implILb0ES3_SA_NS6_6detail15normal_iteratorINS6_10device_ptrIS9_EEEENSD_INSE_IiEEEEZNS1_13binary_searchIS3_SA_SG_SG_SI_NS1_21lower_bound_search_opENSC_16wrapped_functionINS0_4lessIvEEbEEEE10hipError_tPvRmT1_T2_T3_mmT4_T5_P12ihipStream_tbEUlRKS9_E_EESP_ST_SU_mSV_SY_bEUlT_E_NS1_11comp_targetILNS1_3genE10ELNS1_11target_archE1201ELNS1_3gpuE5ELNS1_3repE0EEENS1_30default_config_static_selectorELNS0_4arch9wavefront6targetE1EEEvSS_
    .private_segment_fixed_size: 0
    .sgpr_count:     4
    .sgpr_spill_count: 0
    .symbol:         _ZN7rocprim17ROCPRIM_400000_NS6detail17trampoline_kernelINS0_14default_configENS1_27lower_bound_config_selectorIN6thrust23THRUST_200600_302600_NS5tupleIiiNS6_9null_typeES8_S8_S8_S8_S8_S8_S8_EEiEEZNS1_14transform_implILb0ES3_SA_NS6_6detail15normal_iteratorINS6_10device_ptrIS9_EEEENSD_INSE_IiEEEEZNS1_13binary_searchIS3_SA_SG_SG_SI_NS1_21lower_bound_search_opENSC_16wrapped_functionINS0_4lessIvEEbEEEE10hipError_tPvRmT1_T2_T3_mmT4_T5_P12ihipStream_tbEUlRKS9_E_EESP_ST_SU_mSV_SY_bEUlT_E_NS1_11comp_targetILNS1_3genE10ELNS1_11target_archE1201ELNS1_3gpuE5ELNS1_3repE0EEENS1_30default_config_static_selectorELNS0_4arch9wavefront6targetE1EEEvSS_.kd
    .uniform_work_group_size: 1
    .uses_dynamic_stack: false
    .vgpr_count:     0
    .vgpr_spill_count: 0
    .wavefront_size: 64
  - .args:
      - .offset:         0
        .size:           56
        .value_kind:     by_value
    .group_segment_fixed_size: 0
    .kernarg_segment_align: 8
    .kernarg_segment_size: 56
    .language:       OpenCL C
    .language_version:
      - 2
      - 0
    .max_flat_workgroup_size: 128
    .name:           _ZN7rocprim17ROCPRIM_400000_NS6detail17trampoline_kernelINS0_14default_configENS1_27lower_bound_config_selectorIN6thrust23THRUST_200600_302600_NS5tupleIiiNS6_9null_typeES8_S8_S8_S8_S8_S8_S8_EEiEEZNS1_14transform_implILb0ES3_SA_NS6_6detail15normal_iteratorINS6_10device_ptrIS9_EEEENSD_INSE_IiEEEEZNS1_13binary_searchIS3_SA_SG_SG_SI_NS1_21lower_bound_search_opENSC_16wrapped_functionINS0_4lessIvEEbEEEE10hipError_tPvRmT1_T2_T3_mmT4_T5_P12ihipStream_tbEUlRKS9_E_EESP_ST_SU_mSV_SY_bEUlT_E_NS1_11comp_targetILNS1_3genE10ELNS1_11target_archE1200ELNS1_3gpuE4ELNS1_3repE0EEENS1_30default_config_static_selectorELNS0_4arch9wavefront6targetE1EEEvSS_
    .private_segment_fixed_size: 0
    .sgpr_count:     4
    .sgpr_spill_count: 0
    .symbol:         _ZN7rocprim17ROCPRIM_400000_NS6detail17trampoline_kernelINS0_14default_configENS1_27lower_bound_config_selectorIN6thrust23THRUST_200600_302600_NS5tupleIiiNS6_9null_typeES8_S8_S8_S8_S8_S8_S8_EEiEEZNS1_14transform_implILb0ES3_SA_NS6_6detail15normal_iteratorINS6_10device_ptrIS9_EEEENSD_INSE_IiEEEEZNS1_13binary_searchIS3_SA_SG_SG_SI_NS1_21lower_bound_search_opENSC_16wrapped_functionINS0_4lessIvEEbEEEE10hipError_tPvRmT1_T2_T3_mmT4_T5_P12ihipStream_tbEUlRKS9_E_EESP_ST_SU_mSV_SY_bEUlT_E_NS1_11comp_targetILNS1_3genE10ELNS1_11target_archE1200ELNS1_3gpuE4ELNS1_3repE0EEENS1_30default_config_static_selectorELNS0_4arch9wavefront6targetE1EEEvSS_.kd
    .uniform_work_group_size: 1
    .uses_dynamic_stack: false
    .vgpr_count:     0
    .vgpr_spill_count: 0
    .wavefront_size: 64
  - .args:
      - .offset:         0
        .size:           56
        .value_kind:     by_value
    .group_segment_fixed_size: 0
    .kernarg_segment_align: 8
    .kernarg_segment_size: 56
    .language:       OpenCL C
    .language_version:
      - 2
      - 0
    .max_flat_workgroup_size: 64
    .name:           _ZN7rocprim17ROCPRIM_400000_NS6detail17trampoline_kernelINS0_14default_configENS1_27lower_bound_config_selectorIN6thrust23THRUST_200600_302600_NS5tupleIiiNS6_9null_typeES8_S8_S8_S8_S8_S8_S8_EEiEEZNS1_14transform_implILb0ES3_SA_NS6_6detail15normal_iteratorINS6_10device_ptrIS9_EEEENSD_INSE_IiEEEEZNS1_13binary_searchIS3_SA_SG_SG_SI_NS1_21lower_bound_search_opENSC_16wrapped_functionINS0_4lessIvEEbEEEE10hipError_tPvRmT1_T2_T3_mmT4_T5_P12ihipStream_tbEUlRKS9_E_EESP_ST_SU_mSV_SY_bEUlT_E_NS1_11comp_targetILNS1_3genE9ELNS1_11target_archE1100ELNS1_3gpuE3ELNS1_3repE0EEENS1_30default_config_static_selectorELNS0_4arch9wavefront6targetE1EEEvSS_
    .private_segment_fixed_size: 0
    .sgpr_count:     4
    .sgpr_spill_count: 0
    .symbol:         _ZN7rocprim17ROCPRIM_400000_NS6detail17trampoline_kernelINS0_14default_configENS1_27lower_bound_config_selectorIN6thrust23THRUST_200600_302600_NS5tupleIiiNS6_9null_typeES8_S8_S8_S8_S8_S8_S8_EEiEEZNS1_14transform_implILb0ES3_SA_NS6_6detail15normal_iteratorINS6_10device_ptrIS9_EEEENSD_INSE_IiEEEEZNS1_13binary_searchIS3_SA_SG_SG_SI_NS1_21lower_bound_search_opENSC_16wrapped_functionINS0_4lessIvEEbEEEE10hipError_tPvRmT1_T2_T3_mmT4_T5_P12ihipStream_tbEUlRKS9_E_EESP_ST_SU_mSV_SY_bEUlT_E_NS1_11comp_targetILNS1_3genE9ELNS1_11target_archE1100ELNS1_3gpuE3ELNS1_3repE0EEENS1_30default_config_static_selectorELNS0_4arch9wavefront6targetE1EEEvSS_.kd
    .uniform_work_group_size: 1
    .uses_dynamic_stack: false
    .vgpr_count:     0
    .vgpr_spill_count: 0
    .wavefront_size: 64
  - .args:
      - .offset:         0
        .size:           56
        .value_kind:     by_value
    .group_segment_fixed_size: 0
    .kernarg_segment_align: 8
    .kernarg_segment_size: 56
    .language:       OpenCL C
    .language_version:
      - 2
      - 0
    .max_flat_workgroup_size: 256
    .name:           _ZN7rocprim17ROCPRIM_400000_NS6detail17trampoline_kernelINS0_14default_configENS1_27lower_bound_config_selectorIN6thrust23THRUST_200600_302600_NS5tupleIiiNS6_9null_typeES8_S8_S8_S8_S8_S8_S8_EEiEEZNS1_14transform_implILb0ES3_SA_NS6_6detail15normal_iteratorINS6_10device_ptrIS9_EEEENSD_INSE_IiEEEEZNS1_13binary_searchIS3_SA_SG_SG_SI_NS1_21lower_bound_search_opENSC_16wrapped_functionINS0_4lessIvEEbEEEE10hipError_tPvRmT1_T2_T3_mmT4_T5_P12ihipStream_tbEUlRKS9_E_EESP_ST_SU_mSV_SY_bEUlT_E_NS1_11comp_targetILNS1_3genE8ELNS1_11target_archE1030ELNS1_3gpuE2ELNS1_3repE0EEENS1_30default_config_static_selectorELNS0_4arch9wavefront6targetE1EEEvSS_
    .private_segment_fixed_size: 0
    .sgpr_count:     4
    .sgpr_spill_count: 0
    .symbol:         _ZN7rocprim17ROCPRIM_400000_NS6detail17trampoline_kernelINS0_14default_configENS1_27lower_bound_config_selectorIN6thrust23THRUST_200600_302600_NS5tupleIiiNS6_9null_typeES8_S8_S8_S8_S8_S8_S8_EEiEEZNS1_14transform_implILb0ES3_SA_NS6_6detail15normal_iteratorINS6_10device_ptrIS9_EEEENSD_INSE_IiEEEEZNS1_13binary_searchIS3_SA_SG_SG_SI_NS1_21lower_bound_search_opENSC_16wrapped_functionINS0_4lessIvEEbEEEE10hipError_tPvRmT1_T2_T3_mmT4_T5_P12ihipStream_tbEUlRKS9_E_EESP_ST_SU_mSV_SY_bEUlT_E_NS1_11comp_targetILNS1_3genE8ELNS1_11target_archE1030ELNS1_3gpuE2ELNS1_3repE0EEENS1_30default_config_static_selectorELNS0_4arch9wavefront6targetE1EEEvSS_.kd
    .uniform_work_group_size: 1
    .uses_dynamic_stack: false
    .vgpr_count:     0
    .vgpr_spill_count: 0
    .wavefront_size: 64
  - .args:
      - .offset:         0
        .size:           16
        .value_kind:     by_value
      - .offset:         16
        .size:           8
        .value_kind:     by_value
      - .offset:         24
        .size:           8
        .value_kind:     by_value
    .group_segment_fixed_size: 0
    .kernarg_segment_align: 8
    .kernarg_segment_size: 32
    .language:       OpenCL C
    .language_version:
      - 2
      - 0
    .max_flat_workgroup_size: 256
    .name:           _ZN6thrust23THRUST_200600_302600_NS11hip_rocprim14__parallel_for6kernelILj256ENS1_20__uninitialized_fill7functorINS0_10device_ptrIiEEiEEmLj1EEEvT0_T1_SA_
    .private_segment_fixed_size: 0
    .sgpr_count:     20
    .sgpr_spill_count: 0
    .symbol:         _ZN6thrust23THRUST_200600_302600_NS11hip_rocprim14__parallel_for6kernelILj256ENS1_20__uninitialized_fill7functorINS0_10device_ptrIiEEiEEmLj1EEEvT0_T1_SA_.kd
    .uniform_work_group_size: 1
    .uses_dynamic_stack: false
    .vgpr_count:     4
    .vgpr_spill_count: 0
    .wavefront_size: 64
  - .args:
      - .offset:         0
        .size:           56
        .value_kind:     by_value
    .group_segment_fixed_size: 0
    .kernarg_segment_align: 8
    .kernarg_segment_size: 56
    .language:       OpenCL C
    .language_version:
      - 2
      - 0
    .max_flat_workgroup_size: 256
    .name:           _ZN7rocprim17ROCPRIM_400000_NS6detail17trampoline_kernelINS0_14default_configENS1_27upper_bound_config_selectorIdlEEZNS1_14transform_implILb0ES3_S5_N6thrust23THRUST_200600_302600_NS6detail15normal_iteratorINS8_7pointerIdNS8_11hip_rocprim5par_tENS8_11use_defaultESE_EEEENSA_INSB_IlSD_SE_SE_EEEEZNS1_13binary_searchIS3_S5_NSA_INS8_10device_ptrIdEEEESG_SI_NS1_21upper_bound_search_opENS9_16wrapped_functionINS8_6system6detail7generic6detail18binary_search_lessEbEEEE10hipError_tPvRmT1_T2_T3_mmT4_T5_P12ihipStream_tbEUlRKdE_EESV_SZ_S10_mS11_S14_bEUlT_E_NS1_11comp_targetILNS1_3genE0ELNS1_11target_archE4294967295ELNS1_3gpuE0ELNS1_3repE0EEENS1_30default_config_static_selectorELNS0_4arch9wavefront6targetE1EEEvSY_
    .private_segment_fixed_size: 0
    .sgpr_count:     4
    .sgpr_spill_count: 0
    .symbol:         _ZN7rocprim17ROCPRIM_400000_NS6detail17trampoline_kernelINS0_14default_configENS1_27upper_bound_config_selectorIdlEEZNS1_14transform_implILb0ES3_S5_N6thrust23THRUST_200600_302600_NS6detail15normal_iteratorINS8_7pointerIdNS8_11hip_rocprim5par_tENS8_11use_defaultESE_EEEENSA_INSB_IlSD_SE_SE_EEEEZNS1_13binary_searchIS3_S5_NSA_INS8_10device_ptrIdEEEESG_SI_NS1_21upper_bound_search_opENS9_16wrapped_functionINS8_6system6detail7generic6detail18binary_search_lessEbEEEE10hipError_tPvRmT1_T2_T3_mmT4_T5_P12ihipStream_tbEUlRKdE_EESV_SZ_S10_mS11_S14_bEUlT_E_NS1_11comp_targetILNS1_3genE0ELNS1_11target_archE4294967295ELNS1_3gpuE0ELNS1_3repE0EEENS1_30default_config_static_selectorELNS0_4arch9wavefront6targetE1EEEvSY_.kd
    .uniform_work_group_size: 1
    .uses_dynamic_stack: false
    .vgpr_count:     0
    .vgpr_spill_count: 0
    .wavefront_size: 64
  - .args:
      - .offset:         0
        .size:           56
        .value_kind:     by_value
    .group_segment_fixed_size: 0
    .kernarg_segment_align: 8
    .kernarg_segment_size: 56
    .language:       OpenCL C
    .language_version:
      - 2
      - 0
    .max_flat_workgroup_size: 64
    .name:           _ZN7rocprim17ROCPRIM_400000_NS6detail17trampoline_kernelINS0_14default_configENS1_27upper_bound_config_selectorIdlEEZNS1_14transform_implILb0ES3_S5_N6thrust23THRUST_200600_302600_NS6detail15normal_iteratorINS8_7pointerIdNS8_11hip_rocprim5par_tENS8_11use_defaultESE_EEEENSA_INSB_IlSD_SE_SE_EEEEZNS1_13binary_searchIS3_S5_NSA_INS8_10device_ptrIdEEEESG_SI_NS1_21upper_bound_search_opENS9_16wrapped_functionINS8_6system6detail7generic6detail18binary_search_lessEbEEEE10hipError_tPvRmT1_T2_T3_mmT4_T5_P12ihipStream_tbEUlRKdE_EESV_SZ_S10_mS11_S14_bEUlT_E_NS1_11comp_targetILNS1_3genE5ELNS1_11target_archE942ELNS1_3gpuE9ELNS1_3repE0EEENS1_30default_config_static_selectorELNS0_4arch9wavefront6targetE1EEEvSY_
    .private_segment_fixed_size: 0
    .sgpr_count:     4
    .sgpr_spill_count: 0
    .symbol:         _ZN7rocprim17ROCPRIM_400000_NS6detail17trampoline_kernelINS0_14default_configENS1_27upper_bound_config_selectorIdlEEZNS1_14transform_implILb0ES3_S5_N6thrust23THRUST_200600_302600_NS6detail15normal_iteratorINS8_7pointerIdNS8_11hip_rocprim5par_tENS8_11use_defaultESE_EEEENSA_INSB_IlSD_SE_SE_EEEEZNS1_13binary_searchIS3_S5_NSA_INS8_10device_ptrIdEEEESG_SI_NS1_21upper_bound_search_opENS9_16wrapped_functionINS8_6system6detail7generic6detail18binary_search_lessEbEEEE10hipError_tPvRmT1_T2_T3_mmT4_T5_P12ihipStream_tbEUlRKdE_EESV_SZ_S10_mS11_S14_bEUlT_E_NS1_11comp_targetILNS1_3genE5ELNS1_11target_archE942ELNS1_3gpuE9ELNS1_3repE0EEENS1_30default_config_static_selectorELNS0_4arch9wavefront6targetE1EEEvSY_.kd
    .uniform_work_group_size: 1
    .uses_dynamic_stack: false
    .vgpr_count:     0
    .vgpr_spill_count: 0
    .wavefront_size: 64
  - .args:
      - .offset:         0
        .size:           56
        .value_kind:     by_value
    .group_segment_fixed_size: 0
    .kernarg_segment_align: 8
    .kernarg_segment_size: 56
    .language:       OpenCL C
    .language_version:
      - 2
      - 0
    .max_flat_workgroup_size: 64
    .name:           _ZN7rocprim17ROCPRIM_400000_NS6detail17trampoline_kernelINS0_14default_configENS1_27upper_bound_config_selectorIdlEEZNS1_14transform_implILb0ES3_S5_N6thrust23THRUST_200600_302600_NS6detail15normal_iteratorINS8_7pointerIdNS8_11hip_rocprim5par_tENS8_11use_defaultESE_EEEENSA_INSB_IlSD_SE_SE_EEEEZNS1_13binary_searchIS3_S5_NSA_INS8_10device_ptrIdEEEESG_SI_NS1_21upper_bound_search_opENS9_16wrapped_functionINS8_6system6detail7generic6detail18binary_search_lessEbEEEE10hipError_tPvRmT1_T2_T3_mmT4_T5_P12ihipStream_tbEUlRKdE_EESV_SZ_S10_mS11_S14_bEUlT_E_NS1_11comp_targetILNS1_3genE4ELNS1_11target_archE910ELNS1_3gpuE8ELNS1_3repE0EEENS1_30default_config_static_selectorELNS0_4arch9wavefront6targetE1EEEvSY_
    .private_segment_fixed_size: 0
    .sgpr_count:     4
    .sgpr_spill_count: 0
    .symbol:         _ZN7rocprim17ROCPRIM_400000_NS6detail17trampoline_kernelINS0_14default_configENS1_27upper_bound_config_selectorIdlEEZNS1_14transform_implILb0ES3_S5_N6thrust23THRUST_200600_302600_NS6detail15normal_iteratorINS8_7pointerIdNS8_11hip_rocprim5par_tENS8_11use_defaultESE_EEEENSA_INSB_IlSD_SE_SE_EEEEZNS1_13binary_searchIS3_S5_NSA_INS8_10device_ptrIdEEEESG_SI_NS1_21upper_bound_search_opENS9_16wrapped_functionINS8_6system6detail7generic6detail18binary_search_lessEbEEEE10hipError_tPvRmT1_T2_T3_mmT4_T5_P12ihipStream_tbEUlRKdE_EESV_SZ_S10_mS11_S14_bEUlT_E_NS1_11comp_targetILNS1_3genE4ELNS1_11target_archE910ELNS1_3gpuE8ELNS1_3repE0EEENS1_30default_config_static_selectorELNS0_4arch9wavefront6targetE1EEEvSY_.kd
    .uniform_work_group_size: 1
    .uses_dynamic_stack: false
    .vgpr_count:     0
    .vgpr_spill_count: 0
    .wavefront_size: 64
  - .args:
      - .offset:         0
        .size:           56
        .value_kind:     by_value
    .group_segment_fixed_size: 0
    .kernarg_segment_align: 8
    .kernarg_segment_size: 56
    .language:       OpenCL C
    .language_version:
      - 2
      - 0
    .max_flat_workgroup_size: 256
    .name:           _ZN7rocprim17ROCPRIM_400000_NS6detail17trampoline_kernelINS0_14default_configENS1_27upper_bound_config_selectorIdlEEZNS1_14transform_implILb0ES3_S5_N6thrust23THRUST_200600_302600_NS6detail15normal_iteratorINS8_7pointerIdNS8_11hip_rocprim5par_tENS8_11use_defaultESE_EEEENSA_INSB_IlSD_SE_SE_EEEEZNS1_13binary_searchIS3_S5_NSA_INS8_10device_ptrIdEEEESG_SI_NS1_21upper_bound_search_opENS9_16wrapped_functionINS8_6system6detail7generic6detail18binary_search_lessEbEEEE10hipError_tPvRmT1_T2_T3_mmT4_T5_P12ihipStream_tbEUlRKdE_EESV_SZ_S10_mS11_S14_bEUlT_E_NS1_11comp_targetILNS1_3genE3ELNS1_11target_archE908ELNS1_3gpuE7ELNS1_3repE0EEENS1_30default_config_static_selectorELNS0_4arch9wavefront6targetE1EEEvSY_
    .private_segment_fixed_size: 0
    .sgpr_count:     4
    .sgpr_spill_count: 0
    .symbol:         _ZN7rocprim17ROCPRIM_400000_NS6detail17trampoline_kernelINS0_14default_configENS1_27upper_bound_config_selectorIdlEEZNS1_14transform_implILb0ES3_S5_N6thrust23THRUST_200600_302600_NS6detail15normal_iteratorINS8_7pointerIdNS8_11hip_rocprim5par_tENS8_11use_defaultESE_EEEENSA_INSB_IlSD_SE_SE_EEEEZNS1_13binary_searchIS3_S5_NSA_INS8_10device_ptrIdEEEESG_SI_NS1_21upper_bound_search_opENS9_16wrapped_functionINS8_6system6detail7generic6detail18binary_search_lessEbEEEE10hipError_tPvRmT1_T2_T3_mmT4_T5_P12ihipStream_tbEUlRKdE_EESV_SZ_S10_mS11_S14_bEUlT_E_NS1_11comp_targetILNS1_3genE3ELNS1_11target_archE908ELNS1_3gpuE7ELNS1_3repE0EEENS1_30default_config_static_selectorELNS0_4arch9wavefront6targetE1EEEvSY_.kd
    .uniform_work_group_size: 1
    .uses_dynamic_stack: false
    .vgpr_count:     0
    .vgpr_spill_count: 0
    .wavefront_size: 64
  - .args:
      - .offset:         0
        .size:           56
        .value_kind:     by_value
      - .offset:         56
        .size:           4
        .value_kind:     hidden_block_count_x
      - .offset:         60
        .size:           4
        .value_kind:     hidden_block_count_y
      - .offset:         64
        .size:           4
        .value_kind:     hidden_block_count_z
      - .offset:         68
        .size:           2
        .value_kind:     hidden_group_size_x
      - .offset:         70
        .size:           2
        .value_kind:     hidden_group_size_y
      - .offset:         72
        .size:           2
        .value_kind:     hidden_group_size_z
      - .offset:         74
        .size:           2
        .value_kind:     hidden_remainder_x
      - .offset:         76
        .size:           2
        .value_kind:     hidden_remainder_y
      - .offset:         78
        .size:           2
        .value_kind:     hidden_remainder_z
      - .offset:         96
        .size:           8
        .value_kind:     hidden_global_offset_x
      - .offset:         104
        .size:           8
        .value_kind:     hidden_global_offset_y
      - .offset:         112
        .size:           8
        .value_kind:     hidden_global_offset_z
      - .offset:         120
        .size:           2
        .value_kind:     hidden_grid_dims
    .group_segment_fixed_size: 0
    .kernarg_segment_align: 8
    .kernarg_segment_size: 312
    .language:       OpenCL C
    .language_version:
      - 2
      - 0
    .max_flat_workgroup_size: 256
    .name:           _ZN7rocprim17ROCPRIM_400000_NS6detail17trampoline_kernelINS0_14default_configENS1_27upper_bound_config_selectorIdlEEZNS1_14transform_implILb0ES3_S5_N6thrust23THRUST_200600_302600_NS6detail15normal_iteratorINS8_7pointerIdNS8_11hip_rocprim5par_tENS8_11use_defaultESE_EEEENSA_INSB_IlSD_SE_SE_EEEEZNS1_13binary_searchIS3_S5_NSA_INS8_10device_ptrIdEEEESG_SI_NS1_21upper_bound_search_opENS9_16wrapped_functionINS8_6system6detail7generic6detail18binary_search_lessEbEEEE10hipError_tPvRmT1_T2_T3_mmT4_T5_P12ihipStream_tbEUlRKdE_EESV_SZ_S10_mS11_S14_bEUlT_E_NS1_11comp_targetILNS1_3genE2ELNS1_11target_archE906ELNS1_3gpuE6ELNS1_3repE0EEENS1_30default_config_static_selectorELNS0_4arch9wavefront6targetE1EEEvSY_
    .private_segment_fixed_size: 0
    .sgpr_count:     22
    .sgpr_spill_count: 0
    .symbol:         _ZN7rocprim17ROCPRIM_400000_NS6detail17trampoline_kernelINS0_14default_configENS1_27upper_bound_config_selectorIdlEEZNS1_14transform_implILb0ES3_S5_N6thrust23THRUST_200600_302600_NS6detail15normal_iteratorINS8_7pointerIdNS8_11hip_rocprim5par_tENS8_11use_defaultESE_EEEENSA_INSB_IlSD_SE_SE_EEEEZNS1_13binary_searchIS3_S5_NSA_INS8_10device_ptrIdEEEESG_SI_NS1_21upper_bound_search_opENS9_16wrapped_functionINS8_6system6detail7generic6detail18binary_search_lessEbEEEE10hipError_tPvRmT1_T2_T3_mmT4_T5_P12ihipStream_tbEUlRKdE_EESV_SZ_S10_mS11_S14_bEUlT_E_NS1_11comp_targetILNS1_3genE2ELNS1_11target_archE906ELNS1_3gpuE6ELNS1_3repE0EEENS1_30default_config_static_selectorELNS0_4arch9wavefront6targetE1EEEvSY_.kd
    .uniform_work_group_size: 1
    .uses_dynamic_stack: false
    .vgpr_count:     12
    .vgpr_spill_count: 0
    .wavefront_size: 64
  - .args:
      - .offset:         0
        .size:           56
        .value_kind:     by_value
    .group_segment_fixed_size: 0
    .kernarg_segment_align: 8
    .kernarg_segment_size: 56
    .language:       OpenCL C
    .language_version:
      - 2
      - 0
    .max_flat_workgroup_size: 128
    .name:           _ZN7rocprim17ROCPRIM_400000_NS6detail17trampoline_kernelINS0_14default_configENS1_27upper_bound_config_selectorIdlEEZNS1_14transform_implILb0ES3_S5_N6thrust23THRUST_200600_302600_NS6detail15normal_iteratorINS8_7pointerIdNS8_11hip_rocprim5par_tENS8_11use_defaultESE_EEEENSA_INSB_IlSD_SE_SE_EEEEZNS1_13binary_searchIS3_S5_NSA_INS8_10device_ptrIdEEEESG_SI_NS1_21upper_bound_search_opENS9_16wrapped_functionINS8_6system6detail7generic6detail18binary_search_lessEbEEEE10hipError_tPvRmT1_T2_T3_mmT4_T5_P12ihipStream_tbEUlRKdE_EESV_SZ_S10_mS11_S14_bEUlT_E_NS1_11comp_targetILNS1_3genE10ELNS1_11target_archE1201ELNS1_3gpuE5ELNS1_3repE0EEENS1_30default_config_static_selectorELNS0_4arch9wavefront6targetE1EEEvSY_
    .private_segment_fixed_size: 0
    .sgpr_count:     4
    .sgpr_spill_count: 0
    .symbol:         _ZN7rocprim17ROCPRIM_400000_NS6detail17trampoline_kernelINS0_14default_configENS1_27upper_bound_config_selectorIdlEEZNS1_14transform_implILb0ES3_S5_N6thrust23THRUST_200600_302600_NS6detail15normal_iteratorINS8_7pointerIdNS8_11hip_rocprim5par_tENS8_11use_defaultESE_EEEENSA_INSB_IlSD_SE_SE_EEEEZNS1_13binary_searchIS3_S5_NSA_INS8_10device_ptrIdEEEESG_SI_NS1_21upper_bound_search_opENS9_16wrapped_functionINS8_6system6detail7generic6detail18binary_search_lessEbEEEE10hipError_tPvRmT1_T2_T3_mmT4_T5_P12ihipStream_tbEUlRKdE_EESV_SZ_S10_mS11_S14_bEUlT_E_NS1_11comp_targetILNS1_3genE10ELNS1_11target_archE1201ELNS1_3gpuE5ELNS1_3repE0EEENS1_30default_config_static_selectorELNS0_4arch9wavefront6targetE1EEEvSY_.kd
    .uniform_work_group_size: 1
    .uses_dynamic_stack: false
    .vgpr_count:     0
    .vgpr_spill_count: 0
    .wavefront_size: 64
  - .args:
      - .offset:         0
        .size:           56
        .value_kind:     by_value
    .group_segment_fixed_size: 0
    .kernarg_segment_align: 8
    .kernarg_segment_size: 56
    .language:       OpenCL C
    .language_version:
      - 2
      - 0
    .max_flat_workgroup_size: 128
    .name:           _ZN7rocprim17ROCPRIM_400000_NS6detail17trampoline_kernelINS0_14default_configENS1_27upper_bound_config_selectorIdlEEZNS1_14transform_implILb0ES3_S5_N6thrust23THRUST_200600_302600_NS6detail15normal_iteratorINS8_7pointerIdNS8_11hip_rocprim5par_tENS8_11use_defaultESE_EEEENSA_INSB_IlSD_SE_SE_EEEEZNS1_13binary_searchIS3_S5_NSA_INS8_10device_ptrIdEEEESG_SI_NS1_21upper_bound_search_opENS9_16wrapped_functionINS8_6system6detail7generic6detail18binary_search_lessEbEEEE10hipError_tPvRmT1_T2_T3_mmT4_T5_P12ihipStream_tbEUlRKdE_EESV_SZ_S10_mS11_S14_bEUlT_E_NS1_11comp_targetILNS1_3genE10ELNS1_11target_archE1200ELNS1_3gpuE4ELNS1_3repE0EEENS1_30default_config_static_selectorELNS0_4arch9wavefront6targetE1EEEvSY_
    .private_segment_fixed_size: 0
    .sgpr_count:     4
    .sgpr_spill_count: 0
    .symbol:         _ZN7rocprim17ROCPRIM_400000_NS6detail17trampoline_kernelINS0_14default_configENS1_27upper_bound_config_selectorIdlEEZNS1_14transform_implILb0ES3_S5_N6thrust23THRUST_200600_302600_NS6detail15normal_iteratorINS8_7pointerIdNS8_11hip_rocprim5par_tENS8_11use_defaultESE_EEEENSA_INSB_IlSD_SE_SE_EEEEZNS1_13binary_searchIS3_S5_NSA_INS8_10device_ptrIdEEEESG_SI_NS1_21upper_bound_search_opENS9_16wrapped_functionINS8_6system6detail7generic6detail18binary_search_lessEbEEEE10hipError_tPvRmT1_T2_T3_mmT4_T5_P12ihipStream_tbEUlRKdE_EESV_SZ_S10_mS11_S14_bEUlT_E_NS1_11comp_targetILNS1_3genE10ELNS1_11target_archE1200ELNS1_3gpuE4ELNS1_3repE0EEENS1_30default_config_static_selectorELNS0_4arch9wavefront6targetE1EEEvSY_.kd
    .uniform_work_group_size: 1
    .uses_dynamic_stack: false
    .vgpr_count:     0
    .vgpr_spill_count: 0
    .wavefront_size: 64
  - .args:
      - .offset:         0
        .size:           56
        .value_kind:     by_value
    .group_segment_fixed_size: 0
    .kernarg_segment_align: 8
    .kernarg_segment_size: 56
    .language:       OpenCL C
    .language_version:
      - 2
      - 0
    .max_flat_workgroup_size: 256
    .name:           _ZN7rocprim17ROCPRIM_400000_NS6detail17trampoline_kernelINS0_14default_configENS1_27upper_bound_config_selectorIdlEEZNS1_14transform_implILb0ES3_S5_N6thrust23THRUST_200600_302600_NS6detail15normal_iteratorINS8_7pointerIdNS8_11hip_rocprim5par_tENS8_11use_defaultESE_EEEENSA_INSB_IlSD_SE_SE_EEEEZNS1_13binary_searchIS3_S5_NSA_INS8_10device_ptrIdEEEESG_SI_NS1_21upper_bound_search_opENS9_16wrapped_functionINS8_6system6detail7generic6detail18binary_search_lessEbEEEE10hipError_tPvRmT1_T2_T3_mmT4_T5_P12ihipStream_tbEUlRKdE_EESV_SZ_S10_mS11_S14_bEUlT_E_NS1_11comp_targetILNS1_3genE9ELNS1_11target_archE1100ELNS1_3gpuE3ELNS1_3repE0EEENS1_30default_config_static_selectorELNS0_4arch9wavefront6targetE1EEEvSY_
    .private_segment_fixed_size: 0
    .sgpr_count:     4
    .sgpr_spill_count: 0
    .symbol:         _ZN7rocprim17ROCPRIM_400000_NS6detail17trampoline_kernelINS0_14default_configENS1_27upper_bound_config_selectorIdlEEZNS1_14transform_implILb0ES3_S5_N6thrust23THRUST_200600_302600_NS6detail15normal_iteratorINS8_7pointerIdNS8_11hip_rocprim5par_tENS8_11use_defaultESE_EEEENSA_INSB_IlSD_SE_SE_EEEEZNS1_13binary_searchIS3_S5_NSA_INS8_10device_ptrIdEEEESG_SI_NS1_21upper_bound_search_opENS9_16wrapped_functionINS8_6system6detail7generic6detail18binary_search_lessEbEEEE10hipError_tPvRmT1_T2_T3_mmT4_T5_P12ihipStream_tbEUlRKdE_EESV_SZ_S10_mS11_S14_bEUlT_E_NS1_11comp_targetILNS1_3genE9ELNS1_11target_archE1100ELNS1_3gpuE3ELNS1_3repE0EEENS1_30default_config_static_selectorELNS0_4arch9wavefront6targetE1EEEvSY_.kd
    .uniform_work_group_size: 1
    .uses_dynamic_stack: false
    .vgpr_count:     0
    .vgpr_spill_count: 0
    .wavefront_size: 64
  - .args:
      - .offset:         0
        .size:           56
        .value_kind:     by_value
    .group_segment_fixed_size: 0
    .kernarg_segment_align: 8
    .kernarg_segment_size: 56
    .language:       OpenCL C
    .language_version:
      - 2
      - 0
    .max_flat_workgroup_size: 256
    .name:           _ZN7rocprim17ROCPRIM_400000_NS6detail17trampoline_kernelINS0_14default_configENS1_27upper_bound_config_selectorIdlEEZNS1_14transform_implILb0ES3_S5_N6thrust23THRUST_200600_302600_NS6detail15normal_iteratorINS8_7pointerIdNS8_11hip_rocprim5par_tENS8_11use_defaultESE_EEEENSA_INSB_IlSD_SE_SE_EEEEZNS1_13binary_searchIS3_S5_NSA_INS8_10device_ptrIdEEEESG_SI_NS1_21upper_bound_search_opENS9_16wrapped_functionINS8_6system6detail7generic6detail18binary_search_lessEbEEEE10hipError_tPvRmT1_T2_T3_mmT4_T5_P12ihipStream_tbEUlRKdE_EESV_SZ_S10_mS11_S14_bEUlT_E_NS1_11comp_targetILNS1_3genE8ELNS1_11target_archE1030ELNS1_3gpuE2ELNS1_3repE0EEENS1_30default_config_static_selectorELNS0_4arch9wavefront6targetE1EEEvSY_
    .private_segment_fixed_size: 0
    .sgpr_count:     4
    .sgpr_spill_count: 0
    .symbol:         _ZN7rocprim17ROCPRIM_400000_NS6detail17trampoline_kernelINS0_14default_configENS1_27upper_bound_config_selectorIdlEEZNS1_14transform_implILb0ES3_S5_N6thrust23THRUST_200600_302600_NS6detail15normal_iteratorINS8_7pointerIdNS8_11hip_rocprim5par_tENS8_11use_defaultESE_EEEENSA_INSB_IlSD_SE_SE_EEEEZNS1_13binary_searchIS3_S5_NSA_INS8_10device_ptrIdEEEESG_SI_NS1_21upper_bound_search_opENS9_16wrapped_functionINS8_6system6detail7generic6detail18binary_search_lessEbEEEE10hipError_tPvRmT1_T2_T3_mmT4_T5_P12ihipStream_tbEUlRKdE_EESV_SZ_S10_mS11_S14_bEUlT_E_NS1_11comp_targetILNS1_3genE8ELNS1_11target_archE1030ELNS1_3gpuE2ELNS1_3repE0EEENS1_30default_config_static_selectorELNS0_4arch9wavefront6targetE1EEEvSY_.kd
    .uniform_work_group_size: 1
    .uses_dynamic_stack: false
    .vgpr_count:     0
    .vgpr_spill_count: 0
    .wavefront_size: 64
  - .args:
      - .offset:         0
        .size:           56
        .value_kind:     by_value
    .group_segment_fixed_size: 0
    .kernarg_segment_align: 8
    .kernarg_segment_size: 56
    .language:       OpenCL C
    .language_version:
      - 2
      - 0
    .max_flat_workgroup_size: 256
    .name:           _ZN7rocprim17ROCPRIM_400000_NS6detail17trampoline_kernelINS0_14default_configENS1_27upper_bound_config_selectorIflEEZNS1_14transform_implILb0ES3_S5_N6thrust23THRUST_200600_302600_NS6detail15normal_iteratorINS8_7pointerIfNS8_11hip_rocprim16par_det_nosync_tENS8_11use_defaultESE_EEEENSA_INSB_IlSD_SE_SE_EEEEZNS1_13binary_searchIS3_S5_NSA_INS8_10device_ptrIfEEEESG_SI_NS1_21upper_bound_search_opENS9_16wrapped_functionINS8_6system6detail7generic6detail18binary_search_lessEbEEEE10hipError_tPvRmT1_T2_T3_mmT4_T5_P12ihipStream_tbEUlRKfE_EESV_SZ_S10_mS11_S14_bEUlT_E_NS1_11comp_targetILNS1_3genE0ELNS1_11target_archE4294967295ELNS1_3gpuE0ELNS1_3repE0EEENS1_30default_config_static_selectorELNS0_4arch9wavefront6targetE1EEEvSY_
    .private_segment_fixed_size: 0
    .sgpr_count:     4
    .sgpr_spill_count: 0
    .symbol:         _ZN7rocprim17ROCPRIM_400000_NS6detail17trampoline_kernelINS0_14default_configENS1_27upper_bound_config_selectorIflEEZNS1_14transform_implILb0ES3_S5_N6thrust23THRUST_200600_302600_NS6detail15normal_iteratorINS8_7pointerIfNS8_11hip_rocprim16par_det_nosync_tENS8_11use_defaultESE_EEEENSA_INSB_IlSD_SE_SE_EEEEZNS1_13binary_searchIS3_S5_NSA_INS8_10device_ptrIfEEEESG_SI_NS1_21upper_bound_search_opENS9_16wrapped_functionINS8_6system6detail7generic6detail18binary_search_lessEbEEEE10hipError_tPvRmT1_T2_T3_mmT4_T5_P12ihipStream_tbEUlRKfE_EESV_SZ_S10_mS11_S14_bEUlT_E_NS1_11comp_targetILNS1_3genE0ELNS1_11target_archE4294967295ELNS1_3gpuE0ELNS1_3repE0EEENS1_30default_config_static_selectorELNS0_4arch9wavefront6targetE1EEEvSY_.kd
    .uniform_work_group_size: 1
    .uses_dynamic_stack: false
    .vgpr_count:     0
    .vgpr_spill_count: 0
    .wavefront_size: 64
  - .args:
      - .offset:         0
        .size:           56
        .value_kind:     by_value
    .group_segment_fixed_size: 0
    .kernarg_segment_align: 8
    .kernarg_segment_size: 56
    .language:       OpenCL C
    .language_version:
      - 2
      - 0
    .max_flat_workgroup_size: 256
    .name:           _ZN7rocprim17ROCPRIM_400000_NS6detail17trampoline_kernelINS0_14default_configENS1_27upper_bound_config_selectorIflEEZNS1_14transform_implILb0ES3_S5_N6thrust23THRUST_200600_302600_NS6detail15normal_iteratorINS8_7pointerIfNS8_11hip_rocprim16par_det_nosync_tENS8_11use_defaultESE_EEEENSA_INSB_IlSD_SE_SE_EEEEZNS1_13binary_searchIS3_S5_NSA_INS8_10device_ptrIfEEEESG_SI_NS1_21upper_bound_search_opENS9_16wrapped_functionINS8_6system6detail7generic6detail18binary_search_lessEbEEEE10hipError_tPvRmT1_T2_T3_mmT4_T5_P12ihipStream_tbEUlRKfE_EESV_SZ_S10_mS11_S14_bEUlT_E_NS1_11comp_targetILNS1_3genE5ELNS1_11target_archE942ELNS1_3gpuE9ELNS1_3repE0EEENS1_30default_config_static_selectorELNS0_4arch9wavefront6targetE1EEEvSY_
    .private_segment_fixed_size: 0
    .sgpr_count:     4
    .sgpr_spill_count: 0
    .symbol:         _ZN7rocprim17ROCPRIM_400000_NS6detail17trampoline_kernelINS0_14default_configENS1_27upper_bound_config_selectorIflEEZNS1_14transform_implILb0ES3_S5_N6thrust23THRUST_200600_302600_NS6detail15normal_iteratorINS8_7pointerIfNS8_11hip_rocprim16par_det_nosync_tENS8_11use_defaultESE_EEEENSA_INSB_IlSD_SE_SE_EEEEZNS1_13binary_searchIS3_S5_NSA_INS8_10device_ptrIfEEEESG_SI_NS1_21upper_bound_search_opENS9_16wrapped_functionINS8_6system6detail7generic6detail18binary_search_lessEbEEEE10hipError_tPvRmT1_T2_T3_mmT4_T5_P12ihipStream_tbEUlRKfE_EESV_SZ_S10_mS11_S14_bEUlT_E_NS1_11comp_targetILNS1_3genE5ELNS1_11target_archE942ELNS1_3gpuE9ELNS1_3repE0EEENS1_30default_config_static_selectorELNS0_4arch9wavefront6targetE1EEEvSY_.kd
    .uniform_work_group_size: 1
    .uses_dynamic_stack: false
    .vgpr_count:     0
    .vgpr_spill_count: 0
    .wavefront_size: 64
  - .args:
      - .offset:         0
        .size:           56
        .value_kind:     by_value
    .group_segment_fixed_size: 0
    .kernarg_segment_align: 8
    .kernarg_segment_size: 56
    .language:       OpenCL C
    .language_version:
      - 2
      - 0
    .max_flat_workgroup_size: 256
    .name:           _ZN7rocprim17ROCPRIM_400000_NS6detail17trampoline_kernelINS0_14default_configENS1_27upper_bound_config_selectorIflEEZNS1_14transform_implILb0ES3_S5_N6thrust23THRUST_200600_302600_NS6detail15normal_iteratorINS8_7pointerIfNS8_11hip_rocprim16par_det_nosync_tENS8_11use_defaultESE_EEEENSA_INSB_IlSD_SE_SE_EEEEZNS1_13binary_searchIS3_S5_NSA_INS8_10device_ptrIfEEEESG_SI_NS1_21upper_bound_search_opENS9_16wrapped_functionINS8_6system6detail7generic6detail18binary_search_lessEbEEEE10hipError_tPvRmT1_T2_T3_mmT4_T5_P12ihipStream_tbEUlRKfE_EESV_SZ_S10_mS11_S14_bEUlT_E_NS1_11comp_targetILNS1_3genE4ELNS1_11target_archE910ELNS1_3gpuE8ELNS1_3repE0EEENS1_30default_config_static_selectorELNS0_4arch9wavefront6targetE1EEEvSY_
    .private_segment_fixed_size: 0
    .sgpr_count:     4
    .sgpr_spill_count: 0
    .symbol:         _ZN7rocprim17ROCPRIM_400000_NS6detail17trampoline_kernelINS0_14default_configENS1_27upper_bound_config_selectorIflEEZNS1_14transform_implILb0ES3_S5_N6thrust23THRUST_200600_302600_NS6detail15normal_iteratorINS8_7pointerIfNS8_11hip_rocprim16par_det_nosync_tENS8_11use_defaultESE_EEEENSA_INSB_IlSD_SE_SE_EEEEZNS1_13binary_searchIS3_S5_NSA_INS8_10device_ptrIfEEEESG_SI_NS1_21upper_bound_search_opENS9_16wrapped_functionINS8_6system6detail7generic6detail18binary_search_lessEbEEEE10hipError_tPvRmT1_T2_T3_mmT4_T5_P12ihipStream_tbEUlRKfE_EESV_SZ_S10_mS11_S14_bEUlT_E_NS1_11comp_targetILNS1_3genE4ELNS1_11target_archE910ELNS1_3gpuE8ELNS1_3repE0EEENS1_30default_config_static_selectorELNS0_4arch9wavefront6targetE1EEEvSY_.kd
    .uniform_work_group_size: 1
    .uses_dynamic_stack: false
    .vgpr_count:     0
    .vgpr_spill_count: 0
    .wavefront_size: 64
  - .args:
      - .offset:         0
        .size:           56
        .value_kind:     by_value
    .group_segment_fixed_size: 0
    .kernarg_segment_align: 8
    .kernarg_segment_size: 56
    .language:       OpenCL C
    .language_version:
      - 2
      - 0
    .max_flat_workgroup_size: 256
    .name:           _ZN7rocprim17ROCPRIM_400000_NS6detail17trampoline_kernelINS0_14default_configENS1_27upper_bound_config_selectorIflEEZNS1_14transform_implILb0ES3_S5_N6thrust23THRUST_200600_302600_NS6detail15normal_iteratorINS8_7pointerIfNS8_11hip_rocprim16par_det_nosync_tENS8_11use_defaultESE_EEEENSA_INSB_IlSD_SE_SE_EEEEZNS1_13binary_searchIS3_S5_NSA_INS8_10device_ptrIfEEEESG_SI_NS1_21upper_bound_search_opENS9_16wrapped_functionINS8_6system6detail7generic6detail18binary_search_lessEbEEEE10hipError_tPvRmT1_T2_T3_mmT4_T5_P12ihipStream_tbEUlRKfE_EESV_SZ_S10_mS11_S14_bEUlT_E_NS1_11comp_targetILNS1_3genE3ELNS1_11target_archE908ELNS1_3gpuE7ELNS1_3repE0EEENS1_30default_config_static_selectorELNS0_4arch9wavefront6targetE1EEEvSY_
    .private_segment_fixed_size: 0
    .sgpr_count:     4
    .sgpr_spill_count: 0
    .symbol:         _ZN7rocprim17ROCPRIM_400000_NS6detail17trampoline_kernelINS0_14default_configENS1_27upper_bound_config_selectorIflEEZNS1_14transform_implILb0ES3_S5_N6thrust23THRUST_200600_302600_NS6detail15normal_iteratorINS8_7pointerIfNS8_11hip_rocprim16par_det_nosync_tENS8_11use_defaultESE_EEEENSA_INSB_IlSD_SE_SE_EEEEZNS1_13binary_searchIS3_S5_NSA_INS8_10device_ptrIfEEEESG_SI_NS1_21upper_bound_search_opENS9_16wrapped_functionINS8_6system6detail7generic6detail18binary_search_lessEbEEEE10hipError_tPvRmT1_T2_T3_mmT4_T5_P12ihipStream_tbEUlRKfE_EESV_SZ_S10_mS11_S14_bEUlT_E_NS1_11comp_targetILNS1_3genE3ELNS1_11target_archE908ELNS1_3gpuE7ELNS1_3repE0EEENS1_30default_config_static_selectorELNS0_4arch9wavefront6targetE1EEEvSY_.kd
    .uniform_work_group_size: 1
    .uses_dynamic_stack: false
    .vgpr_count:     0
    .vgpr_spill_count: 0
    .wavefront_size: 64
  - .args:
      - .offset:         0
        .size:           56
        .value_kind:     by_value
      - .offset:         56
        .size:           4
        .value_kind:     hidden_block_count_x
      - .offset:         60
        .size:           4
        .value_kind:     hidden_block_count_y
      - .offset:         64
        .size:           4
        .value_kind:     hidden_block_count_z
      - .offset:         68
        .size:           2
        .value_kind:     hidden_group_size_x
      - .offset:         70
        .size:           2
        .value_kind:     hidden_group_size_y
      - .offset:         72
        .size:           2
        .value_kind:     hidden_group_size_z
      - .offset:         74
        .size:           2
        .value_kind:     hidden_remainder_x
      - .offset:         76
        .size:           2
        .value_kind:     hidden_remainder_y
      - .offset:         78
        .size:           2
        .value_kind:     hidden_remainder_z
      - .offset:         96
        .size:           8
        .value_kind:     hidden_global_offset_x
      - .offset:         104
        .size:           8
        .value_kind:     hidden_global_offset_y
      - .offset:         112
        .size:           8
        .value_kind:     hidden_global_offset_z
      - .offset:         120
        .size:           2
        .value_kind:     hidden_grid_dims
    .group_segment_fixed_size: 0
    .kernarg_segment_align: 8
    .kernarg_segment_size: 312
    .language:       OpenCL C
    .language_version:
      - 2
      - 0
    .max_flat_workgroup_size: 256
    .name:           _ZN7rocprim17ROCPRIM_400000_NS6detail17trampoline_kernelINS0_14default_configENS1_27upper_bound_config_selectorIflEEZNS1_14transform_implILb0ES3_S5_N6thrust23THRUST_200600_302600_NS6detail15normal_iteratorINS8_7pointerIfNS8_11hip_rocprim16par_det_nosync_tENS8_11use_defaultESE_EEEENSA_INSB_IlSD_SE_SE_EEEEZNS1_13binary_searchIS3_S5_NSA_INS8_10device_ptrIfEEEESG_SI_NS1_21upper_bound_search_opENS9_16wrapped_functionINS8_6system6detail7generic6detail18binary_search_lessEbEEEE10hipError_tPvRmT1_T2_T3_mmT4_T5_P12ihipStream_tbEUlRKfE_EESV_SZ_S10_mS11_S14_bEUlT_E_NS1_11comp_targetILNS1_3genE2ELNS1_11target_archE906ELNS1_3gpuE6ELNS1_3repE0EEENS1_30default_config_static_selectorELNS0_4arch9wavefront6targetE1EEEvSY_
    .private_segment_fixed_size: 0
    .sgpr_count:     24
    .sgpr_spill_count: 0
    .symbol:         _ZN7rocprim17ROCPRIM_400000_NS6detail17trampoline_kernelINS0_14default_configENS1_27upper_bound_config_selectorIflEEZNS1_14transform_implILb0ES3_S5_N6thrust23THRUST_200600_302600_NS6detail15normal_iteratorINS8_7pointerIfNS8_11hip_rocprim16par_det_nosync_tENS8_11use_defaultESE_EEEENSA_INSB_IlSD_SE_SE_EEEEZNS1_13binary_searchIS3_S5_NSA_INS8_10device_ptrIfEEEESG_SI_NS1_21upper_bound_search_opENS9_16wrapped_functionINS8_6system6detail7generic6detail18binary_search_lessEbEEEE10hipError_tPvRmT1_T2_T3_mmT4_T5_P12ihipStream_tbEUlRKfE_EESV_SZ_S10_mS11_S14_bEUlT_E_NS1_11comp_targetILNS1_3genE2ELNS1_11target_archE906ELNS1_3gpuE6ELNS1_3repE0EEENS1_30default_config_static_selectorELNS0_4arch9wavefront6targetE1EEEvSY_.kd
    .uniform_work_group_size: 1
    .uses_dynamic_stack: false
    .vgpr_count:     12
    .vgpr_spill_count: 0
    .wavefront_size: 64
  - .args:
      - .offset:         0
        .size:           56
        .value_kind:     by_value
    .group_segment_fixed_size: 0
    .kernarg_segment_align: 8
    .kernarg_segment_size: 56
    .language:       OpenCL C
    .language_version:
      - 2
      - 0
    .max_flat_workgroup_size: 128
    .name:           _ZN7rocprim17ROCPRIM_400000_NS6detail17trampoline_kernelINS0_14default_configENS1_27upper_bound_config_selectorIflEEZNS1_14transform_implILb0ES3_S5_N6thrust23THRUST_200600_302600_NS6detail15normal_iteratorINS8_7pointerIfNS8_11hip_rocprim16par_det_nosync_tENS8_11use_defaultESE_EEEENSA_INSB_IlSD_SE_SE_EEEEZNS1_13binary_searchIS3_S5_NSA_INS8_10device_ptrIfEEEESG_SI_NS1_21upper_bound_search_opENS9_16wrapped_functionINS8_6system6detail7generic6detail18binary_search_lessEbEEEE10hipError_tPvRmT1_T2_T3_mmT4_T5_P12ihipStream_tbEUlRKfE_EESV_SZ_S10_mS11_S14_bEUlT_E_NS1_11comp_targetILNS1_3genE10ELNS1_11target_archE1201ELNS1_3gpuE5ELNS1_3repE0EEENS1_30default_config_static_selectorELNS0_4arch9wavefront6targetE1EEEvSY_
    .private_segment_fixed_size: 0
    .sgpr_count:     4
    .sgpr_spill_count: 0
    .symbol:         _ZN7rocprim17ROCPRIM_400000_NS6detail17trampoline_kernelINS0_14default_configENS1_27upper_bound_config_selectorIflEEZNS1_14transform_implILb0ES3_S5_N6thrust23THRUST_200600_302600_NS6detail15normal_iteratorINS8_7pointerIfNS8_11hip_rocprim16par_det_nosync_tENS8_11use_defaultESE_EEEENSA_INSB_IlSD_SE_SE_EEEEZNS1_13binary_searchIS3_S5_NSA_INS8_10device_ptrIfEEEESG_SI_NS1_21upper_bound_search_opENS9_16wrapped_functionINS8_6system6detail7generic6detail18binary_search_lessEbEEEE10hipError_tPvRmT1_T2_T3_mmT4_T5_P12ihipStream_tbEUlRKfE_EESV_SZ_S10_mS11_S14_bEUlT_E_NS1_11comp_targetILNS1_3genE10ELNS1_11target_archE1201ELNS1_3gpuE5ELNS1_3repE0EEENS1_30default_config_static_selectorELNS0_4arch9wavefront6targetE1EEEvSY_.kd
    .uniform_work_group_size: 1
    .uses_dynamic_stack: false
    .vgpr_count:     0
    .vgpr_spill_count: 0
    .wavefront_size: 64
  - .args:
      - .offset:         0
        .size:           56
        .value_kind:     by_value
    .group_segment_fixed_size: 0
    .kernarg_segment_align: 8
    .kernarg_segment_size: 56
    .language:       OpenCL C
    .language_version:
      - 2
      - 0
    .max_flat_workgroup_size: 128
    .name:           _ZN7rocprim17ROCPRIM_400000_NS6detail17trampoline_kernelINS0_14default_configENS1_27upper_bound_config_selectorIflEEZNS1_14transform_implILb0ES3_S5_N6thrust23THRUST_200600_302600_NS6detail15normal_iteratorINS8_7pointerIfNS8_11hip_rocprim16par_det_nosync_tENS8_11use_defaultESE_EEEENSA_INSB_IlSD_SE_SE_EEEEZNS1_13binary_searchIS3_S5_NSA_INS8_10device_ptrIfEEEESG_SI_NS1_21upper_bound_search_opENS9_16wrapped_functionINS8_6system6detail7generic6detail18binary_search_lessEbEEEE10hipError_tPvRmT1_T2_T3_mmT4_T5_P12ihipStream_tbEUlRKfE_EESV_SZ_S10_mS11_S14_bEUlT_E_NS1_11comp_targetILNS1_3genE10ELNS1_11target_archE1200ELNS1_3gpuE4ELNS1_3repE0EEENS1_30default_config_static_selectorELNS0_4arch9wavefront6targetE1EEEvSY_
    .private_segment_fixed_size: 0
    .sgpr_count:     4
    .sgpr_spill_count: 0
    .symbol:         _ZN7rocprim17ROCPRIM_400000_NS6detail17trampoline_kernelINS0_14default_configENS1_27upper_bound_config_selectorIflEEZNS1_14transform_implILb0ES3_S5_N6thrust23THRUST_200600_302600_NS6detail15normal_iteratorINS8_7pointerIfNS8_11hip_rocprim16par_det_nosync_tENS8_11use_defaultESE_EEEENSA_INSB_IlSD_SE_SE_EEEEZNS1_13binary_searchIS3_S5_NSA_INS8_10device_ptrIfEEEESG_SI_NS1_21upper_bound_search_opENS9_16wrapped_functionINS8_6system6detail7generic6detail18binary_search_lessEbEEEE10hipError_tPvRmT1_T2_T3_mmT4_T5_P12ihipStream_tbEUlRKfE_EESV_SZ_S10_mS11_S14_bEUlT_E_NS1_11comp_targetILNS1_3genE10ELNS1_11target_archE1200ELNS1_3gpuE4ELNS1_3repE0EEENS1_30default_config_static_selectorELNS0_4arch9wavefront6targetE1EEEvSY_.kd
    .uniform_work_group_size: 1
    .uses_dynamic_stack: false
    .vgpr_count:     0
    .vgpr_spill_count: 0
    .wavefront_size: 64
  - .args:
      - .offset:         0
        .size:           56
        .value_kind:     by_value
    .group_segment_fixed_size: 0
    .kernarg_segment_align: 8
    .kernarg_segment_size: 56
    .language:       OpenCL C
    .language_version:
      - 2
      - 0
    .max_flat_workgroup_size: 256
    .name:           _ZN7rocprim17ROCPRIM_400000_NS6detail17trampoline_kernelINS0_14default_configENS1_27upper_bound_config_selectorIflEEZNS1_14transform_implILb0ES3_S5_N6thrust23THRUST_200600_302600_NS6detail15normal_iteratorINS8_7pointerIfNS8_11hip_rocprim16par_det_nosync_tENS8_11use_defaultESE_EEEENSA_INSB_IlSD_SE_SE_EEEEZNS1_13binary_searchIS3_S5_NSA_INS8_10device_ptrIfEEEESG_SI_NS1_21upper_bound_search_opENS9_16wrapped_functionINS8_6system6detail7generic6detail18binary_search_lessEbEEEE10hipError_tPvRmT1_T2_T3_mmT4_T5_P12ihipStream_tbEUlRKfE_EESV_SZ_S10_mS11_S14_bEUlT_E_NS1_11comp_targetILNS1_3genE9ELNS1_11target_archE1100ELNS1_3gpuE3ELNS1_3repE0EEENS1_30default_config_static_selectorELNS0_4arch9wavefront6targetE1EEEvSY_
    .private_segment_fixed_size: 0
    .sgpr_count:     4
    .sgpr_spill_count: 0
    .symbol:         _ZN7rocprim17ROCPRIM_400000_NS6detail17trampoline_kernelINS0_14default_configENS1_27upper_bound_config_selectorIflEEZNS1_14transform_implILb0ES3_S5_N6thrust23THRUST_200600_302600_NS6detail15normal_iteratorINS8_7pointerIfNS8_11hip_rocprim16par_det_nosync_tENS8_11use_defaultESE_EEEENSA_INSB_IlSD_SE_SE_EEEEZNS1_13binary_searchIS3_S5_NSA_INS8_10device_ptrIfEEEESG_SI_NS1_21upper_bound_search_opENS9_16wrapped_functionINS8_6system6detail7generic6detail18binary_search_lessEbEEEE10hipError_tPvRmT1_T2_T3_mmT4_T5_P12ihipStream_tbEUlRKfE_EESV_SZ_S10_mS11_S14_bEUlT_E_NS1_11comp_targetILNS1_3genE9ELNS1_11target_archE1100ELNS1_3gpuE3ELNS1_3repE0EEENS1_30default_config_static_selectorELNS0_4arch9wavefront6targetE1EEEvSY_.kd
    .uniform_work_group_size: 1
    .uses_dynamic_stack: false
    .vgpr_count:     0
    .vgpr_spill_count: 0
    .wavefront_size: 64
  - .args:
      - .offset:         0
        .size:           56
        .value_kind:     by_value
    .group_segment_fixed_size: 0
    .kernarg_segment_align: 8
    .kernarg_segment_size: 56
    .language:       OpenCL C
    .language_version:
      - 2
      - 0
    .max_flat_workgroup_size: 256
    .name:           _ZN7rocprim17ROCPRIM_400000_NS6detail17trampoline_kernelINS0_14default_configENS1_27upper_bound_config_selectorIflEEZNS1_14transform_implILb0ES3_S5_N6thrust23THRUST_200600_302600_NS6detail15normal_iteratorINS8_7pointerIfNS8_11hip_rocprim16par_det_nosync_tENS8_11use_defaultESE_EEEENSA_INSB_IlSD_SE_SE_EEEEZNS1_13binary_searchIS3_S5_NSA_INS8_10device_ptrIfEEEESG_SI_NS1_21upper_bound_search_opENS9_16wrapped_functionINS8_6system6detail7generic6detail18binary_search_lessEbEEEE10hipError_tPvRmT1_T2_T3_mmT4_T5_P12ihipStream_tbEUlRKfE_EESV_SZ_S10_mS11_S14_bEUlT_E_NS1_11comp_targetILNS1_3genE8ELNS1_11target_archE1030ELNS1_3gpuE2ELNS1_3repE0EEENS1_30default_config_static_selectorELNS0_4arch9wavefront6targetE1EEEvSY_
    .private_segment_fixed_size: 0
    .sgpr_count:     4
    .sgpr_spill_count: 0
    .symbol:         _ZN7rocprim17ROCPRIM_400000_NS6detail17trampoline_kernelINS0_14default_configENS1_27upper_bound_config_selectorIflEEZNS1_14transform_implILb0ES3_S5_N6thrust23THRUST_200600_302600_NS6detail15normal_iteratorINS8_7pointerIfNS8_11hip_rocprim16par_det_nosync_tENS8_11use_defaultESE_EEEENSA_INSB_IlSD_SE_SE_EEEEZNS1_13binary_searchIS3_S5_NSA_INS8_10device_ptrIfEEEESG_SI_NS1_21upper_bound_search_opENS9_16wrapped_functionINS8_6system6detail7generic6detail18binary_search_lessEbEEEE10hipError_tPvRmT1_T2_T3_mmT4_T5_P12ihipStream_tbEUlRKfE_EESV_SZ_S10_mS11_S14_bEUlT_E_NS1_11comp_targetILNS1_3genE8ELNS1_11target_archE1030ELNS1_3gpuE2ELNS1_3repE0EEENS1_30default_config_static_selectorELNS0_4arch9wavefront6targetE1EEEvSY_.kd
    .uniform_work_group_size: 1
    .uses_dynamic_stack: false
    .vgpr_count:     0
    .vgpr_spill_count: 0
    .wavefront_size: 64
  - .args:
      - .offset:         0
        .size:           56
        .value_kind:     by_value
    .group_segment_fixed_size: 0
    .kernarg_segment_align: 8
    .kernarg_segment_size: 56
    .language:       OpenCL C
    .language_version:
      - 2
      - 0
    .max_flat_workgroup_size: 256
    .name:           _ZN7rocprim17ROCPRIM_400000_NS6detail17trampoline_kernelINS0_14default_configENS1_27upper_bound_config_selectorIflEEZNS1_14transform_implILb0ES3_S5_N6thrust23THRUST_200600_302600_NS6detail15normal_iteratorINS8_7pointerIfNS8_11hip_rocprim9par_det_tENS8_11use_defaultESE_EEEENSA_INSB_IlSD_SE_SE_EEEEZNS1_13binary_searchIS3_S5_NSA_INS8_10device_ptrIfEEEESG_SI_NS1_21upper_bound_search_opENS9_16wrapped_functionINS8_6system6detail7generic6detail18binary_search_lessEbEEEE10hipError_tPvRmT1_T2_T3_mmT4_T5_P12ihipStream_tbEUlRKfE_EESV_SZ_S10_mS11_S14_bEUlT_E_NS1_11comp_targetILNS1_3genE0ELNS1_11target_archE4294967295ELNS1_3gpuE0ELNS1_3repE0EEENS1_30default_config_static_selectorELNS0_4arch9wavefront6targetE1EEEvSY_
    .private_segment_fixed_size: 0
    .sgpr_count:     4
    .sgpr_spill_count: 0
    .symbol:         _ZN7rocprim17ROCPRIM_400000_NS6detail17trampoline_kernelINS0_14default_configENS1_27upper_bound_config_selectorIflEEZNS1_14transform_implILb0ES3_S5_N6thrust23THRUST_200600_302600_NS6detail15normal_iteratorINS8_7pointerIfNS8_11hip_rocprim9par_det_tENS8_11use_defaultESE_EEEENSA_INSB_IlSD_SE_SE_EEEEZNS1_13binary_searchIS3_S5_NSA_INS8_10device_ptrIfEEEESG_SI_NS1_21upper_bound_search_opENS9_16wrapped_functionINS8_6system6detail7generic6detail18binary_search_lessEbEEEE10hipError_tPvRmT1_T2_T3_mmT4_T5_P12ihipStream_tbEUlRKfE_EESV_SZ_S10_mS11_S14_bEUlT_E_NS1_11comp_targetILNS1_3genE0ELNS1_11target_archE4294967295ELNS1_3gpuE0ELNS1_3repE0EEENS1_30default_config_static_selectorELNS0_4arch9wavefront6targetE1EEEvSY_.kd
    .uniform_work_group_size: 1
    .uses_dynamic_stack: false
    .vgpr_count:     0
    .vgpr_spill_count: 0
    .wavefront_size: 64
  - .args:
      - .offset:         0
        .size:           56
        .value_kind:     by_value
    .group_segment_fixed_size: 0
    .kernarg_segment_align: 8
    .kernarg_segment_size: 56
    .language:       OpenCL C
    .language_version:
      - 2
      - 0
    .max_flat_workgroup_size: 256
    .name:           _ZN7rocprim17ROCPRIM_400000_NS6detail17trampoline_kernelINS0_14default_configENS1_27upper_bound_config_selectorIflEEZNS1_14transform_implILb0ES3_S5_N6thrust23THRUST_200600_302600_NS6detail15normal_iteratorINS8_7pointerIfNS8_11hip_rocprim9par_det_tENS8_11use_defaultESE_EEEENSA_INSB_IlSD_SE_SE_EEEEZNS1_13binary_searchIS3_S5_NSA_INS8_10device_ptrIfEEEESG_SI_NS1_21upper_bound_search_opENS9_16wrapped_functionINS8_6system6detail7generic6detail18binary_search_lessEbEEEE10hipError_tPvRmT1_T2_T3_mmT4_T5_P12ihipStream_tbEUlRKfE_EESV_SZ_S10_mS11_S14_bEUlT_E_NS1_11comp_targetILNS1_3genE5ELNS1_11target_archE942ELNS1_3gpuE9ELNS1_3repE0EEENS1_30default_config_static_selectorELNS0_4arch9wavefront6targetE1EEEvSY_
    .private_segment_fixed_size: 0
    .sgpr_count:     4
    .sgpr_spill_count: 0
    .symbol:         _ZN7rocprim17ROCPRIM_400000_NS6detail17trampoline_kernelINS0_14default_configENS1_27upper_bound_config_selectorIflEEZNS1_14transform_implILb0ES3_S5_N6thrust23THRUST_200600_302600_NS6detail15normal_iteratorINS8_7pointerIfNS8_11hip_rocprim9par_det_tENS8_11use_defaultESE_EEEENSA_INSB_IlSD_SE_SE_EEEEZNS1_13binary_searchIS3_S5_NSA_INS8_10device_ptrIfEEEESG_SI_NS1_21upper_bound_search_opENS9_16wrapped_functionINS8_6system6detail7generic6detail18binary_search_lessEbEEEE10hipError_tPvRmT1_T2_T3_mmT4_T5_P12ihipStream_tbEUlRKfE_EESV_SZ_S10_mS11_S14_bEUlT_E_NS1_11comp_targetILNS1_3genE5ELNS1_11target_archE942ELNS1_3gpuE9ELNS1_3repE0EEENS1_30default_config_static_selectorELNS0_4arch9wavefront6targetE1EEEvSY_.kd
    .uniform_work_group_size: 1
    .uses_dynamic_stack: false
    .vgpr_count:     0
    .vgpr_spill_count: 0
    .wavefront_size: 64
  - .args:
      - .offset:         0
        .size:           56
        .value_kind:     by_value
    .group_segment_fixed_size: 0
    .kernarg_segment_align: 8
    .kernarg_segment_size: 56
    .language:       OpenCL C
    .language_version:
      - 2
      - 0
    .max_flat_workgroup_size: 256
    .name:           _ZN7rocprim17ROCPRIM_400000_NS6detail17trampoline_kernelINS0_14default_configENS1_27upper_bound_config_selectorIflEEZNS1_14transform_implILb0ES3_S5_N6thrust23THRUST_200600_302600_NS6detail15normal_iteratorINS8_7pointerIfNS8_11hip_rocprim9par_det_tENS8_11use_defaultESE_EEEENSA_INSB_IlSD_SE_SE_EEEEZNS1_13binary_searchIS3_S5_NSA_INS8_10device_ptrIfEEEESG_SI_NS1_21upper_bound_search_opENS9_16wrapped_functionINS8_6system6detail7generic6detail18binary_search_lessEbEEEE10hipError_tPvRmT1_T2_T3_mmT4_T5_P12ihipStream_tbEUlRKfE_EESV_SZ_S10_mS11_S14_bEUlT_E_NS1_11comp_targetILNS1_3genE4ELNS1_11target_archE910ELNS1_3gpuE8ELNS1_3repE0EEENS1_30default_config_static_selectorELNS0_4arch9wavefront6targetE1EEEvSY_
    .private_segment_fixed_size: 0
    .sgpr_count:     4
    .sgpr_spill_count: 0
    .symbol:         _ZN7rocprim17ROCPRIM_400000_NS6detail17trampoline_kernelINS0_14default_configENS1_27upper_bound_config_selectorIflEEZNS1_14transform_implILb0ES3_S5_N6thrust23THRUST_200600_302600_NS6detail15normal_iteratorINS8_7pointerIfNS8_11hip_rocprim9par_det_tENS8_11use_defaultESE_EEEENSA_INSB_IlSD_SE_SE_EEEEZNS1_13binary_searchIS3_S5_NSA_INS8_10device_ptrIfEEEESG_SI_NS1_21upper_bound_search_opENS9_16wrapped_functionINS8_6system6detail7generic6detail18binary_search_lessEbEEEE10hipError_tPvRmT1_T2_T3_mmT4_T5_P12ihipStream_tbEUlRKfE_EESV_SZ_S10_mS11_S14_bEUlT_E_NS1_11comp_targetILNS1_3genE4ELNS1_11target_archE910ELNS1_3gpuE8ELNS1_3repE0EEENS1_30default_config_static_selectorELNS0_4arch9wavefront6targetE1EEEvSY_.kd
    .uniform_work_group_size: 1
    .uses_dynamic_stack: false
    .vgpr_count:     0
    .vgpr_spill_count: 0
    .wavefront_size: 64
  - .args:
      - .offset:         0
        .size:           56
        .value_kind:     by_value
    .group_segment_fixed_size: 0
    .kernarg_segment_align: 8
    .kernarg_segment_size: 56
    .language:       OpenCL C
    .language_version:
      - 2
      - 0
    .max_flat_workgroup_size: 256
    .name:           _ZN7rocprim17ROCPRIM_400000_NS6detail17trampoline_kernelINS0_14default_configENS1_27upper_bound_config_selectorIflEEZNS1_14transform_implILb0ES3_S5_N6thrust23THRUST_200600_302600_NS6detail15normal_iteratorINS8_7pointerIfNS8_11hip_rocprim9par_det_tENS8_11use_defaultESE_EEEENSA_INSB_IlSD_SE_SE_EEEEZNS1_13binary_searchIS3_S5_NSA_INS8_10device_ptrIfEEEESG_SI_NS1_21upper_bound_search_opENS9_16wrapped_functionINS8_6system6detail7generic6detail18binary_search_lessEbEEEE10hipError_tPvRmT1_T2_T3_mmT4_T5_P12ihipStream_tbEUlRKfE_EESV_SZ_S10_mS11_S14_bEUlT_E_NS1_11comp_targetILNS1_3genE3ELNS1_11target_archE908ELNS1_3gpuE7ELNS1_3repE0EEENS1_30default_config_static_selectorELNS0_4arch9wavefront6targetE1EEEvSY_
    .private_segment_fixed_size: 0
    .sgpr_count:     4
    .sgpr_spill_count: 0
    .symbol:         _ZN7rocprim17ROCPRIM_400000_NS6detail17trampoline_kernelINS0_14default_configENS1_27upper_bound_config_selectorIflEEZNS1_14transform_implILb0ES3_S5_N6thrust23THRUST_200600_302600_NS6detail15normal_iteratorINS8_7pointerIfNS8_11hip_rocprim9par_det_tENS8_11use_defaultESE_EEEENSA_INSB_IlSD_SE_SE_EEEEZNS1_13binary_searchIS3_S5_NSA_INS8_10device_ptrIfEEEESG_SI_NS1_21upper_bound_search_opENS9_16wrapped_functionINS8_6system6detail7generic6detail18binary_search_lessEbEEEE10hipError_tPvRmT1_T2_T3_mmT4_T5_P12ihipStream_tbEUlRKfE_EESV_SZ_S10_mS11_S14_bEUlT_E_NS1_11comp_targetILNS1_3genE3ELNS1_11target_archE908ELNS1_3gpuE7ELNS1_3repE0EEENS1_30default_config_static_selectorELNS0_4arch9wavefront6targetE1EEEvSY_.kd
    .uniform_work_group_size: 1
    .uses_dynamic_stack: false
    .vgpr_count:     0
    .vgpr_spill_count: 0
    .wavefront_size: 64
  - .args:
      - .offset:         0
        .size:           56
        .value_kind:     by_value
      - .offset:         56
        .size:           4
        .value_kind:     hidden_block_count_x
      - .offset:         60
        .size:           4
        .value_kind:     hidden_block_count_y
      - .offset:         64
        .size:           4
        .value_kind:     hidden_block_count_z
      - .offset:         68
        .size:           2
        .value_kind:     hidden_group_size_x
      - .offset:         70
        .size:           2
        .value_kind:     hidden_group_size_y
      - .offset:         72
        .size:           2
        .value_kind:     hidden_group_size_z
      - .offset:         74
        .size:           2
        .value_kind:     hidden_remainder_x
      - .offset:         76
        .size:           2
        .value_kind:     hidden_remainder_y
      - .offset:         78
        .size:           2
        .value_kind:     hidden_remainder_z
      - .offset:         96
        .size:           8
        .value_kind:     hidden_global_offset_x
      - .offset:         104
        .size:           8
        .value_kind:     hidden_global_offset_y
      - .offset:         112
        .size:           8
        .value_kind:     hidden_global_offset_z
      - .offset:         120
        .size:           2
        .value_kind:     hidden_grid_dims
    .group_segment_fixed_size: 0
    .kernarg_segment_align: 8
    .kernarg_segment_size: 312
    .language:       OpenCL C
    .language_version:
      - 2
      - 0
    .max_flat_workgroup_size: 256
    .name:           _ZN7rocprim17ROCPRIM_400000_NS6detail17trampoline_kernelINS0_14default_configENS1_27upper_bound_config_selectorIflEEZNS1_14transform_implILb0ES3_S5_N6thrust23THRUST_200600_302600_NS6detail15normal_iteratorINS8_7pointerIfNS8_11hip_rocprim9par_det_tENS8_11use_defaultESE_EEEENSA_INSB_IlSD_SE_SE_EEEEZNS1_13binary_searchIS3_S5_NSA_INS8_10device_ptrIfEEEESG_SI_NS1_21upper_bound_search_opENS9_16wrapped_functionINS8_6system6detail7generic6detail18binary_search_lessEbEEEE10hipError_tPvRmT1_T2_T3_mmT4_T5_P12ihipStream_tbEUlRKfE_EESV_SZ_S10_mS11_S14_bEUlT_E_NS1_11comp_targetILNS1_3genE2ELNS1_11target_archE906ELNS1_3gpuE6ELNS1_3repE0EEENS1_30default_config_static_selectorELNS0_4arch9wavefront6targetE1EEEvSY_
    .private_segment_fixed_size: 0
    .sgpr_count:     24
    .sgpr_spill_count: 0
    .symbol:         _ZN7rocprim17ROCPRIM_400000_NS6detail17trampoline_kernelINS0_14default_configENS1_27upper_bound_config_selectorIflEEZNS1_14transform_implILb0ES3_S5_N6thrust23THRUST_200600_302600_NS6detail15normal_iteratorINS8_7pointerIfNS8_11hip_rocprim9par_det_tENS8_11use_defaultESE_EEEENSA_INSB_IlSD_SE_SE_EEEEZNS1_13binary_searchIS3_S5_NSA_INS8_10device_ptrIfEEEESG_SI_NS1_21upper_bound_search_opENS9_16wrapped_functionINS8_6system6detail7generic6detail18binary_search_lessEbEEEE10hipError_tPvRmT1_T2_T3_mmT4_T5_P12ihipStream_tbEUlRKfE_EESV_SZ_S10_mS11_S14_bEUlT_E_NS1_11comp_targetILNS1_3genE2ELNS1_11target_archE906ELNS1_3gpuE6ELNS1_3repE0EEENS1_30default_config_static_selectorELNS0_4arch9wavefront6targetE1EEEvSY_.kd
    .uniform_work_group_size: 1
    .uses_dynamic_stack: false
    .vgpr_count:     12
    .vgpr_spill_count: 0
    .wavefront_size: 64
  - .args:
      - .offset:         0
        .size:           56
        .value_kind:     by_value
    .group_segment_fixed_size: 0
    .kernarg_segment_align: 8
    .kernarg_segment_size: 56
    .language:       OpenCL C
    .language_version:
      - 2
      - 0
    .max_flat_workgroup_size: 128
    .name:           _ZN7rocprim17ROCPRIM_400000_NS6detail17trampoline_kernelINS0_14default_configENS1_27upper_bound_config_selectorIflEEZNS1_14transform_implILb0ES3_S5_N6thrust23THRUST_200600_302600_NS6detail15normal_iteratorINS8_7pointerIfNS8_11hip_rocprim9par_det_tENS8_11use_defaultESE_EEEENSA_INSB_IlSD_SE_SE_EEEEZNS1_13binary_searchIS3_S5_NSA_INS8_10device_ptrIfEEEESG_SI_NS1_21upper_bound_search_opENS9_16wrapped_functionINS8_6system6detail7generic6detail18binary_search_lessEbEEEE10hipError_tPvRmT1_T2_T3_mmT4_T5_P12ihipStream_tbEUlRKfE_EESV_SZ_S10_mS11_S14_bEUlT_E_NS1_11comp_targetILNS1_3genE10ELNS1_11target_archE1201ELNS1_3gpuE5ELNS1_3repE0EEENS1_30default_config_static_selectorELNS0_4arch9wavefront6targetE1EEEvSY_
    .private_segment_fixed_size: 0
    .sgpr_count:     4
    .sgpr_spill_count: 0
    .symbol:         _ZN7rocprim17ROCPRIM_400000_NS6detail17trampoline_kernelINS0_14default_configENS1_27upper_bound_config_selectorIflEEZNS1_14transform_implILb0ES3_S5_N6thrust23THRUST_200600_302600_NS6detail15normal_iteratorINS8_7pointerIfNS8_11hip_rocprim9par_det_tENS8_11use_defaultESE_EEEENSA_INSB_IlSD_SE_SE_EEEEZNS1_13binary_searchIS3_S5_NSA_INS8_10device_ptrIfEEEESG_SI_NS1_21upper_bound_search_opENS9_16wrapped_functionINS8_6system6detail7generic6detail18binary_search_lessEbEEEE10hipError_tPvRmT1_T2_T3_mmT4_T5_P12ihipStream_tbEUlRKfE_EESV_SZ_S10_mS11_S14_bEUlT_E_NS1_11comp_targetILNS1_3genE10ELNS1_11target_archE1201ELNS1_3gpuE5ELNS1_3repE0EEENS1_30default_config_static_selectorELNS0_4arch9wavefront6targetE1EEEvSY_.kd
    .uniform_work_group_size: 1
    .uses_dynamic_stack: false
    .vgpr_count:     0
    .vgpr_spill_count: 0
    .wavefront_size: 64
  - .args:
      - .offset:         0
        .size:           56
        .value_kind:     by_value
    .group_segment_fixed_size: 0
    .kernarg_segment_align: 8
    .kernarg_segment_size: 56
    .language:       OpenCL C
    .language_version:
      - 2
      - 0
    .max_flat_workgroup_size: 128
    .name:           _ZN7rocprim17ROCPRIM_400000_NS6detail17trampoline_kernelINS0_14default_configENS1_27upper_bound_config_selectorIflEEZNS1_14transform_implILb0ES3_S5_N6thrust23THRUST_200600_302600_NS6detail15normal_iteratorINS8_7pointerIfNS8_11hip_rocprim9par_det_tENS8_11use_defaultESE_EEEENSA_INSB_IlSD_SE_SE_EEEEZNS1_13binary_searchIS3_S5_NSA_INS8_10device_ptrIfEEEESG_SI_NS1_21upper_bound_search_opENS9_16wrapped_functionINS8_6system6detail7generic6detail18binary_search_lessEbEEEE10hipError_tPvRmT1_T2_T3_mmT4_T5_P12ihipStream_tbEUlRKfE_EESV_SZ_S10_mS11_S14_bEUlT_E_NS1_11comp_targetILNS1_3genE10ELNS1_11target_archE1200ELNS1_3gpuE4ELNS1_3repE0EEENS1_30default_config_static_selectorELNS0_4arch9wavefront6targetE1EEEvSY_
    .private_segment_fixed_size: 0
    .sgpr_count:     4
    .sgpr_spill_count: 0
    .symbol:         _ZN7rocprim17ROCPRIM_400000_NS6detail17trampoline_kernelINS0_14default_configENS1_27upper_bound_config_selectorIflEEZNS1_14transform_implILb0ES3_S5_N6thrust23THRUST_200600_302600_NS6detail15normal_iteratorINS8_7pointerIfNS8_11hip_rocprim9par_det_tENS8_11use_defaultESE_EEEENSA_INSB_IlSD_SE_SE_EEEEZNS1_13binary_searchIS3_S5_NSA_INS8_10device_ptrIfEEEESG_SI_NS1_21upper_bound_search_opENS9_16wrapped_functionINS8_6system6detail7generic6detail18binary_search_lessEbEEEE10hipError_tPvRmT1_T2_T3_mmT4_T5_P12ihipStream_tbEUlRKfE_EESV_SZ_S10_mS11_S14_bEUlT_E_NS1_11comp_targetILNS1_3genE10ELNS1_11target_archE1200ELNS1_3gpuE4ELNS1_3repE0EEENS1_30default_config_static_selectorELNS0_4arch9wavefront6targetE1EEEvSY_.kd
    .uniform_work_group_size: 1
    .uses_dynamic_stack: false
    .vgpr_count:     0
    .vgpr_spill_count: 0
    .wavefront_size: 64
  - .args:
      - .offset:         0
        .size:           56
        .value_kind:     by_value
    .group_segment_fixed_size: 0
    .kernarg_segment_align: 8
    .kernarg_segment_size: 56
    .language:       OpenCL C
    .language_version:
      - 2
      - 0
    .max_flat_workgroup_size: 256
    .name:           _ZN7rocprim17ROCPRIM_400000_NS6detail17trampoline_kernelINS0_14default_configENS1_27upper_bound_config_selectorIflEEZNS1_14transform_implILb0ES3_S5_N6thrust23THRUST_200600_302600_NS6detail15normal_iteratorINS8_7pointerIfNS8_11hip_rocprim9par_det_tENS8_11use_defaultESE_EEEENSA_INSB_IlSD_SE_SE_EEEEZNS1_13binary_searchIS3_S5_NSA_INS8_10device_ptrIfEEEESG_SI_NS1_21upper_bound_search_opENS9_16wrapped_functionINS8_6system6detail7generic6detail18binary_search_lessEbEEEE10hipError_tPvRmT1_T2_T3_mmT4_T5_P12ihipStream_tbEUlRKfE_EESV_SZ_S10_mS11_S14_bEUlT_E_NS1_11comp_targetILNS1_3genE9ELNS1_11target_archE1100ELNS1_3gpuE3ELNS1_3repE0EEENS1_30default_config_static_selectorELNS0_4arch9wavefront6targetE1EEEvSY_
    .private_segment_fixed_size: 0
    .sgpr_count:     4
    .sgpr_spill_count: 0
    .symbol:         _ZN7rocprim17ROCPRIM_400000_NS6detail17trampoline_kernelINS0_14default_configENS1_27upper_bound_config_selectorIflEEZNS1_14transform_implILb0ES3_S5_N6thrust23THRUST_200600_302600_NS6detail15normal_iteratorINS8_7pointerIfNS8_11hip_rocprim9par_det_tENS8_11use_defaultESE_EEEENSA_INSB_IlSD_SE_SE_EEEEZNS1_13binary_searchIS3_S5_NSA_INS8_10device_ptrIfEEEESG_SI_NS1_21upper_bound_search_opENS9_16wrapped_functionINS8_6system6detail7generic6detail18binary_search_lessEbEEEE10hipError_tPvRmT1_T2_T3_mmT4_T5_P12ihipStream_tbEUlRKfE_EESV_SZ_S10_mS11_S14_bEUlT_E_NS1_11comp_targetILNS1_3genE9ELNS1_11target_archE1100ELNS1_3gpuE3ELNS1_3repE0EEENS1_30default_config_static_selectorELNS0_4arch9wavefront6targetE1EEEvSY_.kd
    .uniform_work_group_size: 1
    .uses_dynamic_stack: false
    .vgpr_count:     0
    .vgpr_spill_count: 0
    .wavefront_size: 64
  - .args:
      - .offset:         0
        .size:           56
        .value_kind:     by_value
    .group_segment_fixed_size: 0
    .kernarg_segment_align: 8
    .kernarg_segment_size: 56
    .language:       OpenCL C
    .language_version:
      - 2
      - 0
    .max_flat_workgroup_size: 256
    .name:           _ZN7rocprim17ROCPRIM_400000_NS6detail17trampoline_kernelINS0_14default_configENS1_27upper_bound_config_selectorIflEEZNS1_14transform_implILb0ES3_S5_N6thrust23THRUST_200600_302600_NS6detail15normal_iteratorINS8_7pointerIfNS8_11hip_rocprim9par_det_tENS8_11use_defaultESE_EEEENSA_INSB_IlSD_SE_SE_EEEEZNS1_13binary_searchIS3_S5_NSA_INS8_10device_ptrIfEEEESG_SI_NS1_21upper_bound_search_opENS9_16wrapped_functionINS8_6system6detail7generic6detail18binary_search_lessEbEEEE10hipError_tPvRmT1_T2_T3_mmT4_T5_P12ihipStream_tbEUlRKfE_EESV_SZ_S10_mS11_S14_bEUlT_E_NS1_11comp_targetILNS1_3genE8ELNS1_11target_archE1030ELNS1_3gpuE2ELNS1_3repE0EEENS1_30default_config_static_selectorELNS0_4arch9wavefront6targetE1EEEvSY_
    .private_segment_fixed_size: 0
    .sgpr_count:     4
    .sgpr_spill_count: 0
    .symbol:         _ZN7rocprim17ROCPRIM_400000_NS6detail17trampoline_kernelINS0_14default_configENS1_27upper_bound_config_selectorIflEEZNS1_14transform_implILb0ES3_S5_N6thrust23THRUST_200600_302600_NS6detail15normal_iteratorINS8_7pointerIfNS8_11hip_rocprim9par_det_tENS8_11use_defaultESE_EEEENSA_INSB_IlSD_SE_SE_EEEEZNS1_13binary_searchIS3_S5_NSA_INS8_10device_ptrIfEEEESG_SI_NS1_21upper_bound_search_opENS9_16wrapped_functionINS8_6system6detail7generic6detail18binary_search_lessEbEEEE10hipError_tPvRmT1_T2_T3_mmT4_T5_P12ihipStream_tbEUlRKfE_EESV_SZ_S10_mS11_S14_bEUlT_E_NS1_11comp_targetILNS1_3genE8ELNS1_11target_archE1030ELNS1_3gpuE2ELNS1_3repE0EEENS1_30default_config_static_selectorELNS0_4arch9wavefront6targetE1EEEvSY_.kd
    .uniform_work_group_size: 1
    .uses_dynamic_stack: false
    .vgpr_count:     0
    .vgpr_spill_count: 0
    .wavefront_size: 64
  - .args:
      - .offset:         0
        .size:           56
        .value_kind:     by_value
    .group_segment_fixed_size: 0
    .kernarg_segment_align: 8
    .kernarg_segment_size: 56
    .language:       OpenCL C
    .language_version:
      - 2
      - 0
    .max_flat_workgroup_size: 256
    .name:           _ZN7rocprim17ROCPRIM_400000_NS6detail17trampoline_kernelINS0_14default_configENS1_27upper_bound_config_selectorIflEEZNS1_14transform_implILb0ES3_S5_N6thrust23THRUST_200600_302600_NS6detail15normal_iteratorINS8_7pointerIfNS8_11hip_rocprim5par_tENS8_11use_defaultESE_EEEENSA_INSB_IlSD_SE_SE_EEEEZNS1_13binary_searchIS3_S5_NSA_INS8_10device_ptrIfEEEESG_SI_NS1_21upper_bound_search_opENS9_16wrapped_functionINS8_6system6detail7generic6detail18binary_search_lessEbEEEE10hipError_tPvRmT1_T2_T3_mmT4_T5_P12ihipStream_tbEUlRKfE_EESV_SZ_S10_mS11_S14_bEUlT_E_NS1_11comp_targetILNS1_3genE0ELNS1_11target_archE4294967295ELNS1_3gpuE0ELNS1_3repE0EEENS1_30default_config_static_selectorELNS0_4arch9wavefront6targetE1EEEvSY_
    .private_segment_fixed_size: 0
    .sgpr_count:     4
    .sgpr_spill_count: 0
    .symbol:         _ZN7rocprim17ROCPRIM_400000_NS6detail17trampoline_kernelINS0_14default_configENS1_27upper_bound_config_selectorIflEEZNS1_14transform_implILb0ES3_S5_N6thrust23THRUST_200600_302600_NS6detail15normal_iteratorINS8_7pointerIfNS8_11hip_rocprim5par_tENS8_11use_defaultESE_EEEENSA_INSB_IlSD_SE_SE_EEEEZNS1_13binary_searchIS3_S5_NSA_INS8_10device_ptrIfEEEESG_SI_NS1_21upper_bound_search_opENS9_16wrapped_functionINS8_6system6detail7generic6detail18binary_search_lessEbEEEE10hipError_tPvRmT1_T2_T3_mmT4_T5_P12ihipStream_tbEUlRKfE_EESV_SZ_S10_mS11_S14_bEUlT_E_NS1_11comp_targetILNS1_3genE0ELNS1_11target_archE4294967295ELNS1_3gpuE0ELNS1_3repE0EEENS1_30default_config_static_selectorELNS0_4arch9wavefront6targetE1EEEvSY_.kd
    .uniform_work_group_size: 1
    .uses_dynamic_stack: false
    .vgpr_count:     0
    .vgpr_spill_count: 0
    .wavefront_size: 64
  - .args:
      - .offset:         0
        .size:           56
        .value_kind:     by_value
    .group_segment_fixed_size: 0
    .kernarg_segment_align: 8
    .kernarg_segment_size: 56
    .language:       OpenCL C
    .language_version:
      - 2
      - 0
    .max_flat_workgroup_size: 256
    .name:           _ZN7rocprim17ROCPRIM_400000_NS6detail17trampoline_kernelINS0_14default_configENS1_27upper_bound_config_selectorIflEEZNS1_14transform_implILb0ES3_S5_N6thrust23THRUST_200600_302600_NS6detail15normal_iteratorINS8_7pointerIfNS8_11hip_rocprim5par_tENS8_11use_defaultESE_EEEENSA_INSB_IlSD_SE_SE_EEEEZNS1_13binary_searchIS3_S5_NSA_INS8_10device_ptrIfEEEESG_SI_NS1_21upper_bound_search_opENS9_16wrapped_functionINS8_6system6detail7generic6detail18binary_search_lessEbEEEE10hipError_tPvRmT1_T2_T3_mmT4_T5_P12ihipStream_tbEUlRKfE_EESV_SZ_S10_mS11_S14_bEUlT_E_NS1_11comp_targetILNS1_3genE5ELNS1_11target_archE942ELNS1_3gpuE9ELNS1_3repE0EEENS1_30default_config_static_selectorELNS0_4arch9wavefront6targetE1EEEvSY_
    .private_segment_fixed_size: 0
    .sgpr_count:     4
    .sgpr_spill_count: 0
    .symbol:         _ZN7rocprim17ROCPRIM_400000_NS6detail17trampoline_kernelINS0_14default_configENS1_27upper_bound_config_selectorIflEEZNS1_14transform_implILb0ES3_S5_N6thrust23THRUST_200600_302600_NS6detail15normal_iteratorINS8_7pointerIfNS8_11hip_rocprim5par_tENS8_11use_defaultESE_EEEENSA_INSB_IlSD_SE_SE_EEEEZNS1_13binary_searchIS3_S5_NSA_INS8_10device_ptrIfEEEESG_SI_NS1_21upper_bound_search_opENS9_16wrapped_functionINS8_6system6detail7generic6detail18binary_search_lessEbEEEE10hipError_tPvRmT1_T2_T3_mmT4_T5_P12ihipStream_tbEUlRKfE_EESV_SZ_S10_mS11_S14_bEUlT_E_NS1_11comp_targetILNS1_3genE5ELNS1_11target_archE942ELNS1_3gpuE9ELNS1_3repE0EEENS1_30default_config_static_selectorELNS0_4arch9wavefront6targetE1EEEvSY_.kd
    .uniform_work_group_size: 1
    .uses_dynamic_stack: false
    .vgpr_count:     0
    .vgpr_spill_count: 0
    .wavefront_size: 64
  - .args:
      - .offset:         0
        .size:           56
        .value_kind:     by_value
    .group_segment_fixed_size: 0
    .kernarg_segment_align: 8
    .kernarg_segment_size: 56
    .language:       OpenCL C
    .language_version:
      - 2
      - 0
    .max_flat_workgroup_size: 256
    .name:           _ZN7rocprim17ROCPRIM_400000_NS6detail17trampoline_kernelINS0_14default_configENS1_27upper_bound_config_selectorIflEEZNS1_14transform_implILb0ES3_S5_N6thrust23THRUST_200600_302600_NS6detail15normal_iteratorINS8_7pointerIfNS8_11hip_rocprim5par_tENS8_11use_defaultESE_EEEENSA_INSB_IlSD_SE_SE_EEEEZNS1_13binary_searchIS3_S5_NSA_INS8_10device_ptrIfEEEESG_SI_NS1_21upper_bound_search_opENS9_16wrapped_functionINS8_6system6detail7generic6detail18binary_search_lessEbEEEE10hipError_tPvRmT1_T2_T3_mmT4_T5_P12ihipStream_tbEUlRKfE_EESV_SZ_S10_mS11_S14_bEUlT_E_NS1_11comp_targetILNS1_3genE4ELNS1_11target_archE910ELNS1_3gpuE8ELNS1_3repE0EEENS1_30default_config_static_selectorELNS0_4arch9wavefront6targetE1EEEvSY_
    .private_segment_fixed_size: 0
    .sgpr_count:     4
    .sgpr_spill_count: 0
    .symbol:         _ZN7rocprim17ROCPRIM_400000_NS6detail17trampoline_kernelINS0_14default_configENS1_27upper_bound_config_selectorIflEEZNS1_14transform_implILb0ES3_S5_N6thrust23THRUST_200600_302600_NS6detail15normal_iteratorINS8_7pointerIfNS8_11hip_rocprim5par_tENS8_11use_defaultESE_EEEENSA_INSB_IlSD_SE_SE_EEEEZNS1_13binary_searchIS3_S5_NSA_INS8_10device_ptrIfEEEESG_SI_NS1_21upper_bound_search_opENS9_16wrapped_functionINS8_6system6detail7generic6detail18binary_search_lessEbEEEE10hipError_tPvRmT1_T2_T3_mmT4_T5_P12ihipStream_tbEUlRKfE_EESV_SZ_S10_mS11_S14_bEUlT_E_NS1_11comp_targetILNS1_3genE4ELNS1_11target_archE910ELNS1_3gpuE8ELNS1_3repE0EEENS1_30default_config_static_selectorELNS0_4arch9wavefront6targetE1EEEvSY_.kd
    .uniform_work_group_size: 1
    .uses_dynamic_stack: false
    .vgpr_count:     0
    .vgpr_spill_count: 0
    .wavefront_size: 64
  - .args:
      - .offset:         0
        .size:           56
        .value_kind:     by_value
    .group_segment_fixed_size: 0
    .kernarg_segment_align: 8
    .kernarg_segment_size: 56
    .language:       OpenCL C
    .language_version:
      - 2
      - 0
    .max_flat_workgroup_size: 256
    .name:           _ZN7rocprim17ROCPRIM_400000_NS6detail17trampoline_kernelINS0_14default_configENS1_27upper_bound_config_selectorIflEEZNS1_14transform_implILb0ES3_S5_N6thrust23THRUST_200600_302600_NS6detail15normal_iteratorINS8_7pointerIfNS8_11hip_rocprim5par_tENS8_11use_defaultESE_EEEENSA_INSB_IlSD_SE_SE_EEEEZNS1_13binary_searchIS3_S5_NSA_INS8_10device_ptrIfEEEESG_SI_NS1_21upper_bound_search_opENS9_16wrapped_functionINS8_6system6detail7generic6detail18binary_search_lessEbEEEE10hipError_tPvRmT1_T2_T3_mmT4_T5_P12ihipStream_tbEUlRKfE_EESV_SZ_S10_mS11_S14_bEUlT_E_NS1_11comp_targetILNS1_3genE3ELNS1_11target_archE908ELNS1_3gpuE7ELNS1_3repE0EEENS1_30default_config_static_selectorELNS0_4arch9wavefront6targetE1EEEvSY_
    .private_segment_fixed_size: 0
    .sgpr_count:     4
    .sgpr_spill_count: 0
    .symbol:         _ZN7rocprim17ROCPRIM_400000_NS6detail17trampoline_kernelINS0_14default_configENS1_27upper_bound_config_selectorIflEEZNS1_14transform_implILb0ES3_S5_N6thrust23THRUST_200600_302600_NS6detail15normal_iteratorINS8_7pointerIfNS8_11hip_rocprim5par_tENS8_11use_defaultESE_EEEENSA_INSB_IlSD_SE_SE_EEEEZNS1_13binary_searchIS3_S5_NSA_INS8_10device_ptrIfEEEESG_SI_NS1_21upper_bound_search_opENS9_16wrapped_functionINS8_6system6detail7generic6detail18binary_search_lessEbEEEE10hipError_tPvRmT1_T2_T3_mmT4_T5_P12ihipStream_tbEUlRKfE_EESV_SZ_S10_mS11_S14_bEUlT_E_NS1_11comp_targetILNS1_3genE3ELNS1_11target_archE908ELNS1_3gpuE7ELNS1_3repE0EEENS1_30default_config_static_selectorELNS0_4arch9wavefront6targetE1EEEvSY_.kd
    .uniform_work_group_size: 1
    .uses_dynamic_stack: false
    .vgpr_count:     0
    .vgpr_spill_count: 0
    .wavefront_size: 64
  - .args:
      - .offset:         0
        .size:           56
        .value_kind:     by_value
      - .offset:         56
        .size:           4
        .value_kind:     hidden_block_count_x
      - .offset:         60
        .size:           4
        .value_kind:     hidden_block_count_y
      - .offset:         64
        .size:           4
        .value_kind:     hidden_block_count_z
      - .offset:         68
        .size:           2
        .value_kind:     hidden_group_size_x
      - .offset:         70
        .size:           2
        .value_kind:     hidden_group_size_y
      - .offset:         72
        .size:           2
        .value_kind:     hidden_group_size_z
      - .offset:         74
        .size:           2
        .value_kind:     hidden_remainder_x
      - .offset:         76
        .size:           2
        .value_kind:     hidden_remainder_y
      - .offset:         78
        .size:           2
        .value_kind:     hidden_remainder_z
      - .offset:         96
        .size:           8
        .value_kind:     hidden_global_offset_x
      - .offset:         104
        .size:           8
        .value_kind:     hidden_global_offset_y
      - .offset:         112
        .size:           8
        .value_kind:     hidden_global_offset_z
      - .offset:         120
        .size:           2
        .value_kind:     hidden_grid_dims
    .group_segment_fixed_size: 0
    .kernarg_segment_align: 8
    .kernarg_segment_size: 312
    .language:       OpenCL C
    .language_version:
      - 2
      - 0
    .max_flat_workgroup_size: 256
    .name:           _ZN7rocprim17ROCPRIM_400000_NS6detail17trampoline_kernelINS0_14default_configENS1_27upper_bound_config_selectorIflEEZNS1_14transform_implILb0ES3_S5_N6thrust23THRUST_200600_302600_NS6detail15normal_iteratorINS8_7pointerIfNS8_11hip_rocprim5par_tENS8_11use_defaultESE_EEEENSA_INSB_IlSD_SE_SE_EEEEZNS1_13binary_searchIS3_S5_NSA_INS8_10device_ptrIfEEEESG_SI_NS1_21upper_bound_search_opENS9_16wrapped_functionINS8_6system6detail7generic6detail18binary_search_lessEbEEEE10hipError_tPvRmT1_T2_T3_mmT4_T5_P12ihipStream_tbEUlRKfE_EESV_SZ_S10_mS11_S14_bEUlT_E_NS1_11comp_targetILNS1_3genE2ELNS1_11target_archE906ELNS1_3gpuE6ELNS1_3repE0EEENS1_30default_config_static_selectorELNS0_4arch9wavefront6targetE1EEEvSY_
    .private_segment_fixed_size: 0
    .sgpr_count:     24
    .sgpr_spill_count: 0
    .symbol:         _ZN7rocprim17ROCPRIM_400000_NS6detail17trampoline_kernelINS0_14default_configENS1_27upper_bound_config_selectorIflEEZNS1_14transform_implILb0ES3_S5_N6thrust23THRUST_200600_302600_NS6detail15normal_iteratorINS8_7pointerIfNS8_11hip_rocprim5par_tENS8_11use_defaultESE_EEEENSA_INSB_IlSD_SE_SE_EEEEZNS1_13binary_searchIS3_S5_NSA_INS8_10device_ptrIfEEEESG_SI_NS1_21upper_bound_search_opENS9_16wrapped_functionINS8_6system6detail7generic6detail18binary_search_lessEbEEEE10hipError_tPvRmT1_T2_T3_mmT4_T5_P12ihipStream_tbEUlRKfE_EESV_SZ_S10_mS11_S14_bEUlT_E_NS1_11comp_targetILNS1_3genE2ELNS1_11target_archE906ELNS1_3gpuE6ELNS1_3repE0EEENS1_30default_config_static_selectorELNS0_4arch9wavefront6targetE1EEEvSY_.kd
    .uniform_work_group_size: 1
    .uses_dynamic_stack: false
    .vgpr_count:     12
    .vgpr_spill_count: 0
    .wavefront_size: 64
  - .args:
      - .offset:         0
        .size:           56
        .value_kind:     by_value
    .group_segment_fixed_size: 0
    .kernarg_segment_align: 8
    .kernarg_segment_size: 56
    .language:       OpenCL C
    .language_version:
      - 2
      - 0
    .max_flat_workgroup_size: 128
    .name:           _ZN7rocprim17ROCPRIM_400000_NS6detail17trampoline_kernelINS0_14default_configENS1_27upper_bound_config_selectorIflEEZNS1_14transform_implILb0ES3_S5_N6thrust23THRUST_200600_302600_NS6detail15normal_iteratorINS8_7pointerIfNS8_11hip_rocprim5par_tENS8_11use_defaultESE_EEEENSA_INSB_IlSD_SE_SE_EEEEZNS1_13binary_searchIS3_S5_NSA_INS8_10device_ptrIfEEEESG_SI_NS1_21upper_bound_search_opENS9_16wrapped_functionINS8_6system6detail7generic6detail18binary_search_lessEbEEEE10hipError_tPvRmT1_T2_T3_mmT4_T5_P12ihipStream_tbEUlRKfE_EESV_SZ_S10_mS11_S14_bEUlT_E_NS1_11comp_targetILNS1_3genE10ELNS1_11target_archE1201ELNS1_3gpuE5ELNS1_3repE0EEENS1_30default_config_static_selectorELNS0_4arch9wavefront6targetE1EEEvSY_
    .private_segment_fixed_size: 0
    .sgpr_count:     4
    .sgpr_spill_count: 0
    .symbol:         _ZN7rocprim17ROCPRIM_400000_NS6detail17trampoline_kernelINS0_14default_configENS1_27upper_bound_config_selectorIflEEZNS1_14transform_implILb0ES3_S5_N6thrust23THRUST_200600_302600_NS6detail15normal_iteratorINS8_7pointerIfNS8_11hip_rocprim5par_tENS8_11use_defaultESE_EEEENSA_INSB_IlSD_SE_SE_EEEEZNS1_13binary_searchIS3_S5_NSA_INS8_10device_ptrIfEEEESG_SI_NS1_21upper_bound_search_opENS9_16wrapped_functionINS8_6system6detail7generic6detail18binary_search_lessEbEEEE10hipError_tPvRmT1_T2_T3_mmT4_T5_P12ihipStream_tbEUlRKfE_EESV_SZ_S10_mS11_S14_bEUlT_E_NS1_11comp_targetILNS1_3genE10ELNS1_11target_archE1201ELNS1_3gpuE5ELNS1_3repE0EEENS1_30default_config_static_selectorELNS0_4arch9wavefront6targetE1EEEvSY_.kd
    .uniform_work_group_size: 1
    .uses_dynamic_stack: false
    .vgpr_count:     0
    .vgpr_spill_count: 0
    .wavefront_size: 64
  - .args:
      - .offset:         0
        .size:           56
        .value_kind:     by_value
    .group_segment_fixed_size: 0
    .kernarg_segment_align: 8
    .kernarg_segment_size: 56
    .language:       OpenCL C
    .language_version:
      - 2
      - 0
    .max_flat_workgroup_size: 128
    .name:           _ZN7rocprim17ROCPRIM_400000_NS6detail17trampoline_kernelINS0_14default_configENS1_27upper_bound_config_selectorIflEEZNS1_14transform_implILb0ES3_S5_N6thrust23THRUST_200600_302600_NS6detail15normal_iteratorINS8_7pointerIfNS8_11hip_rocprim5par_tENS8_11use_defaultESE_EEEENSA_INSB_IlSD_SE_SE_EEEEZNS1_13binary_searchIS3_S5_NSA_INS8_10device_ptrIfEEEESG_SI_NS1_21upper_bound_search_opENS9_16wrapped_functionINS8_6system6detail7generic6detail18binary_search_lessEbEEEE10hipError_tPvRmT1_T2_T3_mmT4_T5_P12ihipStream_tbEUlRKfE_EESV_SZ_S10_mS11_S14_bEUlT_E_NS1_11comp_targetILNS1_3genE10ELNS1_11target_archE1200ELNS1_3gpuE4ELNS1_3repE0EEENS1_30default_config_static_selectorELNS0_4arch9wavefront6targetE1EEEvSY_
    .private_segment_fixed_size: 0
    .sgpr_count:     4
    .sgpr_spill_count: 0
    .symbol:         _ZN7rocprim17ROCPRIM_400000_NS6detail17trampoline_kernelINS0_14default_configENS1_27upper_bound_config_selectorIflEEZNS1_14transform_implILb0ES3_S5_N6thrust23THRUST_200600_302600_NS6detail15normal_iteratorINS8_7pointerIfNS8_11hip_rocprim5par_tENS8_11use_defaultESE_EEEENSA_INSB_IlSD_SE_SE_EEEEZNS1_13binary_searchIS3_S5_NSA_INS8_10device_ptrIfEEEESG_SI_NS1_21upper_bound_search_opENS9_16wrapped_functionINS8_6system6detail7generic6detail18binary_search_lessEbEEEE10hipError_tPvRmT1_T2_T3_mmT4_T5_P12ihipStream_tbEUlRKfE_EESV_SZ_S10_mS11_S14_bEUlT_E_NS1_11comp_targetILNS1_3genE10ELNS1_11target_archE1200ELNS1_3gpuE4ELNS1_3repE0EEENS1_30default_config_static_selectorELNS0_4arch9wavefront6targetE1EEEvSY_.kd
    .uniform_work_group_size: 1
    .uses_dynamic_stack: false
    .vgpr_count:     0
    .vgpr_spill_count: 0
    .wavefront_size: 64
  - .args:
      - .offset:         0
        .size:           56
        .value_kind:     by_value
    .group_segment_fixed_size: 0
    .kernarg_segment_align: 8
    .kernarg_segment_size: 56
    .language:       OpenCL C
    .language_version:
      - 2
      - 0
    .max_flat_workgroup_size: 256
    .name:           _ZN7rocprim17ROCPRIM_400000_NS6detail17trampoline_kernelINS0_14default_configENS1_27upper_bound_config_selectorIflEEZNS1_14transform_implILb0ES3_S5_N6thrust23THRUST_200600_302600_NS6detail15normal_iteratorINS8_7pointerIfNS8_11hip_rocprim5par_tENS8_11use_defaultESE_EEEENSA_INSB_IlSD_SE_SE_EEEEZNS1_13binary_searchIS3_S5_NSA_INS8_10device_ptrIfEEEESG_SI_NS1_21upper_bound_search_opENS9_16wrapped_functionINS8_6system6detail7generic6detail18binary_search_lessEbEEEE10hipError_tPvRmT1_T2_T3_mmT4_T5_P12ihipStream_tbEUlRKfE_EESV_SZ_S10_mS11_S14_bEUlT_E_NS1_11comp_targetILNS1_3genE9ELNS1_11target_archE1100ELNS1_3gpuE3ELNS1_3repE0EEENS1_30default_config_static_selectorELNS0_4arch9wavefront6targetE1EEEvSY_
    .private_segment_fixed_size: 0
    .sgpr_count:     4
    .sgpr_spill_count: 0
    .symbol:         _ZN7rocprim17ROCPRIM_400000_NS6detail17trampoline_kernelINS0_14default_configENS1_27upper_bound_config_selectorIflEEZNS1_14transform_implILb0ES3_S5_N6thrust23THRUST_200600_302600_NS6detail15normal_iteratorINS8_7pointerIfNS8_11hip_rocprim5par_tENS8_11use_defaultESE_EEEENSA_INSB_IlSD_SE_SE_EEEEZNS1_13binary_searchIS3_S5_NSA_INS8_10device_ptrIfEEEESG_SI_NS1_21upper_bound_search_opENS9_16wrapped_functionINS8_6system6detail7generic6detail18binary_search_lessEbEEEE10hipError_tPvRmT1_T2_T3_mmT4_T5_P12ihipStream_tbEUlRKfE_EESV_SZ_S10_mS11_S14_bEUlT_E_NS1_11comp_targetILNS1_3genE9ELNS1_11target_archE1100ELNS1_3gpuE3ELNS1_3repE0EEENS1_30default_config_static_selectorELNS0_4arch9wavefront6targetE1EEEvSY_.kd
    .uniform_work_group_size: 1
    .uses_dynamic_stack: false
    .vgpr_count:     0
    .vgpr_spill_count: 0
    .wavefront_size: 64
  - .args:
      - .offset:         0
        .size:           56
        .value_kind:     by_value
    .group_segment_fixed_size: 0
    .kernarg_segment_align: 8
    .kernarg_segment_size: 56
    .language:       OpenCL C
    .language_version:
      - 2
      - 0
    .max_flat_workgroup_size: 256
    .name:           _ZN7rocprim17ROCPRIM_400000_NS6detail17trampoline_kernelINS0_14default_configENS1_27upper_bound_config_selectorIflEEZNS1_14transform_implILb0ES3_S5_N6thrust23THRUST_200600_302600_NS6detail15normal_iteratorINS8_7pointerIfNS8_11hip_rocprim5par_tENS8_11use_defaultESE_EEEENSA_INSB_IlSD_SE_SE_EEEEZNS1_13binary_searchIS3_S5_NSA_INS8_10device_ptrIfEEEESG_SI_NS1_21upper_bound_search_opENS9_16wrapped_functionINS8_6system6detail7generic6detail18binary_search_lessEbEEEE10hipError_tPvRmT1_T2_T3_mmT4_T5_P12ihipStream_tbEUlRKfE_EESV_SZ_S10_mS11_S14_bEUlT_E_NS1_11comp_targetILNS1_3genE8ELNS1_11target_archE1030ELNS1_3gpuE2ELNS1_3repE0EEENS1_30default_config_static_selectorELNS0_4arch9wavefront6targetE1EEEvSY_
    .private_segment_fixed_size: 0
    .sgpr_count:     4
    .sgpr_spill_count: 0
    .symbol:         _ZN7rocprim17ROCPRIM_400000_NS6detail17trampoline_kernelINS0_14default_configENS1_27upper_bound_config_selectorIflEEZNS1_14transform_implILb0ES3_S5_N6thrust23THRUST_200600_302600_NS6detail15normal_iteratorINS8_7pointerIfNS8_11hip_rocprim5par_tENS8_11use_defaultESE_EEEENSA_INSB_IlSD_SE_SE_EEEEZNS1_13binary_searchIS3_S5_NSA_INS8_10device_ptrIfEEEESG_SI_NS1_21upper_bound_search_opENS9_16wrapped_functionINS8_6system6detail7generic6detail18binary_search_lessEbEEEE10hipError_tPvRmT1_T2_T3_mmT4_T5_P12ihipStream_tbEUlRKfE_EESV_SZ_S10_mS11_S14_bEUlT_E_NS1_11comp_targetILNS1_3genE8ELNS1_11target_archE1030ELNS1_3gpuE2ELNS1_3repE0EEENS1_30default_config_static_selectorELNS0_4arch9wavefront6targetE1EEEvSY_.kd
    .uniform_work_group_size: 1
    .uses_dynamic_stack: false
    .vgpr_count:     0
    .vgpr_spill_count: 0
    .wavefront_size: 64
  - .args:
      - .offset:         0
        .size:           56
        .value_kind:     by_value
    .group_segment_fixed_size: 0
    .kernarg_segment_align: 8
    .kernarg_segment_size: 56
    .language:       OpenCL C
    .language_version:
      - 2
      - 0
    .max_flat_workgroup_size: 128
    .name:           _ZN7rocprim17ROCPRIM_400000_NS6detail17trampoline_kernelINS0_14default_configENS1_27upper_bound_config_selectorIylEEZNS1_14transform_implILb0ES3_S5_N6thrust23THRUST_200600_302600_NS6detail15normal_iteratorINS8_7pointerIyNS8_11hip_rocprim5par_tENS8_11use_defaultESE_EEEENSA_INSB_IlSD_SE_SE_EEEEZNS1_13binary_searchIS3_S5_NSA_INS8_10device_ptrIyEEEESG_SI_NS1_21upper_bound_search_opENS9_16wrapped_functionINS8_6system6detail7generic6detail18binary_search_lessEbEEEE10hipError_tPvRmT1_T2_T3_mmT4_T5_P12ihipStream_tbEUlRKyE_EESV_SZ_S10_mS11_S14_bEUlT_E_NS1_11comp_targetILNS1_3genE0ELNS1_11target_archE4294967295ELNS1_3gpuE0ELNS1_3repE0EEENS1_30default_config_static_selectorELNS0_4arch9wavefront6targetE1EEEvSY_
    .private_segment_fixed_size: 0
    .sgpr_count:     4
    .sgpr_spill_count: 0
    .symbol:         _ZN7rocprim17ROCPRIM_400000_NS6detail17trampoline_kernelINS0_14default_configENS1_27upper_bound_config_selectorIylEEZNS1_14transform_implILb0ES3_S5_N6thrust23THRUST_200600_302600_NS6detail15normal_iteratorINS8_7pointerIyNS8_11hip_rocprim5par_tENS8_11use_defaultESE_EEEENSA_INSB_IlSD_SE_SE_EEEEZNS1_13binary_searchIS3_S5_NSA_INS8_10device_ptrIyEEEESG_SI_NS1_21upper_bound_search_opENS9_16wrapped_functionINS8_6system6detail7generic6detail18binary_search_lessEbEEEE10hipError_tPvRmT1_T2_T3_mmT4_T5_P12ihipStream_tbEUlRKyE_EESV_SZ_S10_mS11_S14_bEUlT_E_NS1_11comp_targetILNS1_3genE0ELNS1_11target_archE4294967295ELNS1_3gpuE0ELNS1_3repE0EEENS1_30default_config_static_selectorELNS0_4arch9wavefront6targetE1EEEvSY_.kd
    .uniform_work_group_size: 1
    .uses_dynamic_stack: false
    .vgpr_count:     0
    .vgpr_spill_count: 0
    .wavefront_size: 64
  - .args:
      - .offset:         0
        .size:           56
        .value_kind:     by_value
    .group_segment_fixed_size: 0
    .kernarg_segment_align: 8
    .kernarg_segment_size: 56
    .language:       OpenCL C
    .language_version:
      - 2
      - 0
    .max_flat_workgroup_size: 64
    .name:           _ZN7rocprim17ROCPRIM_400000_NS6detail17trampoline_kernelINS0_14default_configENS1_27upper_bound_config_selectorIylEEZNS1_14transform_implILb0ES3_S5_N6thrust23THRUST_200600_302600_NS6detail15normal_iteratorINS8_7pointerIyNS8_11hip_rocprim5par_tENS8_11use_defaultESE_EEEENSA_INSB_IlSD_SE_SE_EEEEZNS1_13binary_searchIS3_S5_NSA_INS8_10device_ptrIyEEEESG_SI_NS1_21upper_bound_search_opENS9_16wrapped_functionINS8_6system6detail7generic6detail18binary_search_lessEbEEEE10hipError_tPvRmT1_T2_T3_mmT4_T5_P12ihipStream_tbEUlRKyE_EESV_SZ_S10_mS11_S14_bEUlT_E_NS1_11comp_targetILNS1_3genE5ELNS1_11target_archE942ELNS1_3gpuE9ELNS1_3repE0EEENS1_30default_config_static_selectorELNS0_4arch9wavefront6targetE1EEEvSY_
    .private_segment_fixed_size: 0
    .sgpr_count:     4
    .sgpr_spill_count: 0
    .symbol:         _ZN7rocprim17ROCPRIM_400000_NS6detail17trampoline_kernelINS0_14default_configENS1_27upper_bound_config_selectorIylEEZNS1_14transform_implILb0ES3_S5_N6thrust23THRUST_200600_302600_NS6detail15normal_iteratorINS8_7pointerIyNS8_11hip_rocprim5par_tENS8_11use_defaultESE_EEEENSA_INSB_IlSD_SE_SE_EEEEZNS1_13binary_searchIS3_S5_NSA_INS8_10device_ptrIyEEEESG_SI_NS1_21upper_bound_search_opENS9_16wrapped_functionINS8_6system6detail7generic6detail18binary_search_lessEbEEEE10hipError_tPvRmT1_T2_T3_mmT4_T5_P12ihipStream_tbEUlRKyE_EESV_SZ_S10_mS11_S14_bEUlT_E_NS1_11comp_targetILNS1_3genE5ELNS1_11target_archE942ELNS1_3gpuE9ELNS1_3repE0EEENS1_30default_config_static_selectorELNS0_4arch9wavefront6targetE1EEEvSY_.kd
    .uniform_work_group_size: 1
    .uses_dynamic_stack: false
    .vgpr_count:     0
    .vgpr_spill_count: 0
    .wavefront_size: 64
  - .args:
      - .offset:         0
        .size:           56
        .value_kind:     by_value
    .group_segment_fixed_size: 0
    .kernarg_segment_align: 8
    .kernarg_segment_size: 56
    .language:       OpenCL C
    .language_version:
      - 2
      - 0
    .max_flat_workgroup_size: 64
    .name:           _ZN7rocprim17ROCPRIM_400000_NS6detail17trampoline_kernelINS0_14default_configENS1_27upper_bound_config_selectorIylEEZNS1_14transform_implILb0ES3_S5_N6thrust23THRUST_200600_302600_NS6detail15normal_iteratorINS8_7pointerIyNS8_11hip_rocprim5par_tENS8_11use_defaultESE_EEEENSA_INSB_IlSD_SE_SE_EEEEZNS1_13binary_searchIS3_S5_NSA_INS8_10device_ptrIyEEEESG_SI_NS1_21upper_bound_search_opENS9_16wrapped_functionINS8_6system6detail7generic6detail18binary_search_lessEbEEEE10hipError_tPvRmT1_T2_T3_mmT4_T5_P12ihipStream_tbEUlRKyE_EESV_SZ_S10_mS11_S14_bEUlT_E_NS1_11comp_targetILNS1_3genE4ELNS1_11target_archE910ELNS1_3gpuE8ELNS1_3repE0EEENS1_30default_config_static_selectorELNS0_4arch9wavefront6targetE1EEEvSY_
    .private_segment_fixed_size: 0
    .sgpr_count:     4
    .sgpr_spill_count: 0
    .symbol:         _ZN7rocprim17ROCPRIM_400000_NS6detail17trampoline_kernelINS0_14default_configENS1_27upper_bound_config_selectorIylEEZNS1_14transform_implILb0ES3_S5_N6thrust23THRUST_200600_302600_NS6detail15normal_iteratorINS8_7pointerIyNS8_11hip_rocprim5par_tENS8_11use_defaultESE_EEEENSA_INSB_IlSD_SE_SE_EEEEZNS1_13binary_searchIS3_S5_NSA_INS8_10device_ptrIyEEEESG_SI_NS1_21upper_bound_search_opENS9_16wrapped_functionINS8_6system6detail7generic6detail18binary_search_lessEbEEEE10hipError_tPvRmT1_T2_T3_mmT4_T5_P12ihipStream_tbEUlRKyE_EESV_SZ_S10_mS11_S14_bEUlT_E_NS1_11comp_targetILNS1_3genE4ELNS1_11target_archE910ELNS1_3gpuE8ELNS1_3repE0EEENS1_30default_config_static_selectorELNS0_4arch9wavefront6targetE1EEEvSY_.kd
    .uniform_work_group_size: 1
    .uses_dynamic_stack: false
    .vgpr_count:     0
    .vgpr_spill_count: 0
    .wavefront_size: 64
  - .args:
      - .offset:         0
        .size:           56
        .value_kind:     by_value
    .group_segment_fixed_size: 0
    .kernarg_segment_align: 8
    .kernarg_segment_size: 56
    .language:       OpenCL C
    .language_version:
      - 2
      - 0
    .max_flat_workgroup_size: 128
    .name:           _ZN7rocprim17ROCPRIM_400000_NS6detail17trampoline_kernelINS0_14default_configENS1_27upper_bound_config_selectorIylEEZNS1_14transform_implILb0ES3_S5_N6thrust23THRUST_200600_302600_NS6detail15normal_iteratorINS8_7pointerIyNS8_11hip_rocprim5par_tENS8_11use_defaultESE_EEEENSA_INSB_IlSD_SE_SE_EEEEZNS1_13binary_searchIS3_S5_NSA_INS8_10device_ptrIyEEEESG_SI_NS1_21upper_bound_search_opENS9_16wrapped_functionINS8_6system6detail7generic6detail18binary_search_lessEbEEEE10hipError_tPvRmT1_T2_T3_mmT4_T5_P12ihipStream_tbEUlRKyE_EESV_SZ_S10_mS11_S14_bEUlT_E_NS1_11comp_targetILNS1_3genE3ELNS1_11target_archE908ELNS1_3gpuE7ELNS1_3repE0EEENS1_30default_config_static_selectorELNS0_4arch9wavefront6targetE1EEEvSY_
    .private_segment_fixed_size: 0
    .sgpr_count:     4
    .sgpr_spill_count: 0
    .symbol:         _ZN7rocprim17ROCPRIM_400000_NS6detail17trampoline_kernelINS0_14default_configENS1_27upper_bound_config_selectorIylEEZNS1_14transform_implILb0ES3_S5_N6thrust23THRUST_200600_302600_NS6detail15normal_iteratorINS8_7pointerIyNS8_11hip_rocprim5par_tENS8_11use_defaultESE_EEEENSA_INSB_IlSD_SE_SE_EEEEZNS1_13binary_searchIS3_S5_NSA_INS8_10device_ptrIyEEEESG_SI_NS1_21upper_bound_search_opENS9_16wrapped_functionINS8_6system6detail7generic6detail18binary_search_lessEbEEEE10hipError_tPvRmT1_T2_T3_mmT4_T5_P12ihipStream_tbEUlRKyE_EESV_SZ_S10_mS11_S14_bEUlT_E_NS1_11comp_targetILNS1_3genE3ELNS1_11target_archE908ELNS1_3gpuE7ELNS1_3repE0EEENS1_30default_config_static_selectorELNS0_4arch9wavefront6targetE1EEEvSY_.kd
    .uniform_work_group_size: 1
    .uses_dynamic_stack: false
    .vgpr_count:     0
    .vgpr_spill_count: 0
    .wavefront_size: 64
  - .args:
      - .offset:         0
        .size:           56
        .value_kind:     by_value
      - .offset:         56
        .size:           4
        .value_kind:     hidden_block_count_x
      - .offset:         60
        .size:           4
        .value_kind:     hidden_block_count_y
      - .offset:         64
        .size:           4
        .value_kind:     hidden_block_count_z
      - .offset:         68
        .size:           2
        .value_kind:     hidden_group_size_x
      - .offset:         70
        .size:           2
        .value_kind:     hidden_group_size_y
      - .offset:         72
        .size:           2
        .value_kind:     hidden_group_size_z
      - .offset:         74
        .size:           2
        .value_kind:     hidden_remainder_x
      - .offset:         76
        .size:           2
        .value_kind:     hidden_remainder_y
      - .offset:         78
        .size:           2
        .value_kind:     hidden_remainder_z
      - .offset:         96
        .size:           8
        .value_kind:     hidden_global_offset_x
      - .offset:         104
        .size:           8
        .value_kind:     hidden_global_offset_y
      - .offset:         112
        .size:           8
        .value_kind:     hidden_global_offset_z
      - .offset:         120
        .size:           2
        .value_kind:     hidden_grid_dims
    .group_segment_fixed_size: 0
    .kernarg_segment_align: 8
    .kernarg_segment_size: 312
    .language:       OpenCL C
    .language_version:
      - 2
      - 0
    .max_flat_workgroup_size: 256
    .name:           _ZN7rocprim17ROCPRIM_400000_NS6detail17trampoline_kernelINS0_14default_configENS1_27upper_bound_config_selectorIylEEZNS1_14transform_implILb0ES3_S5_N6thrust23THRUST_200600_302600_NS6detail15normal_iteratorINS8_7pointerIyNS8_11hip_rocprim5par_tENS8_11use_defaultESE_EEEENSA_INSB_IlSD_SE_SE_EEEEZNS1_13binary_searchIS3_S5_NSA_INS8_10device_ptrIyEEEESG_SI_NS1_21upper_bound_search_opENS9_16wrapped_functionINS8_6system6detail7generic6detail18binary_search_lessEbEEEE10hipError_tPvRmT1_T2_T3_mmT4_T5_P12ihipStream_tbEUlRKyE_EESV_SZ_S10_mS11_S14_bEUlT_E_NS1_11comp_targetILNS1_3genE2ELNS1_11target_archE906ELNS1_3gpuE6ELNS1_3repE0EEENS1_30default_config_static_selectorELNS0_4arch9wavefront6targetE1EEEvSY_
    .private_segment_fixed_size: 0
    .sgpr_count:     22
    .sgpr_spill_count: 0
    .symbol:         _ZN7rocprim17ROCPRIM_400000_NS6detail17trampoline_kernelINS0_14default_configENS1_27upper_bound_config_selectorIylEEZNS1_14transform_implILb0ES3_S5_N6thrust23THRUST_200600_302600_NS6detail15normal_iteratorINS8_7pointerIyNS8_11hip_rocprim5par_tENS8_11use_defaultESE_EEEENSA_INSB_IlSD_SE_SE_EEEEZNS1_13binary_searchIS3_S5_NSA_INS8_10device_ptrIyEEEESG_SI_NS1_21upper_bound_search_opENS9_16wrapped_functionINS8_6system6detail7generic6detail18binary_search_lessEbEEEE10hipError_tPvRmT1_T2_T3_mmT4_T5_P12ihipStream_tbEUlRKyE_EESV_SZ_S10_mS11_S14_bEUlT_E_NS1_11comp_targetILNS1_3genE2ELNS1_11target_archE906ELNS1_3gpuE6ELNS1_3repE0EEENS1_30default_config_static_selectorELNS0_4arch9wavefront6targetE1EEEvSY_.kd
    .uniform_work_group_size: 1
    .uses_dynamic_stack: false
    .vgpr_count:     14
    .vgpr_spill_count: 0
    .wavefront_size: 64
  - .args:
      - .offset:         0
        .size:           56
        .value_kind:     by_value
    .group_segment_fixed_size: 0
    .kernarg_segment_align: 8
    .kernarg_segment_size: 56
    .language:       OpenCL C
    .language_version:
      - 2
      - 0
    .max_flat_workgroup_size: 128
    .name:           _ZN7rocprim17ROCPRIM_400000_NS6detail17trampoline_kernelINS0_14default_configENS1_27upper_bound_config_selectorIylEEZNS1_14transform_implILb0ES3_S5_N6thrust23THRUST_200600_302600_NS6detail15normal_iteratorINS8_7pointerIyNS8_11hip_rocprim5par_tENS8_11use_defaultESE_EEEENSA_INSB_IlSD_SE_SE_EEEEZNS1_13binary_searchIS3_S5_NSA_INS8_10device_ptrIyEEEESG_SI_NS1_21upper_bound_search_opENS9_16wrapped_functionINS8_6system6detail7generic6detail18binary_search_lessEbEEEE10hipError_tPvRmT1_T2_T3_mmT4_T5_P12ihipStream_tbEUlRKyE_EESV_SZ_S10_mS11_S14_bEUlT_E_NS1_11comp_targetILNS1_3genE10ELNS1_11target_archE1201ELNS1_3gpuE5ELNS1_3repE0EEENS1_30default_config_static_selectorELNS0_4arch9wavefront6targetE1EEEvSY_
    .private_segment_fixed_size: 0
    .sgpr_count:     4
    .sgpr_spill_count: 0
    .symbol:         _ZN7rocprim17ROCPRIM_400000_NS6detail17trampoline_kernelINS0_14default_configENS1_27upper_bound_config_selectorIylEEZNS1_14transform_implILb0ES3_S5_N6thrust23THRUST_200600_302600_NS6detail15normal_iteratorINS8_7pointerIyNS8_11hip_rocprim5par_tENS8_11use_defaultESE_EEEENSA_INSB_IlSD_SE_SE_EEEEZNS1_13binary_searchIS3_S5_NSA_INS8_10device_ptrIyEEEESG_SI_NS1_21upper_bound_search_opENS9_16wrapped_functionINS8_6system6detail7generic6detail18binary_search_lessEbEEEE10hipError_tPvRmT1_T2_T3_mmT4_T5_P12ihipStream_tbEUlRKyE_EESV_SZ_S10_mS11_S14_bEUlT_E_NS1_11comp_targetILNS1_3genE10ELNS1_11target_archE1201ELNS1_3gpuE5ELNS1_3repE0EEENS1_30default_config_static_selectorELNS0_4arch9wavefront6targetE1EEEvSY_.kd
    .uniform_work_group_size: 1
    .uses_dynamic_stack: false
    .vgpr_count:     0
    .vgpr_spill_count: 0
    .wavefront_size: 64
  - .args:
      - .offset:         0
        .size:           56
        .value_kind:     by_value
    .group_segment_fixed_size: 0
    .kernarg_segment_align: 8
    .kernarg_segment_size: 56
    .language:       OpenCL C
    .language_version:
      - 2
      - 0
    .max_flat_workgroup_size: 128
    .name:           _ZN7rocprim17ROCPRIM_400000_NS6detail17trampoline_kernelINS0_14default_configENS1_27upper_bound_config_selectorIylEEZNS1_14transform_implILb0ES3_S5_N6thrust23THRUST_200600_302600_NS6detail15normal_iteratorINS8_7pointerIyNS8_11hip_rocprim5par_tENS8_11use_defaultESE_EEEENSA_INSB_IlSD_SE_SE_EEEEZNS1_13binary_searchIS3_S5_NSA_INS8_10device_ptrIyEEEESG_SI_NS1_21upper_bound_search_opENS9_16wrapped_functionINS8_6system6detail7generic6detail18binary_search_lessEbEEEE10hipError_tPvRmT1_T2_T3_mmT4_T5_P12ihipStream_tbEUlRKyE_EESV_SZ_S10_mS11_S14_bEUlT_E_NS1_11comp_targetILNS1_3genE10ELNS1_11target_archE1200ELNS1_3gpuE4ELNS1_3repE0EEENS1_30default_config_static_selectorELNS0_4arch9wavefront6targetE1EEEvSY_
    .private_segment_fixed_size: 0
    .sgpr_count:     4
    .sgpr_spill_count: 0
    .symbol:         _ZN7rocprim17ROCPRIM_400000_NS6detail17trampoline_kernelINS0_14default_configENS1_27upper_bound_config_selectorIylEEZNS1_14transform_implILb0ES3_S5_N6thrust23THRUST_200600_302600_NS6detail15normal_iteratorINS8_7pointerIyNS8_11hip_rocprim5par_tENS8_11use_defaultESE_EEEENSA_INSB_IlSD_SE_SE_EEEEZNS1_13binary_searchIS3_S5_NSA_INS8_10device_ptrIyEEEESG_SI_NS1_21upper_bound_search_opENS9_16wrapped_functionINS8_6system6detail7generic6detail18binary_search_lessEbEEEE10hipError_tPvRmT1_T2_T3_mmT4_T5_P12ihipStream_tbEUlRKyE_EESV_SZ_S10_mS11_S14_bEUlT_E_NS1_11comp_targetILNS1_3genE10ELNS1_11target_archE1200ELNS1_3gpuE4ELNS1_3repE0EEENS1_30default_config_static_selectorELNS0_4arch9wavefront6targetE1EEEvSY_.kd
    .uniform_work_group_size: 1
    .uses_dynamic_stack: false
    .vgpr_count:     0
    .vgpr_spill_count: 0
    .wavefront_size: 64
  - .args:
      - .offset:         0
        .size:           56
        .value_kind:     by_value
    .group_segment_fixed_size: 0
    .kernarg_segment_align: 8
    .kernarg_segment_size: 56
    .language:       OpenCL C
    .language_version:
      - 2
      - 0
    .max_flat_workgroup_size: 256
    .name:           _ZN7rocprim17ROCPRIM_400000_NS6detail17trampoline_kernelINS0_14default_configENS1_27upper_bound_config_selectorIylEEZNS1_14transform_implILb0ES3_S5_N6thrust23THRUST_200600_302600_NS6detail15normal_iteratorINS8_7pointerIyNS8_11hip_rocprim5par_tENS8_11use_defaultESE_EEEENSA_INSB_IlSD_SE_SE_EEEEZNS1_13binary_searchIS3_S5_NSA_INS8_10device_ptrIyEEEESG_SI_NS1_21upper_bound_search_opENS9_16wrapped_functionINS8_6system6detail7generic6detail18binary_search_lessEbEEEE10hipError_tPvRmT1_T2_T3_mmT4_T5_P12ihipStream_tbEUlRKyE_EESV_SZ_S10_mS11_S14_bEUlT_E_NS1_11comp_targetILNS1_3genE9ELNS1_11target_archE1100ELNS1_3gpuE3ELNS1_3repE0EEENS1_30default_config_static_selectorELNS0_4arch9wavefront6targetE1EEEvSY_
    .private_segment_fixed_size: 0
    .sgpr_count:     4
    .sgpr_spill_count: 0
    .symbol:         _ZN7rocprim17ROCPRIM_400000_NS6detail17trampoline_kernelINS0_14default_configENS1_27upper_bound_config_selectorIylEEZNS1_14transform_implILb0ES3_S5_N6thrust23THRUST_200600_302600_NS6detail15normal_iteratorINS8_7pointerIyNS8_11hip_rocprim5par_tENS8_11use_defaultESE_EEEENSA_INSB_IlSD_SE_SE_EEEEZNS1_13binary_searchIS3_S5_NSA_INS8_10device_ptrIyEEEESG_SI_NS1_21upper_bound_search_opENS9_16wrapped_functionINS8_6system6detail7generic6detail18binary_search_lessEbEEEE10hipError_tPvRmT1_T2_T3_mmT4_T5_P12ihipStream_tbEUlRKyE_EESV_SZ_S10_mS11_S14_bEUlT_E_NS1_11comp_targetILNS1_3genE9ELNS1_11target_archE1100ELNS1_3gpuE3ELNS1_3repE0EEENS1_30default_config_static_selectorELNS0_4arch9wavefront6targetE1EEEvSY_.kd
    .uniform_work_group_size: 1
    .uses_dynamic_stack: false
    .vgpr_count:     0
    .vgpr_spill_count: 0
    .wavefront_size: 64
  - .args:
      - .offset:         0
        .size:           56
        .value_kind:     by_value
    .group_segment_fixed_size: 0
    .kernarg_segment_align: 8
    .kernarg_segment_size: 56
    .language:       OpenCL C
    .language_version:
      - 2
      - 0
    .max_flat_workgroup_size: 256
    .name:           _ZN7rocprim17ROCPRIM_400000_NS6detail17trampoline_kernelINS0_14default_configENS1_27upper_bound_config_selectorIylEEZNS1_14transform_implILb0ES3_S5_N6thrust23THRUST_200600_302600_NS6detail15normal_iteratorINS8_7pointerIyNS8_11hip_rocprim5par_tENS8_11use_defaultESE_EEEENSA_INSB_IlSD_SE_SE_EEEEZNS1_13binary_searchIS3_S5_NSA_INS8_10device_ptrIyEEEESG_SI_NS1_21upper_bound_search_opENS9_16wrapped_functionINS8_6system6detail7generic6detail18binary_search_lessEbEEEE10hipError_tPvRmT1_T2_T3_mmT4_T5_P12ihipStream_tbEUlRKyE_EESV_SZ_S10_mS11_S14_bEUlT_E_NS1_11comp_targetILNS1_3genE8ELNS1_11target_archE1030ELNS1_3gpuE2ELNS1_3repE0EEENS1_30default_config_static_selectorELNS0_4arch9wavefront6targetE1EEEvSY_
    .private_segment_fixed_size: 0
    .sgpr_count:     4
    .sgpr_spill_count: 0
    .symbol:         _ZN7rocprim17ROCPRIM_400000_NS6detail17trampoline_kernelINS0_14default_configENS1_27upper_bound_config_selectorIylEEZNS1_14transform_implILb0ES3_S5_N6thrust23THRUST_200600_302600_NS6detail15normal_iteratorINS8_7pointerIyNS8_11hip_rocprim5par_tENS8_11use_defaultESE_EEEENSA_INSB_IlSD_SE_SE_EEEEZNS1_13binary_searchIS3_S5_NSA_INS8_10device_ptrIyEEEESG_SI_NS1_21upper_bound_search_opENS9_16wrapped_functionINS8_6system6detail7generic6detail18binary_search_lessEbEEEE10hipError_tPvRmT1_T2_T3_mmT4_T5_P12ihipStream_tbEUlRKyE_EESV_SZ_S10_mS11_S14_bEUlT_E_NS1_11comp_targetILNS1_3genE8ELNS1_11target_archE1030ELNS1_3gpuE2ELNS1_3repE0EEENS1_30default_config_static_selectorELNS0_4arch9wavefront6targetE1EEEvSY_.kd
    .uniform_work_group_size: 1
    .uses_dynamic_stack: false
    .vgpr_count:     0
    .vgpr_spill_count: 0
    .wavefront_size: 64
  - .args:
      - .offset:         0
        .size:           56
        .value_kind:     by_value
    .group_segment_fixed_size: 0
    .kernarg_segment_align: 8
    .kernarg_segment_size: 56
    .language:       OpenCL C
    .language_version:
      - 2
      - 0
    .max_flat_workgroup_size: 256
    .name:           _ZN7rocprim17ROCPRIM_400000_NS6detail17trampoline_kernelINS0_14default_configENS1_27upper_bound_config_selectorIjlEEZNS1_14transform_implILb0ES3_S5_N6thrust23THRUST_200600_302600_NS6detail15normal_iteratorINS8_7pointerIjNS8_11hip_rocprim5par_tENS8_11use_defaultESE_EEEENSA_INSB_IlSD_SE_SE_EEEEZNS1_13binary_searchIS3_S5_NSA_INS8_10device_ptrIjEEEESG_SI_NS1_21upper_bound_search_opENS9_16wrapped_functionINS8_6system6detail7generic6detail18binary_search_lessEbEEEE10hipError_tPvRmT1_T2_T3_mmT4_T5_P12ihipStream_tbEUlRKjE_EESV_SZ_S10_mS11_S14_bEUlT_E_NS1_11comp_targetILNS1_3genE0ELNS1_11target_archE4294967295ELNS1_3gpuE0ELNS1_3repE0EEENS1_30default_config_static_selectorELNS0_4arch9wavefront6targetE1EEEvSY_
    .private_segment_fixed_size: 0
    .sgpr_count:     4
    .sgpr_spill_count: 0
    .symbol:         _ZN7rocprim17ROCPRIM_400000_NS6detail17trampoline_kernelINS0_14default_configENS1_27upper_bound_config_selectorIjlEEZNS1_14transform_implILb0ES3_S5_N6thrust23THRUST_200600_302600_NS6detail15normal_iteratorINS8_7pointerIjNS8_11hip_rocprim5par_tENS8_11use_defaultESE_EEEENSA_INSB_IlSD_SE_SE_EEEEZNS1_13binary_searchIS3_S5_NSA_INS8_10device_ptrIjEEEESG_SI_NS1_21upper_bound_search_opENS9_16wrapped_functionINS8_6system6detail7generic6detail18binary_search_lessEbEEEE10hipError_tPvRmT1_T2_T3_mmT4_T5_P12ihipStream_tbEUlRKjE_EESV_SZ_S10_mS11_S14_bEUlT_E_NS1_11comp_targetILNS1_3genE0ELNS1_11target_archE4294967295ELNS1_3gpuE0ELNS1_3repE0EEENS1_30default_config_static_selectorELNS0_4arch9wavefront6targetE1EEEvSY_.kd
    .uniform_work_group_size: 1
    .uses_dynamic_stack: false
    .vgpr_count:     0
    .vgpr_spill_count: 0
    .wavefront_size: 64
  - .args:
      - .offset:         0
        .size:           56
        .value_kind:     by_value
    .group_segment_fixed_size: 0
    .kernarg_segment_align: 8
    .kernarg_segment_size: 56
    .language:       OpenCL C
    .language_version:
      - 2
      - 0
    .max_flat_workgroup_size: 256
    .name:           _ZN7rocprim17ROCPRIM_400000_NS6detail17trampoline_kernelINS0_14default_configENS1_27upper_bound_config_selectorIjlEEZNS1_14transform_implILb0ES3_S5_N6thrust23THRUST_200600_302600_NS6detail15normal_iteratorINS8_7pointerIjNS8_11hip_rocprim5par_tENS8_11use_defaultESE_EEEENSA_INSB_IlSD_SE_SE_EEEEZNS1_13binary_searchIS3_S5_NSA_INS8_10device_ptrIjEEEESG_SI_NS1_21upper_bound_search_opENS9_16wrapped_functionINS8_6system6detail7generic6detail18binary_search_lessEbEEEE10hipError_tPvRmT1_T2_T3_mmT4_T5_P12ihipStream_tbEUlRKjE_EESV_SZ_S10_mS11_S14_bEUlT_E_NS1_11comp_targetILNS1_3genE5ELNS1_11target_archE942ELNS1_3gpuE9ELNS1_3repE0EEENS1_30default_config_static_selectorELNS0_4arch9wavefront6targetE1EEEvSY_
    .private_segment_fixed_size: 0
    .sgpr_count:     4
    .sgpr_spill_count: 0
    .symbol:         _ZN7rocprim17ROCPRIM_400000_NS6detail17trampoline_kernelINS0_14default_configENS1_27upper_bound_config_selectorIjlEEZNS1_14transform_implILb0ES3_S5_N6thrust23THRUST_200600_302600_NS6detail15normal_iteratorINS8_7pointerIjNS8_11hip_rocprim5par_tENS8_11use_defaultESE_EEEENSA_INSB_IlSD_SE_SE_EEEEZNS1_13binary_searchIS3_S5_NSA_INS8_10device_ptrIjEEEESG_SI_NS1_21upper_bound_search_opENS9_16wrapped_functionINS8_6system6detail7generic6detail18binary_search_lessEbEEEE10hipError_tPvRmT1_T2_T3_mmT4_T5_P12ihipStream_tbEUlRKjE_EESV_SZ_S10_mS11_S14_bEUlT_E_NS1_11comp_targetILNS1_3genE5ELNS1_11target_archE942ELNS1_3gpuE9ELNS1_3repE0EEENS1_30default_config_static_selectorELNS0_4arch9wavefront6targetE1EEEvSY_.kd
    .uniform_work_group_size: 1
    .uses_dynamic_stack: false
    .vgpr_count:     0
    .vgpr_spill_count: 0
    .wavefront_size: 64
  - .args:
      - .offset:         0
        .size:           56
        .value_kind:     by_value
    .group_segment_fixed_size: 0
    .kernarg_segment_align: 8
    .kernarg_segment_size: 56
    .language:       OpenCL C
    .language_version:
      - 2
      - 0
    .max_flat_workgroup_size: 256
    .name:           _ZN7rocprim17ROCPRIM_400000_NS6detail17trampoline_kernelINS0_14default_configENS1_27upper_bound_config_selectorIjlEEZNS1_14transform_implILb0ES3_S5_N6thrust23THRUST_200600_302600_NS6detail15normal_iteratorINS8_7pointerIjNS8_11hip_rocprim5par_tENS8_11use_defaultESE_EEEENSA_INSB_IlSD_SE_SE_EEEEZNS1_13binary_searchIS3_S5_NSA_INS8_10device_ptrIjEEEESG_SI_NS1_21upper_bound_search_opENS9_16wrapped_functionINS8_6system6detail7generic6detail18binary_search_lessEbEEEE10hipError_tPvRmT1_T2_T3_mmT4_T5_P12ihipStream_tbEUlRKjE_EESV_SZ_S10_mS11_S14_bEUlT_E_NS1_11comp_targetILNS1_3genE4ELNS1_11target_archE910ELNS1_3gpuE8ELNS1_3repE0EEENS1_30default_config_static_selectorELNS0_4arch9wavefront6targetE1EEEvSY_
    .private_segment_fixed_size: 0
    .sgpr_count:     4
    .sgpr_spill_count: 0
    .symbol:         _ZN7rocprim17ROCPRIM_400000_NS6detail17trampoline_kernelINS0_14default_configENS1_27upper_bound_config_selectorIjlEEZNS1_14transform_implILb0ES3_S5_N6thrust23THRUST_200600_302600_NS6detail15normal_iteratorINS8_7pointerIjNS8_11hip_rocprim5par_tENS8_11use_defaultESE_EEEENSA_INSB_IlSD_SE_SE_EEEEZNS1_13binary_searchIS3_S5_NSA_INS8_10device_ptrIjEEEESG_SI_NS1_21upper_bound_search_opENS9_16wrapped_functionINS8_6system6detail7generic6detail18binary_search_lessEbEEEE10hipError_tPvRmT1_T2_T3_mmT4_T5_P12ihipStream_tbEUlRKjE_EESV_SZ_S10_mS11_S14_bEUlT_E_NS1_11comp_targetILNS1_3genE4ELNS1_11target_archE910ELNS1_3gpuE8ELNS1_3repE0EEENS1_30default_config_static_selectorELNS0_4arch9wavefront6targetE1EEEvSY_.kd
    .uniform_work_group_size: 1
    .uses_dynamic_stack: false
    .vgpr_count:     0
    .vgpr_spill_count: 0
    .wavefront_size: 64
  - .args:
      - .offset:         0
        .size:           56
        .value_kind:     by_value
    .group_segment_fixed_size: 0
    .kernarg_segment_align: 8
    .kernarg_segment_size: 56
    .language:       OpenCL C
    .language_version:
      - 2
      - 0
    .max_flat_workgroup_size: 256
    .name:           _ZN7rocprim17ROCPRIM_400000_NS6detail17trampoline_kernelINS0_14default_configENS1_27upper_bound_config_selectorIjlEEZNS1_14transform_implILb0ES3_S5_N6thrust23THRUST_200600_302600_NS6detail15normal_iteratorINS8_7pointerIjNS8_11hip_rocprim5par_tENS8_11use_defaultESE_EEEENSA_INSB_IlSD_SE_SE_EEEEZNS1_13binary_searchIS3_S5_NSA_INS8_10device_ptrIjEEEESG_SI_NS1_21upper_bound_search_opENS9_16wrapped_functionINS8_6system6detail7generic6detail18binary_search_lessEbEEEE10hipError_tPvRmT1_T2_T3_mmT4_T5_P12ihipStream_tbEUlRKjE_EESV_SZ_S10_mS11_S14_bEUlT_E_NS1_11comp_targetILNS1_3genE3ELNS1_11target_archE908ELNS1_3gpuE7ELNS1_3repE0EEENS1_30default_config_static_selectorELNS0_4arch9wavefront6targetE1EEEvSY_
    .private_segment_fixed_size: 0
    .sgpr_count:     4
    .sgpr_spill_count: 0
    .symbol:         _ZN7rocprim17ROCPRIM_400000_NS6detail17trampoline_kernelINS0_14default_configENS1_27upper_bound_config_selectorIjlEEZNS1_14transform_implILb0ES3_S5_N6thrust23THRUST_200600_302600_NS6detail15normal_iteratorINS8_7pointerIjNS8_11hip_rocprim5par_tENS8_11use_defaultESE_EEEENSA_INSB_IlSD_SE_SE_EEEEZNS1_13binary_searchIS3_S5_NSA_INS8_10device_ptrIjEEEESG_SI_NS1_21upper_bound_search_opENS9_16wrapped_functionINS8_6system6detail7generic6detail18binary_search_lessEbEEEE10hipError_tPvRmT1_T2_T3_mmT4_T5_P12ihipStream_tbEUlRKjE_EESV_SZ_S10_mS11_S14_bEUlT_E_NS1_11comp_targetILNS1_3genE3ELNS1_11target_archE908ELNS1_3gpuE7ELNS1_3repE0EEENS1_30default_config_static_selectorELNS0_4arch9wavefront6targetE1EEEvSY_.kd
    .uniform_work_group_size: 1
    .uses_dynamic_stack: false
    .vgpr_count:     0
    .vgpr_spill_count: 0
    .wavefront_size: 64
  - .args:
      - .offset:         0
        .size:           56
        .value_kind:     by_value
      - .offset:         56
        .size:           4
        .value_kind:     hidden_block_count_x
      - .offset:         60
        .size:           4
        .value_kind:     hidden_block_count_y
      - .offset:         64
        .size:           4
        .value_kind:     hidden_block_count_z
      - .offset:         68
        .size:           2
        .value_kind:     hidden_group_size_x
      - .offset:         70
        .size:           2
        .value_kind:     hidden_group_size_y
      - .offset:         72
        .size:           2
        .value_kind:     hidden_group_size_z
      - .offset:         74
        .size:           2
        .value_kind:     hidden_remainder_x
      - .offset:         76
        .size:           2
        .value_kind:     hidden_remainder_y
      - .offset:         78
        .size:           2
        .value_kind:     hidden_remainder_z
      - .offset:         96
        .size:           8
        .value_kind:     hidden_global_offset_x
      - .offset:         104
        .size:           8
        .value_kind:     hidden_global_offset_y
      - .offset:         112
        .size:           8
        .value_kind:     hidden_global_offset_z
      - .offset:         120
        .size:           2
        .value_kind:     hidden_grid_dims
    .group_segment_fixed_size: 0
    .kernarg_segment_align: 8
    .kernarg_segment_size: 312
    .language:       OpenCL C
    .language_version:
      - 2
      - 0
    .max_flat_workgroup_size: 256
    .name:           _ZN7rocprim17ROCPRIM_400000_NS6detail17trampoline_kernelINS0_14default_configENS1_27upper_bound_config_selectorIjlEEZNS1_14transform_implILb0ES3_S5_N6thrust23THRUST_200600_302600_NS6detail15normal_iteratorINS8_7pointerIjNS8_11hip_rocprim5par_tENS8_11use_defaultESE_EEEENSA_INSB_IlSD_SE_SE_EEEEZNS1_13binary_searchIS3_S5_NSA_INS8_10device_ptrIjEEEESG_SI_NS1_21upper_bound_search_opENS9_16wrapped_functionINS8_6system6detail7generic6detail18binary_search_lessEbEEEE10hipError_tPvRmT1_T2_T3_mmT4_T5_P12ihipStream_tbEUlRKjE_EESV_SZ_S10_mS11_S14_bEUlT_E_NS1_11comp_targetILNS1_3genE2ELNS1_11target_archE906ELNS1_3gpuE6ELNS1_3repE0EEENS1_30default_config_static_selectorELNS0_4arch9wavefront6targetE1EEEvSY_
    .private_segment_fixed_size: 0
    .sgpr_count:     24
    .sgpr_spill_count: 0
    .symbol:         _ZN7rocprim17ROCPRIM_400000_NS6detail17trampoline_kernelINS0_14default_configENS1_27upper_bound_config_selectorIjlEEZNS1_14transform_implILb0ES3_S5_N6thrust23THRUST_200600_302600_NS6detail15normal_iteratorINS8_7pointerIjNS8_11hip_rocprim5par_tENS8_11use_defaultESE_EEEENSA_INSB_IlSD_SE_SE_EEEEZNS1_13binary_searchIS3_S5_NSA_INS8_10device_ptrIjEEEESG_SI_NS1_21upper_bound_search_opENS9_16wrapped_functionINS8_6system6detail7generic6detail18binary_search_lessEbEEEE10hipError_tPvRmT1_T2_T3_mmT4_T5_P12ihipStream_tbEUlRKjE_EESV_SZ_S10_mS11_S14_bEUlT_E_NS1_11comp_targetILNS1_3genE2ELNS1_11target_archE906ELNS1_3gpuE6ELNS1_3repE0EEENS1_30default_config_static_selectorELNS0_4arch9wavefront6targetE1EEEvSY_.kd
    .uniform_work_group_size: 1
    .uses_dynamic_stack: false
    .vgpr_count:     12
    .vgpr_spill_count: 0
    .wavefront_size: 64
  - .args:
      - .offset:         0
        .size:           56
        .value_kind:     by_value
    .group_segment_fixed_size: 0
    .kernarg_segment_align: 8
    .kernarg_segment_size: 56
    .language:       OpenCL C
    .language_version:
      - 2
      - 0
    .max_flat_workgroup_size: 128
    .name:           _ZN7rocprim17ROCPRIM_400000_NS6detail17trampoline_kernelINS0_14default_configENS1_27upper_bound_config_selectorIjlEEZNS1_14transform_implILb0ES3_S5_N6thrust23THRUST_200600_302600_NS6detail15normal_iteratorINS8_7pointerIjNS8_11hip_rocprim5par_tENS8_11use_defaultESE_EEEENSA_INSB_IlSD_SE_SE_EEEEZNS1_13binary_searchIS3_S5_NSA_INS8_10device_ptrIjEEEESG_SI_NS1_21upper_bound_search_opENS9_16wrapped_functionINS8_6system6detail7generic6detail18binary_search_lessEbEEEE10hipError_tPvRmT1_T2_T3_mmT4_T5_P12ihipStream_tbEUlRKjE_EESV_SZ_S10_mS11_S14_bEUlT_E_NS1_11comp_targetILNS1_3genE10ELNS1_11target_archE1201ELNS1_3gpuE5ELNS1_3repE0EEENS1_30default_config_static_selectorELNS0_4arch9wavefront6targetE1EEEvSY_
    .private_segment_fixed_size: 0
    .sgpr_count:     4
    .sgpr_spill_count: 0
    .symbol:         _ZN7rocprim17ROCPRIM_400000_NS6detail17trampoline_kernelINS0_14default_configENS1_27upper_bound_config_selectorIjlEEZNS1_14transform_implILb0ES3_S5_N6thrust23THRUST_200600_302600_NS6detail15normal_iteratorINS8_7pointerIjNS8_11hip_rocprim5par_tENS8_11use_defaultESE_EEEENSA_INSB_IlSD_SE_SE_EEEEZNS1_13binary_searchIS3_S5_NSA_INS8_10device_ptrIjEEEESG_SI_NS1_21upper_bound_search_opENS9_16wrapped_functionINS8_6system6detail7generic6detail18binary_search_lessEbEEEE10hipError_tPvRmT1_T2_T3_mmT4_T5_P12ihipStream_tbEUlRKjE_EESV_SZ_S10_mS11_S14_bEUlT_E_NS1_11comp_targetILNS1_3genE10ELNS1_11target_archE1201ELNS1_3gpuE5ELNS1_3repE0EEENS1_30default_config_static_selectorELNS0_4arch9wavefront6targetE1EEEvSY_.kd
    .uniform_work_group_size: 1
    .uses_dynamic_stack: false
    .vgpr_count:     0
    .vgpr_spill_count: 0
    .wavefront_size: 64
  - .args:
      - .offset:         0
        .size:           56
        .value_kind:     by_value
    .group_segment_fixed_size: 0
    .kernarg_segment_align: 8
    .kernarg_segment_size: 56
    .language:       OpenCL C
    .language_version:
      - 2
      - 0
    .max_flat_workgroup_size: 128
    .name:           _ZN7rocprim17ROCPRIM_400000_NS6detail17trampoline_kernelINS0_14default_configENS1_27upper_bound_config_selectorIjlEEZNS1_14transform_implILb0ES3_S5_N6thrust23THRUST_200600_302600_NS6detail15normal_iteratorINS8_7pointerIjNS8_11hip_rocprim5par_tENS8_11use_defaultESE_EEEENSA_INSB_IlSD_SE_SE_EEEEZNS1_13binary_searchIS3_S5_NSA_INS8_10device_ptrIjEEEESG_SI_NS1_21upper_bound_search_opENS9_16wrapped_functionINS8_6system6detail7generic6detail18binary_search_lessEbEEEE10hipError_tPvRmT1_T2_T3_mmT4_T5_P12ihipStream_tbEUlRKjE_EESV_SZ_S10_mS11_S14_bEUlT_E_NS1_11comp_targetILNS1_3genE10ELNS1_11target_archE1200ELNS1_3gpuE4ELNS1_3repE0EEENS1_30default_config_static_selectorELNS0_4arch9wavefront6targetE1EEEvSY_
    .private_segment_fixed_size: 0
    .sgpr_count:     4
    .sgpr_spill_count: 0
    .symbol:         _ZN7rocprim17ROCPRIM_400000_NS6detail17trampoline_kernelINS0_14default_configENS1_27upper_bound_config_selectorIjlEEZNS1_14transform_implILb0ES3_S5_N6thrust23THRUST_200600_302600_NS6detail15normal_iteratorINS8_7pointerIjNS8_11hip_rocprim5par_tENS8_11use_defaultESE_EEEENSA_INSB_IlSD_SE_SE_EEEEZNS1_13binary_searchIS3_S5_NSA_INS8_10device_ptrIjEEEESG_SI_NS1_21upper_bound_search_opENS9_16wrapped_functionINS8_6system6detail7generic6detail18binary_search_lessEbEEEE10hipError_tPvRmT1_T2_T3_mmT4_T5_P12ihipStream_tbEUlRKjE_EESV_SZ_S10_mS11_S14_bEUlT_E_NS1_11comp_targetILNS1_3genE10ELNS1_11target_archE1200ELNS1_3gpuE4ELNS1_3repE0EEENS1_30default_config_static_selectorELNS0_4arch9wavefront6targetE1EEEvSY_.kd
    .uniform_work_group_size: 1
    .uses_dynamic_stack: false
    .vgpr_count:     0
    .vgpr_spill_count: 0
    .wavefront_size: 64
  - .args:
      - .offset:         0
        .size:           56
        .value_kind:     by_value
    .group_segment_fixed_size: 0
    .kernarg_segment_align: 8
    .kernarg_segment_size: 56
    .language:       OpenCL C
    .language_version:
      - 2
      - 0
    .max_flat_workgroup_size: 256
    .name:           _ZN7rocprim17ROCPRIM_400000_NS6detail17trampoline_kernelINS0_14default_configENS1_27upper_bound_config_selectorIjlEEZNS1_14transform_implILb0ES3_S5_N6thrust23THRUST_200600_302600_NS6detail15normal_iteratorINS8_7pointerIjNS8_11hip_rocprim5par_tENS8_11use_defaultESE_EEEENSA_INSB_IlSD_SE_SE_EEEEZNS1_13binary_searchIS3_S5_NSA_INS8_10device_ptrIjEEEESG_SI_NS1_21upper_bound_search_opENS9_16wrapped_functionINS8_6system6detail7generic6detail18binary_search_lessEbEEEE10hipError_tPvRmT1_T2_T3_mmT4_T5_P12ihipStream_tbEUlRKjE_EESV_SZ_S10_mS11_S14_bEUlT_E_NS1_11comp_targetILNS1_3genE9ELNS1_11target_archE1100ELNS1_3gpuE3ELNS1_3repE0EEENS1_30default_config_static_selectorELNS0_4arch9wavefront6targetE1EEEvSY_
    .private_segment_fixed_size: 0
    .sgpr_count:     4
    .sgpr_spill_count: 0
    .symbol:         _ZN7rocprim17ROCPRIM_400000_NS6detail17trampoline_kernelINS0_14default_configENS1_27upper_bound_config_selectorIjlEEZNS1_14transform_implILb0ES3_S5_N6thrust23THRUST_200600_302600_NS6detail15normal_iteratorINS8_7pointerIjNS8_11hip_rocprim5par_tENS8_11use_defaultESE_EEEENSA_INSB_IlSD_SE_SE_EEEEZNS1_13binary_searchIS3_S5_NSA_INS8_10device_ptrIjEEEESG_SI_NS1_21upper_bound_search_opENS9_16wrapped_functionINS8_6system6detail7generic6detail18binary_search_lessEbEEEE10hipError_tPvRmT1_T2_T3_mmT4_T5_P12ihipStream_tbEUlRKjE_EESV_SZ_S10_mS11_S14_bEUlT_E_NS1_11comp_targetILNS1_3genE9ELNS1_11target_archE1100ELNS1_3gpuE3ELNS1_3repE0EEENS1_30default_config_static_selectorELNS0_4arch9wavefront6targetE1EEEvSY_.kd
    .uniform_work_group_size: 1
    .uses_dynamic_stack: false
    .vgpr_count:     0
    .vgpr_spill_count: 0
    .wavefront_size: 64
  - .args:
      - .offset:         0
        .size:           56
        .value_kind:     by_value
    .group_segment_fixed_size: 0
    .kernarg_segment_align: 8
    .kernarg_segment_size: 56
    .language:       OpenCL C
    .language_version:
      - 2
      - 0
    .max_flat_workgroup_size: 256
    .name:           _ZN7rocprim17ROCPRIM_400000_NS6detail17trampoline_kernelINS0_14default_configENS1_27upper_bound_config_selectorIjlEEZNS1_14transform_implILb0ES3_S5_N6thrust23THRUST_200600_302600_NS6detail15normal_iteratorINS8_7pointerIjNS8_11hip_rocprim5par_tENS8_11use_defaultESE_EEEENSA_INSB_IlSD_SE_SE_EEEEZNS1_13binary_searchIS3_S5_NSA_INS8_10device_ptrIjEEEESG_SI_NS1_21upper_bound_search_opENS9_16wrapped_functionINS8_6system6detail7generic6detail18binary_search_lessEbEEEE10hipError_tPvRmT1_T2_T3_mmT4_T5_P12ihipStream_tbEUlRKjE_EESV_SZ_S10_mS11_S14_bEUlT_E_NS1_11comp_targetILNS1_3genE8ELNS1_11target_archE1030ELNS1_3gpuE2ELNS1_3repE0EEENS1_30default_config_static_selectorELNS0_4arch9wavefront6targetE1EEEvSY_
    .private_segment_fixed_size: 0
    .sgpr_count:     4
    .sgpr_spill_count: 0
    .symbol:         _ZN7rocprim17ROCPRIM_400000_NS6detail17trampoline_kernelINS0_14default_configENS1_27upper_bound_config_selectorIjlEEZNS1_14transform_implILb0ES3_S5_N6thrust23THRUST_200600_302600_NS6detail15normal_iteratorINS8_7pointerIjNS8_11hip_rocprim5par_tENS8_11use_defaultESE_EEEENSA_INSB_IlSD_SE_SE_EEEEZNS1_13binary_searchIS3_S5_NSA_INS8_10device_ptrIjEEEESG_SI_NS1_21upper_bound_search_opENS9_16wrapped_functionINS8_6system6detail7generic6detail18binary_search_lessEbEEEE10hipError_tPvRmT1_T2_T3_mmT4_T5_P12ihipStream_tbEUlRKjE_EESV_SZ_S10_mS11_S14_bEUlT_E_NS1_11comp_targetILNS1_3genE8ELNS1_11target_archE1030ELNS1_3gpuE2ELNS1_3repE0EEENS1_30default_config_static_selectorELNS0_4arch9wavefront6targetE1EEEvSY_.kd
    .uniform_work_group_size: 1
    .uses_dynamic_stack: false
    .vgpr_count:     0
    .vgpr_spill_count: 0
    .wavefront_size: 64
  - .args:
      - .offset:         0
        .size:           56
        .value_kind:     by_value
    .group_segment_fixed_size: 0
    .kernarg_segment_align: 8
    .kernarg_segment_size: 56
    .language:       OpenCL C
    .language_version:
      - 2
      - 0
    .max_flat_workgroup_size: 128
    .name:           _ZN7rocprim17ROCPRIM_400000_NS6detail17trampoline_kernelINS0_14default_configENS1_27upper_bound_config_selectorItlEEZNS1_14transform_implILb0ES3_S5_N6thrust23THRUST_200600_302600_NS6detail15normal_iteratorINS8_7pointerItNS8_11hip_rocprim5par_tENS8_11use_defaultESE_EEEENSA_INSB_IlSD_SE_SE_EEEEZNS1_13binary_searchIS3_S5_NSA_INS8_10device_ptrItEEEESG_SI_NS1_21upper_bound_search_opENS9_16wrapped_functionINS8_6system6detail7generic6detail18binary_search_lessEbEEEE10hipError_tPvRmT1_T2_T3_mmT4_T5_P12ihipStream_tbEUlRKtE_EESV_SZ_S10_mS11_S14_bEUlT_E_NS1_11comp_targetILNS1_3genE0ELNS1_11target_archE4294967295ELNS1_3gpuE0ELNS1_3repE0EEENS1_30default_config_static_selectorELNS0_4arch9wavefront6targetE1EEEvSY_
    .private_segment_fixed_size: 0
    .sgpr_count:     4
    .sgpr_spill_count: 0
    .symbol:         _ZN7rocprim17ROCPRIM_400000_NS6detail17trampoline_kernelINS0_14default_configENS1_27upper_bound_config_selectorItlEEZNS1_14transform_implILb0ES3_S5_N6thrust23THRUST_200600_302600_NS6detail15normal_iteratorINS8_7pointerItNS8_11hip_rocprim5par_tENS8_11use_defaultESE_EEEENSA_INSB_IlSD_SE_SE_EEEEZNS1_13binary_searchIS3_S5_NSA_INS8_10device_ptrItEEEESG_SI_NS1_21upper_bound_search_opENS9_16wrapped_functionINS8_6system6detail7generic6detail18binary_search_lessEbEEEE10hipError_tPvRmT1_T2_T3_mmT4_T5_P12ihipStream_tbEUlRKtE_EESV_SZ_S10_mS11_S14_bEUlT_E_NS1_11comp_targetILNS1_3genE0ELNS1_11target_archE4294967295ELNS1_3gpuE0ELNS1_3repE0EEENS1_30default_config_static_selectorELNS0_4arch9wavefront6targetE1EEEvSY_.kd
    .uniform_work_group_size: 1
    .uses_dynamic_stack: false
    .vgpr_count:     0
    .vgpr_spill_count: 0
    .wavefront_size: 64
  - .args:
      - .offset:         0
        .size:           56
        .value_kind:     by_value
    .group_segment_fixed_size: 0
    .kernarg_segment_align: 8
    .kernarg_segment_size: 56
    .language:       OpenCL C
    .language_version:
      - 2
      - 0
    .max_flat_workgroup_size: 256
    .name:           _ZN7rocprim17ROCPRIM_400000_NS6detail17trampoline_kernelINS0_14default_configENS1_27upper_bound_config_selectorItlEEZNS1_14transform_implILb0ES3_S5_N6thrust23THRUST_200600_302600_NS6detail15normal_iteratorINS8_7pointerItNS8_11hip_rocprim5par_tENS8_11use_defaultESE_EEEENSA_INSB_IlSD_SE_SE_EEEEZNS1_13binary_searchIS3_S5_NSA_INS8_10device_ptrItEEEESG_SI_NS1_21upper_bound_search_opENS9_16wrapped_functionINS8_6system6detail7generic6detail18binary_search_lessEbEEEE10hipError_tPvRmT1_T2_T3_mmT4_T5_P12ihipStream_tbEUlRKtE_EESV_SZ_S10_mS11_S14_bEUlT_E_NS1_11comp_targetILNS1_3genE5ELNS1_11target_archE942ELNS1_3gpuE9ELNS1_3repE0EEENS1_30default_config_static_selectorELNS0_4arch9wavefront6targetE1EEEvSY_
    .private_segment_fixed_size: 0
    .sgpr_count:     4
    .sgpr_spill_count: 0
    .symbol:         _ZN7rocprim17ROCPRIM_400000_NS6detail17trampoline_kernelINS0_14default_configENS1_27upper_bound_config_selectorItlEEZNS1_14transform_implILb0ES3_S5_N6thrust23THRUST_200600_302600_NS6detail15normal_iteratorINS8_7pointerItNS8_11hip_rocprim5par_tENS8_11use_defaultESE_EEEENSA_INSB_IlSD_SE_SE_EEEEZNS1_13binary_searchIS3_S5_NSA_INS8_10device_ptrItEEEESG_SI_NS1_21upper_bound_search_opENS9_16wrapped_functionINS8_6system6detail7generic6detail18binary_search_lessEbEEEE10hipError_tPvRmT1_T2_T3_mmT4_T5_P12ihipStream_tbEUlRKtE_EESV_SZ_S10_mS11_S14_bEUlT_E_NS1_11comp_targetILNS1_3genE5ELNS1_11target_archE942ELNS1_3gpuE9ELNS1_3repE0EEENS1_30default_config_static_selectorELNS0_4arch9wavefront6targetE1EEEvSY_.kd
    .uniform_work_group_size: 1
    .uses_dynamic_stack: false
    .vgpr_count:     0
    .vgpr_spill_count: 0
    .wavefront_size: 64
  - .args:
      - .offset:         0
        .size:           56
        .value_kind:     by_value
    .group_segment_fixed_size: 0
    .kernarg_segment_align: 8
    .kernarg_segment_size: 56
    .language:       OpenCL C
    .language_version:
      - 2
      - 0
    .max_flat_workgroup_size: 256
    .name:           _ZN7rocprim17ROCPRIM_400000_NS6detail17trampoline_kernelINS0_14default_configENS1_27upper_bound_config_selectorItlEEZNS1_14transform_implILb0ES3_S5_N6thrust23THRUST_200600_302600_NS6detail15normal_iteratorINS8_7pointerItNS8_11hip_rocprim5par_tENS8_11use_defaultESE_EEEENSA_INSB_IlSD_SE_SE_EEEEZNS1_13binary_searchIS3_S5_NSA_INS8_10device_ptrItEEEESG_SI_NS1_21upper_bound_search_opENS9_16wrapped_functionINS8_6system6detail7generic6detail18binary_search_lessEbEEEE10hipError_tPvRmT1_T2_T3_mmT4_T5_P12ihipStream_tbEUlRKtE_EESV_SZ_S10_mS11_S14_bEUlT_E_NS1_11comp_targetILNS1_3genE4ELNS1_11target_archE910ELNS1_3gpuE8ELNS1_3repE0EEENS1_30default_config_static_selectorELNS0_4arch9wavefront6targetE1EEEvSY_
    .private_segment_fixed_size: 0
    .sgpr_count:     4
    .sgpr_spill_count: 0
    .symbol:         _ZN7rocprim17ROCPRIM_400000_NS6detail17trampoline_kernelINS0_14default_configENS1_27upper_bound_config_selectorItlEEZNS1_14transform_implILb0ES3_S5_N6thrust23THRUST_200600_302600_NS6detail15normal_iteratorINS8_7pointerItNS8_11hip_rocprim5par_tENS8_11use_defaultESE_EEEENSA_INSB_IlSD_SE_SE_EEEEZNS1_13binary_searchIS3_S5_NSA_INS8_10device_ptrItEEEESG_SI_NS1_21upper_bound_search_opENS9_16wrapped_functionINS8_6system6detail7generic6detail18binary_search_lessEbEEEE10hipError_tPvRmT1_T2_T3_mmT4_T5_P12ihipStream_tbEUlRKtE_EESV_SZ_S10_mS11_S14_bEUlT_E_NS1_11comp_targetILNS1_3genE4ELNS1_11target_archE910ELNS1_3gpuE8ELNS1_3repE0EEENS1_30default_config_static_selectorELNS0_4arch9wavefront6targetE1EEEvSY_.kd
    .uniform_work_group_size: 1
    .uses_dynamic_stack: false
    .vgpr_count:     0
    .vgpr_spill_count: 0
    .wavefront_size: 64
  - .args:
      - .offset:         0
        .size:           56
        .value_kind:     by_value
    .group_segment_fixed_size: 0
    .kernarg_segment_align: 8
    .kernarg_segment_size: 56
    .language:       OpenCL C
    .language_version:
      - 2
      - 0
    .max_flat_workgroup_size: 128
    .name:           _ZN7rocprim17ROCPRIM_400000_NS6detail17trampoline_kernelINS0_14default_configENS1_27upper_bound_config_selectorItlEEZNS1_14transform_implILb0ES3_S5_N6thrust23THRUST_200600_302600_NS6detail15normal_iteratorINS8_7pointerItNS8_11hip_rocprim5par_tENS8_11use_defaultESE_EEEENSA_INSB_IlSD_SE_SE_EEEEZNS1_13binary_searchIS3_S5_NSA_INS8_10device_ptrItEEEESG_SI_NS1_21upper_bound_search_opENS9_16wrapped_functionINS8_6system6detail7generic6detail18binary_search_lessEbEEEE10hipError_tPvRmT1_T2_T3_mmT4_T5_P12ihipStream_tbEUlRKtE_EESV_SZ_S10_mS11_S14_bEUlT_E_NS1_11comp_targetILNS1_3genE3ELNS1_11target_archE908ELNS1_3gpuE7ELNS1_3repE0EEENS1_30default_config_static_selectorELNS0_4arch9wavefront6targetE1EEEvSY_
    .private_segment_fixed_size: 0
    .sgpr_count:     4
    .sgpr_spill_count: 0
    .symbol:         _ZN7rocprim17ROCPRIM_400000_NS6detail17trampoline_kernelINS0_14default_configENS1_27upper_bound_config_selectorItlEEZNS1_14transform_implILb0ES3_S5_N6thrust23THRUST_200600_302600_NS6detail15normal_iteratorINS8_7pointerItNS8_11hip_rocprim5par_tENS8_11use_defaultESE_EEEENSA_INSB_IlSD_SE_SE_EEEEZNS1_13binary_searchIS3_S5_NSA_INS8_10device_ptrItEEEESG_SI_NS1_21upper_bound_search_opENS9_16wrapped_functionINS8_6system6detail7generic6detail18binary_search_lessEbEEEE10hipError_tPvRmT1_T2_T3_mmT4_T5_P12ihipStream_tbEUlRKtE_EESV_SZ_S10_mS11_S14_bEUlT_E_NS1_11comp_targetILNS1_3genE3ELNS1_11target_archE908ELNS1_3gpuE7ELNS1_3repE0EEENS1_30default_config_static_selectorELNS0_4arch9wavefront6targetE1EEEvSY_.kd
    .uniform_work_group_size: 1
    .uses_dynamic_stack: false
    .vgpr_count:     0
    .vgpr_spill_count: 0
    .wavefront_size: 64
  - .args:
      - .offset:         0
        .size:           56
        .value_kind:     by_value
      - .offset:         56
        .size:           4
        .value_kind:     hidden_block_count_x
      - .offset:         60
        .size:           4
        .value_kind:     hidden_block_count_y
      - .offset:         64
        .size:           4
        .value_kind:     hidden_block_count_z
      - .offset:         68
        .size:           2
        .value_kind:     hidden_group_size_x
      - .offset:         70
        .size:           2
        .value_kind:     hidden_group_size_y
      - .offset:         72
        .size:           2
        .value_kind:     hidden_group_size_z
      - .offset:         74
        .size:           2
        .value_kind:     hidden_remainder_x
      - .offset:         76
        .size:           2
        .value_kind:     hidden_remainder_y
      - .offset:         78
        .size:           2
        .value_kind:     hidden_remainder_z
      - .offset:         96
        .size:           8
        .value_kind:     hidden_global_offset_x
      - .offset:         104
        .size:           8
        .value_kind:     hidden_global_offset_y
      - .offset:         112
        .size:           8
        .value_kind:     hidden_global_offset_z
      - .offset:         120
        .size:           2
        .value_kind:     hidden_grid_dims
    .group_segment_fixed_size: 0
    .kernarg_segment_align: 8
    .kernarg_segment_size: 312
    .language:       OpenCL C
    .language_version:
      - 2
      - 0
    .max_flat_workgroup_size: 256
    .name:           _ZN7rocprim17ROCPRIM_400000_NS6detail17trampoline_kernelINS0_14default_configENS1_27upper_bound_config_selectorItlEEZNS1_14transform_implILb0ES3_S5_N6thrust23THRUST_200600_302600_NS6detail15normal_iteratorINS8_7pointerItNS8_11hip_rocprim5par_tENS8_11use_defaultESE_EEEENSA_INSB_IlSD_SE_SE_EEEEZNS1_13binary_searchIS3_S5_NSA_INS8_10device_ptrItEEEESG_SI_NS1_21upper_bound_search_opENS9_16wrapped_functionINS8_6system6detail7generic6detail18binary_search_lessEbEEEE10hipError_tPvRmT1_T2_T3_mmT4_T5_P12ihipStream_tbEUlRKtE_EESV_SZ_S10_mS11_S14_bEUlT_E_NS1_11comp_targetILNS1_3genE2ELNS1_11target_archE906ELNS1_3gpuE6ELNS1_3repE0EEENS1_30default_config_static_selectorELNS0_4arch9wavefront6targetE1EEEvSY_
    .private_segment_fixed_size: 0
    .sgpr_count:     26
    .sgpr_spill_count: 0
    .symbol:         _ZN7rocprim17ROCPRIM_400000_NS6detail17trampoline_kernelINS0_14default_configENS1_27upper_bound_config_selectorItlEEZNS1_14transform_implILb0ES3_S5_N6thrust23THRUST_200600_302600_NS6detail15normal_iteratorINS8_7pointerItNS8_11hip_rocprim5par_tENS8_11use_defaultESE_EEEENSA_INSB_IlSD_SE_SE_EEEEZNS1_13binary_searchIS3_S5_NSA_INS8_10device_ptrItEEEESG_SI_NS1_21upper_bound_search_opENS9_16wrapped_functionINS8_6system6detail7generic6detail18binary_search_lessEbEEEE10hipError_tPvRmT1_T2_T3_mmT4_T5_P12ihipStream_tbEUlRKtE_EESV_SZ_S10_mS11_S14_bEUlT_E_NS1_11comp_targetILNS1_3genE2ELNS1_11target_archE906ELNS1_3gpuE6ELNS1_3repE0EEENS1_30default_config_static_selectorELNS0_4arch9wavefront6targetE1EEEvSY_.kd
    .uniform_work_group_size: 1
    .uses_dynamic_stack: false
    .vgpr_count:     18
    .vgpr_spill_count: 0
    .wavefront_size: 64
  - .args:
      - .offset:         0
        .size:           56
        .value_kind:     by_value
    .group_segment_fixed_size: 0
    .kernarg_segment_align: 8
    .kernarg_segment_size: 56
    .language:       OpenCL C
    .language_version:
      - 2
      - 0
    .max_flat_workgroup_size: 256
    .name:           _ZN7rocprim17ROCPRIM_400000_NS6detail17trampoline_kernelINS0_14default_configENS1_27upper_bound_config_selectorItlEEZNS1_14transform_implILb0ES3_S5_N6thrust23THRUST_200600_302600_NS6detail15normal_iteratorINS8_7pointerItNS8_11hip_rocprim5par_tENS8_11use_defaultESE_EEEENSA_INSB_IlSD_SE_SE_EEEEZNS1_13binary_searchIS3_S5_NSA_INS8_10device_ptrItEEEESG_SI_NS1_21upper_bound_search_opENS9_16wrapped_functionINS8_6system6detail7generic6detail18binary_search_lessEbEEEE10hipError_tPvRmT1_T2_T3_mmT4_T5_P12ihipStream_tbEUlRKtE_EESV_SZ_S10_mS11_S14_bEUlT_E_NS1_11comp_targetILNS1_3genE10ELNS1_11target_archE1201ELNS1_3gpuE5ELNS1_3repE0EEENS1_30default_config_static_selectorELNS0_4arch9wavefront6targetE1EEEvSY_
    .private_segment_fixed_size: 0
    .sgpr_count:     4
    .sgpr_spill_count: 0
    .symbol:         _ZN7rocprim17ROCPRIM_400000_NS6detail17trampoline_kernelINS0_14default_configENS1_27upper_bound_config_selectorItlEEZNS1_14transform_implILb0ES3_S5_N6thrust23THRUST_200600_302600_NS6detail15normal_iteratorINS8_7pointerItNS8_11hip_rocprim5par_tENS8_11use_defaultESE_EEEENSA_INSB_IlSD_SE_SE_EEEEZNS1_13binary_searchIS3_S5_NSA_INS8_10device_ptrItEEEESG_SI_NS1_21upper_bound_search_opENS9_16wrapped_functionINS8_6system6detail7generic6detail18binary_search_lessEbEEEE10hipError_tPvRmT1_T2_T3_mmT4_T5_P12ihipStream_tbEUlRKtE_EESV_SZ_S10_mS11_S14_bEUlT_E_NS1_11comp_targetILNS1_3genE10ELNS1_11target_archE1201ELNS1_3gpuE5ELNS1_3repE0EEENS1_30default_config_static_selectorELNS0_4arch9wavefront6targetE1EEEvSY_.kd
    .uniform_work_group_size: 1
    .uses_dynamic_stack: false
    .vgpr_count:     0
    .vgpr_spill_count: 0
    .wavefront_size: 64
  - .args:
      - .offset:         0
        .size:           56
        .value_kind:     by_value
    .group_segment_fixed_size: 0
    .kernarg_segment_align: 8
    .kernarg_segment_size: 56
    .language:       OpenCL C
    .language_version:
      - 2
      - 0
    .max_flat_workgroup_size: 256
    .name:           _ZN7rocprim17ROCPRIM_400000_NS6detail17trampoline_kernelINS0_14default_configENS1_27upper_bound_config_selectorItlEEZNS1_14transform_implILb0ES3_S5_N6thrust23THRUST_200600_302600_NS6detail15normal_iteratorINS8_7pointerItNS8_11hip_rocprim5par_tENS8_11use_defaultESE_EEEENSA_INSB_IlSD_SE_SE_EEEEZNS1_13binary_searchIS3_S5_NSA_INS8_10device_ptrItEEEESG_SI_NS1_21upper_bound_search_opENS9_16wrapped_functionINS8_6system6detail7generic6detail18binary_search_lessEbEEEE10hipError_tPvRmT1_T2_T3_mmT4_T5_P12ihipStream_tbEUlRKtE_EESV_SZ_S10_mS11_S14_bEUlT_E_NS1_11comp_targetILNS1_3genE10ELNS1_11target_archE1200ELNS1_3gpuE4ELNS1_3repE0EEENS1_30default_config_static_selectorELNS0_4arch9wavefront6targetE1EEEvSY_
    .private_segment_fixed_size: 0
    .sgpr_count:     4
    .sgpr_spill_count: 0
    .symbol:         _ZN7rocprim17ROCPRIM_400000_NS6detail17trampoline_kernelINS0_14default_configENS1_27upper_bound_config_selectorItlEEZNS1_14transform_implILb0ES3_S5_N6thrust23THRUST_200600_302600_NS6detail15normal_iteratorINS8_7pointerItNS8_11hip_rocprim5par_tENS8_11use_defaultESE_EEEENSA_INSB_IlSD_SE_SE_EEEEZNS1_13binary_searchIS3_S5_NSA_INS8_10device_ptrItEEEESG_SI_NS1_21upper_bound_search_opENS9_16wrapped_functionINS8_6system6detail7generic6detail18binary_search_lessEbEEEE10hipError_tPvRmT1_T2_T3_mmT4_T5_P12ihipStream_tbEUlRKtE_EESV_SZ_S10_mS11_S14_bEUlT_E_NS1_11comp_targetILNS1_3genE10ELNS1_11target_archE1200ELNS1_3gpuE4ELNS1_3repE0EEENS1_30default_config_static_selectorELNS0_4arch9wavefront6targetE1EEEvSY_.kd
    .uniform_work_group_size: 1
    .uses_dynamic_stack: false
    .vgpr_count:     0
    .vgpr_spill_count: 0
    .wavefront_size: 64
  - .args:
      - .offset:         0
        .size:           56
        .value_kind:     by_value
    .group_segment_fixed_size: 0
    .kernarg_segment_align: 8
    .kernarg_segment_size: 56
    .language:       OpenCL C
    .language_version:
      - 2
      - 0
    .max_flat_workgroup_size: 64
    .name:           _ZN7rocprim17ROCPRIM_400000_NS6detail17trampoline_kernelINS0_14default_configENS1_27upper_bound_config_selectorItlEEZNS1_14transform_implILb0ES3_S5_N6thrust23THRUST_200600_302600_NS6detail15normal_iteratorINS8_7pointerItNS8_11hip_rocprim5par_tENS8_11use_defaultESE_EEEENSA_INSB_IlSD_SE_SE_EEEEZNS1_13binary_searchIS3_S5_NSA_INS8_10device_ptrItEEEESG_SI_NS1_21upper_bound_search_opENS9_16wrapped_functionINS8_6system6detail7generic6detail18binary_search_lessEbEEEE10hipError_tPvRmT1_T2_T3_mmT4_T5_P12ihipStream_tbEUlRKtE_EESV_SZ_S10_mS11_S14_bEUlT_E_NS1_11comp_targetILNS1_3genE9ELNS1_11target_archE1100ELNS1_3gpuE3ELNS1_3repE0EEENS1_30default_config_static_selectorELNS0_4arch9wavefront6targetE1EEEvSY_
    .private_segment_fixed_size: 0
    .sgpr_count:     4
    .sgpr_spill_count: 0
    .symbol:         _ZN7rocprim17ROCPRIM_400000_NS6detail17trampoline_kernelINS0_14default_configENS1_27upper_bound_config_selectorItlEEZNS1_14transform_implILb0ES3_S5_N6thrust23THRUST_200600_302600_NS6detail15normal_iteratorINS8_7pointerItNS8_11hip_rocprim5par_tENS8_11use_defaultESE_EEEENSA_INSB_IlSD_SE_SE_EEEEZNS1_13binary_searchIS3_S5_NSA_INS8_10device_ptrItEEEESG_SI_NS1_21upper_bound_search_opENS9_16wrapped_functionINS8_6system6detail7generic6detail18binary_search_lessEbEEEE10hipError_tPvRmT1_T2_T3_mmT4_T5_P12ihipStream_tbEUlRKtE_EESV_SZ_S10_mS11_S14_bEUlT_E_NS1_11comp_targetILNS1_3genE9ELNS1_11target_archE1100ELNS1_3gpuE3ELNS1_3repE0EEENS1_30default_config_static_selectorELNS0_4arch9wavefront6targetE1EEEvSY_.kd
    .uniform_work_group_size: 1
    .uses_dynamic_stack: false
    .vgpr_count:     0
    .vgpr_spill_count: 0
    .wavefront_size: 64
  - .args:
      - .offset:         0
        .size:           56
        .value_kind:     by_value
    .group_segment_fixed_size: 0
    .kernarg_segment_align: 8
    .kernarg_segment_size: 56
    .language:       OpenCL C
    .language_version:
      - 2
      - 0
    .max_flat_workgroup_size: 128
    .name:           _ZN7rocprim17ROCPRIM_400000_NS6detail17trampoline_kernelINS0_14default_configENS1_27upper_bound_config_selectorItlEEZNS1_14transform_implILb0ES3_S5_N6thrust23THRUST_200600_302600_NS6detail15normal_iteratorINS8_7pointerItNS8_11hip_rocprim5par_tENS8_11use_defaultESE_EEEENSA_INSB_IlSD_SE_SE_EEEEZNS1_13binary_searchIS3_S5_NSA_INS8_10device_ptrItEEEESG_SI_NS1_21upper_bound_search_opENS9_16wrapped_functionINS8_6system6detail7generic6detail18binary_search_lessEbEEEE10hipError_tPvRmT1_T2_T3_mmT4_T5_P12ihipStream_tbEUlRKtE_EESV_SZ_S10_mS11_S14_bEUlT_E_NS1_11comp_targetILNS1_3genE8ELNS1_11target_archE1030ELNS1_3gpuE2ELNS1_3repE0EEENS1_30default_config_static_selectorELNS0_4arch9wavefront6targetE1EEEvSY_
    .private_segment_fixed_size: 0
    .sgpr_count:     4
    .sgpr_spill_count: 0
    .symbol:         _ZN7rocprim17ROCPRIM_400000_NS6detail17trampoline_kernelINS0_14default_configENS1_27upper_bound_config_selectorItlEEZNS1_14transform_implILb0ES3_S5_N6thrust23THRUST_200600_302600_NS6detail15normal_iteratorINS8_7pointerItNS8_11hip_rocprim5par_tENS8_11use_defaultESE_EEEENSA_INSB_IlSD_SE_SE_EEEEZNS1_13binary_searchIS3_S5_NSA_INS8_10device_ptrItEEEESG_SI_NS1_21upper_bound_search_opENS9_16wrapped_functionINS8_6system6detail7generic6detail18binary_search_lessEbEEEE10hipError_tPvRmT1_T2_T3_mmT4_T5_P12ihipStream_tbEUlRKtE_EESV_SZ_S10_mS11_S14_bEUlT_E_NS1_11comp_targetILNS1_3genE8ELNS1_11target_archE1030ELNS1_3gpuE2ELNS1_3repE0EEENS1_30default_config_static_selectorELNS0_4arch9wavefront6targetE1EEEvSY_.kd
    .uniform_work_group_size: 1
    .uses_dynamic_stack: false
    .vgpr_count:     0
    .vgpr_spill_count: 0
    .wavefront_size: 64
  - .args:
      - .offset:         0
        .size:           56
        .value_kind:     by_value
    .group_segment_fixed_size: 0
    .kernarg_segment_align: 8
    .kernarg_segment_size: 56
    .language:       OpenCL C
    .language_version:
      - 2
      - 0
    .max_flat_workgroup_size: 128
    .name:           _ZN7rocprim17ROCPRIM_400000_NS6detail17trampoline_kernelINS0_14default_configENS1_27upper_bound_config_selectorIxlEEZNS1_14transform_implILb0ES3_S5_N6thrust23THRUST_200600_302600_NS6detail15normal_iteratorINS8_7pointerIxNS8_11hip_rocprim5par_tENS8_11use_defaultESE_EEEENSA_INSB_IlSD_SE_SE_EEEEZNS1_13binary_searchIS3_S5_NSA_INS8_10device_ptrIxEEEESG_SI_NS1_21upper_bound_search_opENS9_16wrapped_functionINS8_6system6detail7generic6detail18binary_search_lessEbEEEE10hipError_tPvRmT1_T2_T3_mmT4_T5_P12ihipStream_tbEUlRKxE_EESV_SZ_S10_mS11_S14_bEUlT_E_NS1_11comp_targetILNS1_3genE0ELNS1_11target_archE4294967295ELNS1_3gpuE0ELNS1_3repE0EEENS1_30default_config_static_selectorELNS0_4arch9wavefront6targetE1EEEvSY_
    .private_segment_fixed_size: 0
    .sgpr_count:     4
    .sgpr_spill_count: 0
    .symbol:         _ZN7rocprim17ROCPRIM_400000_NS6detail17trampoline_kernelINS0_14default_configENS1_27upper_bound_config_selectorIxlEEZNS1_14transform_implILb0ES3_S5_N6thrust23THRUST_200600_302600_NS6detail15normal_iteratorINS8_7pointerIxNS8_11hip_rocprim5par_tENS8_11use_defaultESE_EEEENSA_INSB_IlSD_SE_SE_EEEEZNS1_13binary_searchIS3_S5_NSA_INS8_10device_ptrIxEEEESG_SI_NS1_21upper_bound_search_opENS9_16wrapped_functionINS8_6system6detail7generic6detail18binary_search_lessEbEEEE10hipError_tPvRmT1_T2_T3_mmT4_T5_P12ihipStream_tbEUlRKxE_EESV_SZ_S10_mS11_S14_bEUlT_E_NS1_11comp_targetILNS1_3genE0ELNS1_11target_archE4294967295ELNS1_3gpuE0ELNS1_3repE0EEENS1_30default_config_static_selectorELNS0_4arch9wavefront6targetE1EEEvSY_.kd
    .uniform_work_group_size: 1
    .uses_dynamic_stack: false
    .vgpr_count:     0
    .vgpr_spill_count: 0
    .wavefront_size: 64
  - .args:
      - .offset:         0
        .size:           56
        .value_kind:     by_value
    .group_segment_fixed_size: 0
    .kernarg_segment_align: 8
    .kernarg_segment_size: 56
    .language:       OpenCL C
    .language_version:
      - 2
      - 0
    .max_flat_workgroup_size: 64
    .name:           _ZN7rocprim17ROCPRIM_400000_NS6detail17trampoline_kernelINS0_14default_configENS1_27upper_bound_config_selectorIxlEEZNS1_14transform_implILb0ES3_S5_N6thrust23THRUST_200600_302600_NS6detail15normal_iteratorINS8_7pointerIxNS8_11hip_rocprim5par_tENS8_11use_defaultESE_EEEENSA_INSB_IlSD_SE_SE_EEEEZNS1_13binary_searchIS3_S5_NSA_INS8_10device_ptrIxEEEESG_SI_NS1_21upper_bound_search_opENS9_16wrapped_functionINS8_6system6detail7generic6detail18binary_search_lessEbEEEE10hipError_tPvRmT1_T2_T3_mmT4_T5_P12ihipStream_tbEUlRKxE_EESV_SZ_S10_mS11_S14_bEUlT_E_NS1_11comp_targetILNS1_3genE5ELNS1_11target_archE942ELNS1_3gpuE9ELNS1_3repE0EEENS1_30default_config_static_selectorELNS0_4arch9wavefront6targetE1EEEvSY_
    .private_segment_fixed_size: 0
    .sgpr_count:     4
    .sgpr_spill_count: 0
    .symbol:         _ZN7rocprim17ROCPRIM_400000_NS6detail17trampoline_kernelINS0_14default_configENS1_27upper_bound_config_selectorIxlEEZNS1_14transform_implILb0ES3_S5_N6thrust23THRUST_200600_302600_NS6detail15normal_iteratorINS8_7pointerIxNS8_11hip_rocprim5par_tENS8_11use_defaultESE_EEEENSA_INSB_IlSD_SE_SE_EEEEZNS1_13binary_searchIS3_S5_NSA_INS8_10device_ptrIxEEEESG_SI_NS1_21upper_bound_search_opENS9_16wrapped_functionINS8_6system6detail7generic6detail18binary_search_lessEbEEEE10hipError_tPvRmT1_T2_T3_mmT4_T5_P12ihipStream_tbEUlRKxE_EESV_SZ_S10_mS11_S14_bEUlT_E_NS1_11comp_targetILNS1_3genE5ELNS1_11target_archE942ELNS1_3gpuE9ELNS1_3repE0EEENS1_30default_config_static_selectorELNS0_4arch9wavefront6targetE1EEEvSY_.kd
    .uniform_work_group_size: 1
    .uses_dynamic_stack: false
    .vgpr_count:     0
    .vgpr_spill_count: 0
    .wavefront_size: 64
  - .args:
      - .offset:         0
        .size:           56
        .value_kind:     by_value
    .group_segment_fixed_size: 0
    .kernarg_segment_align: 8
    .kernarg_segment_size: 56
    .language:       OpenCL C
    .language_version:
      - 2
      - 0
    .max_flat_workgroup_size: 64
    .name:           _ZN7rocprim17ROCPRIM_400000_NS6detail17trampoline_kernelINS0_14default_configENS1_27upper_bound_config_selectorIxlEEZNS1_14transform_implILb0ES3_S5_N6thrust23THRUST_200600_302600_NS6detail15normal_iteratorINS8_7pointerIxNS8_11hip_rocprim5par_tENS8_11use_defaultESE_EEEENSA_INSB_IlSD_SE_SE_EEEEZNS1_13binary_searchIS3_S5_NSA_INS8_10device_ptrIxEEEESG_SI_NS1_21upper_bound_search_opENS9_16wrapped_functionINS8_6system6detail7generic6detail18binary_search_lessEbEEEE10hipError_tPvRmT1_T2_T3_mmT4_T5_P12ihipStream_tbEUlRKxE_EESV_SZ_S10_mS11_S14_bEUlT_E_NS1_11comp_targetILNS1_3genE4ELNS1_11target_archE910ELNS1_3gpuE8ELNS1_3repE0EEENS1_30default_config_static_selectorELNS0_4arch9wavefront6targetE1EEEvSY_
    .private_segment_fixed_size: 0
    .sgpr_count:     4
    .sgpr_spill_count: 0
    .symbol:         _ZN7rocprim17ROCPRIM_400000_NS6detail17trampoline_kernelINS0_14default_configENS1_27upper_bound_config_selectorIxlEEZNS1_14transform_implILb0ES3_S5_N6thrust23THRUST_200600_302600_NS6detail15normal_iteratorINS8_7pointerIxNS8_11hip_rocprim5par_tENS8_11use_defaultESE_EEEENSA_INSB_IlSD_SE_SE_EEEEZNS1_13binary_searchIS3_S5_NSA_INS8_10device_ptrIxEEEESG_SI_NS1_21upper_bound_search_opENS9_16wrapped_functionINS8_6system6detail7generic6detail18binary_search_lessEbEEEE10hipError_tPvRmT1_T2_T3_mmT4_T5_P12ihipStream_tbEUlRKxE_EESV_SZ_S10_mS11_S14_bEUlT_E_NS1_11comp_targetILNS1_3genE4ELNS1_11target_archE910ELNS1_3gpuE8ELNS1_3repE0EEENS1_30default_config_static_selectorELNS0_4arch9wavefront6targetE1EEEvSY_.kd
    .uniform_work_group_size: 1
    .uses_dynamic_stack: false
    .vgpr_count:     0
    .vgpr_spill_count: 0
    .wavefront_size: 64
  - .args:
      - .offset:         0
        .size:           56
        .value_kind:     by_value
    .group_segment_fixed_size: 0
    .kernarg_segment_align: 8
    .kernarg_segment_size: 56
    .language:       OpenCL C
    .language_version:
      - 2
      - 0
    .max_flat_workgroup_size: 128
    .name:           _ZN7rocprim17ROCPRIM_400000_NS6detail17trampoline_kernelINS0_14default_configENS1_27upper_bound_config_selectorIxlEEZNS1_14transform_implILb0ES3_S5_N6thrust23THRUST_200600_302600_NS6detail15normal_iteratorINS8_7pointerIxNS8_11hip_rocprim5par_tENS8_11use_defaultESE_EEEENSA_INSB_IlSD_SE_SE_EEEEZNS1_13binary_searchIS3_S5_NSA_INS8_10device_ptrIxEEEESG_SI_NS1_21upper_bound_search_opENS9_16wrapped_functionINS8_6system6detail7generic6detail18binary_search_lessEbEEEE10hipError_tPvRmT1_T2_T3_mmT4_T5_P12ihipStream_tbEUlRKxE_EESV_SZ_S10_mS11_S14_bEUlT_E_NS1_11comp_targetILNS1_3genE3ELNS1_11target_archE908ELNS1_3gpuE7ELNS1_3repE0EEENS1_30default_config_static_selectorELNS0_4arch9wavefront6targetE1EEEvSY_
    .private_segment_fixed_size: 0
    .sgpr_count:     4
    .sgpr_spill_count: 0
    .symbol:         _ZN7rocprim17ROCPRIM_400000_NS6detail17trampoline_kernelINS0_14default_configENS1_27upper_bound_config_selectorIxlEEZNS1_14transform_implILb0ES3_S5_N6thrust23THRUST_200600_302600_NS6detail15normal_iteratorINS8_7pointerIxNS8_11hip_rocprim5par_tENS8_11use_defaultESE_EEEENSA_INSB_IlSD_SE_SE_EEEEZNS1_13binary_searchIS3_S5_NSA_INS8_10device_ptrIxEEEESG_SI_NS1_21upper_bound_search_opENS9_16wrapped_functionINS8_6system6detail7generic6detail18binary_search_lessEbEEEE10hipError_tPvRmT1_T2_T3_mmT4_T5_P12ihipStream_tbEUlRKxE_EESV_SZ_S10_mS11_S14_bEUlT_E_NS1_11comp_targetILNS1_3genE3ELNS1_11target_archE908ELNS1_3gpuE7ELNS1_3repE0EEENS1_30default_config_static_selectorELNS0_4arch9wavefront6targetE1EEEvSY_.kd
    .uniform_work_group_size: 1
    .uses_dynamic_stack: false
    .vgpr_count:     0
    .vgpr_spill_count: 0
    .wavefront_size: 64
  - .args:
      - .offset:         0
        .size:           56
        .value_kind:     by_value
      - .offset:         56
        .size:           4
        .value_kind:     hidden_block_count_x
      - .offset:         60
        .size:           4
        .value_kind:     hidden_block_count_y
      - .offset:         64
        .size:           4
        .value_kind:     hidden_block_count_z
      - .offset:         68
        .size:           2
        .value_kind:     hidden_group_size_x
      - .offset:         70
        .size:           2
        .value_kind:     hidden_group_size_y
      - .offset:         72
        .size:           2
        .value_kind:     hidden_group_size_z
      - .offset:         74
        .size:           2
        .value_kind:     hidden_remainder_x
      - .offset:         76
        .size:           2
        .value_kind:     hidden_remainder_y
      - .offset:         78
        .size:           2
        .value_kind:     hidden_remainder_z
      - .offset:         96
        .size:           8
        .value_kind:     hidden_global_offset_x
      - .offset:         104
        .size:           8
        .value_kind:     hidden_global_offset_y
      - .offset:         112
        .size:           8
        .value_kind:     hidden_global_offset_z
      - .offset:         120
        .size:           2
        .value_kind:     hidden_grid_dims
    .group_segment_fixed_size: 0
    .kernarg_segment_align: 8
    .kernarg_segment_size: 312
    .language:       OpenCL C
    .language_version:
      - 2
      - 0
    .max_flat_workgroup_size: 256
    .name:           _ZN7rocprim17ROCPRIM_400000_NS6detail17trampoline_kernelINS0_14default_configENS1_27upper_bound_config_selectorIxlEEZNS1_14transform_implILb0ES3_S5_N6thrust23THRUST_200600_302600_NS6detail15normal_iteratorINS8_7pointerIxNS8_11hip_rocprim5par_tENS8_11use_defaultESE_EEEENSA_INSB_IlSD_SE_SE_EEEEZNS1_13binary_searchIS3_S5_NSA_INS8_10device_ptrIxEEEESG_SI_NS1_21upper_bound_search_opENS9_16wrapped_functionINS8_6system6detail7generic6detail18binary_search_lessEbEEEE10hipError_tPvRmT1_T2_T3_mmT4_T5_P12ihipStream_tbEUlRKxE_EESV_SZ_S10_mS11_S14_bEUlT_E_NS1_11comp_targetILNS1_3genE2ELNS1_11target_archE906ELNS1_3gpuE6ELNS1_3repE0EEENS1_30default_config_static_selectorELNS0_4arch9wavefront6targetE1EEEvSY_
    .private_segment_fixed_size: 0
    .sgpr_count:     22
    .sgpr_spill_count: 0
    .symbol:         _ZN7rocprim17ROCPRIM_400000_NS6detail17trampoline_kernelINS0_14default_configENS1_27upper_bound_config_selectorIxlEEZNS1_14transform_implILb0ES3_S5_N6thrust23THRUST_200600_302600_NS6detail15normal_iteratorINS8_7pointerIxNS8_11hip_rocprim5par_tENS8_11use_defaultESE_EEEENSA_INSB_IlSD_SE_SE_EEEEZNS1_13binary_searchIS3_S5_NSA_INS8_10device_ptrIxEEEESG_SI_NS1_21upper_bound_search_opENS9_16wrapped_functionINS8_6system6detail7generic6detail18binary_search_lessEbEEEE10hipError_tPvRmT1_T2_T3_mmT4_T5_P12ihipStream_tbEUlRKxE_EESV_SZ_S10_mS11_S14_bEUlT_E_NS1_11comp_targetILNS1_3genE2ELNS1_11target_archE906ELNS1_3gpuE6ELNS1_3repE0EEENS1_30default_config_static_selectorELNS0_4arch9wavefront6targetE1EEEvSY_.kd
    .uniform_work_group_size: 1
    .uses_dynamic_stack: false
    .vgpr_count:     14
    .vgpr_spill_count: 0
    .wavefront_size: 64
  - .args:
      - .offset:         0
        .size:           56
        .value_kind:     by_value
    .group_segment_fixed_size: 0
    .kernarg_segment_align: 8
    .kernarg_segment_size: 56
    .language:       OpenCL C
    .language_version:
      - 2
      - 0
    .max_flat_workgroup_size: 128
    .name:           _ZN7rocprim17ROCPRIM_400000_NS6detail17trampoline_kernelINS0_14default_configENS1_27upper_bound_config_selectorIxlEEZNS1_14transform_implILb0ES3_S5_N6thrust23THRUST_200600_302600_NS6detail15normal_iteratorINS8_7pointerIxNS8_11hip_rocprim5par_tENS8_11use_defaultESE_EEEENSA_INSB_IlSD_SE_SE_EEEEZNS1_13binary_searchIS3_S5_NSA_INS8_10device_ptrIxEEEESG_SI_NS1_21upper_bound_search_opENS9_16wrapped_functionINS8_6system6detail7generic6detail18binary_search_lessEbEEEE10hipError_tPvRmT1_T2_T3_mmT4_T5_P12ihipStream_tbEUlRKxE_EESV_SZ_S10_mS11_S14_bEUlT_E_NS1_11comp_targetILNS1_3genE10ELNS1_11target_archE1201ELNS1_3gpuE5ELNS1_3repE0EEENS1_30default_config_static_selectorELNS0_4arch9wavefront6targetE1EEEvSY_
    .private_segment_fixed_size: 0
    .sgpr_count:     4
    .sgpr_spill_count: 0
    .symbol:         _ZN7rocprim17ROCPRIM_400000_NS6detail17trampoline_kernelINS0_14default_configENS1_27upper_bound_config_selectorIxlEEZNS1_14transform_implILb0ES3_S5_N6thrust23THRUST_200600_302600_NS6detail15normal_iteratorINS8_7pointerIxNS8_11hip_rocprim5par_tENS8_11use_defaultESE_EEEENSA_INSB_IlSD_SE_SE_EEEEZNS1_13binary_searchIS3_S5_NSA_INS8_10device_ptrIxEEEESG_SI_NS1_21upper_bound_search_opENS9_16wrapped_functionINS8_6system6detail7generic6detail18binary_search_lessEbEEEE10hipError_tPvRmT1_T2_T3_mmT4_T5_P12ihipStream_tbEUlRKxE_EESV_SZ_S10_mS11_S14_bEUlT_E_NS1_11comp_targetILNS1_3genE10ELNS1_11target_archE1201ELNS1_3gpuE5ELNS1_3repE0EEENS1_30default_config_static_selectorELNS0_4arch9wavefront6targetE1EEEvSY_.kd
    .uniform_work_group_size: 1
    .uses_dynamic_stack: false
    .vgpr_count:     0
    .vgpr_spill_count: 0
    .wavefront_size: 64
  - .args:
      - .offset:         0
        .size:           56
        .value_kind:     by_value
    .group_segment_fixed_size: 0
    .kernarg_segment_align: 8
    .kernarg_segment_size: 56
    .language:       OpenCL C
    .language_version:
      - 2
      - 0
    .max_flat_workgroup_size: 128
    .name:           _ZN7rocprim17ROCPRIM_400000_NS6detail17trampoline_kernelINS0_14default_configENS1_27upper_bound_config_selectorIxlEEZNS1_14transform_implILb0ES3_S5_N6thrust23THRUST_200600_302600_NS6detail15normal_iteratorINS8_7pointerIxNS8_11hip_rocprim5par_tENS8_11use_defaultESE_EEEENSA_INSB_IlSD_SE_SE_EEEEZNS1_13binary_searchIS3_S5_NSA_INS8_10device_ptrIxEEEESG_SI_NS1_21upper_bound_search_opENS9_16wrapped_functionINS8_6system6detail7generic6detail18binary_search_lessEbEEEE10hipError_tPvRmT1_T2_T3_mmT4_T5_P12ihipStream_tbEUlRKxE_EESV_SZ_S10_mS11_S14_bEUlT_E_NS1_11comp_targetILNS1_3genE10ELNS1_11target_archE1200ELNS1_3gpuE4ELNS1_3repE0EEENS1_30default_config_static_selectorELNS0_4arch9wavefront6targetE1EEEvSY_
    .private_segment_fixed_size: 0
    .sgpr_count:     4
    .sgpr_spill_count: 0
    .symbol:         _ZN7rocprim17ROCPRIM_400000_NS6detail17trampoline_kernelINS0_14default_configENS1_27upper_bound_config_selectorIxlEEZNS1_14transform_implILb0ES3_S5_N6thrust23THRUST_200600_302600_NS6detail15normal_iteratorINS8_7pointerIxNS8_11hip_rocprim5par_tENS8_11use_defaultESE_EEEENSA_INSB_IlSD_SE_SE_EEEEZNS1_13binary_searchIS3_S5_NSA_INS8_10device_ptrIxEEEESG_SI_NS1_21upper_bound_search_opENS9_16wrapped_functionINS8_6system6detail7generic6detail18binary_search_lessEbEEEE10hipError_tPvRmT1_T2_T3_mmT4_T5_P12ihipStream_tbEUlRKxE_EESV_SZ_S10_mS11_S14_bEUlT_E_NS1_11comp_targetILNS1_3genE10ELNS1_11target_archE1200ELNS1_3gpuE4ELNS1_3repE0EEENS1_30default_config_static_selectorELNS0_4arch9wavefront6targetE1EEEvSY_.kd
    .uniform_work_group_size: 1
    .uses_dynamic_stack: false
    .vgpr_count:     0
    .vgpr_spill_count: 0
    .wavefront_size: 64
  - .args:
      - .offset:         0
        .size:           56
        .value_kind:     by_value
    .group_segment_fixed_size: 0
    .kernarg_segment_align: 8
    .kernarg_segment_size: 56
    .language:       OpenCL C
    .language_version:
      - 2
      - 0
    .max_flat_workgroup_size: 256
    .name:           _ZN7rocprim17ROCPRIM_400000_NS6detail17trampoline_kernelINS0_14default_configENS1_27upper_bound_config_selectorIxlEEZNS1_14transform_implILb0ES3_S5_N6thrust23THRUST_200600_302600_NS6detail15normal_iteratorINS8_7pointerIxNS8_11hip_rocprim5par_tENS8_11use_defaultESE_EEEENSA_INSB_IlSD_SE_SE_EEEEZNS1_13binary_searchIS3_S5_NSA_INS8_10device_ptrIxEEEESG_SI_NS1_21upper_bound_search_opENS9_16wrapped_functionINS8_6system6detail7generic6detail18binary_search_lessEbEEEE10hipError_tPvRmT1_T2_T3_mmT4_T5_P12ihipStream_tbEUlRKxE_EESV_SZ_S10_mS11_S14_bEUlT_E_NS1_11comp_targetILNS1_3genE9ELNS1_11target_archE1100ELNS1_3gpuE3ELNS1_3repE0EEENS1_30default_config_static_selectorELNS0_4arch9wavefront6targetE1EEEvSY_
    .private_segment_fixed_size: 0
    .sgpr_count:     4
    .sgpr_spill_count: 0
    .symbol:         _ZN7rocprim17ROCPRIM_400000_NS6detail17trampoline_kernelINS0_14default_configENS1_27upper_bound_config_selectorIxlEEZNS1_14transform_implILb0ES3_S5_N6thrust23THRUST_200600_302600_NS6detail15normal_iteratorINS8_7pointerIxNS8_11hip_rocprim5par_tENS8_11use_defaultESE_EEEENSA_INSB_IlSD_SE_SE_EEEEZNS1_13binary_searchIS3_S5_NSA_INS8_10device_ptrIxEEEESG_SI_NS1_21upper_bound_search_opENS9_16wrapped_functionINS8_6system6detail7generic6detail18binary_search_lessEbEEEE10hipError_tPvRmT1_T2_T3_mmT4_T5_P12ihipStream_tbEUlRKxE_EESV_SZ_S10_mS11_S14_bEUlT_E_NS1_11comp_targetILNS1_3genE9ELNS1_11target_archE1100ELNS1_3gpuE3ELNS1_3repE0EEENS1_30default_config_static_selectorELNS0_4arch9wavefront6targetE1EEEvSY_.kd
    .uniform_work_group_size: 1
    .uses_dynamic_stack: false
    .vgpr_count:     0
    .vgpr_spill_count: 0
    .wavefront_size: 64
  - .args:
      - .offset:         0
        .size:           56
        .value_kind:     by_value
    .group_segment_fixed_size: 0
    .kernarg_segment_align: 8
    .kernarg_segment_size: 56
    .language:       OpenCL C
    .language_version:
      - 2
      - 0
    .max_flat_workgroup_size: 256
    .name:           _ZN7rocprim17ROCPRIM_400000_NS6detail17trampoline_kernelINS0_14default_configENS1_27upper_bound_config_selectorIxlEEZNS1_14transform_implILb0ES3_S5_N6thrust23THRUST_200600_302600_NS6detail15normal_iteratorINS8_7pointerIxNS8_11hip_rocprim5par_tENS8_11use_defaultESE_EEEENSA_INSB_IlSD_SE_SE_EEEEZNS1_13binary_searchIS3_S5_NSA_INS8_10device_ptrIxEEEESG_SI_NS1_21upper_bound_search_opENS9_16wrapped_functionINS8_6system6detail7generic6detail18binary_search_lessEbEEEE10hipError_tPvRmT1_T2_T3_mmT4_T5_P12ihipStream_tbEUlRKxE_EESV_SZ_S10_mS11_S14_bEUlT_E_NS1_11comp_targetILNS1_3genE8ELNS1_11target_archE1030ELNS1_3gpuE2ELNS1_3repE0EEENS1_30default_config_static_selectorELNS0_4arch9wavefront6targetE1EEEvSY_
    .private_segment_fixed_size: 0
    .sgpr_count:     4
    .sgpr_spill_count: 0
    .symbol:         _ZN7rocprim17ROCPRIM_400000_NS6detail17trampoline_kernelINS0_14default_configENS1_27upper_bound_config_selectorIxlEEZNS1_14transform_implILb0ES3_S5_N6thrust23THRUST_200600_302600_NS6detail15normal_iteratorINS8_7pointerIxNS8_11hip_rocprim5par_tENS8_11use_defaultESE_EEEENSA_INSB_IlSD_SE_SE_EEEEZNS1_13binary_searchIS3_S5_NSA_INS8_10device_ptrIxEEEESG_SI_NS1_21upper_bound_search_opENS9_16wrapped_functionINS8_6system6detail7generic6detail18binary_search_lessEbEEEE10hipError_tPvRmT1_T2_T3_mmT4_T5_P12ihipStream_tbEUlRKxE_EESV_SZ_S10_mS11_S14_bEUlT_E_NS1_11comp_targetILNS1_3genE8ELNS1_11target_archE1030ELNS1_3gpuE2ELNS1_3repE0EEENS1_30default_config_static_selectorELNS0_4arch9wavefront6targetE1EEEvSY_.kd
    .uniform_work_group_size: 1
    .uses_dynamic_stack: false
    .vgpr_count:     0
    .vgpr_spill_count: 0
    .wavefront_size: 64
  - .args:
      - .offset:         0
        .size:           56
        .value_kind:     by_value
    .group_segment_fixed_size: 0
    .kernarg_segment_align: 8
    .kernarg_segment_size: 56
    .language:       OpenCL C
    .language_version:
      - 2
      - 0
    .max_flat_workgroup_size: 256
    .name:           _ZN7rocprim17ROCPRIM_400000_NS6detail17trampoline_kernelINS0_14default_configENS1_27upper_bound_config_selectorIilEEZNS1_14transform_implILb0ES3_S5_N6thrust23THRUST_200600_302600_NS6detail15normal_iteratorINS8_7pointerIiNS8_11hip_rocprim12par_nosync_tENS8_11use_defaultESE_EEEENSA_INSB_IlSD_SE_SE_EEEEZNS1_13binary_searchIS3_S5_NSA_INS8_10device_ptrIiEEEESG_SI_NS1_21upper_bound_search_opENS9_16wrapped_functionINS8_6system6detail7generic6detail18binary_search_lessEbEEEE10hipError_tPvRmT1_T2_T3_mmT4_T5_P12ihipStream_tbEUlRKiE_EESV_SZ_S10_mS11_S14_bEUlT_E_NS1_11comp_targetILNS1_3genE0ELNS1_11target_archE4294967295ELNS1_3gpuE0ELNS1_3repE0EEENS1_30default_config_static_selectorELNS0_4arch9wavefront6targetE1EEEvSY_
    .private_segment_fixed_size: 0
    .sgpr_count:     4
    .sgpr_spill_count: 0
    .symbol:         _ZN7rocprim17ROCPRIM_400000_NS6detail17trampoline_kernelINS0_14default_configENS1_27upper_bound_config_selectorIilEEZNS1_14transform_implILb0ES3_S5_N6thrust23THRUST_200600_302600_NS6detail15normal_iteratorINS8_7pointerIiNS8_11hip_rocprim12par_nosync_tENS8_11use_defaultESE_EEEENSA_INSB_IlSD_SE_SE_EEEEZNS1_13binary_searchIS3_S5_NSA_INS8_10device_ptrIiEEEESG_SI_NS1_21upper_bound_search_opENS9_16wrapped_functionINS8_6system6detail7generic6detail18binary_search_lessEbEEEE10hipError_tPvRmT1_T2_T3_mmT4_T5_P12ihipStream_tbEUlRKiE_EESV_SZ_S10_mS11_S14_bEUlT_E_NS1_11comp_targetILNS1_3genE0ELNS1_11target_archE4294967295ELNS1_3gpuE0ELNS1_3repE0EEENS1_30default_config_static_selectorELNS0_4arch9wavefront6targetE1EEEvSY_.kd
    .uniform_work_group_size: 1
    .uses_dynamic_stack: false
    .vgpr_count:     0
    .vgpr_spill_count: 0
    .wavefront_size: 64
  - .args:
      - .offset:         0
        .size:           56
        .value_kind:     by_value
    .group_segment_fixed_size: 0
    .kernarg_segment_align: 8
    .kernarg_segment_size: 56
    .language:       OpenCL C
    .language_version:
      - 2
      - 0
    .max_flat_workgroup_size: 256
    .name:           _ZN7rocprim17ROCPRIM_400000_NS6detail17trampoline_kernelINS0_14default_configENS1_27upper_bound_config_selectorIilEEZNS1_14transform_implILb0ES3_S5_N6thrust23THRUST_200600_302600_NS6detail15normal_iteratorINS8_7pointerIiNS8_11hip_rocprim12par_nosync_tENS8_11use_defaultESE_EEEENSA_INSB_IlSD_SE_SE_EEEEZNS1_13binary_searchIS3_S5_NSA_INS8_10device_ptrIiEEEESG_SI_NS1_21upper_bound_search_opENS9_16wrapped_functionINS8_6system6detail7generic6detail18binary_search_lessEbEEEE10hipError_tPvRmT1_T2_T3_mmT4_T5_P12ihipStream_tbEUlRKiE_EESV_SZ_S10_mS11_S14_bEUlT_E_NS1_11comp_targetILNS1_3genE5ELNS1_11target_archE942ELNS1_3gpuE9ELNS1_3repE0EEENS1_30default_config_static_selectorELNS0_4arch9wavefront6targetE1EEEvSY_
    .private_segment_fixed_size: 0
    .sgpr_count:     4
    .sgpr_spill_count: 0
    .symbol:         _ZN7rocprim17ROCPRIM_400000_NS6detail17trampoline_kernelINS0_14default_configENS1_27upper_bound_config_selectorIilEEZNS1_14transform_implILb0ES3_S5_N6thrust23THRUST_200600_302600_NS6detail15normal_iteratorINS8_7pointerIiNS8_11hip_rocprim12par_nosync_tENS8_11use_defaultESE_EEEENSA_INSB_IlSD_SE_SE_EEEEZNS1_13binary_searchIS3_S5_NSA_INS8_10device_ptrIiEEEESG_SI_NS1_21upper_bound_search_opENS9_16wrapped_functionINS8_6system6detail7generic6detail18binary_search_lessEbEEEE10hipError_tPvRmT1_T2_T3_mmT4_T5_P12ihipStream_tbEUlRKiE_EESV_SZ_S10_mS11_S14_bEUlT_E_NS1_11comp_targetILNS1_3genE5ELNS1_11target_archE942ELNS1_3gpuE9ELNS1_3repE0EEENS1_30default_config_static_selectorELNS0_4arch9wavefront6targetE1EEEvSY_.kd
    .uniform_work_group_size: 1
    .uses_dynamic_stack: false
    .vgpr_count:     0
    .vgpr_spill_count: 0
    .wavefront_size: 64
  - .args:
      - .offset:         0
        .size:           56
        .value_kind:     by_value
    .group_segment_fixed_size: 0
    .kernarg_segment_align: 8
    .kernarg_segment_size: 56
    .language:       OpenCL C
    .language_version:
      - 2
      - 0
    .max_flat_workgroup_size: 256
    .name:           _ZN7rocprim17ROCPRIM_400000_NS6detail17trampoline_kernelINS0_14default_configENS1_27upper_bound_config_selectorIilEEZNS1_14transform_implILb0ES3_S5_N6thrust23THRUST_200600_302600_NS6detail15normal_iteratorINS8_7pointerIiNS8_11hip_rocprim12par_nosync_tENS8_11use_defaultESE_EEEENSA_INSB_IlSD_SE_SE_EEEEZNS1_13binary_searchIS3_S5_NSA_INS8_10device_ptrIiEEEESG_SI_NS1_21upper_bound_search_opENS9_16wrapped_functionINS8_6system6detail7generic6detail18binary_search_lessEbEEEE10hipError_tPvRmT1_T2_T3_mmT4_T5_P12ihipStream_tbEUlRKiE_EESV_SZ_S10_mS11_S14_bEUlT_E_NS1_11comp_targetILNS1_3genE4ELNS1_11target_archE910ELNS1_3gpuE8ELNS1_3repE0EEENS1_30default_config_static_selectorELNS0_4arch9wavefront6targetE1EEEvSY_
    .private_segment_fixed_size: 0
    .sgpr_count:     4
    .sgpr_spill_count: 0
    .symbol:         _ZN7rocprim17ROCPRIM_400000_NS6detail17trampoline_kernelINS0_14default_configENS1_27upper_bound_config_selectorIilEEZNS1_14transform_implILb0ES3_S5_N6thrust23THRUST_200600_302600_NS6detail15normal_iteratorINS8_7pointerIiNS8_11hip_rocprim12par_nosync_tENS8_11use_defaultESE_EEEENSA_INSB_IlSD_SE_SE_EEEEZNS1_13binary_searchIS3_S5_NSA_INS8_10device_ptrIiEEEESG_SI_NS1_21upper_bound_search_opENS9_16wrapped_functionINS8_6system6detail7generic6detail18binary_search_lessEbEEEE10hipError_tPvRmT1_T2_T3_mmT4_T5_P12ihipStream_tbEUlRKiE_EESV_SZ_S10_mS11_S14_bEUlT_E_NS1_11comp_targetILNS1_3genE4ELNS1_11target_archE910ELNS1_3gpuE8ELNS1_3repE0EEENS1_30default_config_static_selectorELNS0_4arch9wavefront6targetE1EEEvSY_.kd
    .uniform_work_group_size: 1
    .uses_dynamic_stack: false
    .vgpr_count:     0
    .vgpr_spill_count: 0
    .wavefront_size: 64
  - .args:
      - .offset:         0
        .size:           56
        .value_kind:     by_value
    .group_segment_fixed_size: 0
    .kernarg_segment_align: 8
    .kernarg_segment_size: 56
    .language:       OpenCL C
    .language_version:
      - 2
      - 0
    .max_flat_workgroup_size: 256
    .name:           _ZN7rocprim17ROCPRIM_400000_NS6detail17trampoline_kernelINS0_14default_configENS1_27upper_bound_config_selectorIilEEZNS1_14transform_implILb0ES3_S5_N6thrust23THRUST_200600_302600_NS6detail15normal_iteratorINS8_7pointerIiNS8_11hip_rocprim12par_nosync_tENS8_11use_defaultESE_EEEENSA_INSB_IlSD_SE_SE_EEEEZNS1_13binary_searchIS3_S5_NSA_INS8_10device_ptrIiEEEESG_SI_NS1_21upper_bound_search_opENS9_16wrapped_functionINS8_6system6detail7generic6detail18binary_search_lessEbEEEE10hipError_tPvRmT1_T2_T3_mmT4_T5_P12ihipStream_tbEUlRKiE_EESV_SZ_S10_mS11_S14_bEUlT_E_NS1_11comp_targetILNS1_3genE3ELNS1_11target_archE908ELNS1_3gpuE7ELNS1_3repE0EEENS1_30default_config_static_selectorELNS0_4arch9wavefront6targetE1EEEvSY_
    .private_segment_fixed_size: 0
    .sgpr_count:     4
    .sgpr_spill_count: 0
    .symbol:         _ZN7rocprim17ROCPRIM_400000_NS6detail17trampoline_kernelINS0_14default_configENS1_27upper_bound_config_selectorIilEEZNS1_14transform_implILb0ES3_S5_N6thrust23THRUST_200600_302600_NS6detail15normal_iteratorINS8_7pointerIiNS8_11hip_rocprim12par_nosync_tENS8_11use_defaultESE_EEEENSA_INSB_IlSD_SE_SE_EEEEZNS1_13binary_searchIS3_S5_NSA_INS8_10device_ptrIiEEEESG_SI_NS1_21upper_bound_search_opENS9_16wrapped_functionINS8_6system6detail7generic6detail18binary_search_lessEbEEEE10hipError_tPvRmT1_T2_T3_mmT4_T5_P12ihipStream_tbEUlRKiE_EESV_SZ_S10_mS11_S14_bEUlT_E_NS1_11comp_targetILNS1_3genE3ELNS1_11target_archE908ELNS1_3gpuE7ELNS1_3repE0EEENS1_30default_config_static_selectorELNS0_4arch9wavefront6targetE1EEEvSY_.kd
    .uniform_work_group_size: 1
    .uses_dynamic_stack: false
    .vgpr_count:     0
    .vgpr_spill_count: 0
    .wavefront_size: 64
  - .args:
      - .offset:         0
        .size:           56
        .value_kind:     by_value
      - .offset:         56
        .size:           4
        .value_kind:     hidden_block_count_x
      - .offset:         60
        .size:           4
        .value_kind:     hidden_block_count_y
      - .offset:         64
        .size:           4
        .value_kind:     hidden_block_count_z
      - .offset:         68
        .size:           2
        .value_kind:     hidden_group_size_x
      - .offset:         70
        .size:           2
        .value_kind:     hidden_group_size_y
      - .offset:         72
        .size:           2
        .value_kind:     hidden_group_size_z
      - .offset:         74
        .size:           2
        .value_kind:     hidden_remainder_x
      - .offset:         76
        .size:           2
        .value_kind:     hidden_remainder_y
      - .offset:         78
        .size:           2
        .value_kind:     hidden_remainder_z
      - .offset:         96
        .size:           8
        .value_kind:     hidden_global_offset_x
      - .offset:         104
        .size:           8
        .value_kind:     hidden_global_offset_y
      - .offset:         112
        .size:           8
        .value_kind:     hidden_global_offset_z
      - .offset:         120
        .size:           2
        .value_kind:     hidden_grid_dims
    .group_segment_fixed_size: 0
    .kernarg_segment_align: 8
    .kernarg_segment_size: 312
    .language:       OpenCL C
    .language_version:
      - 2
      - 0
    .max_flat_workgroup_size: 256
    .name:           _ZN7rocprim17ROCPRIM_400000_NS6detail17trampoline_kernelINS0_14default_configENS1_27upper_bound_config_selectorIilEEZNS1_14transform_implILb0ES3_S5_N6thrust23THRUST_200600_302600_NS6detail15normal_iteratorINS8_7pointerIiNS8_11hip_rocprim12par_nosync_tENS8_11use_defaultESE_EEEENSA_INSB_IlSD_SE_SE_EEEEZNS1_13binary_searchIS3_S5_NSA_INS8_10device_ptrIiEEEESG_SI_NS1_21upper_bound_search_opENS9_16wrapped_functionINS8_6system6detail7generic6detail18binary_search_lessEbEEEE10hipError_tPvRmT1_T2_T3_mmT4_T5_P12ihipStream_tbEUlRKiE_EESV_SZ_S10_mS11_S14_bEUlT_E_NS1_11comp_targetILNS1_3genE2ELNS1_11target_archE906ELNS1_3gpuE6ELNS1_3repE0EEENS1_30default_config_static_selectorELNS0_4arch9wavefront6targetE1EEEvSY_
    .private_segment_fixed_size: 0
    .sgpr_count:     24
    .sgpr_spill_count: 0
    .symbol:         _ZN7rocprim17ROCPRIM_400000_NS6detail17trampoline_kernelINS0_14default_configENS1_27upper_bound_config_selectorIilEEZNS1_14transform_implILb0ES3_S5_N6thrust23THRUST_200600_302600_NS6detail15normal_iteratorINS8_7pointerIiNS8_11hip_rocprim12par_nosync_tENS8_11use_defaultESE_EEEENSA_INSB_IlSD_SE_SE_EEEEZNS1_13binary_searchIS3_S5_NSA_INS8_10device_ptrIiEEEESG_SI_NS1_21upper_bound_search_opENS9_16wrapped_functionINS8_6system6detail7generic6detail18binary_search_lessEbEEEE10hipError_tPvRmT1_T2_T3_mmT4_T5_P12ihipStream_tbEUlRKiE_EESV_SZ_S10_mS11_S14_bEUlT_E_NS1_11comp_targetILNS1_3genE2ELNS1_11target_archE906ELNS1_3gpuE6ELNS1_3repE0EEENS1_30default_config_static_selectorELNS0_4arch9wavefront6targetE1EEEvSY_.kd
    .uniform_work_group_size: 1
    .uses_dynamic_stack: false
    .vgpr_count:     12
    .vgpr_spill_count: 0
    .wavefront_size: 64
  - .args:
      - .offset:         0
        .size:           56
        .value_kind:     by_value
    .group_segment_fixed_size: 0
    .kernarg_segment_align: 8
    .kernarg_segment_size: 56
    .language:       OpenCL C
    .language_version:
      - 2
      - 0
    .max_flat_workgroup_size: 128
    .name:           _ZN7rocprim17ROCPRIM_400000_NS6detail17trampoline_kernelINS0_14default_configENS1_27upper_bound_config_selectorIilEEZNS1_14transform_implILb0ES3_S5_N6thrust23THRUST_200600_302600_NS6detail15normal_iteratorINS8_7pointerIiNS8_11hip_rocprim12par_nosync_tENS8_11use_defaultESE_EEEENSA_INSB_IlSD_SE_SE_EEEEZNS1_13binary_searchIS3_S5_NSA_INS8_10device_ptrIiEEEESG_SI_NS1_21upper_bound_search_opENS9_16wrapped_functionINS8_6system6detail7generic6detail18binary_search_lessEbEEEE10hipError_tPvRmT1_T2_T3_mmT4_T5_P12ihipStream_tbEUlRKiE_EESV_SZ_S10_mS11_S14_bEUlT_E_NS1_11comp_targetILNS1_3genE10ELNS1_11target_archE1201ELNS1_3gpuE5ELNS1_3repE0EEENS1_30default_config_static_selectorELNS0_4arch9wavefront6targetE1EEEvSY_
    .private_segment_fixed_size: 0
    .sgpr_count:     4
    .sgpr_spill_count: 0
    .symbol:         _ZN7rocprim17ROCPRIM_400000_NS6detail17trampoline_kernelINS0_14default_configENS1_27upper_bound_config_selectorIilEEZNS1_14transform_implILb0ES3_S5_N6thrust23THRUST_200600_302600_NS6detail15normal_iteratorINS8_7pointerIiNS8_11hip_rocprim12par_nosync_tENS8_11use_defaultESE_EEEENSA_INSB_IlSD_SE_SE_EEEEZNS1_13binary_searchIS3_S5_NSA_INS8_10device_ptrIiEEEESG_SI_NS1_21upper_bound_search_opENS9_16wrapped_functionINS8_6system6detail7generic6detail18binary_search_lessEbEEEE10hipError_tPvRmT1_T2_T3_mmT4_T5_P12ihipStream_tbEUlRKiE_EESV_SZ_S10_mS11_S14_bEUlT_E_NS1_11comp_targetILNS1_3genE10ELNS1_11target_archE1201ELNS1_3gpuE5ELNS1_3repE0EEENS1_30default_config_static_selectorELNS0_4arch9wavefront6targetE1EEEvSY_.kd
    .uniform_work_group_size: 1
    .uses_dynamic_stack: false
    .vgpr_count:     0
    .vgpr_spill_count: 0
    .wavefront_size: 64
  - .args:
      - .offset:         0
        .size:           56
        .value_kind:     by_value
    .group_segment_fixed_size: 0
    .kernarg_segment_align: 8
    .kernarg_segment_size: 56
    .language:       OpenCL C
    .language_version:
      - 2
      - 0
    .max_flat_workgroup_size: 128
    .name:           _ZN7rocprim17ROCPRIM_400000_NS6detail17trampoline_kernelINS0_14default_configENS1_27upper_bound_config_selectorIilEEZNS1_14transform_implILb0ES3_S5_N6thrust23THRUST_200600_302600_NS6detail15normal_iteratorINS8_7pointerIiNS8_11hip_rocprim12par_nosync_tENS8_11use_defaultESE_EEEENSA_INSB_IlSD_SE_SE_EEEEZNS1_13binary_searchIS3_S5_NSA_INS8_10device_ptrIiEEEESG_SI_NS1_21upper_bound_search_opENS9_16wrapped_functionINS8_6system6detail7generic6detail18binary_search_lessEbEEEE10hipError_tPvRmT1_T2_T3_mmT4_T5_P12ihipStream_tbEUlRKiE_EESV_SZ_S10_mS11_S14_bEUlT_E_NS1_11comp_targetILNS1_3genE10ELNS1_11target_archE1200ELNS1_3gpuE4ELNS1_3repE0EEENS1_30default_config_static_selectorELNS0_4arch9wavefront6targetE1EEEvSY_
    .private_segment_fixed_size: 0
    .sgpr_count:     4
    .sgpr_spill_count: 0
    .symbol:         _ZN7rocprim17ROCPRIM_400000_NS6detail17trampoline_kernelINS0_14default_configENS1_27upper_bound_config_selectorIilEEZNS1_14transform_implILb0ES3_S5_N6thrust23THRUST_200600_302600_NS6detail15normal_iteratorINS8_7pointerIiNS8_11hip_rocprim12par_nosync_tENS8_11use_defaultESE_EEEENSA_INSB_IlSD_SE_SE_EEEEZNS1_13binary_searchIS3_S5_NSA_INS8_10device_ptrIiEEEESG_SI_NS1_21upper_bound_search_opENS9_16wrapped_functionINS8_6system6detail7generic6detail18binary_search_lessEbEEEE10hipError_tPvRmT1_T2_T3_mmT4_T5_P12ihipStream_tbEUlRKiE_EESV_SZ_S10_mS11_S14_bEUlT_E_NS1_11comp_targetILNS1_3genE10ELNS1_11target_archE1200ELNS1_3gpuE4ELNS1_3repE0EEENS1_30default_config_static_selectorELNS0_4arch9wavefront6targetE1EEEvSY_.kd
    .uniform_work_group_size: 1
    .uses_dynamic_stack: false
    .vgpr_count:     0
    .vgpr_spill_count: 0
    .wavefront_size: 64
  - .args:
      - .offset:         0
        .size:           56
        .value_kind:     by_value
    .group_segment_fixed_size: 0
    .kernarg_segment_align: 8
    .kernarg_segment_size: 56
    .language:       OpenCL C
    .language_version:
      - 2
      - 0
    .max_flat_workgroup_size: 256
    .name:           _ZN7rocprim17ROCPRIM_400000_NS6detail17trampoline_kernelINS0_14default_configENS1_27upper_bound_config_selectorIilEEZNS1_14transform_implILb0ES3_S5_N6thrust23THRUST_200600_302600_NS6detail15normal_iteratorINS8_7pointerIiNS8_11hip_rocprim12par_nosync_tENS8_11use_defaultESE_EEEENSA_INSB_IlSD_SE_SE_EEEEZNS1_13binary_searchIS3_S5_NSA_INS8_10device_ptrIiEEEESG_SI_NS1_21upper_bound_search_opENS9_16wrapped_functionINS8_6system6detail7generic6detail18binary_search_lessEbEEEE10hipError_tPvRmT1_T2_T3_mmT4_T5_P12ihipStream_tbEUlRKiE_EESV_SZ_S10_mS11_S14_bEUlT_E_NS1_11comp_targetILNS1_3genE9ELNS1_11target_archE1100ELNS1_3gpuE3ELNS1_3repE0EEENS1_30default_config_static_selectorELNS0_4arch9wavefront6targetE1EEEvSY_
    .private_segment_fixed_size: 0
    .sgpr_count:     4
    .sgpr_spill_count: 0
    .symbol:         _ZN7rocprim17ROCPRIM_400000_NS6detail17trampoline_kernelINS0_14default_configENS1_27upper_bound_config_selectorIilEEZNS1_14transform_implILb0ES3_S5_N6thrust23THRUST_200600_302600_NS6detail15normal_iteratorINS8_7pointerIiNS8_11hip_rocprim12par_nosync_tENS8_11use_defaultESE_EEEENSA_INSB_IlSD_SE_SE_EEEEZNS1_13binary_searchIS3_S5_NSA_INS8_10device_ptrIiEEEESG_SI_NS1_21upper_bound_search_opENS9_16wrapped_functionINS8_6system6detail7generic6detail18binary_search_lessEbEEEE10hipError_tPvRmT1_T2_T3_mmT4_T5_P12ihipStream_tbEUlRKiE_EESV_SZ_S10_mS11_S14_bEUlT_E_NS1_11comp_targetILNS1_3genE9ELNS1_11target_archE1100ELNS1_3gpuE3ELNS1_3repE0EEENS1_30default_config_static_selectorELNS0_4arch9wavefront6targetE1EEEvSY_.kd
    .uniform_work_group_size: 1
    .uses_dynamic_stack: false
    .vgpr_count:     0
    .vgpr_spill_count: 0
    .wavefront_size: 64
  - .args:
      - .offset:         0
        .size:           56
        .value_kind:     by_value
    .group_segment_fixed_size: 0
    .kernarg_segment_align: 8
    .kernarg_segment_size: 56
    .language:       OpenCL C
    .language_version:
      - 2
      - 0
    .max_flat_workgroup_size: 256
    .name:           _ZN7rocprim17ROCPRIM_400000_NS6detail17trampoline_kernelINS0_14default_configENS1_27upper_bound_config_selectorIilEEZNS1_14transform_implILb0ES3_S5_N6thrust23THRUST_200600_302600_NS6detail15normal_iteratorINS8_7pointerIiNS8_11hip_rocprim12par_nosync_tENS8_11use_defaultESE_EEEENSA_INSB_IlSD_SE_SE_EEEEZNS1_13binary_searchIS3_S5_NSA_INS8_10device_ptrIiEEEESG_SI_NS1_21upper_bound_search_opENS9_16wrapped_functionINS8_6system6detail7generic6detail18binary_search_lessEbEEEE10hipError_tPvRmT1_T2_T3_mmT4_T5_P12ihipStream_tbEUlRKiE_EESV_SZ_S10_mS11_S14_bEUlT_E_NS1_11comp_targetILNS1_3genE8ELNS1_11target_archE1030ELNS1_3gpuE2ELNS1_3repE0EEENS1_30default_config_static_selectorELNS0_4arch9wavefront6targetE1EEEvSY_
    .private_segment_fixed_size: 0
    .sgpr_count:     4
    .sgpr_spill_count: 0
    .symbol:         _ZN7rocprim17ROCPRIM_400000_NS6detail17trampoline_kernelINS0_14default_configENS1_27upper_bound_config_selectorIilEEZNS1_14transform_implILb0ES3_S5_N6thrust23THRUST_200600_302600_NS6detail15normal_iteratorINS8_7pointerIiNS8_11hip_rocprim12par_nosync_tENS8_11use_defaultESE_EEEENSA_INSB_IlSD_SE_SE_EEEEZNS1_13binary_searchIS3_S5_NSA_INS8_10device_ptrIiEEEESG_SI_NS1_21upper_bound_search_opENS9_16wrapped_functionINS8_6system6detail7generic6detail18binary_search_lessEbEEEE10hipError_tPvRmT1_T2_T3_mmT4_T5_P12ihipStream_tbEUlRKiE_EESV_SZ_S10_mS11_S14_bEUlT_E_NS1_11comp_targetILNS1_3genE8ELNS1_11target_archE1030ELNS1_3gpuE2ELNS1_3repE0EEENS1_30default_config_static_selectorELNS0_4arch9wavefront6targetE1EEEvSY_.kd
    .uniform_work_group_size: 1
    .uses_dynamic_stack: false
    .vgpr_count:     0
    .vgpr_spill_count: 0
    .wavefront_size: 64
  - .args:
      - .offset:         0
        .size:           56
        .value_kind:     by_value
    .group_segment_fixed_size: 0
    .kernarg_segment_align: 8
    .kernarg_segment_size: 56
    .language:       OpenCL C
    .language_version:
      - 2
      - 0
    .max_flat_workgroup_size: 256
    .name:           _ZN7rocprim17ROCPRIM_400000_NS6detail17trampoline_kernelINS0_14default_configENS1_27upper_bound_config_selectorIilEEZNS1_14transform_implILb0ES3_S5_N6thrust23THRUST_200600_302600_NS6detail15normal_iteratorINS8_7pointerIiNS8_11hip_rocprim5par_tENS8_11use_defaultESE_EEEENSA_INSB_IlSD_SE_SE_EEEEZNS1_13binary_searchIS3_S5_NSA_INS8_10device_ptrIiEEEESG_SI_NS1_21upper_bound_search_opENS9_16wrapped_functionINS8_6system6detail7generic6detail18binary_search_lessEbEEEE10hipError_tPvRmT1_T2_T3_mmT4_T5_P12ihipStream_tbEUlRKiE_EESV_SZ_S10_mS11_S14_bEUlT_E_NS1_11comp_targetILNS1_3genE0ELNS1_11target_archE4294967295ELNS1_3gpuE0ELNS1_3repE0EEENS1_30default_config_static_selectorELNS0_4arch9wavefront6targetE1EEEvSY_
    .private_segment_fixed_size: 0
    .sgpr_count:     4
    .sgpr_spill_count: 0
    .symbol:         _ZN7rocprim17ROCPRIM_400000_NS6detail17trampoline_kernelINS0_14default_configENS1_27upper_bound_config_selectorIilEEZNS1_14transform_implILb0ES3_S5_N6thrust23THRUST_200600_302600_NS6detail15normal_iteratorINS8_7pointerIiNS8_11hip_rocprim5par_tENS8_11use_defaultESE_EEEENSA_INSB_IlSD_SE_SE_EEEEZNS1_13binary_searchIS3_S5_NSA_INS8_10device_ptrIiEEEESG_SI_NS1_21upper_bound_search_opENS9_16wrapped_functionINS8_6system6detail7generic6detail18binary_search_lessEbEEEE10hipError_tPvRmT1_T2_T3_mmT4_T5_P12ihipStream_tbEUlRKiE_EESV_SZ_S10_mS11_S14_bEUlT_E_NS1_11comp_targetILNS1_3genE0ELNS1_11target_archE4294967295ELNS1_3gpuE0ELNS1_3repE0EEENS1_30default_config_static_selectorELNS0_4arch9wavefront6targetE1EEEvSY_.kd
    .uniform_work_group_size: 1
    .uses_dynamic_stack: false
    .vgpr_count:     0
    .vgpr_spill_count: 0
    .wavefront_size: 64
  - .args:
      - .offset:         0
        .size:           56
        .value_kind:     by_value
    .group_segment_fixed_size: 0
    .kernarg_segment_align: 8
    .kernarg_segment_size: 56
    .language:       OpenCL C
    .language_version:
      - 2
      - 0
    .max_flat_workgroup_size: 256
    .name:           _ZN7rocprim17ROCPRIM_400000_NS6detail17trampoline_kernelINS0_14default_configENS1_27upper_bound_config_selectorIilEEZNS1_14transform_implILb0ES3_S5_N6thrust23THRUST_200600_302600_NS6detail15normal_iteratorINS8_7pointerIiNS8_11hip_rocprim5par_tENS8_11use_defaultESE_EEEENSA_INSB_IlSD_SE_SE_EEEEZNS1_13binary_searchIS3_S5_NSA_INS8_10device_ptrIiEEEESG_SI_NS1_21upper_bound_search_opENS9_16wrapped_functionINS8_6system6detail7generic6detail18binary_search_lessEbEEEE10hipError_tPvRmT1_T2_T3_mmT4_T5_P12ihipStream_tbEUlRKiE_EESV_SZ_S10_mS11_S14_bEUlT_E_NS1_11comp_targetILNS1_3genE5ELNS1_11target_archE942ELNS1_3gpuE9ELNS1_3repE0EEENS1_30default_config_static_selectorELNS0_4arch9wavefront6targetE1EEEvSY_
    .private_segment_fixed_size: 0
    .sgpr_count:     4
    .sgpr_spill_count: 0
    .symbol:         _ZN7rocprim17ROCPRIM_400000_NS6detail17trampoline_kernelINS0_14default_configENS1_27upper_bound_config_selectorIilEEZNS1_14transform_implILb0ES3_S5_N6thrust23THRUST_200600_302600_NS6detail15normal_iteratorINS8_7pointerIiNS8_11hip_rocprim5par_tENS8_11use_defaultESE_EEEENSA_INSB_IlSD_SE_SE_EEEEZNS1_13binary_searchIS3_S5_NSA_INS8_10device_ptrIiEEEESG_SI_NS1_21upper_bound_search_opENS9_16wrapped_functionINS8_6system6detail7generic6detail18binary_search_lessEbEEEE10hipError_tPvRmT1_T2_T3_mmT4_T5_P12ihipStream_tbEUlRKiE_EESV_SZ_S10_mS11_S14_bEUlT_E_NS1_11comp_targetILNS1_3genE5ELNS1_11target_archE942ELNS1_3gpuE9ELNS1_3repE0EEENS1_30default_config_static_selectorELNS0_4arch9wavefront6targetE1EEEvSY_.kd
    .uniform_work_group_size: 1
    .uses_dynamic_stack: false
    .vgpr_count:     0
    .vgpr_spill_count: 0
    .wavefront_size: 64
  - .args:
      - .offset:         0
        .size:           56
        .value_kind:     by_value
    .group_segment_fixed_size: 0
    .kernarg_segment_align: 8
    .kernarg_segment_size: 56
    .language:       OpenCL C
    .language_version:
      - 2
      - 0
    .max_flat_workgroup_size: 256
    .name:           _ZN7rocprim17ROCPRIM_400000_NS6detail17trampoline_kernelINS0_14default_configENS1_27upper_bound_config_selectorIilEEZNS1_14transform_implILb0ES3_S5_N6thrust23THRUST_200600_302600_NS6detail15normal_iteratorINS8_7pointerIiNS8_11hip_rocprim5par_tENS8_11use_defaultESE_EEEENSA_INSB_IlSD_SE_SE_EEEEZNS1_13binary_searchIS3_S5_NSA_INS8_10device_ptrIiEEEESG_SI_NS1_21upper_bound_search_opENS9_16wrapped_functionINS8_6system6detail7generic6detail18binary_search_lessEbEEEE10hipError_tPvRmT1_T2_T3_mmT4_T5_P12ihipStream_tbEUlRKiE_EESV_SZ_S10_mS11_S14_bEUlT_E_NS1_11comp_targetILNS1_3genE4ELNS1_11target_archE910ELNS1_3gpuE8ELNS1_3repE0EEENS1_30default_config_static_selectorELNS0_4arch9wavefront6targetE1EEEvSY_
    .private_segment_fixed_size: 0
    .sgpr_count:     4
    .sgpr_spill_count: 0
    .symbol:         _ZN7rocprim17ROCPRIM_400000_NS6detail17trampoline_kernelINS0_14default_configENS1_27upper_bound_config_selectorIilEEZNS1_14transform_implILb0ES3_S5_N6thrust23THRUST_200600_302600_NS6detail15normal_iteratorINS8_7pointerIiNS8_11hip_rocprim5par_tENS8_11use_defaultESE_EEEENSA_INSB_IlSD_SE_SE_EEEEZNS1_13binary_searchIS3_S5_NSA_INS8_10device_ptrIiEEEESG_SI_NS1_21upper_bound_search_opENS9_16wrapped_functionINS8_6system6detail7generic6detail18binary_search_lessEbEEEE10hipError_tPvRmT1_T2_T3_mmT4_T5_P12ihipStream_tbEUlRKiE_EESV_SZ_S10_mS11_S14_bEUlT_E_NS1_11comp_targetILNS1_3genE4ELNS1_11target_archE910ELNS1_3gpuE8ELNS1_3repE0EEENS1_30default_config_static_selectorELNS0_4arch9wavefront6targetE1EEEvSY_.kd
    .uniform_work_group_size: 1
    .uses_dynamic_stack: false
    .vgpr_count:     0
    .vgpr_spill_count: 0
    .wavefront_size: 64
  - .args:
      - .offset:         0
        .size:           56
        .value_kind:     by_value
    .group_segment_fixed_size: 0
    .kernarg_segment_align: 8
    .kernarg_segment_size: 56
    .language:       OpenCL C
    .language_version:
      - 2
      - 0
    .max_flat_workgroup_size: 256
    .name:           _ZN7rocprim17ROCPRIM_400000_NS6detail17trampoline_kernelINS0_14default_configENS1_27upper_bound_config_selectorIilEEZNS1_14transform_implILb0ES3_S5_N6thrust23THRUST_200600_302600_NS6detail15normal_iteratorINS8_7pointerIiNS8_11hip_rocprim5par_tENS8_11use_defaultESE_EEEENSA_INSB_IlSD_SE_SE_EEEEZNS1_13binary_searchIS3_S5_NSA_INS8_10device_ptrIiEEEESG_SI_NS1_21upper_bound_search_opENS9_16wrapped_functionINS8_6system6detail7generic6detail18binary_search_lessEbEEEE10hipError_tPvRmT1_T2_T3_mmT4_T5_P12ihipStream_tbEUlRKiE_EESV_SZ_S10_mS11_S14_bEUlT_E_NS1_11comp_targetILNS1_3genE3ELNS1_11target_archE908ELNS1_3gpuE7ELNS1_3repE0EEENS1_30default_config_static_selectorELNS0_4arch9wavefront6targetE1EEEvSY_
    .private_segment_fixed_size: 0
    .sgpr_count:     4
    .sgpr_spill_count: 0
    .symbol:         _ZN7rocprim17ROCPRIM_400000_NS6detail17trampoline_kernelINS0_14default_configENS1_27upper_bound_config_selectorIilEEZNS1_14transform_implILb0ES3_S5_N6thrust23THRUST_200600_302600_NS6detail15normal_iteratorINS8_7pointerIiNS8_11hip_rocprim5par_tENS8_11use_defaultESE_EEEENSA_INSB_IlSD_SE_SE_EEEEZNS1_13binary_searchIS3_S5_NSA_INS8_10device_ptrIiEEEESG_SI_NS1_21upper_bound_search_opENS9_16wrapped_functionINS8_6system6detail7generic6detail18binary_search_lessEbEEEE10hipError_tPvRmT1_T2_T3_mmT4_T5_P12ihipStream_tbEUlRKiE_EESV_SZ_S10_mS11_S14_bEUlT_E_NS1_11comp_targetILNS1_3genE3ELNS1_11target_archE908ELNS1_3gpuE7ELNS1_3repE0EEENS1_30default_config_static_selectorELNS0_4arch9wavefront6targetE1EEEvSY_.kd
    .uniform_work_group_size: 1
    .uses_dynamic_stack: false
    .vgpr_count:     0
    .vgpr_spill_count: 0
    .wavefront_size: 64
  - .args:
      - .offset:         0
        .size:           56
        .value_kind:     by_value
      - .offset:         56
        .size:           4
        .value_kind:     hidden_block_count_x
      - .offset:         60
        .size:           4
        .value_kind:     hidden_block_count_y
      - .offset:         64
        .size:           4
        .value_kind:     hidden_block_count_z
      - .offset:         68
        .size:           2
        .value_kind:     hidden_group_size_x
      - .offset:         70
        .size:           2
        .value_kind:     hidden_group_size_y
      - .offset:         72
        .size:           2
        .value_kind:     hidden_group_size_z
      - .offset:         74
        .size:           2
        .value_kind:     hidden_remainder_x
      - .offset:         76
        .size:           2
        .value_kind:     hidden_remainder_y
      - .offset:         78
        .size:           2
        .value_kind:     hidden_remainder_z
      - .offset:         96
        .size:           8
        .value_kind:     hidden_global_offset_x
      - .offset:         104
        .size:           8
        .value_kind:     hidden_global_offset_y
      - .offset:         112
        .size:           8
        .value_kind:     hidden_global_offset_z
      - .offset:         120
        .size:           2
        .value_kind:     hidden_grid_dims
    .group_segment_fixed_size: 0
    .kernarg_segment_align: 8
    .kernarg_segment_size: 312
    .language:       OpenCL C
    .language_version:
      - 2
      - 0
    .max_flat_workgroup_size: 256
    .name:           _ZN7rocprim17ROCPRIM_400000_NS6detail17trampoline_kernelINS0_14default_configENS1_27upper_bound_config_selectorIilEEZNS1_14transform_implILb0ES3_S5_N6thrust23THRUST_200600_302600_NS6detail15normal_iteratorINS8_7pointerIiNS8_11hip_rocprim5par_tENS8_11use_defaultESE_EEEENSA_INSB_IlSD_SE_SE_EEEEZNS1_13binary_searchIS3_S5_NSA_INS8_10device_ptrIiEEEESG_SI_NS1_21upper_bound_search_opENS9_16wrapped_functionINS8_6system6detail7generic6detail18binary_search_lessEbEEEE10hipError_tPvRmT1_T2_T3_mmT4_T5_P12ihipStream_tbEUlRKiE_EESV_SZ_S10_mS11_S14_bEUlT_E_NS1_11comp_targetILNS1_3genE2ELNS1_11target_archE906ELNS1_3gpuE6ELNS1_3repE0EEENS1_30default_config_static_selectorELNS0_4arch9wavefront6targetE1EEEvSY_
    .private_segment_fixed_size: 0
    .sgpr_count:     24
    .sgpr_spill_count: 0
    .symbol:         _ZN7rocprim17ROCPRIM_400000_NS6detail17trampoline_kernelINS0_14default_configENS1_27upper_bound_config_selectorIilEEZNS1_14transform_implILb0ES3_S5_N6thrust23THRUST_200600_302600_NS6detail15normal_iteratorINS8_7pointerIiNS8_11hip_rocprim5par_tENS8_11use_defaultESE_EEEENSA_INSB_IlSD_SE_SE_EEEEZNS1_13binary_searchIS3_S5_NSA_INS8_10device_ptrIiEEEESG_SI_NS1_21upper_bound_search_opENS9_16wrapped_functionINS8_6system6detail7generic6detail18binary_search_lessEbEEEE10hipError_tPvRmT1_T2_T3_mmT4_T5_P12ihipStream_tbEUlRKiE_EESV_SZ_S10_mS11_S14_bEUlT_E_NS1_11comp_targetILNS1_3genE2ELNS1_11target_archE906ELNS1_3gpuE6ELNS1_3repE0EEENS1_30default_config_static_selectorELNS0_4arch9wavefront6targetE1EEEvSY_.kd
    .uniform_work_group_size: 1
    .uses_dynamic_stack: false
    .vgpr_count:     12
    .vgpr_spill_count: 0
    .wavefront_size: 64
  - .args:
      - .offset:         0
        .size:           56
        .value_kind:     by_value
    .group_segment_fixed_size: 0
    .kernarg_segment_align: 8
    .kernarg_segment_size: 56
    .language:       OpenCL C
    .language_version:
      - 2
      - 0
    .max_flat_workgroup_size: 128
    .name:           _ZN7rocprim17ROCPRIM_400000_NS6detail17trampoline_kernelINS0_14default_configENS1_27upper_bound_config_selectorIilEEZNS1_14transform_implILb0ES3_S5_N6thrust23THRUST_200600_302600_NS6detail15normal_iteratorINS8_7pointerIiNS8_11hip_rocprim5par_tENS8_11use_defaultESE_EEEENSA_INSB_IlSD_SE_SE_EEEEZNS1_13binary_searchIS3_S5_NSA_INS8_10device_ptrIiEEEESG_SI_NS1_21upper_bound_search_opENS9_16wrapped_functionINS8_6system6detail7generic6detail18binary_search_lessEbEEEE10hipError_tPvRmT1_T2_T3_mmT4_T5_P12ihipStream_tbEUlRKiE_EESV_SZ_S10_mS11_S14_bEUlT_E_NS1_11comp_targetILNS1_3genE10ELNS1_11target_archE1201ELNS1_3gpuE5ELNS1_3repE0EEENS1_30default_config_static_selectorELNS0_4arch9wavefront6targetE1EEEvSY_
    .private_segment_fixed_size: 0
    .sgpr_count:     4
    .sgpr_spill_count: 0
    .symbol:         _ZN7rocprim17ROCPRIM_400000_NS6detail17trampoline_kernelINS0_14default_configENS1_27upper_bound_config_selectorIilEEZNS1_14transform_implILb0ES3_S5_N6thrust23THRUST_200600_302600_NS6detail15normal_iteratorINS8_7pointerIiNS8_11hip_rocprim5par_tENS8_11use_defaultESE_EEEENSA_INSB_IlSD_SE_SE_EEEEZNS1_13binary_searchIS3_S5_NSA_INS8_10device_ptrIiEEEESG_SI_NS1_21upper_bound_search_opENS9_16wrapped_functionINS8_6system6detail7generic6detail18binary_search_lessEbEEEE10hipError_tPvRmT1_T2_T3_mmT4_T5_P12ihipStream_tbEUlRKiE_EESV_SZ_S10_mS11_S14_bEUlT_E_NS1_11comp_targetILNS1_3genE10ELNS1_11target_archE1201ELNS1_3gpuE5ELNS1_3repE0EEENS1_30default_config_static_selectorELNS0_4arch9wavefront6targetE1EEEvSY_.kd
    .uniform_work_group_size: 1
    .uses_dynamic_stack: false
    .vgpr_count:     0
    .vgpr_spill_count: 0
    .wavefront_size: 64
  - .args:
      - .offset:         0
        .size:           56
        .value_kind:     by_value
    .group_segment_fixed_size: 0
    .kernarg_segment_align: 8
    .kernarg_segment_size: 56
    .language:       OpenCL C
    .language_version:
      - 2
      - 0
    .max_flat_workgroup_size: 128
    .name:           _ZN7rocprim17ROCPRIM_400000_NS6detail17trampoline_kernelINS0_14default_configENS1_27upper_bound_config_selectorIilEEZNS1_14transform_implILb0ES3_S5_N6thrust23THRUST_200600_302600_NS6detail15normal_iteratorINS8_7pointerIiNS8_11hip_rocprim5par_tENS8_11use_defaultESE_EEEENSA_INSB_IlSD_SE_SE_EEEEZNS1_13binary_searchIS3_S5_NSA_INS8_10device_ptrIiEEEESG_SI_NS1_21upper_bound_search_opENS9_16wrapped_functionINS8_6system6detail7generic6detail18binary_search_lessEbEEEE10hipError_tPvRmT1_T2_T3_mmT4_T5_P12ihipStream_tbEUlRKiE_EESV_SZ_S10_mS11_S14_bEUlT_E_NS1_11comp_targetILNS1_3genE10ELNS1_11target_archE1200ELNS1_3gpuE4ELNS1_3repE0EEENS1_30default_config_static_selectorELNS0_4arch9wavefront6targetE1EEEvSY_
    .private_segment_fixed_size: 0
    .sgpr_count:     4
    .sgpr_spill_count: 0
    .symbol:         _ZN7rocprim17ROCPRIM_400000_NS6detail17trampoline_kernelINS0_14default_configENS1_27upper_bound_config_selectorIilEEZNS1_14transform_implILb0ES3_S5_N6thrust23THRUST_200600_302600_NS6detail15normal_iteratorINS8_7pointerIiNS8_11hip_rocprim5par_tENS8_11use_defaultESE_EEEENSA_INSB_IlSD_SE_SE_EEEEZNS1_13binary_searchIS3_S5_NSA_INS8_10device_ptrIiEEEESG_SI_NS1_21upper_bound_search_opENS9_16wrapped_functionINS8_6system6detail7generic6detail18binary_search_lessEbEEEE10hipError_tPvRmT1_T2_T3_mmT4_T5_P12ihipStream_tbEUlRKiE_EESV_SZ_S10_mS11_S14_bEUlT_E_NS1_11comp_targetILNS1_3genE10ELNS1_11target_archE1200ELNS1_3gpuE4ELNS1_3repE0EEENS1_30default_config_static_selectorELNS0_4arch9wavefront6targetE1EEEvSY_.kd
    .uniform_work_group_size: 1
    .uses_dynamic_stack: false
    .vgpr_count:     0
    .vgpr_spill_count: 0
    .wavefront_size: 64
  - .args:
      - .offset:         0
        .size:           56
        .value_kind:     by_value
    .group_segment_fixed_size: 0
    .kernarg_segment_align: 8
    .kernarg_segment_size: 56
    .language:       OpenCL C
    .language_version:
      - 2
      - 0
    .max_flat_workgroup_size: 256
    .name:           _ZN7rocprim17ROCPRIM_400000_NS6detail17trampoline_kernelINS0_14default_configENS1_27upper_bound_config_selectorIilEEZNS1_14transform_implILb0ES3_S5_N6thrust23THRUST_200600_302600_NS6detail15normal_iteratorINS8_7pointerIiNS8_11hip_rocprim5par_tENS8_11use_defaultESE_EEEENSA_INSB_IlSD_SE_SE_EEEEZNS1_13binary_searchIS3_S5_NSA_INS8_10device_ptrIiEEEESG_SI_NS1_21upper_bound_search_opENS9_16wrapped_functionINS8_6system6detail7generic6detail18binary_search_lessEbEEEE10hipError_tPvRmT1_T2_T3_mmT4_T5_P12ihipStream_tbEUlRKiE_EESV_SZ_S10_mS11_S14_bEUlT_E_NS1_11comp_targetILNS1_3genE9ELNS1_11target_archE1100ELNS1_3gpuE3ELNS1_3repE0EEENS1_30default_config_static_selectorELNS0_4arch9wavefront6targetE1EEEvSY_
    .private_segment_fixed_size: 0
    .sgpr_count:     4
    .sgpr_spill_count: 0
    .symbol:         _ZN7rocprim17ROCPRIM_400000_NS6detail17trampoline_kernelINS0_14default_configENS1_27upper_bound_config_selectorIilEEZNS1_14transform_implILb0ES3_S5_N6thrust23THRUST_200600_302600_NS6detail15normal_iteratorINS8_7pointerIiNS8_11hip_rocprim5par_tENS8_11use_defaultESE_EEEENSA_INSB_IlSD_SE_SE_EEEEZNS1_13binary_searchIS3_S5_NSA_INS8_10device_ptrIiEEEESG_SI_NS1_21upper_bound_search_opENS9_16wrapped_functionINS8_6system6detail7generic6detail18binary_search_lessEbEEEE10hipError_tPvRmT1_T2_T3_mmT4_T5_P12ihipStream_tbEUlRKiE_EESV_SZ_S10_mS11_S14_bEUlT_E_NS1_11comp_targetILNS1_3genE9ELNS1_11target_archE1100ELNS1_3gpuE3ELNS1_3repE0EEENS1_30default_config_static_selectorELNS0_4arch9wavefront6targetE1EEEvSY_.kd
    .uniform_work_group_size: 1
    .uses_dynamic_stack: false
    .vgpr_count:     0
    .vgpr_spill_count: 0
    .wavefront_size: 64
  - .args:
      - .offset:         0
        .size:           56
        .value_kind:     by_value
    .group_segment_fixed_size: 0
    .kernarg_segment_align: 8
    .kernarg_segment_size: 56
    .language:       OpenCL C
    .language_version:
      - 2
      - 0
    .max_flat_workgroup_size: 256
    .name:           _ZN7rocprim17ROCPRIM_400000_NS6detail17trampoline_kernelINS0_14default_configENS1_27upper_bound_config_selectorIilEEZNS1_14transform_implILb0ES3_S5_N6thrust23THRUST_200600_302600_NS6detail15normal_iteratorINS8_7pointerIiNS8_11hip_rocprim5par_tENS8_11use_defaultESE_EEEENSA_INSB_IlSD_SE_SE_EEEEZNS1_13binary_searchIS3_S5_NSA_INS8_10device_ptrIiEEEESG_SI_NS1_21upper_bound_search_opENS9_16wrapped_functionINS8_6system6detail7generic6detail18binary_search_lessEbEEEE10hipError_tPvRmT1_T2_T3_mmT4_T5_P12ihipStream_tbEUlRKiE_EESV_SZ_S10_mS11_S14_bEUlT_E_NS1_11comp_targetILNS1_3genE8ELNS1_11target_archE1030ELNS1_3gpuE2ELNS1_3repE0EEENS1_30default_config_static_selectorELNS0_4arch9wavefront6targetE1EEEvSY_
    .private_segment_fixed_size: 0
    .sgpr_count:     4
    .sgpr_spill_count: 0
    .symbol:         _ZN7rocprim17ROCPRIM_400000_NS6detail17trampoline_kernelINS0_14default_configENS1_27upper_bound_config_selectorIilEEZNS1_14transform_implILb0ES3_S5_N6thrust23THRUST_200600_302600_NS6detail15normal_iteratorINS8_7pointerIiNS8_11hip_rocprim5par_tENS8_11use_defaultESE_EEEENSA_INSB_IlSD_SE_SE_EEEEZNS1_13binary_searchIS3_S5_NSA_INS8_10device_ptrIiEEEESG_SI_NS1_21upper_bound_search_opENS9_16wrapped_functionINS8_6system6detail7generic6detail18binary_search_lessEbEEEE10hipError_tPvRmT1_T2_T3_mmT4_T5_P12ihipStream_tbEUlRKiE_EESV_SZ_S10_mS11_S14_bEUlT_E_NS1_11comp_targetILNS1_3genE8ELNS1_11target_archE1030ELNS1_3gpuE2ELNS1_3repE0EEENS1_30default_config_static_selectorELNS0_4arch9wavefront6targetE1EEEvSY_.kd
    .uniform_work_group_size: 1
    .uses_dynamic_stack: false
    .vgpr_count:     0
    .vgpr_spill_count: 0
    .wavefront_size: 64
  - .args:
      - .offset:         0
        .size:           56
        .value_kind:     by_value
    .group_segment_fixed_size: 0
    .kernarg_segment_align: 8
    .kernarg_segment_size: 56
    .language:       OpenCL C
    .language_version:
      - 2
      - 0
    .max_flat_workgroup_size: 128
    .name:           _ZN7rocprim17ROCPRIM_400000_NS6detail17trampoline_kernelINS0_14default_configENS1_27upper_bound_config_selectorIslEEZNS1_14transform_implILb0ES3_S5_N6thrust23THRUST_200600_302600_NS6detail15normal_iteratorINS8_7pointerIsNS8_11hip_rocprim5par_tENS8_11use_defaultESE_EEEENSA_INSB_IlSD_SE_SE_EEEEZNS1_13binary_searchIS3_S5_NSA_INS8_10device_ptrIsEEEESG_SI_NS1_21upper_bound_search_opENS9_16wrapped_functionINS8_6system6detail7generic6detail18binary_search_lessEbEEEE10hipError_tPvRmT1_T2_T3_mmT4_T5_P12ihipStream_tbEUlRKsE_EESV_SZ_S10_mS11_S14_bEUlT_E_NS1_11comp_targetILNS1_3genE0ELNS1_11target_archE4294967295ELNS1_3gpuE0ELNS1_3repE0EEENS1_30default_config_static_selectorELNS0_4arch9wavefront6targetE1EEEvSY_
    .private_segment_fixed_size: 0
    .sgpr_count:     4
    .sgpr_spill_count: 0
    .symbol:         _ZN7rocprim17ROCPRIM_400000_NS6detail17trampoline_kernelINS0_14default_configENS1_27upper_bound_config_selectorIslEEZNS1_14transform_implILb0ES3_S5_N6thrust23THRUST_200600_302600_NS6detail15normal_iteratorINS8_7pointerIsNS8_11hip_rocprim5par_tENS8_11use_defaultESE_EEEENSA_INSB_IlSD_SE_SE_EEEEZNS1_13binary_searchIS3_S5_NSA_INS8_10device_ptrIsEEEESG_SI_NS1_21upper_bound_search_opENS9_16wrapped_functionINS8_6system6detail7generic6detail18binary_search_lessEbEEEE10hipError_tPvRmT1_T2_T3_mmT4_T5_P12ihipStream_tbEUlRKsE_EESV_SZ_S10_mS11_S14_bEUlT_E_NS1_11comp_targetILNS1_3genE0ELNS1_11target_archE4294967295ELNS1_3gpuE0ELNS1_3repE0EEENS1_30default_config_static_selectorELNS0_4arch9wavefront6targetE1EEEvSY_.kd
    .uniform_work_group_size: 1
    .uses_dynamic_stack: false
    .vgpr_count:     0
    .vgpr_spill_count: 0
    .wavefront_size: 64
  - .args:
      - .offset:         0
        .size:           56
        .value_kind:     by_value
    .group_segment_fixed_size: 0
    .kernarg_segment_align: 8
    .kernarg_segment_size: 56
    .language:       OpenCL C
    .language_version:
      - 2
      - 0
    .max_flat_workgroup_size: 256
    .name:           _ZN7rocprim17ROCPRIM_400000_NS6detail17trampoline_kernelINS0_14default_configENS1_27upper_bound_config_selectorIslEEZNS1_14transform_implILb0ES3_S5_N6thrust23THRUST_200600_302600_NS6detail15normal_iteratorINS8_7pointerIsNS8_11hip_rocprim5par_tENS8_11use_defaultESE_EEEENSA_INSB_IlSD_SE_SE_EEEEZNS1_13binary_searchIS3_S5_NSA_INS8_10device_ptrIsEEEESG_SI_NS1_21upper_bound_search_opENS9_16wrapped_functionINS8_6system6detail7generic6detail18binary_search_lessEbEEEE10hipError_tPvRmT1_T2_T3_mmT4_T5_P12ihipStream_tbEUlRKsE_EESV_SZ_S10_mS11_S14_bEUlT_E_NS1_11comp_targetILNS1_3genE5ELNS1_11target_archE942ELNS1_3gpuE9ELNS1_3repE0EEENS1_30default_config_static_selectorELNS0_4arch9wavefront6targetE1EEEvSY_
    .private_segment_fixed_size: 0
    .sgpr_count:     4
    .sgpr_spill_count: 0
    .symbol:         _ZN7rocprim17ROCPRIM_400000_NS6detail17trampoline_kernelINS0_14default_configENS1_27upper_bound_config_selectorIslEEZNS1_14transform_implILb0ES3_S5_N6thrust23THRUST_200600_302600_NS6detail15normal_iteratorINS8_7pointerIsNS8_11hip_rocprim5par_tENS8_11use_defaultESE_EEEENSA_INSB_IlSD_SE_SE_EEEEZNS1_13binary_searchIS3_S5_NSA_INS8_10device_ptrIsEEEESG_SI_NS1_21upper_bound_search_opENS9_16wrapped_functionINS8_6system6detail7generic6detail18binary_search_lessEbEEEE10hipError_tPvRmT1_T2_T3_mmT4_T5_P12ihipStream_tbEUlRKsE_EESV_SZ_S10_mS11_S14_bEUlT_E_NS1_11comp_targetILNS1_3genE5ELNS1_11target_archE942ELNS1_3gpuE9ELNS1_3repE0EEENS1_30default_config_static_selectorELNS0_4arch9wavefront6targetE1EEEvSY_.kd
    .uniform_work_group_size: 1
    .uses_dynamic_stack: false
    .vgpr_count:     0
    .vgpr_spill_count: 0
    .wavefront_size: 64
  - .args:
      - .offset:         0
        .size:           56
        .value_kind:     by_value
    .group_segment_fixed_size: 0
    .kernarg_segment_align: 8
    .kernarg_segment_size: 56
    .language:       OpenCL C
    .language_version:
      - 2
      - 0
    .max_flat_workgroup_size: 256
    .name:           _ZN7rocprim17ROCPRIM_400000_NS6detail17trampoline_kernelINS0_14default_configENS1_27upper_bound_config_selectorIslEEZNS1_14transform_implILb0ES3_S5_N6thrust23THRUST_200600_302600_NS6detail15normal_iteratorINS8_7pointerIsNS8_11hip_rocprim5par_tENS8_11use_defaultESE_EEEENSA_INSB_IlSD_SE_SE_EEEEZNS1_13binary_searchIS3_S5_NSA_INS8_10device_ptrIsEEEESG_SI_NS1_21upper_bound_search_opENS9_16wrapped_functionINS8_6system6detail7generic6detail18binary_search_lessEbEEEE10hipError_tPvRmT1_T2_T3_mmT4_T5_P12ihipStream_tbEUlRKsE_EESV_SZ_S10_mS11_S14_bEUlT_E_NS1_11comp_targetILNS1_3genE4ELNS1_11target_archE910ELNS1_3gpuE8ELNS1_3repE0EEENS1_30default_config_static_selectorELNS0_4arch9wavefront6targetE1EEEvSY_
    .private_segment_fixed_size: 0
    .sgpr_count:     4
    .sgpr_spill_count: 0
    .symbol:         _ZN7rocprim17ROCPRIM_400000_NS6detail17trampoline_kernelINS0_14default_configENS1_27upper_bound_config_selectorIslEEZNS1_14transform_implILb0ES3_S5_N6thrust23THRUST_200600_302600_NS6detail15normal_iteratorINS8_7pointerIsNS8_11hip_rocprim5par_tENS8_11use_defaultESE_EEEENSA_INSB_IlSD_SE_SE_EEEEZNS1_13binary_searchIS3_S5_NSA_INS8_10device_ptrIsEEEESG_SI_NS1_21upper_bound_search_opENS9_16wrapped_functionINS8_6system6detail7generic6detail18binary_search_lessEbEEEE10hipError_tPvRmT1_T2_T3_mmT4_T5_P12ihipStream_tbEUlRKsE_EESV_SZ_S10_mS11_S14_bEUlT_E_NS1_11comp_targetILNS1_3genE4ELNS1_11target_archE910ELNS1_3gpuE8ELNS1_3repE0EEENS1_30default_config_static_selectorELNS0_4arch9wavefront6targetE1EEEvSY_.kd
    .uniform_work_group_size: 1
    .uses_dynamic_stack: false
    .vgpr_count:     0
    .vgpr_spill_count: 0
    .wavefront_size: 64
  - .args:
      - .offset:         0
        .size:           56
        .value_kind:     by_value
    .group_segment_fixed_size: 0
    .kernarg_segment_align: 8
    .kernarg_segment_size: 56
    .language:       OpenCL C
    .language_version:
      - 2
      - 0
    .max_flat_workgroup_size: 128
    .name:           _ZN7rocprim17ROCPRIM_400000_NS6detail17trampoline_kernelINS0_14default_configENS1_27upper_bound_config_selectorIslEEZNS1_14transform_implILb0ES3_S5_N6thrust23THRUST_200600_302600_NS6detail15normal_iteratorINS8_7pointerIsNS8_11hip_rocprim5par_tENS8_11use_defaultESE_EEEENSA_INSB_IlSD_SE_SE_EEEEZNS1_13binary_searchIS3_S5_NSA_INS8_10device_ptrIsEEEESG_SI_NS1_21upper_bound_search_opENS9_16wrapped_functionINS8_6system6detail7generic6detail18binary_search_lessEbEEEE10hipError_tPvRmT1_T2_T3_mmT4_T5_P12ihipStream_tbEUlRKsE_EESV_SZ_S10_mS11_S14_bEUlT_E_NS1_11comp_targetILNS1_3genE3ELNS1_11target_archE908ELNS1_3gpuE7ELNS1_3repE0EEENS1_30default_config_static_selectorELNS0_4arch9wavefront6targetE1EEEvSY_
    .private_segment_fixed_size: 0
    .sgpr_count:     4
    .sgpr_spill_count: 0
    .symbol:         _ZN7rocprim17ROCPRIM_400000_NS6detail17trampoline_kernelINS0_14default_configENS1_27upper_bound_config_selectorIslEEZNS1_14transform_implILb0ES3_S5_N6thrust23THRUST_200600_302600_NS6detail15normal_iteratorINS8_7pointerIsNS8_11hip_rocprim5par_tENS8_11use_defaultESE_EEEENSA_INSB_IlSD_SE_SE_EEEEZNS1_13binary_searchIS3_S5_NSA_INS8_10device_ptrIsEEEESG_SI_NS1_21upper_bound_search_opENS9_16wrapped_functionINS8_6system6detail7generic6detail18binary_search_lessEbEEEE10hipError_tPvRmT1_T2_T3_mmT4_T5_P12ihipStream_tbEUlRKsE_EESV_SZ_S10_mS11_S14_bEUlT_E_NS1_11comp_targetILNS1_3genE3ELNS1_11target_archE908ELNS1_3gpuE7ELNS1_3repE0EEENS1_30default_config_static_selectorELNS0_4arch9wavefront6targetE1EEEvSY_.kd
    .uniform_work_group_size: 1
    .uses_dynamic_stack: false
    .vgpr_count:     0
    .vgpr_spill_count: 0
    .wavefront_size: 64
  - .args:
      - .offset:         0
        .size:           56
        .value_kind:     by_value
      - .offset:         56
        .size:           4
        .value_kind:     hidden_block_count_x
      - .offset:         60
        .size:           4
        .value_kind:     hidden_block_count_y
      - .offset:         64
        .size:           4
        .value_kind:     hidden_block_count_z
      - .offset:         68
        .size:           2
        .value_kind:     hidden_group_size_x
      - .offset:         70
        .size:           2
        .value_kind:     hidden_group_size_y
      - .offset:         72
        .size:           2
        .value_kind:     hidden_group_size_z
      - .offset:         74
        .size:           2
        .value_kind:     hidden_remainder_x
      - .offset:         76
        .size:           2
        .value_kind:     hidden_remainder_y
      - .offset:         78
        .size:           2
        .value_kind:     hidden_remainder_z
      - .offset:         96
        .size:           8
        .value_kind:     hidden_global_offset_x
      - .offset:         104
        .size:           8
        .value_kind:     hidden_global_offset_y
      - .offset:         112
        .size:           8
        .value_kind:     hidden_global_offset_z
      - .offset:         120
        .size:           2
        .value_kind:     hidden_grid_dims
    .group_segment_fixed_size: 0
    .kernarg_segment_align: 8
    .kernarg_segment_size: 312
    .language:       OpenCL C
    .language_version:
      - 2
      - 0
    .max_flat_workgroup_size: 256
    .name:           _ZN7rocprim17ROCPRIM_400000_NS6detail17trampoline_kernelINS0_14default_configENS1_27upper_bound_config_selectorIslEEZNS1_14transform_implILb0ES3_S5_N6thrust23THRUST_200600_302600_NS6detail15normal_iteratorINS8_7pointerIsNS8_11hip_rocprim5par_tENS8_11use_defaultESE_EEEENSA_INSB_IlSD_SE_SE_EEEEZNS1_13binary_searchIS3_S5_NSA_INS8_10device_ptrIsEEEESG_SI_NS1_21upper_bound_search_opENS9_16wrapped_functionINS8_6system6detail7generic6detail18binary_search_lessEbEEEE10hipError_tPvRmT1_T2_T3_mmT4_T5_P12ihipStream_tbEUlRKsE_EESV_SZ_S10_mS11_S14_bEUlT_E_NS1_11comp_targetILNS1_3genE2ELNS1_11target_archE906ELNS1_3gpuE6ELNS1_3repE0EEENS1_30default_config_static_selectorELNS0_4arch9wavefront6targetE1EEEvSY_
    .private_segment_fixed_size: 0
    .sgpr_count:     26
    .sgpr_spill_count: 0
    .symbol:         _ZN7rocprim17ROCPRIM_400000_NS6detail17trampoline_kernelINS0_14default_configENS1_27upper_bound_config_selectorIslEEZNS1_14transform_implILb0ES3_S5_N6thrust23THRUST_200600_302600_NS6detail15normal_iteratorINS8_7pointerIsNS8_11hip_rocprim5par_tENS8_11use_defaultESE_EEEENSA_INSB_IlSD_SE_SE_EEEEZNS1_13binary_searchIS3_S5_NSA_INS8_10device_ptrIsEEEESG_SI_NS1_21upper_bound_search_opENS9_16wrapped_functionINS8_6system6detail7generic6detail18binary_search_lessEbEEEE10hipError_tPvRmT1_T2_T3_mmT4_T5_P12ihipStream_tbEUlRKsE_EESV_SZ_S10_mS11_S14_bEUlT_E_NS1_11comp_targetILNS1_3genE2ELNS1_11target_archE906ELNS1_3gpuE6ELNS1_3repE0EEENS1_30default_config_static_selectorELNS0_4arch9wavefront6targetE1EEEvSY_.kd
    .uniform_work_group_size: 1
    .uses_dynamic_stack: false
    .vgpr_count:     18
    .vgpr_spill_count: 0
    .wavefront_size: 64
  - .args:
      - .offset:         0
        .size:           56
        .value_kind:     by_value
    .group_segment_fixed_size: 0
    .kernarg_segment_align: 8
    .kernarg_segment_size: 56
    .language:       OpenCL C
    .language_version:
      - 2
      - 0
    .max_flat_workgroup_size: 256
    .name:           _ZN7rocprim17ROCPRIM_400000_NS6detail17trampoline_kernelINS0_14default_configENS1_27upper_bound_config_selectorIslEEZNS1_14transform_implILb0ES3_S5_N6thrust23THRUST_200600_302600_NS6detail15normal_iteratorINS8_7pointerIsNS8_11hip_rocprim5par_tENS8_11use_defaultESE_EEEENSA_INSB_IlSD_SE_SE_EEEEZNS1_13binary_searchIS3_S5_NSA_INS8_10device_ptrIsEEEESG_SI_NS1_21upper_bound_search_opENS9_16wrapped_functionINS8_6system6detail7generic6detail18binary_search_lessEbEEEE10hipError_tPvRmT1_T2_T3_mmT4_T5_P12ihipStream_tbEUlRKsE_EESV_SZ_S10_mS11_S14_bEUlT_E_NS1_11comp_targetILNS1_3genE10ELNS1_11target_archE1201ELNS1_3gpuE5ELNS1_3repE0EEENS1_30default_config_static_selectorELNS0_4arch9wavefront6targetE1EEEvSY_
    .private_segment_fixed_size: 0
    .sgpr_count:     4
    .sgpr_spill_count: 0
    .symbol:         _ZN7rocprim17ROCPRIM_400000_NS6detail17trampoline_kernelINS0_14default_configENS1_27upper_bound_config_selectorIslEEZNS1_14transform_implILb0ES3_S5_N6thrust23THRUST_200600_302600_NS6detail15normal_iteratorINS8_7pointerIsNS8_11hip_rocprim5par_tENS8_11use_defaultESE_EEEENSA_INSB_IlSD_SE_SE_EEEEZNS1_13binary_searchIS3_S5_NSA_INS8_10device_ptrIsEEEESG_SI_NS1_21upper_bound_search_opENS9_16wrapped_functionINS8_6system6detail7generic6detail18binary_search_lessEbEEEE10hipError_tPvRmT1_T2_T3_mmT4_T5_P12ihipStream_tbEUlRKsE_EESV_SZ_S10_mS11_S14_bEUlT_E_NS1_11comp_targetILNS1_3genE10ELNS1_11target_archE1201ELNS1_3gpuE5ELNS1_3repE0EEENS1_30default_config_static_selectorELNS0_4arch9wavefront6targetE1EEEvSY_.kd
    .uniform_work_group_size: 1
    .uses_dynamic_stack: false
    .vgpr_count:     0
    .vgpr_spill_count: 0
    .wavefront_size: 64
  - .args:
      - .offset:         0
        .size:           56
        .value_kind:     by_value
    .group_segment_fixed_size: 0
    .kernarg_segment_align: 8
    .kernarg_segment_size: 56
    .language:       OpenCL C
    .language_version:
      - 2
      - 0
    .max_flat_workgroup_size: 256
    .name:           _ZN7rocprim17ROCPRIM_400000_NS6detail17trampoline_kernelINS0_14default_configENS1_27upper_bound_config_selectorIslEEZNS1_14transform_implILb0ES3_S5_N6thrust23THRUST_200600_302600_NS6detail15normal_iteratorINS8_7pointerIsNS8_11hip_rocprim5par_tENS8_11use_defaultESE_EEEENSA_INSB_IlSD_SE_SE_EEEEZNS1_13binary_searchIS3_S5_NSA_INS8_10device_ptrIsEEEESG_SI_NS1_21upper_bound_search_opENS9_16wrapped_functionINS8_6system6detail7generic6detail18binary_search_lessEbEEEE10hipError_tPvRmT1_T2_T3_mmT4_T5_P12ihipStream_tbEUlRKsE_EESV_SZ_S10_mS11_S14_bEUlT_E_NS1_11comp_targetILNS1_3genE10ELNS1_11target_archE1200ELNS1_3gpuE4ELNS1_3repE0EEENS1_30default_config_static_selectorELNS0_4arch9wavefront6targetE1EEEvSY_
    .private_segment_fixed_size: 0
    .sgpr_count:     4
    .sgpr_spill_count: 0
    .symbol:         _ZN7rocprim17ROCPRIM_400000_NS6detail17trampoline_kernelINS0_14default_configENS1_27upper_bound_config_selectorIslEEZNS1_14transform_implILb0ES3_S5_N6thrust23THRUST_200600_302600_NS6detail15normal_iteratorINS8_7pointerIsNS8_11hip_rocprim5par_tENS8_11use_defaultESE_EEEENSA_INSB_IlSD_SE_SE_EEEEZNS1_13binary_searchIS3_S5_NSA_INS8_10device_ptrIsEEEESG_SI_NS1_21upper_bound_search_opENS9_16wrapped_functionINS8_6system6detail7generic6detail18binary_search_lessEbEEEE10hipError_tPvRmT1_T2_T3_mmT4_T5_P12ihipStream_tbEUlRKsE_EESV_SZ_S10_mS11_S14_bEUlT_E_NS1_11comp_targetILNS1_3genE10ELNS1_11target_archE1200ELNS1_3gpuE4ELNS1_3repE0EEENS1_30default_config_static_selectorELNS0_4arch9wavefront6targetE1EEEvSY_.kd
    .uniform_work_group_size: 1
    .uses_dynamic_stack: false
    .vgpr_count:     0
    .vgpr_spill_count: 0
    .wavefront_size: 64
  - .args:
      - .offset:         0
        .size:           56
        .value_kind:     by_value
    .group_segment_fixed_size: 0
    .kernarg_segment_align: 8
    .kernarg_segment_size: 56
    .language:       OpenCL C
    .language_version:
      - 2
      - 0
    .max_flat_workgroup_size: 64
    .name:           _ZN7rocprim17ROCPRIM_400000_NS6detail17trampoline_kernelINS0_14default_configENS1_27upper_bound_config_selectorIslEEZNS1_14transform_implILb0ES3_S5_N6thrust23THRUST_200600_302600_NS6detail15normal_iteratorINS8_7pointerIsNS8_11hip_rocprim5par_tENS8_11use_defaultESE_EEEENSA_INSB_IlSD_SE_SE_EEEEZNS1_13binary_searchIS3_S5_NSA_INS8_10device_ptrIsEEEESG_SI_NS1_21upper_bound_search_opENS9_16wrapped_functionINS8_6system6detail7generic6detail18binary_search_lessEbEEEE10hipError_tPvRmT1_T2_T3_mmT4_T5_P12ihipStream_tbEUlRKsE_EESV_SZ_S10_mS11_S14_bEUlT_E_NS1_11comp_targetILNS1_3genE9ELNS1_11target_archE1100ELNS1_3gpuE3ELNS1_3repE0EEENS1_30default_config_static_selectorELNS0_4arch9wavefront6targetE1EEEvSY_
    .private_segment_fixed_size: 0
    .sgpr_count:     4
    .sgpr_spill_count: 0
    .symbol:         _ZN7rocprim17ROCPRIM_400000_NS6detail17trampoline_kernelINS0_14default_configENS1_27upper_bound_config_selectorIslEEZNS1_14transform_implILb0ES3_S5_N6thrust23THRUST_200600_302600_NS6detail15normal_iteratorINS8_7pointerIsNS8_11hip_rocprim5par_tENS8_11use_defaultESE_EEEENSA_INSB_IlSD_SE_SE_EEEEZNS1_13binary_searchIS3_S5_NSA_INS8_10device_ptrIsEEEESG_SI_NS1_21upper_bound_search_opENS9_16wrapped_functionINS8_6system6detail7generic6detail18binary_search_lessEbEEEE10hipError_tPvRmT1_T2_T3_mmT4_T5_P12ihipStream_tbEUlRKsE_EESV_SZ_S10_mS11_S14_bEUlT_E_NS1_11comp_targetILNS1_3genE9ELNS1_11target_archE1100ELNS1_3gpuE3ELNS1_3repE0EEENS1_30default_config_static_selectorELNS0_4arch9wavefront6targetE1EEEvSY_.kd
    .uniform_work_group_size: 1
    .uses_dynamic_stack: false
    .vgpr_count:     0
    .vgpr_spill_count: 0
    .wavefront_size: 64
  - .args:
      - .offset:         0
        .size:           56
        .value_kind:     by_value
    .group_segment_fixed_size: 0
    .kernarg_segment_align: 8
    .kernarg_segment_size: 56
    .language:       OpenCL C
    .language_version:
      - 2
      - 0
    .max_flat_workgroup_size: 128
    .name:           _ZN7rocprim17ROCPRIM_400000_NS6detail17trampoline_kernelINS0_14default_configENS1_27upper_bound_config_selectorIslEEZNS1_14transform_implILb0ES3_S5_N6thrust23THRUST_200600_302600_NS6detail15normal_iteratorINS8_7pointerIsNS8_11hip_rocprim5par_tENS8_11use_defaultESE_EEEENSA_INSB_IlSD_SE_SE_EEEEZNS1_13binary_searchIS3_S5_NSA_INS8_10device_ptrIsEEEESG_SI_NS1_21upper_bound_search_opENS9_16wrapped_functionINS8_6system6detail7generic6detail18binary_search_lessEbEEEE10hipError_tPvRmT1_T2_T3_mmT4_T5_P12ihipStream_tbEUlRKsE_EESV_SZ_S10_mS11_S14_bEUlT_E_NS1_11comp_targetILNS1_3genE8ELNS1_11target_archE1030ELNS1_3gpuE2ELNS1_3repE0EEENS1_30default_config_static_selectorELNS0_4arch9wavefront6targetE1EEEvSY_
    .private_segment_fixed_size: 0
    .sgpr_count:     4
    .sgpr_spill_count: 0
    .symbol:         _ZN7rocprim17ROCPRIM_400000_NS6detail17trampoline_kernelINS0_14default_configENS1_27upper_bound_config_selectorIslEEZNS1_14transform_implILb0ES3_S5_N6thrust23THRUST_200600_302600_NS6detail15normal_iteratorINS8_7pointerIsNS8_11hip_rocprim5par_tENS8_11use_defaultESE_EEEENSA_INSB_IlSD_SE_SE_EEEEZNS1_13binary_searchIS3_S5_NSA_INS8_10device_ptrIsEEEESG_SI_NS1_21upper_bound_search_opENS9_16wrapped_functionINS8_6system6detail7generic6detail18binary_search_lessEbEEEE10hipError_tPvRmT1_T2_T3_mmT4_T5_P12ihipStream_tbEUlRKsE_EESV_SZ_S10_mS11_S14_bEUlT_E_NS1_11comp_targetILNS1_3genE8ELNS1_11target_archE1030ELNS1_3gpuE2ELNS1_3repE0EEENS1_30default_config_static_selectorELNS0_4arch9wavefront6targetE1EEEvSY_.kd
    .uniform_work_group_size: 1
    .uses_dynamic_stack: false
    .vgpr_count:     0
    .vgpr_spill_count: 0
    .wavefront_size: 64
  - .args:
      - .offset:         0
        .size:           56
        .value_kind:     by_value
    .group_segment_fixed_size: 0
    .kernarg_segment_align: 8
    .kernarg_segment_size: 56
    .language:       OpenCL C
    .language_version:
      - 2
      - 0
    .max_flat_workgroup_size: 128
    .name:           _ZN7rocprim17ROCPRIM_400000_NS6detail17trampoline_kernelINS0_14default_configENS1_27upper_bound_config_selectorIN6thrust23THRUST_200600_302600_NS5tupleIiiNS6_9null_typeES8_S8_S8_S8_S8_S8_S8_EElEEZNS1_14transform_implILb0ES3_SA_NS6_6detail15normal_iteratorINS6_7pointerIS9_NS6_11hip_rocprim5par_tENS6_11use_defaultESH_EEEENSD_INSE_IlSG_SH_SH_EEEEZNS1_13binary_searchIS3_SA_NSD_INS6_10device_ptrIS9_EEEESJ_SL_NS1_21upper_bound_search_opENSC_16wrapped_functionINS6_6system6detail7generic6detail18binary_search_lessEbEEEE10hipError_tPvRmT1_T2_T3_mmT4_T5_P12ihipStream_tbEUlRKS9_E_EESY_S12_S13_mS14_S17_bEUlT_E_NS1_11comp_targetILNS1_3genE0ELNS1_11target_archE4294967295ELNS1_3gpuE0ELNS1_3repE0EEENS1_30default_config_static_selectorELNS0_4arch9wavefront6targetE1EEEvS11_
    .private_segment_fixed_size: 0
    .sgpr_count:     4
    .sgpr_spill_count: 0
    .symbol:         _ZN7rocprim17ROCPRIM_400000_NS6detail17trampoline_kernelINS0_14default_configENS1_27upper_bound_config_selectorIN6thrust23THRUST_200600_302600_NS5tupleIiiNS6_9null_typeES8_S8_S8_S8_S8_S8_S8_EElEEZNS1_14transform_implILb0ES3_SA_NS6_6detail15normal_iteratorINS6_7pointerIS9_NS6_11hip_rocprim5par_tENS6_11use_defaultESH_EEEENSD_INSE_IlSG_SH_SH_EEEEZNS1_13binary_searchIS3_SA_NSD_INS6_10device_ptrIS9_EEEESJ_SL_NS1_21upper_bound_search_opENSC_16wrapped_functionINS6_6system6detail7generic6detail18binary_search_lessEbEEEE10hipError_tPvRmT1_T2_T3_mmT4_T5_P12ihipStream_tbEUlRKS9_E_EESY_S12_S13_mS14_S17_bEUlT_E_NS1_11comp_targetILNS1_3genE0ELNS1_11target_archE4294967295ELNS1_3gpuE0ELNS1_3repE0EEENS1_30default_config_static_selectorELNS0_4arch9wavefront6targetE1EEEvS11_.kd
    .uniform_work_group_size: 1
    .uses_dynamic_stack: false
    .vgpr_count:     0
    .vgpr_spill_count: 0
    .wavefront_size: 64
  - .args:
      - .offset:         0
        .size:           56
        .value_kind:     by_value
    .group_segment_fixed_size: 0
    .kernarg_segment_align: 8
    .kernarg_segment_size: 56
    .language:       OpenCL C
    .language_version:
      - 2
      - 0
    .max_flat_workgroup_size: 64
    .name:           _ZN7rocprim17ROCPRIM_400000_NS6detail17trampoline_kernelINS0_14default_configENS1_27upper_bound_config_selectorIN6thrust23THRUST_200600_302600_NS5tupleIiiNS6_9null_typeES8_S8_S8_S8_S8_S8_S8_EElEEZNS1_14transform_implILb0ES3_SA_NS6_6detail15normal_iteratorINS6_7pointerIS9_NS6_11hip_rocprim5par_tENS6_11use_defaultESH_EEEENSD_INSE_IlSG_SH_SH_EEEEZNS1_13binary_searchIS3_SA_NSD_INS6_10device_ptrIS9_EEEESJ_SL_NS1_21upper_bound_search_opENSC_16wrapped_functionINS6_6system6detail7generic6detail18binary_search_lessEbEEEE10hipError_tPvRmT1_T2_T3_mmT4_T5_P12ihipStream_tbEUlRKS9_E_EESY_S12_S13_mS14_S17_bEUlT_E_NS1_11comp_targetILNS1_3genE5ELNS1_11target_archE942ELNS1_3gpuE9ELNS1_3repE0EEENS1_30default_config_static_selectorELNS0_4arch9wavefront6targetE1EEEvS11_
    .private_segment_fixed_size: 0
    .sgpr_count:     4
    .sgpr_spill_count: 0
    .symbol:         _ZN7rocprim17ROCPRIM_400000_NS6detail17trampoline_kernelINS0_14default_configENS1_27upper_bound_config_selectorIN6thrust23THRUST_200600_302600_NS5tupleIiiNS6_9null_typeES8_S8_S8_S8_S8_S8_S8_EElEEZNS1_14transform_implILb0ES3_SA_NS6_6detail15normal_iteratorINS6_7pointerIS9_NS6_11hip_rocprim5par_tENS6_11use_defaultESH_EEEENSD_INSE_IlSG_SH_SH_EEEEZNS1_13binary_searchIS3_SA_NSD_INS6_10device_ptrIS9_EEEESJ_SL_NS1_21upper_bound_search_opENSC_16wrapped_functionINS6_6system6detail7generic6detail18binary_search_lessEbEEEE10hipError_tPvRmT1_T2_T3_mmT4_T5_P12ihipStream_tbEUlRKS9_E_EESY_S12_S13_mS14_S17_bEUlT_E_NS1_11comp_targetILNS1_3genE5ELNS1_11target_archE942ELNS1_3gpuE9ELNS1_3repE0EEENS1_30default_config_static_selectorELNS0_4arch9wavefront6targetE1EEEvS11_.kd
    .uniform_work_group_size: 1
    .uses_dynamic_stack: false
    .vgpr_count:     0
    .vgpr_spill_count: 0
    .wavefront_size: 64
  - .args:
      - .offset:         0
        .size:           56
        .value_kind:     by_value
    .group_segment_fixed_size: 0
    .kernarg_segment_align: 8
    .kernarg_segment_size: 56
    .language:       OpenCL C
    .language_version:
      - 2
      - 0
    .max_flat_workgroup_size: 64
    .name:           _ZN7rocprim17ROCPRIM_400000_NS6detail17trampoline_kernelINS0_14default_configENS1_27upper_bound_config_selectorIN6thrust23THRUST_200600_302600_NS5tupleIiiNS6_9null_typeES8_S8_S8_S8_S8_S8_S8_EElEEZNS1_14transform_implILb0ES3_SA_NS6_6detail15normal_iteratorINS6_7pointerIS9_NS6_11hip_rocprim5par_tENS6_11use_defaultESH_EEEENSD_INSE_IlSG_SH_SH_EEEEZNS1_13binary_searchIS3_SA_NSD_INS6_10device_ptrIS9_EEEESJ_SL_NS1_21upper_bound_search_opENSC_16wrapped_functionINS6_6system6detail7generic6detail18binary_search_lessEbEEEE10hipError_tPvRmT1_T2_T3_mmT4_T5_P12ihipStream_tbEUlRKS9_E_EESY_S12_S13_mS14_S17_bEUlT_E_NS1_11comp_targetILNS1_3genE4ELNS1_11target_archE910ELNS1_3gpuE8ELNS1_3repE0EEENS1_30default_config_static_selectorELNS0_4arch9wavefront6targetE1EEEvS11_
    .private_segment_fixed_size: 0
    .sgpr_count:     4
    .sgpr_spill_count: 0
    .symbol:         _ZN7rocprim17ROCPRIM_400000_NS6detail17trampoline_kernelINS0_14default_configENS1_27upper_bound_config_selectorIN6thrust23THRUST_200600_302600_NS5tupleIiiNS6_9null_typeES8_S8_S8_S8_S8_S8_S8_EElEEZNS1_14transform_implILb0ES3_SA_NS6_6detail15normal_iteratorINS6_7pointerIS9_NS6_11hip_rocprim5par_tENS6_11use_defaultESH_EEEENSD_INSE_IlSG_SH_SH_EEEEZNS1_13binary_searchIS3_SA_NSD_INS6_10device_ptrIS9_EEEESJ_SL_NS1_21upper_bound_search_opENSC_16wrapped_functionINS6_6system6detail7generic6detail18binary_search_lessEbEEEE10hipError_tPvRmT1_T2_T3_mmT4_T5_P12ihipStream_tbEUlRKS9_E_EESY_S12_S13_mS14_S17_bEUlT_E_NS1_11comp_targetILNS1_3genE4ELNS1_11target_archE910ELNS1_3gpuE8ELNS1_3repE0EEENS1_30default_config_static_selectorELNS0_4arch9wavefront6targetE1EEEvS11_.kd
    .uniform_work_group_size: 1
    .uses_dynamic_stack: false
    .vgpr_count:     0
    .vgpr_spill_count: 0
    .wavefront_size: 64
  - .args:
      - .offset:         0
        .size:           56
        .value_kind:     by_value
    .group_segment_fixed_size: 0
    .kernarg_segment_align: 8
    .kernarg_segment_size: 56
    .language:       OpenCL C
    .language_version:
      - 2
      - 0
    .max_flat_workgroup_size: 128
    .name:           _ZN7rocprim17ROCPRIM_400000_NS6detail17trampoline_kernelINS0_14default_configENS1_27upper_bound_config_selectorIN6thrust23THRUST_200600_302600_NS5tupleIiiNS6_9null_typeES8_S8_S8_S8_S8_S8_S8_EElEEZNS1_14transform_implILb0ES3_SA_NS6_6detail15normal_iteratorINS6_7pointerIS9_NS6_11hip_rocprim5par_tENS6_11use_defaultESH_EEEENSD_INSE_IlSG_SH_SH_EEEEZNS1_13binary_searchIS3_SA_NSD_INS6_10device_ptrIS9_EEEESJ_SL_NS1_21upper_bound_search_opENSC_16wrapped_functionINS6_6system6detail7generic6detail18binary_search_lessEbEEEE10hipError_tPvRmT1_T2_T3_mmT4_T5_P12ihipStream_tbEUlRKS9_E_EESY_S12_S13_mS14_S17_bEUlT_E_NS1_11comp_targetILNS1_3genE3ELNS1_11target_archE908ELNS1_3gpuE7ELNS1_3repE0EEENS1_30default_config_static_selectorELNS0_4arch9wavefront6targetE1EEEvS11_
    .private_segment_fixed_size: 0
    .sgpr_count:     4
    .sgpr_spill_count: 0
    .symbol:         _ZN7rocprim17ROCPRIM_400000_NS6detail17trampoline_kernelINS0_14default_configENS1_27upper_bound_config_selectorIN6thrust23THRUST_200600_302600_NS5tupleIiiNS6_9null_typeES8_S8_S8_S8_S8_S8_S8_EElEEZNS1_14transform_implILb0ES3_SA_NS6_6detail15normal_iteratorINS6_7pointerIS9_NS6_11hip_rocprim5par_tENS6_11use_defaultESH_EEEENSD_INSE_IlSG_SH_SH_EEEEZNS1_13binary_searchIS3_SA_NSD_INS6_10device_ptrIS9_EEEESJ_SL_NS1_21upper_bound_search_opENSC_16wrapped_functionINS6_6system6detail7generic6detail18binary_search_lessEbEEEE10hipError_tPvRmT1_T2_T3_mmT4_T5_P12ihipStream_tbEUlRKS9_E_EESY_S12_S13_mS14_S17_bEUlT_E_NS1_11comp_targetILNS1_3genE3ELNS1_11target_archE908ELNS1_3gpuE7ELNS1_3repE0EEENS1_30default_config_static_selectorELNS0_4arch9wavefront6targetE1EEEvS11_.kd
    .uniform_work_group_size: 1
    .uses_dynamic_stack: false
    .vgpr_count:     0
    .vgpr_spill_count: 0
    .wavefront_size: 64
  - .args:
      - .offset:         0
        .size:           56
        .value_kind:     by_value
      - .offset:         56
        .size:           4
        .value_kind:     hidden_block_count_x
      - .offset:         60
        .size:           4
        .value_kind:     hidden_block_count_y
      - .offset:         64
        .size:           4
        .value_kind:     hidden_block_count_z
      - .offset:         68
        .size:           2
        .value_kind:     hidden_group_size_x
      - .offset:         70
        .size:           2
        .value_kind:     hidden_group_size_y
      - .offset:         72
        .size:           2
        .value_kind:     hidden_group_size_z
      - .offset:         74
        .size:           2
        .value_kind:     hidden_remainder_x
      - .offset:         76
        .size:           2
        .value_kind:     hidden_remainder_y
      - .offset:         78
        .size:           2
        .value_kind:     hidden_remainder_z
      - .offset:         96
        .size:           8
        .value_kind:     hidden_global_offset_x
      - .offset:         104
        .size:           8
        .value_kind:     hidden_global_offset_y
      - .offset:         112
        .size:           8
        .value_kind:     hidden_global_offset_z
      - .offset:         120
        .size:           2
        .value_kind:     hidden_grid_dims
    .group_segment_fixed_size: 0
    .kernarg_segment_align: 8
    .kernarg_segment_size: 312
    .language:       OpenCL C
    .language_version:
      - 2
      - 0
    .max_flat_workgroup_size: 256
    .name:           _ZN7rocprim17ROCPRIM_400000_NS6detail17trampoline_kernelINS0_14default_configENS1_27upper_bound_config_selectorIN6thrust23THRUST_200600_302600_NS5tupleIiiNS6_9null_typeES8_S8_S8_S8_S8_S8_S8_EElEEZNS1_14transform_implILb0ES3_SA_NS6_6detail15normal_iteratorINS6_7pointerIS9_NS6_11hip_rocprim5par_tENS6_11use_defaultESH_EEEENSD_INSE_IlSG_SH_SH_EEEEZNS1_13binary_searchIS3_SA_NSD_INS6_10device_ptrIS9_EEEESJ_SL_NS1_21upper_bound_search_opENSC_16wrapped_functionINS6_6system6detail7generic6detail18binary_search_lessEbEEEE10hipError_tPvRmT1_T2_T3_mmT4_T5_P12ihipStream_tbEUlRKS9_E_EESY_S12_S13_mS14_S17_bEUlT_E_NS1_11comp_targetILNS1_3genE2ELNS1_11target_archE906ELNS1_3gpuE6ELNS1_3repE0EEENS1_30default_config_static_selectorELNS0_4arch9wavefront6targetE1EEEvS11_
    .private_segment_fixed_size: 0
    .sgpr_count:     22
    .sgpr_spill_count: 0
    .symbol:         _ZN7rocprim17ROCPRIM_400000_NS6detail17trampoline_kernelINS0_14default_configENS1_27upper_bound_config_selectorIN6thrust23THRUST_200600_302600_NS5tupleIiiNS6_9null_typeES8_S8_S8_S8_S8_S8_S8_EElEEZNS1_14transform_implILb0ES3_SA_NS6_6detail15normal_iteratorINS6_7pointerIS9_NS6_11hip_rocprim5par_tENS6_11use_defaultESH_EEEENSD_INSE_IlSG_SH_SH_EEEEZNS1_13binary_searchIS3_SA_NSD_INS6_10device_ptrIS9_EEEESJ_SL_NS1_21upper_bound_search_opENSC_16wrapped_functionINS6_6system6detail7generic6detail18binary_search_lessEbEEEE10hipError_tPvRmT1_T2_T3_mmT4_T5_P12ihipStream_tbEUlRKS9_E_EESY_S12_S13_mS14_S17_bEUlT_E_NS1_11comp_targetILNS1_3genE2ELNS1_11target_archE906ELNS1_3gpuE6ELNS1_3repE0EEENS1_30default_config_static_selectorELNS0_4arch9wavefront6targetE1EEEvS11_.kd
    .uniform_work_group_size: 1
    .uses_dynamic_stack: false
    .vgpr_count:     14
    .vgpr_spill_count: 0
    .wavefront_size: 64
  - .args:
      - .offset:         0
        .size:           56
        .value_kind:     by_value
    .group_segment_fixed_size: 0
    .kernarg_segment_align: 8
    .kernarg_segment_size: 56
    .language:       OpenCL C
    .language_version:
      - 2
      - 0
    .max_flat_workgroup_size: 128
    .name:           _ZN7rocprim17ROCPRIM_400000_NS6detail17trampoline_kernelINS0_14default_configENS1_27upper_bound_config_selectorIN6thrust23THRUST_200600_302600_NS5tupleIiiNS6_9null_typeES8_S8_S8_S8_S8_S8_S8_EElEEZNS1_14transform_implILb0ES3_SA_NS6_6detail15normal_iteratorINS6_7pointerIS9_NS6_11hip_rocprim5par_tENS6_11use_defaultESH_EEEENSD_INSE_IlSG_SH_SH_EEEEZNS1_13binary_searchIS3_SA_NSD_INS6_10device_ptrIS9_EEEESJ_SL_NS1_21upper_bound_search_opENSC_16wrapped_functionINS6_6system6detail7generic6detail18binary_search_lessEbEEEE10hipError_tPvRmT1_T2_T3_mmT4_T5_P12ihipStream_tbEUlRKS9_E_EESY_S12_S13_mS14_S17_bEUlT_E_NS1_11comp_targetILNS1_3genE10ELNS1_11target_archE1201ELNS1_3gpuE5ELNS1_3repE0EEENS1_30default_config_static_selectorELNS0_4arch9wavefront6targetE1EEEvS11_
    .private_segment_fixed_size: 0
    .sgpr_count:     4
    .sgpr_spill_count: 0
    .symbol:         _ZN7rocprim17ROCPRIM_400000_NS6detail17trampoline_kernelINS0_14default_configENS1_27upper_bound_config_selectorIN6thrust23THRUST_200600_302600_NS5tupleIiiNS6_9null_typeES8_S8_S8_S8_S8_S8_S8_EElEEZNS1_14transform_implILb0ES3_SA_NS6_6detail15normal_iteratorINS6_7pointerIS9_NS6_11hip_rocprim5par_tENS6_11use_defaultESH_EEEENSD_INSE_IlSG_SH_SH_EEEEZNS1_13binary_searchIS3_SA_NSD_INS6_10device_ptrIS9_EEEESJ_SL_NS1_21upper_bound_search_opENSC_16wrapped_functionINS6_6system6detail7generic6detail18binary_search_lessEbEEEE10hipError_tPvRmT1_T2_T3_mmT4_T5_P12ihipStream_tbEUlRKS9_E_EESY_S12_S13_mS14_S17_bEUlT_E_NS1_11comp_targetILNS1_3genE10ELNS1_11target_archE1201ELNS1_3gpuE5ELNS1_3repE0EEENS1_30default_config_static_selectorELNS0_4arch9wavefront6targetE1EEEvS11_.kd
    .uniform_work_group_size: 1
    .uses_dynamic_stack: false
    .vgpr_count:     0
    .vgpr_spill_count: 0
    .wavefront_size: 64
  - .args:
      - .offset:         0
        .size:           56
        .value_kind:     by_value
    .group_segment_fixed_size: 0
    .kernarg_segment_align: 8
    .kernarg_segment_size: 56
    .language:       OpenCL C
    .language_version:
      - 2
      - 0
    .max_flat_workgroup_size: 128
    .name:           _ZN7rocprim17ROCPRIM_400000_NS6detail17trampoline_kernelINS0_14default_configENS1_27upper_bound_config_selectorIN6thrust23THRUST_200600_302600_NS5tupleIiiNS6_9null_typeES8_S8_S8_S8_S8_S8_S8_EElEEZNS1_14transform_implILb0ES3_SA_NS6_6detail15normal_iteratorINS6_7pointerIS9_NS6_11hip_rocprim5par_tENS6_11use_defaultESH_EEEENSD_INSE_IlSG_SH_SH_EEEEZNS1_13binary_searchIS3_SA_NSD_INS6_10device_ptrIS9_EEEESJ_SL_NS1_21upper_bound_search_opENSC_16wrapped_functionINS6_6system6detail7generic6detail18binary_search_lessEbEEEE10hipError_tPvRmT1_T2_T3_mmT4_T5_P12ihipStream_tbEUlRKS9_E_EESY_S12_S13_mS14_S17_bEUlT_E_NS1_11comp_targetILNS1_3genE10ELNS1_11target_archE1200ELNS1_3gpuE4ELNS1_3repE0EEENS1_30default_config_static_selectorELNS0_4arch9wavefront6targetE1EEEvS11_
    .private_segment_fixed_size: 0
    .sgpr_count:     4
    .sgpr_spill_count: 0
    .symbol:         _ZN7rocprim17ROCPRIM_400000_NS6detail17trampoline_kernelINS0_14default_configENS1_27upper_bound_config_selectorIN6thrust23THRUST_200600_302600_NS5tupleIiiNS6_9null_typeES8_S8_S8_S8_S8_S8_S8_EElEEZNS1_14transform_implILb0ES3_SA_NS6_6detail15normal_iteratorINS6_7pointerIS9_NS6_11hip_rocprim5par_tENS6_11use_defaultESH_EEEENSD_INSE_IlSG_SH_SH_EEEEZNS1_13binary_searchIS3_SA_NSD_INS6_10device_ptrIS9_EEEESJ_SL_NS1_21upper_bound_search_opENSC_16wrapped_functionINS6_6system6detail7generic6detail18binary_search_lessEbEEEE10hipError_tPvRmT1_T2_T3_mmT4_T5_P12ihipStream_tbEUlRKS9_E_EESY_S12_S13_mS14_S17_bEUlT_E_NS1_11comp_targetILNS1_3genE10ELNS1_11target_archE1200ELNS1_3gpuE4ELNS1_3repE0EEENS1_30default_config_static_selectorELNS0_4arch9wavefront6targetE1EEEvS11_.kd
    .uniform_work_group_size: 1
    .uses_dynamic_stack: false
    .vgpr_count:     0
    .vgpr_spill_count: 0
    .wavefront_size: 64
  - .args:
      - .offset:         0
        .size:           56
        .value_kind:     by_value
    .group_segment_fixed_size: 0
    .kernarg_segment_align: 8
    .kernarg_segment_size: 56
    .language:       OpenCL C
    .language_version:
      - 2
      - 0
    .max_flat_workgroup_size: 256
    .name:           _ZN7rocprim17ROCPRIM_400000_NS6detail17trampoline_kernelINS0_14default_configENS1_27upper_bound_config_selectorIN6thrust23THRUST_200600_302600_NS5tupleIiiNS6_9null_typeES8_S8_S8_S8_S8_S8_S8_EElEEZNS1_14transform_implILb0ES3_SA_NS6_6detail15normal_iteratorINS6_7pointerIS9_NS6_11hip_rocprim5par_tENS6_11use_defaultESH_EEEENSD_INSE_IlSG_SH_SH_EEEEZNS1_13binary_searchIS3_SA_NSD_INS6_10device_ptrIS9_EEEESJ_SL_NS1_21upper_bound_search_opENSC_16wrapped_functionINS6_6system6detail7generic6detail18binary_search_lessEbEEEE10hipError_tPvRmT1_T2_T3_mmT4_T5_P12ihipStream_tbEUlRKS9_E_EESY_S12_S13_mS14_S17_bEUlT_E_NS1_11comp_targetILNS1_3genE9ELNS1_11target_archE1100ELNS1_3gpuE3ELNS1_3repE0EEENS1_30default_config_static_selectorELNS0_4arch9wavefront6targetE1EEEvS11_
    .private_segment_fixed_size: 0
    .sgpr_count:     4
    .sgpr_spill_count: 0
    .symbol:         _ZN7rocprim17ROCPRIM_400000_NS6detail17trampoline_kernelINS0_14default_configENS1_27upper_bound_config_selectorIN6thrust23THRUST_200600_302600_NS5tupleIiiNS6_9null_typeES8_S8_S8_S8_S8_S8_S8_EElEEZNS1_14transform_implILb0ES3_SA_NS6_6detail15normal_iteratorINS6_7pointerIS9_NS6_11hip_rocprim5par_tENS6_11use_defaultESH_EEEENSD_INSE_IlSG_SH_SH_EEEEZNS1_13binary_searchIS3_SA_NSD_INS6_10device_ptrIS9_EEEESJ_SL_NS1_21upper_bound_search_opENSC_16wrapped_functionINS6_6system6detail7generic6detail18binary_search_lessEbEEEE10hipError_tPvRmT1_T2_T3_mmT4_T5_P12ihipStream_tbEUlRKS9_E_EESY_S12_S13_mS14_S17_bEUlT_E_NS1_11comp_targetILNS1_3genE9ELNS1_11target_archE1100ELNS1_3gpuE3ELNS1_3repE0EEENS1_30default_config_static_selectorELNS0_4arch9wavefront6targetE1EEEvS11_.kd
    .uniform_work_group_size: 1
    .uses_dynamic_stack: false
    .vgpr_count:     0
    .vgpr_spill_count: 0
    .wavefront_size: 64
  - .args:
      - .offset:         0
        .size:           56
        .value_kind:     by_value
    .group_segment_fixed_size: 0
    .kernarg_segment_align: 8
    .kernarg_segment_size: 56
    .language:       OpenCL C
    .language_version:
      - 2
      - 0
    .max_flat_workgroup_size: 256
    .name:           _ZN7rocprim17ROCPRIM_400000_NS6detail17trampoline_kernelINS0_14default_configENS1_27upper_bound_config_selectorIN6thrust23THRUST_200600_302600_NS5tupleIiiNS6_9null_typeES8_S8_S8_S8_S8_S8_S8_EElEEZNS1_14transform_implILb0ES3_SA_NS6_6detail15normal_iteratorINS6_7pointerIS9_NS6_11hip_rocprim5par_tENS6_11use_defaultESH_EEEENSD_INSE_IlSG_SH_SH_EEEEZNS1_13binary_searchIS3_SA_NSD_INS6_10device_ptrIS9_EEEESJ_SL_NS1_21upper_bound_search_opENSC_16wrapped_functionINS6_6system6detail7generic6detail18binary_search_lessEbEEEE10hipError_tPvRmT1_T2_T3_mmT4_T5_P12ihipStream_tbEUlRKS9_E_EESY_S12_S13_mS14_S17_bEUlT_E_NS1_11comp_targetILNS1_3genE8ELNS1_11target_archE1030ELNS1_3gpuE2ELNS1_3repE0EEENS1_30default_config_static_selectorELNS0_4arch9wavefront6targetE1EEEvS11_
    .private_segment_fixed_size: 0
    .sgpr_count:     4
    .sgpr_spill_count: 0
    .symbol:         _ZN7rocprim17ROCPRIM_400000_NS6detail17trampoline_kernelINS0_14default_configENS1_27upper_bound_config_selectorIN6thrust23THRUST_200600_302600_NS5tupleIiiNS6_9null_typeES8_S8_S8_S8_S8_S8_S8_EElEEZNS1_14transform_implILb0ES3_SA_NS6_6detail15normal_iteratorINS6_7pointerIS9_NS6_11hip_rocprim5par_tENS6_11use_defaultESH_EEEENSD_INSE_IlSG_SH_SH_EEEEZNS1_13binary_searchIS3_SA_NSD_INS6_10device_ptrIS9_EEEESJ_SL_NS1_21upper_bound_search_opENSC_16wrapped_functionINS6_6system6detail7generic6detail18binary_search_lessEbEEEE10hipError_tPvRmT1_T2_T3_mmT4_T5_P12ihipStream_tbEUlRKS9_E_EESY_S12_S13_mS14_S17_bEUlT_E_NS1_11comp_targetILNS1_3genE8ELNS1_11target_archE1030ELNS1_3gpuE2ELNS1_3repE0EEENS1_30default_config_static_selectorELNS0_4arch9wavefront6targetE1EEEvS11_.kd
    .uniform_work_group_size: 1
    .uses_dynamic_stack: false
    .vgpr_count:     0
    .vgpr_spill_count: 0
    .wavefront_size: 64
  - .args:
      - .offset:         0
        .size:           56
        .value_kind:     by_value
    .group_segment_fixed_size: 0
    .kernarg_segment_align: 8
    .kernarg_segment_size: 56
    .language:       OpenCL C
    .language_version:
      - 2
      - 0
    .max_flat_workgroup_size: 256
    .name:           _ZN7rocprim17ROCPRIM_400000_NS6detail17trampoline_kernelINS0_14default_configENS1_27upper_bound_config_selectorIiiEEZNS1_14transform_implILb0ES3_S5_N6thrust23THRUST_200600_302600_NS6detail15normal_iteratorINS8_10device_ptrIiEEEESD_ZNS1_13binary_searchIS3_S5_SD_SD_SD_NS1_21upper_bound_search_opENS9_16wrapped_functionINS0_4lessIvEEbEEEE10hipError_tPvRmT1_T2_T3_mmT4_T5_P12ihipStream_tbEUlRKiE_EESK_SO_SP_mSQ_ST_bEUlT_E_NS1_11comp_targetILNS1_3genE0ELNS1_11target_archE4294967295ELNS1_3gpuE0ELNS1_3repE0EEENS1_30default_config_static_selectorELNS0_4arch9wavefront6targetE1EEEvSN_
    .private_segment_fixed_size: 0
    .sgpr_count:     4
    .sgpr_spill_count: 0
    .symbol:         _ZN7rocprim17ROCPRIM_400000_NS6detail17trampoline_kernelINS0_14default_configENS1_27upper_bound_config_selectorIiiEEZNS1_14transform_implILb0ES3_S5_N6thrust23THRUST_200600_302600_NS6detail15normal_iteratorINS8_10device_ptrIiEEEESD_ZNS1_13binary_searchIS3_S5_SD_SD_SD_NS1_21upper_bound_search_opENS9_16wrapped_functionINS0_4lessIvEEbEEEE10hipError_tPvRmT1_T2_T3_mmT4_T5_P12ihipStream_tbEUlRKiE_EESK_SO_SP_mSQ_ST_bEUlT_E_NS1_11comp_targetILNS1_3genE0ELNS1_11target_archE4294967295ELNS1_3gpuE0ELNS1_3repE0EEENS1_30default_config_static_selectorELNS0_4arch9wavefront6targetE1EEEvSN_.kd
    .uniform_work_group_size: 1
    .uses_dynamic_stack: false
    .vgpr_count:     0
    .vgpr_spill_count: 0
    .wavefront_size: 64
  - .args:
      - .offset:         0
        .size:           56
        .value_kind:     by_value
    .group_segment_fixed_size: 0
    .kernarg_segment_align: 8
    .kernarg_segment_size: 56
    .language:       OpenCL C
    .language_version:
      - 2
      - 0
    .max_flat_workgroup_size: 256
    .name:           _ZN7rocprim17ROCPRIM_400000_NS6detail17trampoline_kernelINS0_14default_configENS1_27upper_bound_config_selectorIiiEEZNS1_14transform_implILb0ES3_S5_N6thrust23THRUST_200600_302600_NS6detail15normal_iteratorINS8_10device_ptrIiEEEESD_ZNS1_13binary_searchIS3_S5_SD_SD_SD_NS1_21upper_bound_search_opENS9_16wrapped_functionINS0_4lessIvEEbEEEE10hipError_tPvRmT1_T2_T3_mmT4_T5_P12ihipStream_tbEUlRKiE_EESK_SO_SP_mSQ_ST_bEUlT_E_NS1_11comp_targetILNS1_3genE5ELNS1_11target_archE942ELNS1_3gpuE9ELNS1_3repE0EEENS1_30default_config_static_selectorELNS0_4arch9wavefront6targetE1EEEvSN_
    .private_segment_fixed_size: 0
    .sgpr_count:     4
    .sgpr_spill_count: 0
    .symbol:         _ZN7rocprim17ROCPRIM_400000_NS6detail17trampoline_kernelINS0_14default_configENS1_27upper_bound_config_selectorIiiEEZNS1_14transform_implILb0ES3_S5_N6thrust23THRUST_200600_302600_NS6detail15normal_iteratorINS8_10device_ptrIiEEEESD_ZNS1_13binary_searchIS3_S5_SD_SD_SD_NS1_21upper_bound_search_opENS9_16wrapped_functionINS0_4lessIvEEbEEEE10hipError_tPvRmT1_T2_T3_mmT4_T5_P12ihipStream_tbEUlRKiE_EESK_SO_SP_mSQ_ST_bEUlT_E_NS1_11comp_targetILNS1_3genE5ELNS1_11target_archE942ELNS1_3gpuE9ELNS1_3repE0EEENS1_30default_config_static_selectorELNS0_4arch9wavefront6targetE1EEEvSN_.kd
    .uniform_work_group_size: 1
    .uses_dynamic_stack: false
    .vgpr_count:     0
    .vgpr_spill_count: 0
    .wavefront_size: 64
  - .args:
      - .offset:         0
        .size:           56
        .value_kind:     by_value
    .group_segment_fixed_size: 0
    .kernarg_segment_align: 8
    .kernarg_segment_size: 56
    .language:       OpenCL C
    .language_version:
      - 2
      - 0
    .max_flat_workgroup_size: 256
    .name:           _ZN7rocprim17ROCPRIM_400000_NS6detail17trampoline_kernelINS0_14default_configENS1_27upper_bound_config_selectorIiiEEZNS1_14transform_implILb0ES3_S5_N6thrust23THRUST_200600_302600_NS6detail15normal_iteratorINS8_10device_ptrIiEEEESD_ZNS1_13binary_searchIS3_S5_SD_SD_SD_NS1_21upper_bound_search_opENS9_16wrapped_functionINS0_4lessIvEEbEEEE10hipError_tPvRmT1_T2_T3_mmT4_T5_P12ihipStream_tbEUlRKiE_EESK_SO_SP_mSQ_ST_bEUlT_E_NS1_11comp_targetILNS1_3genE4ELNS1_11target_archE910ELNS1_3gpuE8ELNS1_3repE0EEENS1_30default_config_static_selectorELNS0_4arch9wavefront6targetE1EEEvSN_
    .private_segment_fixed_size: 0
    .sgpr_count:     4
    .sgpr_spill_count: 0
    .symbol:         _ZN7rocprim17ROCPRIM_400000_NS6detail17trampoline_kernelINS0_14default_configENS1_27upper_bound_config_selectorIiiEEZNS1_14transform_implILb0ES3_S5_N6thrust23THRUST_200600_302600_NS6detail15normal_iteratorINS8_10device_ptrIiEEEESD_ZNS1_13binary_searchIS3_S5_SD_SD_SD_NS1_21upper_bound_search_opENS9_16wrapped_functionINS0_4lessIvEEbEEEE10hipError_tPvRmT1_T2_T3_mmT4_T5_P12ihipStream_tbEUlRKiE_EESK_SO_SP_mSQ_ST_bEUlT_E_NS1_11comp_targetILNS1_3genE4ELNS1_11target_archE910ELNS1_3gpuE8ELNS1_3repE0EEENS1_30default_config_static_selectorELNS0_4arch9wavefront6targetE1EEEvSN_.kd
    .uniform_work_group_size: 1
    .uses_dynamic_stack: false
    .vgpr_count:     0
    .vgpr_spill_count: 0
    .wavefront_size: 64
  - .args:
      - .offset:         0
        .size:           56
        .value_kind:     by_value
    .group_segment_fixed_size: 0
    .kernarg_segment_align: 8
    .kernarg_segment_size: 56
    .language:       OpenCL C
    .language_version:
      - 2
      - 0
    .max_flat_workgroup_size: 256
    .name:           _ZN7rocprim17ROCPRIM_400000_NS6detail17trampoline_kernelINS0_14default_configENS1_27upper_bound_config_selectorIiiEEZNS1_14transform_implILb0ES3_S5_N6thrust23THRUST_200600_302600_NS6detail15normal_iteratorINS8_10device_ptrIiEEEESD_ZNS1_13binary_searchIS3_S5_SD_SD_SD_NS1_21upper_bound_search_opENS9_16wrapped_functionINS0_4lessIvEEbEEEE10hipError_tPvRmT1_T2_T3_mmT4_T5_P12ihipStream_tbEUlRKiE_EESK_SO_SP_mSQ_ST_bEUlT_E_NS1_11comp_targetILNS1_3genE3ELNS1_11target_archE908ELNS1_3gpuE7ELNS1_3repE0EEENS1_30default_config_static_selectorELNS0_4arch9wavefront6targetE1EEEvSN_
    .private_segment_fixed_size: 0
    .sgpr_count:     4
    .sgpr_spill_count: 0
    .symbol:         _ZN7rocprim17ROCPRIM_400000_NS6detail17trampoline_kernelINS0_14default_configENS1_27upper_bound_config_selectorIiiEEZNS1_14transform_implILb0ES3_S5_N6thrust23THRUST_200600_302600_NS6detail15normal_iteratorINS8_10device_ptrIiEEEESD_ZNS1_13binary_searchIS3_S5_SD_SD_SD_NS1_21upper_bound_search_opENS9_16wrapped_functionINS0_4lessIvEEbEEEE10hipError_tPvRmT1_T2_T3_mmT4_T5_P12ihipStream_tbEUlRKiE_EESK_SO_SP_mSQ_ST_bEUlT_E_NS1_11comp_targetILNS1_3genE3ELNS1_11target_archE908ELNS1_3gpuE7ELNS1_3repE0EEENS1_30default_config_static_selectorELNS0_4arch9wavefront6targetE1EEEvSN_.kd
    .uniform_work_group_size: 1
    .uses_dynamic_stack: false
    .vgpr_count:     0
    .vgpr_spill_count: 0
    .wavefront_size: 64
  - .args:
      - .offset:         0
        .size:           56
        .value_kind:     by_value
      - .offset:         56
        .size:           4
        .value_kind:     hidden_block_count_x
      - .offset:         60
        .size:           4
        .value_kind:     hidden_block_count_y
      - .offset:         64
        .size:           4
        .value_kind:     hidden_block_count_z
      - .offset:         68
        .size:           2
        .value_kind:     hidden_group_size_x
      - .offset:         70
        .size:           2
        .value_kind:     hidden_group_size_y
      - .offset:         72
        .size:           2
        .value_kind:     hidden_group_size_z
      - .offset:         74
        .size:           2
        .value_kind:     hidden_remainder_x
      - .offset:         76
        .size:           2
        .value_kind:     hidden_remainder_y
      - .offset:         78
        .size:           2
        .value_kind:     hidden_remainder_z
      - .offset:         96
        .size:           8
        .value_kind:     hidden_global_offset_x
      - .offset:         104
        .size:           8
        .value_kind:     hidden_global_offset_y
      - .offset:         112
        .size:           8
        .value_kind:     hidden_global_offset_z
      - .offset:         120
        .size:           2
        .value_kind:     hidden_grid_dims
    .group_segment_fixed_size: 0
    .kernarg_segment_align: 8
    .kernarg_segment_size: 312
    .language:       OpenCL C
    .language_version:
      - 2
      - 0
    .max_flat_workgroup_size: 256
    .name:           _ZN7rocprim17ROCPRIM_400000_NS6detail17trampoline_kernelINS0_14default_configENS1_27upper_bound_config_selectorIiiEEZNS1_14transform_implILb0ES3_S5_N6thrust23THRUST_200600_302600_NS6detail15normal_iteratorINS8_10device_ptrIiEEEESD_ZNS1_13binary_searchIS3_S5_SD_SD_SD_NS1_21upper_bound_search_opENS9_16wrapped_functionINS0_4lessIvEEbEEEE10hipError_tPvRmT1_T2_T3_mmT4_T5_P12ihipStream_tbEUlRKiE_EESK_SO_SP_mSQ_ST_bEUlT_E_NS1_11comp_targetILNS1_3genE2ELNS1_11target_archE906ELNS1_3gpuE6ELNS1_3repE0EEENS1_30default_config_static_selectorELNS0_4arch9wavefront6targetE1EEEvSN_
    .private_segment_fixed_size: 0
    .sgpr_count:     24
    .sgpr_spill_count: 0
    .symbol:         _ZN7rocprim17ROCPRIM_400000_NS6detail17trampoline_kernelINS0_14default_configENS1_27upper_bound_config_selectorIiiEEZNS1_14transform_implILb0ES3_S5_N6thrust23THRUST_200600_302600_NS6detail15normal_iteratorINS8_10device_ptrIiEEEESD_ZNS1_13binary_searchIS3_S5_SD_SD_SD_NS1_21upper_bound_search_opENS9_16wrapped_functionINS0_4lessIvEEbEEEE10hipError_tPvRmT1_T2_T3_mmT4_T5_P12ihipStream_tbEUlRKiE_EESK_SO_SP_mSQ_ST_bEUlT_E_NS1_11comp_targetILNS1_3genE2ELNS1_11target_archE906ELNS1_3gpuE6ELNS1_3repE0EEENS1_30default_config_static_selectorELNS0_4arch9wavefront6targetE1EEEvSN_.kd
    .uniform_work_group_size: 1
    .uses_dynamic_stack: false
    .vgpr_count:     13
    .vgpr_spill_count: 0
    .wavefront_size: 64
  - .args:
      - .offset:         0
        .size:           56
        .value_kind:     by_value
    .group_segment_fixed_size: 0
    .kernarg_segment_align: 8
    .kernarg_segment_size: 56
    .language:       OpenCL C
    .language_version:
      - 2
      - 0
    .max_flat_workgroup_size: 128
    .name:           _ZN7rocprim17ROCPRIM_400000_NS6detail17trampoline_kernelINS0_14default_configENS1_27upper_bound_config_selectorIiiEEZNS1_14transform_implILb0ES3_S5_N6thrust23THRUST_200600_302600_NS6detail15normal_iteratorINS8_10device_ptrIiEEEESD_ZNS1_13binary_searchIS3_S5_SD_SD_SD_NS1_21upper_bound_search_opENS9_16wrapped_functionINS0_4lessIvEEbEEEE10hipError_tPvRmT1_T2_T3_mmT4_T5_P12ihipStream_tbEUlRKiE_EESK_SO_SP_mSQ_ST_bEUlT_E_NS1_11comp_targetILNS1_3genE10ELNS1_11target_archE1201ELNS1_3gpuE5ELNS1_3repE0EEENS1_30default_config_static_selectorELNS0_4arch9wavefront6targetE1EEEvSN_
    .private_segment_fixed_size: 0
    .sgpr_count:     4
    .sgpr_spill_count: 0
    .symbol:         _ZN7rocprim17ROCPRIM_400000_NS6detail17trampoline_kernelINS0_14default_configENS1_27upper_bound_config_selectorIiiEEZNS1_14transform_implILb0ES3_S5_N6thrust23THRUST_200600_302600_NS6detail15normal_iteratorINS8_10device_ptrIiEEEESD_ZNS1_13binary_searchIS3_S5_SD_SD_SD_NS1_21upper_bound_search_opENS9_16wrapped_functionINS0_4lessIvEEbEEEE10hipError_tPvRmT1_T2_T3_mmT4_T5_P12ihipStream_tbEUlRKiE_EESK_SO_SP_mSQ_ST_bEUlT_E_NS1_11comp_targetILNS1_3genE10ELNS1_11target_archE1201ELNS1_3gpuE5ELNS1_3repE0EEENS1_30default_config_static_selectorELNS0_4arch9wavefront6targetE1EEEvSN_.kd
    .uniform_work_group_size: 1
    .uses_dynamic_stack: false
    .vgpr_count:     0
    .vgpr_spill_count: 0
    .wavefront_size: 64
  - .args:
      - .offset:         0
        .size:           56
        .value_kind:     by_value
    .group_segment_fixed_size: 0
    .kernarg_segment_align: 8
    .kernarg_segment_size: 56
    .language:       OpenCL C
    .language_version:
      - 2
      - 0
    .max_flat_workgroup_size: 128
    .name:           _ZN7rocprim17ROCPRIM_400000_NS6detail17trampoline_kernelINS0_14default_configENS1_27upper_bound_config_selectorIiiEEZNS1_14transform_implILb0ES3_S5_N6thrust23THRUST_200600_302600_NS6detail15normal_iteratorINS8_10device_ptrIiEEEESD_ZNS1_13binary_searchIS3_S5_SD_SD_SD_NS1_21upper_bound_search_opENS9_16wrapped_functionINS0_4lessIvEEbEEEE10hipError_tPvRmT1_T2_T3_mmT4_T5_P12ihipStream_tbEUlRKiE_EESK_SO_SP_mSQ_ST_bEUlT_E_NS1_11comp_targetILNS1_3genE10ELNS1_11target_archE1200ELNS1_3gpuE4ELNS1_3repE0EEENS1_30default_config_static_selectorELNS0_4arch9wavefront6targetE1EEEvSN_
    .private_segment_fixed_size: 0
    .sgpr_count:     4
    .sgpr_spill_count: 0
    .symbol:         _ZN7rocprim17ROCPRIM_400000_NS6detail17trampoline_kernelINS0_14default_configENS1_27upper_bound_config_selectorIiiEEZNS1_14transform_implILb0ES3_S5_N6thrust23THRUST_200600_302600_NS6detail15normal_iteratorINS8_10device_ptrIiEEEESD_ZNS1_13binary_searchIS3_S5_SD_SD_SD_NS1_21upper_bound_search_opENS9_16wrapped_functionINS0_4lessIvEEbEEEE10hipError_tPvRmT1_T2_T3_mmT4_T5_P12ihipStream_tbEUlRKiE_EESK_SO_SP_mSQ_ST_bEUlT_E_NS1_11comp_targetILNS1_3genE10ELNS1_11target_archE1200ELNS1_3gpuE4ELNS1_3repE0EEENS1_30default_config_static_selectorELNS0_4arch9wavefront6targetE1EEEvSN_.kd
    .uniform_work_group_size: 1
    .uses_dynamic_stack: false
    .vgpr_count:     0
    .vgpr_spill_count: 0
    .wavefront_size: 64
  - .args:
      - .offset:         0
        .size:           56
        .value_kind:     by_value
    .group_segment_fixed_size: 0
    .kernarg_segment_align: 8
    .kernarg_segment_size: 56
    .language:       OpenCL C
    .language_version:
      - 2
      - 0
    .max_flat_workgroup_size: 256
    .name:           _ZN7rocprim17ROCPRIM_400000_NS6detail17trampoline_kernelINS0_14default_configENS1_27upper_bound_config_selectorIiiEEZNS1_14transform_implILb0ES3_S5_N6thrust23THRUST_200600_302600_NS6detail15normal_iteratorINS8_10device_ptrIiEEEESD_ZNS1_13binary_searchIS3_S5_SD_SD_SD_NS1_21upper_bound_search_opENS9_16wrapped_functionINS0_4lessIvEEbEEEE10hipError_tPvRmT1_T2_T3_mmT4_T5_P12ihipStream_tbEUlRKiE_EESK_SO_SP_mSQ_ST_bEUlT_E_NS1_11comp_targetILNS1_3genE9ELNS1_11target_archE1100ELNS1_3gpuE3ELNS1_3repE0EEENS1_30default_config_static_selectorELNS0_4arch9wavefront6targetE1EEEvSN_
    .private_segment_fixed_size: 0
    .sgpr_count:     4
    .sgpr_spill_count: 0
    .symbol:         _ZN7rocprim17ROCPRIM_400000_NS6detail17trampoline_kernelINS0_14default_configENS1_27upper_bound_config_selectorIiiEEZNS1_14transform_implILb0ES3_S5_N6thrust23THRUST_200600_302600_NS6detail15normal_iteratorINS8_10device_ptrIiEEEESD_ZNS1_13binary_searchIS3_S5_SD_SD_SD_NS1_21upper_bound_search_opENS9_16wrapped_functionINS0_4lessIvEEbEEEE10hipError_tPvRmT1_T2_T3_mmT4_T5_P12ihipStream_tbEUlRKiE_EESK_SO_SP_mSQ_ST_bEUlT_E_NS1_11comp_targetILNS1_3genE9ELNS1_11target_archE1100ELNS1_3gpuE3ELNS1_3repE0EEENS1_30default_config_static_selectorELNS0_4arch9wavefront6targetE1EEEvSN_.kd
    .uniform_work_group_size: 1
    .uses_dynamic_stack: false
    .vgpr_count:     0
    .vgpr_spill_count: 0
    .wavefront_size: 64
  - .args:
      - .offset:         0
        .size:           56
        .value_kind:     by_value
    .group_segment_fixed_size: 0
    .kernarg_segment_align: 8
    .kernarg_segment_size: 56
    .language:       OpenCL C
    .language_version:
      - 2
      - 0
    .max_flat_workgroup_size: 256
    .name:           _ZN7rocprim17ROCPRIM_400000_NS6detail17trampoline_kernelINS0_14default_configENS1_27upper_bound_config_selectorIiiEEZNS1_14transform_implILb0ES3_S5_N6thrust23THRUST_200600_302600_NS6detail15normal_iteratorINS8_10device_ptrIiEEEESD_ZNS1_13binary_searchIS3_S5_SD_SD_SD_NS1_21upper_bound_search_opENS9_16wrapped_functionINS0_4lessIvEEbEEEE10hipError_tPvRmT1_T2_T3_mmT4_T5_P12ihipStream_tbEUlRKiE_EESK_SO_SP_mSQ_ST_bEUlT_E_NS1_11comp_targetILNS1_3genE8ELNS1_11target_archE1030ELNS1_3gpuE2ELNS1_3repE0EEENS1_30default_config_static_selectorELNS0_4arch9wavefront6targetE1EEEvSN_
    .private_segment_fixed_size: 0
    .sgpr_count:     4
    .sgpr_spill_count: 0
    .symbol:         _ZN7rocprim17ROCPRIM_400000_NS6detail17trampoline_kernelINS0_14default_configENS1_27upper_bound_config_selectorIiiEEZNS1_14transform_implILb0ES3_S5_N6thrust23THRUST_200600_302600_NS6detail15normal_iteratorINS8_10device_ptrIiEEEESD_ZNS1_13binary_searchIS3_S5_SD_SD_SD_NS1_21upper_bound_search_opENS9_16wrapped_functionINS0_4lessIvEEbEEEE10hipError_tPvRmT1_T2_T3_mmT4_T5_P12ihipStream_tbEUlRKiE_EESK_SO_SP_mSQ_ST_bEUlT_E_NS1_11comp_targetILNS1_3genE8ELNS1_11target_archE1030ELNS1_3gpuE2ELNS1_3repE0EEENS1_30default_config_static_selectorELNS0_4arch9wavefront6targetE1EEEvSN_.kd
    .uniform_work_group_size: 1
    .uses_dynamic_stack: false
    .vgpr_count:     0
    .vgpr_spill_count: 0
    .wavefront_size: 64
  - .args:
      - .offset:         0
        .size:           56
        .value_kind:     by_value
    .group_segment_fixed_size: 0
    .kernarg_segment_align: 8
    .kernarg_segment_size: 56
    .language:       OpenCL C
    .language_version:
      - 2
      - 0
    .max_flat_workgroup_size: 64
    .name:           _ZN7rocprim17ROCPRIM_400000_NS6detail17trampoline_kernelINS0_14default_configENS1_27upper_bound_config_selectorIN6thrust23THRUST_200600_302600_NS5tupleIiiNS6_9null_typeES8_S8_S8_S8_S8_S8_S8_EEiEEZNS1_14transform_implILb0ES3_SA_NS6_6detail15normal_iteratorINS6_10device_ptrIS9_EEEENSD_INSE_IiEEEEZNS1_13binary_searchIS3_SA_SG_SG_SI_NS1_21upper_bound_search_opENSC_16wrapped_functionINS0_4lessIvEEbEEEE10hipError_tPvRmT1_T2_T3_mmT4_T5_P12ihipStream_tbEUlRKS9_E_EESP_ST_SU_mSV_SY_bEUlT_E_NS1_11comp_targetILNS1_3genE0ELNS1_11target_archE4294967295ELNS1_3gpuE0ELNS1_3repE0EEENS1_30default_config_static_selectorELNS0_4arch9wavefront6targetE1EEEvSS_
    .private_segment_fixed_size: 0
    .sgpr_count:     4
    .sgpr_spill_count: 0
    .symbol:         _ZN7rocprim17ROCPRIM_400000_NS6detail17trampoline_kernelINS0_14default_configENS1_27upper_bound_config_selectorIN6thrust23THRUST_200600_302600_NS5tupleIiiNS6_9null_typeES8_S8_S8_S8_S8_S8_S8_EEiEEZNS1_14transform_implILb0ES3_SA_NS6_6detail15normal_iteratorINS6_10device_ptrIS9_EEEENSD_INSE_IiEEEEZNS1_13binary_searchIS3_SA_SG_SG_SI_NS1_21upper_bound_search_opENSC_16wrapped_functionINS0_4lessIvEEbEEEE10hipError_tPvRmT1_T2_T3_mmT4_T5_P12ihipStream_tbEUlRKS9_E_EESP_ST_SU_mSV_SY_bEUlT_E_NS1_11comp_targetILNS1_3genE0ELNS1_11target_archE4294967295ELNS1_3gpuE0ELNS1_3repE0EEENS1_30default_config_static_selectorELNS0_4arch9wavefront6targetE1EEEvSS_.kd
    .uniform_work_group_size: 1
    .uses_dynamic_stack: false
    .vgpr_count:     0
    .vgpr_spill_count: 0
    .wavefront_size: 64
  - .args:
      - .offset:         0
        .size:           56
        .value_kind:     by_value
    .group_segment_fixed_size: 0
    .kernarg_segment_align: 8
    .kernarg_segment_size: 56
    .language:       OpenCL C
    .language_version:
      - 2
      - 0
    .max_flat_workgroup_size: 64
    .name:           _ZN7rocprim17ROCPRIM_400000_NS6detail17trampoline_kernelINS0_14default_configENS1_27upper_bound_config_selectorIN6thrust23THRUST_200600_302600_NS5tupleIiiNS6_9null_typeES8_S8_S8_S8_S8_S8_S8_EEiEEZNS1_14transform_implILb0ES3_SA_NS6_6detail15normal_iteratorINS6_10device_ptrIS9_EEEENSD_INSE_IiEEEEZNS1_13binary_searchIS3_SA_SG_SG_SI_NS1_21upper_bound_search_opENSC_16wrapped_functionINS0_4lessIvEEbEEEE10hipError_tPvRmT1_T2_T3_mmT4_T5_P12ihipStream_tbEUlRKS9_E_EESP_ST_SU_mSV_SY_bEUlT_E_NS1_11comp_targetILNS1_3genE5ELNS1_11target_archE942ELNS1_3gpuE9ELNS1_3repE0EEENS1_30default_config_static_selectorELNS0_4arch9wavefront6targetE1EEEvSS_
    .private_segment_fixed_size: 0
    .sgpr_count:     4
    .sgpr_spill_count: 0
    .symbol:         _ZN7rocprim17ROCPRIM_400000_NS6detail17trampoline_kernelINS0_14default_configENS1_27upper_bound_config_selectorIN6thrust23THRUST_200600_302600_NS5tupleIiiNS6_9null_typeES8_S8_S8_S8_S8_S8_S8_EEiEEZNS1_14transform_implILb0ES3_SA_NS6_6detail15normal_iteratorINS6_10device_ptrIS9_EEEENSD_INSE_IiEEEEZNS1_13binary_searchIS3_SA_SG_SG_SI_NS1_21upper_bound_search_opENSC_16wrapped_functionINS0_4lessIvEEbEEEE10hipError_tPvRmT1_T2_T3_mmT4_T5_P12ihipStream_tbEUlRKS9_E_EESP_ST_SU_mSV_SY_bEUlT_E_NS1_11comp_targetILNS1_3genE5ELNS1_11target_archE942ELNS1_3gpuE9ELNS1_3repE0EEENS1_30default_config_static_selectorELNS0_4arch9wavefront6targetE1EEEvSS_.kd
    .uniform_work_group_size: 1
    .uses_dynamic_stack: false
    .vgpr_count:     0
    .vgpr_spill_count: 0
    .wavefront_size: 64
  - .args:
      - .offset:         0
        .size:           56
        .value_kind:     by_value
    .group_segment_fixed_size: 0
    .kernarg_segment_align: 8
    .kernarg_segment_size: 56
    .language:       OpenCL C
    .language_version:
      - 2
      - 0
    .max_flat_workgroup_size: 64
    .name:           _ZN7rocprim17ROCPRIM_400000_NS6detail17trampoline_kernelINS0_14default_configENS1_27upper_bound_config_selectorIN6thrust23THRUST_200600_302600_NS5tupleIiiNS6_9null_typeES8_S8_S8_S8_S8_S8_S8_EEiEEZNS1_14transform_implILb0ES3_SA_NS6_6detail15normal_iteratorINS6_10device_ptrIS9_EEEENSD_INSE_IiEEEEZNS1_13binary_searchIS3_SA_SG_SG_SI_NS1_21upper_bound_search_opENSC_16wrapped_functionINS0_4lessIvEEbEEEE10hipError_tPvRmT1_T2_T3_mmT4_T5_P12ihipStream_tbEUlRKS9_E_EESP_ST_SU_mSV_SY_bEUlT_E_NS1_11comp_targetILNS1_3genE4ELNS1_11target_archE910ELNS1_3gpuE8ELNS1_3repE0EEENS1_30default_config_static_selectorELNS0_4arch9wavefront6targetE1EEEvSS_
    .private_segment_fixed_size: 0
    .sgpr_count:     4
    .sgpr_spill_count: 0
    .symbol:         _ZN7rocprim17ROCPRIM_400000_NS6detail17trampoline_kernelINS0_14default_configENS1_27upper_bound_config_selectorIN6thrust23THRUST_200600_302600_NS5tupleIiiNS6_9null_typeES8_S8_S8_S8_S8_S8_S8_EEiEEZNS1_14transform_implILb0ES3_SA_NS6_6detail15normal_iteratorINS6_10device_ptrIS9_EEEENSD_INSE_IiEEEEZNS1_13binary_searchIS3_SA_SG_SG_SI_NS1_21upper_bound_search_opENSC_16wrapped_functionINS0_4lessIvEEbEEEE10hipError_tPvRmT1_T2_T3_mmT4_T5_P12ihipStream_tbEUlRKS9_E_EESP_ST_SU_mSV_SY_bEUlT_E_NS1_11comp_targetILNS1_3genE4ELNS1_11target_archE910ELNS1_3gpuE8ELNS1_3repE0EEENS1_30default_config_static_selectorELNS0_4arch9wavefront6targetE1EEEvSS_.kd
    .uniform_work_group_size: 1
    .uses_dynamic_stack: false
    .vgpr_count:     0
    .vgpr_spill_count: 0
    .wavefront_size: 64
  - .args:
      - .offset:         0
        .size:           56
        .value_kind:     by_value
    .group_segment_fixed_size: 0
    .kernarg_segment_align: 8
    .kernarg_segment_size: 56
    .language:       OpenCL C
    .language_version:
      - 2
      - 0
    .max_flat_workgroup_size: 64
    .name:           _ZN7rocprim17ROCPRIM_400000_NS6detail17trampoline_kernelINS0_14default_configENS1_27upper_bound_config_selectorIN6thrust23THRUST_200600_302600_NS5tupleIiiNS6_9null_typeES8_S8_S8_S8_S8_S8_S8_EEiEEZNS1_14transform_implILb0ES3_SA_NS6_6detail15normal_iteratorINS6_10device_ptrIS9_EEEENSD_INSE_IiEEEEZNS1_13binary_searchIS3_SA_SG_SG_SI_NS1_21upper_bound_search_opENSC_16wrapped_functionINS0_4lessIvEEbEEEE10hipError_tPvRmT1_T2_T3_mmT4_T5_P12ihipStream_tbEUlRKS9_E_EESP_ST_SU_mSV_SY_bEUlT_E_NS1_11comp_targetILNS1_3genE3ELNS1_11target_archE908ELNS1_3gpuE7ELNS1_3repE0EEENS1_30default_config_static_selectorELNS0_4arch9wavefront6targetE1EEEvSS_
    .private_segment_fixed_size: 0
    .sgpr_count:     4
    .sgpr_spill_count: 0
    .symbol:         _ZN7rocprim17ROCPRIM_400000_NS6detail17trampoline_kernelINS0_14default_configENS1_27upper_bound_config_selectorIN6thrust23THRUST_200600_302600_NS5tupleIiiNS6_9null_typeES8_S8_S8_S8_S8_S8_S8_EEiEEZNS1_14transform_implILb0ES3_SA_NS6_6detail15normal_iteratorINS6_10device_ptrIS9_EEEENSD_INSE_IiEEEEZNS1_13binary_searchIS3_SA_SG_SG_SI_NS1_21upper_bound_search_opENSC_16wrapped_functionINS0_4lessIvEEbEEEE10hipError_tPvRmT1_T2_T3_mmT4_T5_P12ihipStream_tbEUlRKS9_E_EESP_ST_SU_mSV_SY_bEUlT_E_NS1_11comp_targetILNS1_3genE3ELNS1_11target_archE908ELNS1_3gpuE7ELNS1_3repE0EEENS1_30default_config_static_selectorELNS0_4arch9wavefront6targetE1EEEvSS_.kd
    .uniform_work_group_size: 1
    .uses_dynamic_stack: false
    .vgpr_count:     0
    .vgpr_spill_count: 0
    .wavefront_size: 64
  - .args:
      - .offset:         0
        .size:           56
        .value_kind:     by_value
      - .offset:         56
        .size:           4
        .value_kind:     hidden_block_count_x
      - .offset:         60
        .size:           4
        .value_kind:     hidden_block_count_y
      - .offset:         64
        .size:           4
        .value_kind:     hidden_block_count_z
      - .offset:         68
        .size:           2
        .value_kind:     hidden_group_size_x
      - .offset:         70
        .size:           2
        .value_kind:     hidden_group_size_y
      - .offset:         72
        .size:           2
        .value_kind:     hidden_group_size_z
      - .offset:         74
        .size:           2
        .value_kind:     hidden_remainder_x
      - .offset:         76
        .size:           2
        .value_kind:     hidden_remainder_y
      - .offset:         78
        .size:           2
        .value_kind:     hidden_remainder_z
      - .offset:         96
        .size:           8
        .value_kind:     hidden_global_offset_x
      - .offset:         104
        .size:           8
        .value_kind:     hidden_global_offset_y
      - .offset:         112
        .size:           8
        .value_kind:     hidden_global_offset_z
      - .offset:         120
        .size:           2
        .value_kind:     hidden_grid_dims
    .group_segment_fixed_size: 0
    .kernarg_segment_align: 8
    .kernarg_segment_size: 312
    .language:       OpenCL C
    .language_version:
      - 2
      - 0
    .max_flat_workgroup_size: 256
    .name:           _ZN7rocprim17ROCPRIM_400000_NS6detail17trampoline_kernelINS0_14default_configENS1_27upper_bound_config_selectorIN6thrust23THRUST_200600_302600_NS5tupleIiiNS6_9null_typeES8_S8_S8_S8_S8_S8_S8_EEiEEZNS1_14transform_implILb0ES3_SA_NS6_6detail15normal_iteratorINS6_10device_ptrIS9_EEEENSD_INSE_IiEEEEZNS1_13binary_searchIS3_SA_SG_SG_SI_NS1_21upper_bound_search_opENSC_16wrapped_functionINS0_4lessIvEEbEEEE10hipError_tPvRmT1_T2_T3_mmT4_T5_P12ihipStream_tbEUlRKS9_E_EESP_ST_SU_mSV_SY_bEUlT_E_NS1_11comp_targetILNS1_3genE2ELNS1_11target_archE906ELNS1_3gpuE6ELNS1_3repE0EEENS1_30default_config_static_selectorELNS0_4arch9wavefront6targetE1EEEvSS_
    .private_segment_fixed_size: 0
    .sgpr_count:     26
    .sgpr_spill_count: 0
    .symbol:         _ZN7rocprim17ROCPRIM_400000_NS6detail17trampoline_kernelINS0_14default_configENS1_27upper_bound_config_selectorIN6thrust23THRUST_200600_302600_NS5tupleIiiNS6_9null_typeES8_S8_S8_S8_S8_S8_S8_EEiEEZNS1_14transform_implILb0ES3_SA_NS6_6detail15normal_iteratorINS6_10device_ptrIS9_EEEENSD_INSE_IiEEEEZNS1_13binary_searchIS3_SA_SG_SG_SI_NS1_21upper_bound_search_opENSC_16wrapped_functionINS0_4lessIvEEbEEEE10hipError_tPvRmT1_T2_T3_mmT4_T5_P12ihipStream_tbEUlRKS9_E_EESP_ST_SU_mSV_SY_bEUlT_E_NS1_11comp_targetILNS1_3genE2ELNS1_11target_archE906ELNS1_3gpuE6ELNS1_3repE0EEENS1_30default_config_static_selectorELNS0_4arch9wavefront6targetE1EEEvSS_.kd
    .uniform_work_group_size: 1
    .uses_dynamic_stack: false
    .vgpr_count:     15
    .vgpr_spill_count: 0
    .wavefront_size: 64
  - .args:
      - .offset:         0
        .size:           56
        .value_kind:     by_value
    .group_segment_fixed_size: 0
    .kernarg_segment_align: 8
    .kernarg_segment_size: 56
    .language:       OpenCL C
    .language_version:
      - 2
      - 0
    .max_flat_workgroup_size: 128
    .name:           _ZN7rocprim17ROCPRIM_400000_NS6detail17trampoline_kernelINS0_14default_configENS1_27upper_bound_config_selectorIN6thrust23THRUST_200600_302600_NS5tupleIiiNS6_9null_typeES8_S8_S8_S8_S8_S8_S8_EEiEEZNS1_14transform_implILb0ES3_SA_NS6_6detail15normal_iteratorINS6_10device_ptrIS9_EEEENSD_INSE_IiEEEEZNS1_13binary_searchIS3_SA_SG_SG_SI_NS1_21upper_bound_search_opENSC_16wrapped_functionINS0_4lessIvEEbEEEE10hipError_tPvRmT1_T2_T3_mmT4_T5_P12ihipStream_tbEUlRKS9_E_EESP_ST_SU_mSV_SY_bEUlT_E_NS1_11comp_targetILNS1_3genE10ELNS1_11target_archE1201ELNS1_3gpuE5ELNS1_3repE0EEENS1_30default_config_static_selectorELNS0_4arch9wavefront6targetE1EEEvSS_
    .private_segment_fixed_size: 0
    .sgpr_count:     4
    .sgpr_spill_count: 0
    .symbol:         _ZN7rocprim17ROCPRIM_400000_NS6detail17trampoline_kernelINS0_14default_configENS1_27upper_bound_config_selectorIN6thrust23THRUST_200600_302600_NS5tupleIiiNS6_9null_typeES8_S8_S8_S8_S8_S8_S8_EEiEEZNS1_14transform_implILb0ES3_SA_NS6_6detail15normal_iteratorINS6_10device_ptrIS9_EEEENSD_INSE_IiEEEEZNS1_13binary_searchIS3_SA_SG_SG_SI_NS1_21upper_bound_search_opENSC_16wrapped_functionINS0_4lessIvEEbEEEE10hipError_tPvRmT1_T2_T3_mmT4_T5_P12ihipStream_tbEUlRKS9_E_EESP_ST_SU_mSV_SY_bEUlT_E_NS1_11comp_targetILNS1_3genE10ELNS1_11target_archE1201ELNS1_3gpuE5ELNS1_3repE0EEENS1_30default_config_static_selectorELNS0_4arch9wavefront6targetE1EEEvSS_.kd
    .uniform_work_group_size: 1
    .uses_dynamic_stack: false
    .vgpr_count:     0
    .vgpr_spill_count: 0
    .wavefront_size: 64
  - .args:
      - .offset:         0
        .size:           56
        .value_kind:     by_value
    .group_segment_fixed_size: 0
    .kernarg_segment_align: 8
    .kernarg_segment_size: 56
    .language:       OpenCL C
    .language_version:
      - 2
      - 0
    .max_flat_workgroup_size: 128
    .name:           _ZN7rocprim17ROCPRIM_400000_NS6detail17trampoline_kernelINS0_14default_configENS1_27upper_bound_config_selectorIN6thrust23THRUST_200600_302600_NS5tupleIiiNS6_9null_typeES8_S8_S8_S8_S8_S8_S8_EEiEEZNS1_14transform_implILb0ES3_SA_NS6_6detail15normal_iteratorINS6_10device_ptrIS9_EEEENSD_INSE_IiEEEEZNS1_13binary_searchIS3_SA_SG_SG_SI_NS1_21upper_bound_search_opENSC_16wrapped_functionINS0_4lessIvEEbEEEE10hipError_tPvRmT1_T2_T3_mmT4_T5_P12ihipStream_tbEUlRKS9_E_EESP_ST_SU_mSV_SY_bEUlT_E_NS1_11comp_targetILNS1_3genE10ELNS1_11target_archE1200ELNS1_3gpuE4ELNS1_3repE0EEENS1_30default_config_static_selectorELNS0_4arch9wavefront6targetE1EEEvSS_
    .private_segment_fixed_size: 0
    .sgpr_count:     4
    .sgpr_spill_count: 0
    .symbol:         _ZN7rocprim17ROCPRIM_400000_NS6detail17trampoline_kernelINS0_14default_configENS1_27upper_bound_config_selectorIN6thrust23THRUST_200600_302600_NS5tupleIiiNS6_9null_typeES8_S8_S8_S8_S8_S8_S8_EEiEEZNS1_14transform_implILb0ES3_SA_NS6_6detail15normal_iteratorINS6_10device_ptrIS9_EEEENSD_INSE_IiEEEEZNS1_13binary_searchIS3_SA_SG_SG_SI_NS1_21upper_bound_search_opENSC_16wrapped_functionINS0_4lessIvEEbEEEE10hipError_tPvRmT1_T2_T3_mmT4_T5_P12ihipStream_tbEUlRKS9_E_EESP_ST_SU_mSV_SY_bEUlT_E_NS1_11comp_targetILNS1_3genE10ELNS1_11target_archE1200ELNS1_3gpuE4ELNS1_3repE0EEENS1_30default_config_static_selectorELNS0_4arch9wavefront6targetE1EEEvSS_.kd
    .uniform_work_group_size: 1
    .uses_dynamic_stack: false
    .vgpr_count:     0
    .vgpr_spill_count: 0
    .wavefront_size: 64
  - .args:
      - .offset:         0
        .size:           56
        .value_kind:     by_value
    .group_segment_fixed_size: 0
    .kernarg_segment_align: 8
    .kernarg_segment_size: 56
    .language:       OpenCL C
    .language_version:
      - 2
      - 0
    .max_flat_workgroup_size: 64
    .name:           _ZN7rocprim17ROCPRIM_400000_NS6detail17trampoline_kernelINS0_14default_configENS1_27upper_bound_config_selectorIN6thrust23THRUST_200600_302600_NS5tupleIiiNS6_9null_typeES8_S8_S8_S8_S8_S8_S8_EEiEEZNS1_14transform_implILb0ES3_SA_NS6_6detail15normal_iteratorINS6_10device_ptrIS9_EEEENSD_INSE_IiEEEEZNS1_13binary_searchIS3_SA_SG_SG_SI_NS1_21upper_bound_search_opENSC_16wrapped_functionINS0_4lessIvEEbEEEE10hipError_tPvRmT1_T2_T3_mmT4_T5_P12ihipStream_tbEUlRKS9_E_EESP_ST_SU_mSV_SY_bEUlT_E_NS1_11comp_targetILNS1_3genE9ELNS1_11target_archE1100ELNS1_3gpuE3ELNS1_3repE0EEENS1_30default_config_static_selectorELNS0_4arch9wavefront6targetE1EEEvSS_
    .private_segment_fixed_size: 0
    .sgpr_count:     4
    .sgpr_spill_count: 0
    .symbol:         _ZN7rocprim17ROCPRIM_400000_NS6detail17trampoline_kernelINS0_14default_configENS1_27upper_bound_config_selectorIN6thrust23THRUST_200600_302600_NS5tupleIiiNS6_9null_typeES8_S8_S8_S8_S8_S8_S8_EEiEEZNS1_14transform_implILb0ES3_SA_NS6_6detail15normal_iteratorINS6_10device_ptrIS9_EEEENSD_INSE_IiEEEEZNS1_13binary_searchIS3_SA_SG_SG_SI_NS1_21upper_bound_search_opENSC_16wrapped_functionINS0_4lessIvEEbEEEE10hipError_tPvRmT1_T2_T3_mmT4_T5_P12ihipStream_tbEUlRKS9_E_EESP_ST_SU_mSV_SY_bEUlT_E_NS1_11comp_targetILNS1_3genE9ELNS1_11target_archE1100ELNS1_3gpuE3ELNS1_3repE0EEENS1_30default_config_static_selectorELNS0_4arch9wavefront6targetE1EEEvSS_.kd
    .uniform_work_group_size: 1
    .uses_dynamic_stack: false
    .vgpr_count:     0
    .vgpr_spill_count: 0
    .wavefront_size: 64
  - .args:
      - .offset:         0
        .size:           56
        .value_kind:     by_value
    .group_segment_fixed_size: 0
    .kernarg_segment_align: 8
    .kernarg_segment_size: 56
    .language:       OpenCL C
    .language_version:
      - 2
      - 0
    .max_flat_workgroup_size: 256
    .name:           _ZN7rocprim17ROCPRIM_400000_NS6detail17trampoline_kernelINS0_14default_configENS1_27upper_bound_config_selectorIN6thrust23THRUST_200600_302600_NS5tupleIiiNS6_9null_typeES8_S8_S8_S8_S8_S8_S8_EEiEEZNS1_14transform_implILb0ES3_SA_NS6_6detail15normal_iteratorINS6_10device_ptrIS9_EEEENSD_INSE_IiEEEEZNS1_13binary_searchIS3_SA_SG_SG_SI_NS1_21upper_bound_search_opENSC_16wrapped_functionINS0_4lessIvEEbEEEE10hipError_tPvRmT1_T2_T3_mmT4_T5_P12ihipStream_tbEUlRKS9_E_EESP_ST_SU_mSV_SY_bEUlT_E_NS1_11comp_targetILNS1_3genE8ELNS1_11target_archE1030ELNS1_3gpuE2ELNS1_3repE0EEENS1_30default_config_static_selectorELNS0_4arch9wavefront6targetE1EEEvSS_
    .private_segment_fixed_size: 0
    .sgpr_count:     4
    .sgpr_spill_count: 0
    .symbol:         _ZN7rocprim17ROCPRIM_400000_NS6detail17trampoline_kernelINS0_14default_configENS1_27upper_bound_config_selectorIN6thrust23THRUST_200600_302600_NS5tupleIiiNS6_9null_typeES8_S8_S8_S8_S8_S8_S8_EEiEEZNS1_14transform_implILb0ES3_SA_NS6_6detail15normal_iteratorINS6_10device_ptrIS9_EEEENSD_INSE_IiEEEEZNS1_13binary_searchIS3_SA_SG_SG_SI_NS1_21upper_bound_search_opENSC_16wrapped_functionINS0_4lessIvEEbEEEE10hipError_tPvRmT1_T2_T3_mmT4_T5_P12ihipStream_tbEUlRKS9_E_EESP_ST_SU_mSV_SY_bEUlT_E_NS1_11comp_targetILNS1_3genE8ELNS1_11target_archE1030ELNS1_3gpuE2ELNS1_3repE0EEENS1_30default_config_static_selectorELNS0_4arch9wavefront6targetE1EEEvSS_.kd
    .uniform_work_group_size: 1
    .uses_dynamic_stack: false
    .vgpr_count:     0
    .vgpr_spill_count: 0
    .wavefront_size: 64
  - .args:
      - .offset:         0
        .size:           56
        .value_kind:     by_value
    .group_segment_fixed_size: 0
    .kernarg_segment_align: 8
    .kernarg_segment_size: 56
    .language:       OpenCL C
    .language_version:
      - 2
      - 0
    .max_flat_workgroup_size: 256
    .name:           _ZN7rocprim17ROCPRIM_400000_NS6detail17trampoline_kernelINS0_14default_configENS1_29binary_search_config_selectorIdiEEZNS1_14transform_implILb0ES3_S5_N6thrust23THRUST_200600_302600_NS6detail15normal_iteratorINS8_7pointerIdNS8_11hip_rocprim5par_tENS8_11use_defaultESE_EEEENSA_INSB_IiSD_SE_SE_EEEEZNS1_13binary_searchIS3_S5_NSA_INS8_10device_ptrIdEEEESG_SI_NS1_16binary_search_opENS9_16wrapped_functionINS8_6system6detail7generic6detail18binary_search_lessEbEEEE10hipError_tPvRmT1_T2_T3_mmT4_T5_P12ihipStream_tbEUlRKdE_EESV_SZ_S10_mS11_S14_bEUlT_E_NS1_11comp_targetILNS1_3genE0ELNS1_11target_archE4294967295ELNS1_3gpuE0ELNS1_3repE0EEENS1_30default_config_static_selectorELNS0_4arch9wavefront6targetE1EEEvSY_
    .private_segment_fixed_size: 0
    .sgpr_count:     4
    .sgpr_spill_count: 0
    .symbol:         _ZN7rocprim17ROCPRIM_400000_NS6detail17trampoline_kernelINS0_14default_configENS1_29binary_search_config_selectorIdiEEZNS1_14transform_implILb0ES3_S5_N6thrust23THRUST_200600_302600_NS6detail15normal_iteratorINS8_7pointerIdNS8_11hip_rocprim5par_tENS8_11use_defaultESE_EEEENSA_INSB_IiSD_SE_SE_EEEEZNS1_13binary_searchIS3_S5_NSA_INS8_10device_ptrIdEEEESG_SI_NS1_16binary_search_opENS9_16wrapped_functionINS8_6system6detail7generic6detail18binary_search_lessEbEEEE10hipError_tPvRmT1_T2_T3_mmT4_T5_P12ihipStream_tbEUlRKdE_EESV_SZ_S10_mS11_S14_bEUlT_E_NS1_11comp_targetILNS1_3genE0ELNS1_11target_archE4294967295ELNS1_3gpuE0ELNS1_3repE0EEENS1_30default_config_static_selectorELNS0_4arch9wavefront6targetE1EEEvSY_.kd
    .uniform_work_group_size: 1
    .uses_dynamic_stack: false
    .vgpr_count:     0
    .vgpr_spill_count: 0
    .wavefront_size: 64
  - .args:
      - .offset:         0
        .size:           56
        .value_kind:     by_value
    .group_segment_fixed_size: 0
    .kernarg_segment_align: 8
    .kernarg_segment_size: 56
    .language:       OpenCL C
    .language_version:
      - 2
      - 0
    .max_flat_workgroup_size: 128
    .name:           _ZN7rocprim17ROCPRIM_400000_NS6detail17trampoline_kernelINS0_14default_configENS1_29binary_search_config_selectorIdiEEZNS1_14transform_implILb0ES3_S5_N6thrust23THRUST_200600_302600_NS6detail15normal_iteratorINS8_7pointerIdNS8_11hip_rocprim5par_tENS8_11use_defaultESE_EEEENSA_INSB_IiSD_SE_SE_EEEEZNS1_13binary_searchIS3_S5_NSA_INS8_10device_ptrIdEEEESG_SI_NS1_16binary_search_opENS9_16wrapped_functionINS8_6system6detail7generic6detail18binary_search_lessEbEEEE10hipError_tPvRmT1_T2_T3_mmT4_T5_P12ihipStream_tbEUlRKdE_EESV_SZ_S10_mS11_S14_bEUlT_E_NS1_11comp_targetILNS1_3genE5ELNS1_11target_archE942ELNS1_3gpuE9ELNS1_3repE0EEENS1_30default_config_static_selectorELNS0_4arch9wavefront6targetE1EEEvSY_
    .private_segment_fixed_size: 0
    .sgpr_count:     4
    .sgpr_spill_count: 0
    .symbol:         _ZN7rocprim17ROCPRIM_400000_NS6detail17trampoline_kernelINS0_14default_configENS1_29binary_search_config_selectorIdiEEZNS1_14transform_implILb0ES3_S5_N6thrust23THRUST_200600_302600_NS6detail15normal_iteratorINS8_7pointerIdNS8_11hip_rocprim5par_tENS8_11use_defaultESE_EEEENSA_INSB_IiSD_SE_SE_EEEEZNS1_13binary_searchIS3_S5_NSA_INS8_10device_ptrIdEEEESG_SI_NS1_16binary_search_opENS9_16wrapped_functionINS8_6system6detail7generic6detail18binary_search_lessEbEEEE10hipError_tPvRmT1_T2_T3_mmT4_T5_P12ihipStream_tbEUlRKdE_EESV_SZ_S10_mS11_S14_bEUlT_E_NS1_11comp_targetILNS1_3genE5ELNS1_11target_archE942ELNS1_3gpuE9ELNS1_3repE0EEENS1_30default_config_static_selectorELNS0_4arch9wavefront6targetE1EEEvSY_.kd
    .uniform_work_group_size: 1
    .uses_dynamic_stack: false
    .vgpr_count:     0
    .vgpr_spill_count: 0
    .wavefront_size: 64
  - .args:
      - .offset:         0
        .size:           56
        .value_kind:     by_value
    .group_segment_fixed_size: 0
    .kernarg_segment_align: 8
    .kernarg_segment_size: 56
    .language:       OpenCL C
    .language_version:
      - 2
      - 0
    .max_flat_workgroup_size: 64
    .name:           _ZN7rocprim17ROCPRIM_400000_NS6detail17trampoline_kernelINS0_14default_configENS1_29binary_search_config_selectorIdiEEZNS1_14transform_implILb0ES3_S5_N6thrust23THRUST_200600_302600_NS6detail15normal_iteratorINS8_7pointerIdNS8_11hip_rocprim5par_tENS8_11use_defaultESE_EEEENSA_INSB_IiSD_SE_SE_EEEEZNS1_13binary_searchIS3_S5_NSA_INS8_10device_ptrIdEEEESG_SI_NS1_16binary_search_opENS9_16wrapped_functionINS8_6system6detail7generic6detail18binary_search_lessEbEEEE10hipError_tPvRmT1_T2_T3_mmT4_T5_P12ihipStream_tbEUlRKdE_EESV_SZ_S10_mS11_S14_bEUlT_E_NS1_11comp_targetILNS1_3genE4ELNS1_11target_archE910ELNS1_3gpuE8ELNS1_3repE0EEENS1_30default_config_static_selectorELNS0_4arch9wavefront6targetE1EEEvSY_
    .private_segment_fixed_size: 0
    .sgpr_count:     4
    .sgpr_spill_count: 0
    .symbol:         _ZN7rocprim17ROCPRIM_400000_NS6detail17trampoline_kernelINS0_14default_configENS1_29binary_search_config_selectorIdiEEZNS1_14transform_implILb0ES3_S5_N6thrust23THRUST_200600_302600_NS6detail15normal_iteratorINS8_7pointerIdNS8_11hip_rocprim5par_tENS8_11use_defaultESE_EEEENSA_INSB_IiSD_SE_SE_EEEEZNS1_13binary_searchIS3_S5_NSA_INS8_10device_ptrIdEEEESG_SI_NS1_16binary_search_opENS9_16wrapped_functionINS8_6system6detail7generic6detail18binary_search_lessEbEEEE10hipError_tPvRmT1_T2_T3_mmT4_T5_P12ihipStream_tbEUlRKdE_EESV_SZ_S10_mS11_S14_bEUlT_E_NS1_11comp_targetILNS1_3genE4ELNS1_11target_archE910ELNS1_3gpuE8ELNS1_3repE0EEENS1_30default_config_static_selectorELNS0_4arch9wavefront6targetE1EEEvSY_.kd
    .uniform_work_group_size: 1
    .uses_dynamic_stack: false
    .vgpr_count:     0
    .vgpr_spill_count: 0
    .wavefront_size: 64
  - .args:
      - .offset:         0
        .size:           56
        .value_kind:     by_value
    .group_segment_fixed_size: 0
    .kernarg_segment_align: 8
    .kernarg_segment_size: 56
    .language:       OpenCL C
    .language_version:
      - 2
      - 0
    .max_flat_workgroup_size: 256
    .name:           _ZN7rocprim17ROCPRIM_400000_NS6detail17trampoline_kernelINS0_14default_configENS1_29binary_search_config_selectorIdiEEZNS1_14transform_implILb0ES3_S5_N6thrust23THRUST_200600_302600_NS6detail15normal_iteratorINS8_7pointerIdNS8_11hip_rocprim5par_tENS8_11use_defaultESE_EEEENSA_INSB_IiSD_SE_SE_EEEEZNS1_13binary_searchIS3_S5_NSA_INS8_10device_ptrIdEEEESG_SI_NS1_16binary_search_opENS9_16wrapped_functionINS8_6system6detail7generic6detail18binary_search_lessEbEEEE10hipError_tPvRmT1_T2_T3_mmT4_T5_P12ihipStream_tbEUlRKdE_EESV_SZ_S10_mS11_S14_bEUlT_E_NS1_11comp_targetILNS1_3genE3ELNS1_11target_archE908ELNS1_3gpuE7ELNS1_3repE0EEENS1_30default_config_static_selectorELNS0_4arch9wavefront6targetE1EEEvSY_
    .private_segment_fixed_size: 0
    .sgpr_count:     4
    .sgpr_spill_count: 0
    .symbol:         _ZN7rocprim17ROCPRIM_400000_NS6detail17trampoline_kernelINS0_14default_configENS1_29binary_search_config_selectorIdiEEZNS1_14transform_implILb0ES3_S5_N6thrust23THRUST_200600_302600_NS6detail15normal_iteratorINS8_7pointerIdNS8_11hip_rocprim5par_tENS8_11use_defaultESE_EEEENSA_INSB_IiSD_SE_SE_EEEEZNS1_13binary_searchIS3_S5_NSA_INS8_10device_ptrIdEEEESG_SI_NS1_16binary_search_opENS9_16wrapped_functionINS8_6system6detail7generic6detail18binary_search_lessEbEEEE10hipError_tPvRmT1_T2_T3_mmT4_T5_P12ihipStream_tbEUlRKdE_EESV_SZ_S10_mS11_S14_bEUlT_E_NS1_11comp_targetILNS1_3genE3ELNS1_11target_archE908ELNS1_3gpuE7ELNS1_3repE0EEENS1_30default_config_static_selectorELNS0_4arch9wavefront6targetE1EEEvSY_.kd
    .uniform_work_group_size: 1
    .uses_dynamic_stack: false
    .vgpr_count:     0
    .vgpr_spill_count: 0
    .wavefront_size: 64
  - .args:
      - .offset:         0
        .size:           56
        .value_kind:     by_value
      - .offset:         56
        .size:           4
        .value_kind:     hidden_block_count_x
      - .offset:         60
        .size:           4
        .value_kind:     hidden_block_count_y
      - .offset:         64
        .size:           4
        .value_kind:     hidden_block_count_z
      - .offset:         68
        .size:           2
        .value_kind:     hidden_group_size_x
      - .offset:         70
        .size:           2
        .value_kind:     hidden_group_size_y
      - .offset:         72
        .size:           2
        .value_kind:     hidden_group_size_z
      - .offset:         74
        .size:           2
        .value_kind:     hidden_remainder_x
      - .offset:         76
        .size:           2
        .value_kind:     hidden_remainder_y
      - .offset:         78
        .size:           2
        .value_kind:     hidden_remainder_z
      - .offset:         96
        .size:           8
        .value_kind:     hidden_global_offset_x
      - .offset:         104
        .size:           8
        .value_kind:     hidden_global_offset_y
      - .offset:         112
        .size:           8
        .value_kind:     hidden_global_offset_z
      - .offset:         120
        .size:           2
        .value_kind:     hidden_grid_dims
    .group_segment_fixed_size: 0
    .kernarg_segment_align: 8
    .kernarg_segment_size: 312
    .language:       OpenCL C
    .language_version:
      - 2
      - 0
    .max_flat_workgroup_size: 256
    .name:           _ZN7rocprim17ROCPRIM_400000_NS6detail17trampoline_kernelINS0_14default_configENS1_29binary_search_config_selectorIdiEEZNS1_14transform_implILb0ES3_S5_N6thrust23THRUST_200600_302600_NS6detail15normal_iteratorINS8_7pointerIdNS8_11hip_rocprim5par_tENS8_11use_defaultESE_EEEENSA_INSB_IiSD_SE_SE_EEEEZNS1_13binary_searchIS3_S5_NSA_INS8_10device_ptrIdEEEESG_SI_NS1_16binary_search_opENS9_16wrapped_functionINS8_6system6detail7generic6detail18binary_search_lessEbEEEE10hipError_tPvRmT1_T2_T3_mmT4_T5_P12ihipStream_tbEUlRKdE_EESV_SZ_S10_mS11_S14_bEUlT_E_NS1_11comp_targetILNS1_3genE2ELNS1_11target_archE906ELNS1_3gpuE6ELNS1_3repE0EEENS1_30default_config_static_selectorELNS0_4arch9wavefront6targetE1EEEvSY_
    .private_segment_fixed_size: 0
    .sgpr_count:     24
    .sgpr_spill_count: 0
    .symbol:         _ZN7rocprim17ROCPRIM_400000_NS6detail17trampoline_kernelINS0_14default_configENS1_29binary_search_config_selectorIdiEEZNS1_14transform_implILb0ES3_S5_N6thrust23THRUST_200600_302600_NS6detail15normal_iteratorINS8_7pointerIdNS8_11hip_rocprim5par_tENS8_11use_defaultESE_EEEENSA_INSB_IiSD_SE_SE_EEEEZNS1_13binary_searchIS3_S5_NSA_INS8_10device_ptrIdEEEESG_SI_NS1_16binary_search_opENS9_16wrapped_functionINS8_6system6detail7generic6detail18binary_search_lessEbEEEE10hipError_tPvRmT1_T2_T3_mmT4_T5_P12ihipStream_tbEUlRKdE_EESV_SZ_S10_mS11_S14_bEUlT_E_NS1_11comp_targetILNS1_3genE2ELNS1_11target_archE906ELNS1_3gpuE6ELNS1_3repE0EEENS1_30default_config_static_selectorELNS0_4arch9wavefront6targetE1EEEvSY_.kd
    .uniform_work_group_size: 1
    .uses_dynamic_stack: false
    .vgpr_count:     13
    .vgpr_spill_count: 0
    .wavefront_size: 64
  - .args:
      - .offset:         0
        .size:           56
        .value_kind:     by_value
    .group_segment_fixed_size: 0
    .kernarg_segment_align: 8
    .kernarg_segment_size: 56
    .language:       OpenCL C
    .language_version:
      - 2
      - 0
    .max_flat_workgroup_size: 128
    .name:           _ZN7rocprim17ROCPRIM_400000_NS6detail17trampoline_kernelINS0_14default_configENS1_29binary_search_config_selectorIdiEEZNS1_14transform_implILb0ES3_S5_N6thrust23THRUST_200600_302600_NS6detail15normal_iteratorINS8_7pointerIdNS8_11hip_rocprim5par_tENS8_11use_defaultESE_EEEENSA_INSB_IiSD_SE_SE_EEEEZNS1_13binary_searchIS3_S5_NSA_INS8_10device_ptrIdEEEESG_SI_NS1_16binary_search_opENS9_16wrapped_functionINS8_6system6detail7generic6detail18binary_search_lessEbEEEE10hipError_tPvRmT1_T2_T3_mmT4_T5_P12ihipStream_tbEUlRKdE_EESV_SZ_S10_mS11_S14_bEUlT_E_NS1_11comp_targetILNS1_3genE10ELNS1_11target_archE1201ELNS1_3gpuE5ELNS1_3repE0EEENS1_30default_config_static_selectorELNS0_4arch9wavefront6targetE1EEEvSY_
    .private_segment_fixed_size: 0
    .sgpr_count:     4
    .sgpr_spill_count: 0
    .symbol:         _ZN7rocprim17ROCPRIM_400000_NS6detail17trampoline_kernelINS0_14default_configENS1_29binary_search_config_selectorIdiEEZNS1_14transform_implILb0ES3_S5_N6thrust23THRUST_200600_302600_NS6detail15normal_iteratorINS8_7pointerIdNS8_11hip_rocprim5par_tENS8_11use_defaultESE_EEEENSA_INSB_IiSD_SE_SE_EEEEZNS1_13binary_searchIS3_S5_NSA_INS8_10device_ptrIdEEEESG_SI_NS1_16binary_search_opENS9_16wrapped_functionINS8_6system6detail7generic6detail18binary_search_lessEbEEEE10hipError_tPvRmT1_T2_T3_mmT4_T5_P12ihipStream_tbEUlRKdE_EESV_SZ_S10_mS11_S14_bEUlT_E_NS1_11comp_targetILNS1_3genE10ELNS1_11target_archE1201ELNS1_3gpuE5ELNS1_3repE0EEENS1_30default_config_static_selectorELNS0_4arch9wavefront6targetE1EEEvSY_.kd
    .uniform_work_group_size: 1
    .uses_dynamic_stack: false
    .vgpr_count:     0
    .vgpr_spill_count: 0
    .wavefront_size: 64
  - .args:
      - .offset:         0
        .size:           56
        .value_kind:     by_value
    .group_segment_fixed_size: 0
    .kernarg_segment_align: 8
    .kernarg_segment_size: 56
    .language:       OpenCL C
    .language_version:
      - 2
      - 0
    .max_flat_workgroup_size: 128
    .name:           _ZN7rocprim17ROCPRIM_400000_NS6detail17trampoline_kernelINS0_14default_configENS1_29binary_search_config_selectorIdiEEZNS1_14transform_implILb0ES3_S5_N6thrust23THRUST_200600_302600_NS6detail15normal_iteratorINS8_7pointerIdNS8_11hip_rocprim5par_tENS8_11use_defaultESE_EEEENSA_INSB_IiSD_SE_SE_EEEEZNS1_13binary_searchIS3_S5_NSA_INS8_10device_ptrIdEEEESG_SI_NS1_16binary_search_opENS9_16wrapped_functionINS8_6system6detail7generic6detail18binary_search_lessEbEEEE10hipError_tPvRmT1_T2_T3_mmT4_T5_P12ihipStream_tbEUlRKdE_EESV_SZ_S10_mS11_S14_bEUlT_E_NS1_11comp_targetILNS1_3genE10ELNS1_11target_archE1200ELNS1_3gpuE4ELNS1_3repE0EEENS1_30default_config_static_selectorELNS0_4arch9wavefront6targetE1EEEvSY_
    .private_segment_fixed_size: 0
    .sgpr_count:     4
    .sgpr_spill_count: 0
    .symbol:         _ZN7rocprim17ROCPRIM_400000_NS6detail17trampoline_kernelINS0_14default_configENS1_29binary_search_config_selectorIdiEEZNS1_14transform_implILb0ES3_S5_N6thrust23THRUST_200600_302600_NS6detail15normal_iteratorINS8_7pointerIdNS8_11hip_rocprim5par_tENS8_11use_defaultESE_EEEENSA_INSB_IiSD_SE_SE_EEEEZNS1_13binary_searchIS3_S5_NSA_INS8_10device_ptrIdEEEESG_SI_NS1_16binary_search_opENS9_16wrapped_functionINS8_6system6detail7generic6detail18binary_search_lessEbEEEE10hipError_tPvRmT1_T2_T3_mmT4_T5_P12ihipStream_tbEUlRKdE_EESV_SZ_S10_mS11_S14_bEUlT_E_NS1_11comp_targetILNS1_3genE10ELNS1_11target_archE1200ELNS1_3gpuE4ELNS1_3repE0EEENS1_30default_config_static_selectorELNS0_4arch9wavefront6targetE1EEEvSY_.kd
    .uniform_work_group_size: 1
    .uses_dynamic_stack: false
    .vgpr_count:     0
    .vgpr_spill_count: 0
    .wavefront_size: 64
  - .args:
      - .offset:         0
        .size:           56
        .value_kind:     by_value
    .group_segment_fixed_size: 0
    .kernarg_segment_align: 8
    .kernarg_segment_size: 56
    .language:       OpenCL C
    .language_version:
      - 2
      - 0
    .max_flat_workgroup_size: 256
    .name:           _ZN7rocprim17ROCPRIM_400000_NS6detail17trampoline_kernelINS0_14default_configENS1_29binary_search_config_selectorIdiEEZNS1_14transform_implILb0ES3_S5_N6thrust23THRUST_200600_302600_NS6detail15normal_iteratorINS8_7pointerIdNS8_11hip_rocprim5par_tENS8_11use_defaultESE_EEEENSA_INSB_IiSD_SE_SE_EEEEZNS1_13binary_searchIS3_S5_NSA_INS8_10device_ptrIdEEEESG_SI_NS1_16binary_search_opENS9_16wrapped_functionINS8_6system6detail7generic6detail18binary_search_lessEbEEEE10hipError_tPvRmT1_T2_T3_mmT4_T5_P12ihipStream_tbEUlRKdE_EESV_SZ_S10_mS11_S14_bEUlT_E_NS1_11comp_targetILNS1_3genE9ELNS1_11target_archE1100ELNS1_3gpuE3ELNS1_3repE0EEENS1_30default_config_static_selectorELNS0_4arch9wavefront6targetE1EEEvSY_
    .private_segment_fixed_size: 0
    .sgpr_count:     4
    .sgpr_spill_count: 0
    .symbol:         _ZN7rocprim17ROCPRIM_400000_NS6detail17trampoline_kernelINS0_14default_configENS1_29binary_search_config_selectorIdiEEZNS1_14transform_implILb0ES3_S5_N6thrust23THRUST_200600_302600_NS6detail15normal_iteratorINS8_7pointerIdNS8_11hip_rocprim5par_tENS8_11use_defaultESE_EEEENSA_INSB_IiSD_SE_SE_EEEEZNS1_13binary_searchIS3_S5_NSA_INS8_10device_ptrIdEEEESG_SI_NS1_16binary_search_opENS9_16wrapped_functionINS8_6system6detail7generic6detail18binary_search_lessEbEEEE10hipError_tPvRmT1_T2_T3_mmT4_T5_P12ihipStream_tbEUlRKdE_EESV_SZ_S10_mS11_S14_bEUlT_E_NS1_11comp_targetILNS1_3genE9ELNS1_11target_archE1100ELNS1_3gpuE3ELNS1_3repE0EEENS1_30default_config_static_selectorELNS0_4arch9wavefront6targetE1EEEvSY_.kd
    .uniform_work_group_size: 1
    .uses_dynamic_stack: false
    .vgpr_count:     0
    .vgpr_spill_count: 0
    .wavefront_size: 64
  - .args:
      - .offset:         0
        .size:           56
        .value_kind:     by_value
    .group_segment_fixed_size: 0
    .kernarg_segment_align: 8
    .kernarg_segment_size: 56
    .language:       OpenCL C
    .language_version:
      - 2
      - 0
    .max_flat_workgroup_size: 256
    .name:           _ZN7rocprim17ROCPRIM_400000_NS6detail17trampoline_kernelINS0_14default_configENS1_29binary_search_config_selectorIdiEEZNS1_14transform_implILb0ES3_S5_N6thrust23THRUST_200600_302600_NS6detail15normal_iteratorINS8_7pointerIdNS8_11hip_rocprim5par_tENS8_11use_defaultESE_EEEENSA_INSB_IiSD_SE_SE_EEEEZNS1_13binary_searchIS3_S5_NSA_INS8_10device_ptrIdEEEESG_SI_NS1_16binary_search_opENS9_16wrapped_functionINS8_6system6detail7generic6detail18binary_search_lessEbEEEE10hipError_tPvRmT1_T2_T3_mmT4_T5_P12ihipStream_tbEUlRKdE_EESV_SZ_S10_mS11_S14_bEUlT_E_NS1_11comp_targetILNS1_3genE8ELNS1_11target_archE1030ELNS1_3gpuE2ELNS1_3repE0EEENS1_30default_config_static_selectorELNS0_4arch9wavefront6targetE1EEEvSY_
    .private_segment_fixed_size: 0
    .sgpr_count:     4
    .sgpr_spill_count: 0
    .symbol:         _ZN7rocprim17ROCPRIM_400000_NS6detail17trampoline_kernelINS0_14default_configENS1_29binary_search_config_selectorIdiEEZNS1_14transform_implILb0ES3_S5_N6thrust23THRUST_200600_302600_NS6detail15normal_iteratorINS8_7pointerIdNS8_11hip_rocprim5par_tENS8_11use_defaultESE_EEEENSA_INSB_IiSD_SE_SE_EEEEZNS1_13binary_searchIS3_S5_NSA_INS8_10device_ptrIdEEEESG_SI_NS1_16binary_search_opENS9_16wrapped_functionINS8_6system6detail7generic6detail18binary_search_lessEbEEEE10hipError_tPvRmT1_T2_T3_mmT4_T5_P12ihipStream_tbEUlRKdE_EESV_SZ_S10_mS11_S14_bEUlT_E_NS1_11comp_targetILNS1_3genE8ELNS1_11target_archE1030ELNS1_3gpuE2ELNS1_3repE0EEENS1_30default_config_static_selectorELNS0_4arch9wavefront6targetE1EEEvSY_.kd
    .uniform_work_group_size: 1
    .uses_dynamic_stack: false
    .vgpr_count:     0
    .vgpr_spill_count: 0
    .wavefront_size: 64
  - .args:
      - .offset:         0
        .size:           56
        .value_kind:     by_value
    .group_segment_fixed_size: 0
    .kernarg_segment_align: 8
    .kernarg_segment_size: 56
    .language:       OpenCL C
    .language_version:
      - 2
      - 0
    .max_flat_workgroup_size: 256
    .name:           _ZN7rocprim17ROCPRIM_400000_NS6detail17trampoline_kernelINS0_14default_configENS1_29binary_search_config_selectorIfiEEZNS1_14transform_implILb0ES3_S5_N6thrust23THRUST_200600_302600_NS6detail15normal_iteratorINS8_7pointerIfNS8_11hip_rocprim16par_det_nosync_tENS8_11use_defaultESE_EEEENSA_INSB_IiSD_SE_SE_EEEEZNS1_13binary_searchIS3_S5_NSA_INS8_10device_ptrIfEEEESG_SI_NS1_16binary_search_opENS9_16wrapped_functionINS8_6system6detail7generic6detail18binary_search_lessEbEEEE10hipError_tPvRmT1_T2_T3_mmT4_T5_P12ihipStream_tbEUlRKfE_EESV_SZ_S10_mS11_S14_bEUlT_E_NS1_11comp_targetILNS1_3genE0ELNS1_11target_archE4294967295ELNS1_3gpuE0ELNS1_3repE0EEENS1_30default_config_static_selectorELNS0_4arch9wavefront6targetE1EEEvSY_
    .private_segment_fixed_size: 0
    .sgpr_count:     4
    .sgpr_spill_count: 0
    .symbol:         _ZN7rocprim17ROCPRIM_400000_NS6detail17trampoline_kernelINS0_14default_configENS1_29binary_search_config_selectorIfiEEZNS1_14transform_implILb0ES3_S5_N6thrust23THRUST_200600_302600_NS6detail15normal_iteratorINS8_7pointerIfNS8_11hip_rocprim16par_det_nosync_tENS8_11use_defaultESE_EEEENSA_INSB_IiSD_SE_SE_EEEEZNS1_13binary_searchIS3_S5_NSA_INS8_10device_ptrIfEEEESG_SI_NS1_16binary_search_opENS9_16wrapped_functionINS8_6system6detail7generic6detail18binary_search_lessEbEEEE10hipError_tPvRmT1_T2_T3_mmT4_T5_P12ihipStream_tbEUlRKfE_EESV_SZ_S10_mS11_S14_bEUlT_E_NS1_11comp_targetILNS1_3genE0ELNS1_11target_archE4294967295ELNS1_3gpuE0ELNS1_3repE0EEENS1_30default_config_static_selectorELNS0_4arch9wavefront6targetE1EEEvSY_.kd
    .uniform_work_group_size: 1
    .uses_dynamic_stack: false
    .vgpr_count:     0
    .vgpr_spill_count: 0
    .wavefront_size: 64
  - .args:
      - .offset:         0
        .size:           56
        .value_kind:     by_value
    .group_segment_fixed_size: 0
    .kernarg_segment_align: 8
    .kernarg_segment_size: 56
    .language:       OpenCL C
    .language_version:
      - 2
      - 0
    .max_flat_workgroup_size: 256
    .name:           _ZN7rocprim17ROCPRIM_400000_NS6detail17trampoline_kernelINS0_14default_configENS1_29binary_search_config_selectorIfiEEZNS1_14transform_implILb0ES3_S5_N6thrust23THRUST_200600_302600_NS6detail15normal_iteratorINS8_7pointerIfNS8_11hip_rocprim16par_det_nosync_tENS8_11use_defaultESE_EEEENSA_INSB_IiSD_SE_SE_EEEEZNS1_13binary_searchIS3_S5_NSA_INS8_10device_ptrIfEEEESG_SI_NS1_16binary_search_opENS9_16wrapped_functionINS8_6system6detail7generic6detail18binary_search_lessEbEEEE10hipError_tPvRmT1_T2_T3_mmT4_T5_P12ihipStream_tbEUlRKfE_EESV_SZ_S10_mS11_S14_bEUlT_E_NS1_11comp_targetILNS1_3genE5ELNS1_11target_archE942ELNS1_3gpuE9ELNS1_3repE0EEENS1_30default_config_static_selectorELNS0_4arch9wavefront6targetE1EEEvSY_
    .private_segment_fixed_size: 0
    .sgpr_count:     4
    .sgpr_spill_count: 0
    .symbol:         _ZN7rocprim17ROCPRIM_400000_NS6detail17trampoline_kernelINS0_14default_configENS1_29binary_search_config_selectorIfiEEZNS1_14transform_implILb0ES3_S5_N6thrust23THRUST_200600_302600_NS6detail15normal_iteratorINS8_7pointerIfNS8_11hip_rocprim16par_det_nosync_tENS8_11use_defaultESE_EEEENSA_INSB_IiSD_SE_SE_EEEEZNS1_13binary_searchIS3_S5_NSA_INS8_10device_ptrIfEEEESG_SI_NS1_16binary_search_opENS9_16wrapped_functionINS8_6system6detail7generic6detail18binary_search_lessEbEEEE10hipError_tPvRmT1_T2_T3_mmT4_T5_P12ihipStream_tbEUlRKfE_EESV_SZ_S10_mS11_S14_bEUlT_E_NS1_11comp_targetILNS1_3genE5ELNS1_11target_archE942ELNS1_3gpuE9ELNS1_3repE0EEENS1_30default_config_static_selectorELNS0_4arch9wavefront6targetE1EEEvSY_.kd
    .uniform_work_group_size: 1
    .uses_dynamic_stack: false
    .vgpr_count:     0
    .vgpr_spill_count: 0
    .wavefront_size: 64
  - .args:
      - .offset:         0
        .size:           56
        .value_kind:     by_value
    .group_segment_fixed_size: 0
    .kernarg_segment_align: 8
    .kernarg_segment_size: 56
    .language:       OpenCL C
    .language_version:
      - 2
      - 0
    .max_flat_workgroup_size: 256
    .name:           _ZN7rocprim17ROCPRIM_400000_NS6detail17trampoline_kernelINS0_14default_configENS1_29binary_search_config_selectorIfiEEZNS1_14transform_implILb0ES3_S5_N6thrust23THRUST_200600_302600_NS6detail15normal_iteratorINS8_7pointerIfNS8_11hip_rocprim16par_det_nosync_tENS8_11use_defaultESE_EEEENSA_INSB_IiSD_SE_SE_EEEEZNS1_13binary_searchIS3_S5_NSA_INS8_10device_ptrIfEEEESG_SI_NS1_16binary_search_opENS9_16wrapped_functionINS8_6system6detail7generic6detail18binary_search_lessEbEEEE10hipError_tPvRmT1_T2_T3_mmT4_T5_P12ihipStream_tbEUlRKfE_EESV_SZ_S10_mS11_S14_bEUlT_E_NS1_11comp_targetILNS1_3genE4ELNS1_11target_archE910ELNS1_3gpuE8ELNS1_3repE0EEENS1_30default_config_static_selectorELNS0_4arch9wavefront6targetE1EEEvSY_
    .private_segment_fixed_size: 0
    .sgpr_count:     4
    .sgpr_spill_count: 0
    .symbol:         _ZN7rocprim17ROCPRIM_400000_NS6detail17trampoline_kernelINS0_14default_configENS1_29binary_search_config_selectorIfiEEZNS1_14transform_implILb0ES3_S5_N6thrust23THRUST_200600_302600_NS6detail15normal_iteratorINS8_7pointerIfNS8_11hip_rocprim16par_det_nosync_tENS8_11use_defaultESE_EEEENSA_INSB_IiSD_SE_SE_EEEEZNS1_13binary_searchIS3_S5_NSA_INS8_10device_ptrIfEEEESG_SI_NS1_16binary_search_opENS9_16wrapped_functionINS8_6system6detail7generic6detail18binary_search_lessEbEEEE10hipError_tPvRmT1_T2_T3_mmT4_T5_P12ihipStream_tbEUlRKfE_EESV_SZ_S10_mS11_S14_bEUlT_E_NS1_11comp_targetILNS1_3genE4ELNS1_11target_archE910ELNS1_3gpuE8ELNS1_3repE0EEENS1_30default_config_static_selectorELNS0_4arch9wavefront6targetE1EEEvSY_.kd
    .uniform_work_group_size: 1
    .uses_dynamic_stack: false
    .vgpr_count:     0
    .vgpr_spill_count: 0
    .wavefront_size: 64
  - .args:
      - .offset:         0
        .size:           56
        .value_kind:     by_value
    .group_segment_fixed_size: 0
    .kernarg_segment_align: 8
    .kernarg_segment_size: 56
    .language:       OpenCL C
    .language_version:
      - 2
      - 0
    .max_flat_workgroup_size: 256
    .name:           _ZN7rocprim17ROCPRIM_400000_NS6detail17trampoline_kernelINS0_14default_configENS1_29binary_search_config_selectorIfiEEZNS1_14transform_implILb0ES3_S5_N6thrust23THRUST_200600_302600_NS6detail15normal_iteratorINS8_7pointerIfNS8_11hip_rocprim16par_det_nosync_tENS8_11use_defaultESE_EEEENSA_INSB_IiSD_SE_SE_EEEEZNS1_13binary_searchIS3_S5_NSA_INS8_10device_ptrIfEEEESG_SI_NS1_16binary_search_opENS9_16wrapped_functionINS8_6system6detail7generic6detail18binary_search_lessEbEEEE10hipError_tPvRmT1_T2_T3_mmT4_T5_P12ihipStream_tbEUlRKfE_EESV_SZ_S10_mS11_S14_bEUlT_E_NS1_11comp_targetILNS1_3genE3ELNS1_11target_archE908ELNS1_3gpuE7ELNS1_3repE0EEENS1_30default_config_static_selectorELNS0_4arch9wavefront6targetE1EEEvSY_
    .private_segment_fixed_size: 0
    .sgpr_count:     4
    .sgpr_spill_count: 0
    .symbol:         _ZN7rocprim17ROCPRIM_400000_NS6detail17trampoline_kernelINS0_14default_configENS1_29binary_search_config_selectorIfiEEZNS1_14transform_implILb0ES3_S5_N6thrust23THRUST_200600_302600_NS6detail15normal_iteratorINS8_7pointerIfNS8_11hip_rocprim16par_det_nosync_tENS8_11use_defaultESE_EEEENSA_INSB_IiSD_SE_SE_EEEEZNS1_13binary_searchIS3_S5_NSA_INS8_10device_ptrIfEEEESG_SI_NS1_16binary_search_opENS9_16wrapped_functionINS8_6system6detail7generic6detail18binary_search_lessEbEEEE10hipError_tPvRmT1_T2_T3_mmT4_T5_P12ihipStream_tbEUlRKfE_EESV_SZ_S10_mS11_S14_bEUlT_E_NS1_11comp_targetILNS1_3genE3ELNS1_11target_archE908ELNS1_3gpuE7ELNS1_3repE0EEENS1_30default_config_static_selectorELNS0_4arch9wavefront6targetE1EEEvSY_.kd
    .uniform_work_group_size: 1
    .uses_dynamic_stack: false
    .vgpr_count:     0
    .vgpr_spill_count: 0
    .wavefront_size: 64
  - .args:
      - .offset:         0
        .size:           56
        .value_kind:     by_value
      - .offset:         56
        .size:           4
        .value_kind:     hidden_block_count_x
      - .offset:         60
        .size:           4
        .value_kind:     hidden_block_count_y
      - .offset:         64
        .size:           4
        .value_kind:     hidden_block_count_z
      - .offset:         68
        .size:           2
        .value_kind:     hidden_group_size_x
      - .offset:         70
        .size:           2
        .value_kind:     hidden_group_size_y
      - .offset:         72
        .size:           2
        .value_kind:     hidden_group_size_z
      - .offset:         74
        .size:           2
        .value_kind:     hidden_remainder_x
      - .offset:         76
        .size:           2
        .value_kind:     hidden_remainder_y
      - .offset:         78
        .size:           2
        .value_kind:     hidden_remainder_z
      - .offset:         96
        .size:           8
        .value_kind:     hidden_global_offset_x
      - .offset:         104
        .size:           8
        .value_kind:     hidden_global_offset_y
      - .offset:         112
        .size:           8
        .value_kind:     hidden_global_offset_z
      - .offset:         120
        .size:           2
        .value_kind:     hidden_grid_dims
    .group_segment_fixed_size: 0
    .kernarg_segment_align: 8
    .kernarg_segment_size: 312
    .language:       OpenCL C
    .language_version:
      - 2
      - 0
    .max_flat_workgroup_size: 256
    .name:           _ZN7rocprim17ROCPRIM_400000_NS6detail17trampoline_kernelINS0_14default_configENS1_29binary_search_config_selectorIfiEEZNS1_14transform_implILb0ES3_S5_N6thrust23THRUST_200600_302600_NS6detail15normal_iteratorINS8_7pointerIfNS8_11hip_rocprim16par_det_nosync_tENS8_11use_defaultESE_EEEENSA_INSB_IiSD_SE_SE_EEEEZNS1_13binary_searchIS3_S5_NSA_INS8_10device_ptrIfEEEESG_SI_NS1_16binary_search_opENS9_16wrapped_functionINS8_6system6detail7generic6detail18binary_search_lessEbEEEE10hipError_tPvRmT1_T2_T3_mmT4_T5_P12ihipStream_tbEUlRKfE_EESV_SZ_S10_mS11_S14_bEUlT_E_NS1_11comp_targetILNS1_3genE2ELNS1_11target_archE906ELNS1_3gpuE6ELNS1_3repE0EEENS1_30default_config_static_selectorELNS0_4arch9wavefront6targetE1EEEvSY_
    .private_segment_fixed_size: 0
    .sgpr_count:     24
    .sgpr_spill_count: 0
    .symbol:         _ZN7rocprim17ROCPRIM_400000_NS6detail17trampoline_kernelINS0_14default_configENS1_29binary_search_config_selectorIfiEEZNS1_14transform_implILb0ES3_S5_N6thrust23THRUST_200600_302600_NS6detail15normal_iteratorINS8_7pointerIfNS8_11hip_rocprim16par_det_nosync_tENS8_11use_defaultESE_EEEENSA_INSB_IiSD_SE_SE_EEEEZNS1_13binary_searchIS3_S5_NSA_INS8_10device_ptrIfEEEESG_SI_NS1_16binary_search_opENS9_16wrapped_functionINS8_6system6detail7generic6detail18binary_search_lessEbEEEE10hipError_tPvRmT1_T2_T3_mmT4_T5_P12ihipStream_tbEUlRKfE_EESV_SZ_S10_mS11_S14_bEUlT_E_NS1_11comp_targetILNS1_3genE2ELNS1_11target_archE906ELNS1_3gpuE6ELNS1_3repE0EEENS1_30default_config_static_selectorELNS0_4arch9wavefront6targetE1EEEvSY_.kd
    .uniform_work_group_size: 1
    .uses_dynamic_stack: false
    .vgpr_count:     13
    .vgpr_spill_count: 0
    .wavefront_size: 64
  - .args:
      - .offset:         0
        .size:           56
        .value_kind:     by_value
    .group_segment_fixed_size: 0
    .kernarg_segment_align: 8
    .kernarg_segment_size: 56
    .language:       OpenCL C
    .language_version:
      - 2
      - 0
    .max_flat_workgroup_size: 128
    .name:           _ZN7rocprim17ROCPRIM_400000_NS6detail17trampoline_kernelINS0_14default_configENS1_29binary_search_config_selectorIfiEEZNS1_14transform_implILb0ES3_S5_N6thrust23THRUST_200600_302600_NS6detail15normal_iteratorINS8_7pointerIfNS8_11hip_rocprim16par_det_nosync_tENS8_11use_defaultESE_EEEENSA_INSB_IiSD_SE_SE_EEEEZNS1_13binary_searchIS3_S5_NSA_INS8_10device_ptrIfEEEESG_SI_NS1_16binary_search_opENS9_16wrapped_functionINS8_6system6detail7generic6detail18binary_search_lessEbEEEE10hipError_tPvRmT1_T2_T3_mmT4_T5_P12ihipStream_tbEUlRKfE_EESV_SZ_S10_mS11_S14_bEUlT_E_NS1_11comp_targetILNS1_3genE10ELNS1_11target_archE1201ELNS1_3gpuE5ELNS1_3repE0EEENS1_30default_config_static_selectorELNS0_4arch9wavefront6targetE1EEEvSY_
    .private_segment_fixed_size: 0
    .sgpr_count:     4
    .sgpr_spill_count: 0
    .symbol:         _ZN7rocprim17ROCPRIM_400000_NS6detail17trampoline_kernelINS0_14default_configENS1_29binary_search_config_selectorIfiEEZNS1_14transform_implILb0ES3_S5_N6thrust23THRUST_200600_302600_NS6detail15normal_iteratorINS8_7pointerIfNS8_11hip_rocprim16par_det_nosync_tENS8_11use_defaultESE_EEEENSA_INSB_IiSD_SE_SE_EEEEZNS1_13binary_searchIS3_S5_NSA_INS8_10device_ptrIfEEEESG_SI_NS1_16binary_search_opENS9_16wrapped_functionINS8_6system6detail7generic6detail18binary_search_lessEbEEEE10hipError_tPvRmT1_T2_T3_mmT4_T5_P12ihipStream_tbEUlRKfE_EESV_SZ_S10_mS11_S14_bEUlT_E_NS1_11comp_targetILNS1_3genE10ELNS1_11target_archE1201ELNS1_3gpuE5ELNS1_3repE0EEENS1_30default_config_static_selectorELNS0_4arch9wavefront6targetE1EEEvSY_.kd
    .uniform_work_group_size: 1
    .uses_dynamic_stack: false
    .vgpr_count:     0
    .vgpr_spill_count: 0
    .wavefront_size: 64
  - .args:
      - .offset:         0
        .size:           56
        .value_kind:     by_value
    .group_segment_fixed_size: 0
    .kernarg_segment_align: 8
    .kernarg_segment_size: 56
    .language:       OpenCL C
    .language_version:
      - 2
      - 0
    .max_flat_workgroup_size: 128
    .name:           _ZN7rocprim17ROCPRIM_400000_NS6detail17trampoline_kernelINS0_14default_configENS1_29binary_search_config_selectorIfiEEZNS1_14transform_implILb0ES3_S5_N6thrust23THRUST_200600_302600_NS6detail15normal_iteratorINS8_7pointerIfNS8_11hip_rocprim16par_det_nosync_tENS8_11use_defaultESE_EEEENSA_INSB_IiSD_SE_SE_EEEEZNS1_13binary_searchIS3_S5_NSA_INS8_10device_ptrIfEEEESG_SI_NS1_16binary_search_opENS9_16wrapped_functionINS8_6system6detail7generic6detail18binary_search_lessEbEEEE10hipError_tPvRmT1_T2_T3_mmT4_T5_P12ihipStream_tbEUlRKfE_EESV_SZ_S10_mS11_S14_bEUlT_E_NS1_11comp_targetILNS1_3genE10ELNS1_11target_archE1200ELNS1_3gpuE4ELNS1_3repE0EEENS1_30default_config_static_selectorELNS0_4arch9wavefront6targetE1EEEvSY_
    .private_segment_fixed_size: 0
    .sgpr_count:     4
    .sgpr_spill_count: 0
    .symbol:         _ZN7rocprim17ROCPRIM_400000_NS6detail17trampoline_kernelINS0_14default_configENS1_29binary_search_config_selectorIfiEEZNS1_14transform_implILb0ES3_S5_N6thrust23THRUST_200600_302600_NS6detail15normal_iteratorINS8_7pointerIfNS8_11hip_rocprim16par_det_nosync_tENS8_11use_defaultESE_EEEENSA_INSB_IiSD_SE_SE_EEEEZNS1_13binary_searchIS3_S5_NSA_INS8_10device_ptrIfEEEESG_SI_NS1_16binary_search_opENS9_16wrapped_functionINS8_6system6detail7generic6detail18binary_search_lessEbEEEE10hipError_tPvRmT1_T2_T3_mmT4_T5_P12ihipStream_tbEUlRKfE_EESV_SZ_S10_mS11_S14_bEUlT_E_NS1_11comp_targetILNS1_3genE10ELNS1_11target_archE1200ELNS1_3gpuE4ELNS1_3repE0EEENS1_30default_config_static_selectorELNS0_4arch9wavefront6targetE1EEEvSY_.kd
    .uniform_work_group_size: 1
    .uses_dynamic_stack: false
    .vgpr_count:     0
    .vgpr_spill_count: 0
    .wavefront_size: 64
  - .args:
      - .offset:         0
        .size:           56
        .value_kind:     by_value
    .group_segment_fixed_size: 0
    .kernarg_segment_align: 8
    .kernarg_segment_size: 56
    .language:       OpenCL C
    .language_version:
      - 2
      - 0
    .max_flat_workgroup_size: 256
    .name:           _ZN7rocprim17ROCPRIM_400000_NS6detail17trampoline_kernelINS0_14default_configENS1_29binary_search_config_selectorIfiEEZNS1_14transform_implILb0ES3_S5_N6thrust23THRUST_200600_302600_NS6detail15normal_iteratorINS8_7pointerIfNS8_11hip_rocprim16par_det_nosync_tENS8_11use_defaultESE_EEEENSA_INSB_IiSD_SE_SE_EEEEZNS1_13binary_searchIS3_S5_NSA_INS8_10device_ptrIfEEEESG_SI_NS1_16binary_search_opENS9_16wrapped_functionINS8_6system6detail7generic6detail18binary_search_lessEbEEEE10hipError_tPvRmT1_T2_T3_mmT4_T5_P12ihipStream_tbEUlRKfE_EESV_SZ_S10_mS11_S14_bEUlT_E_NS1_11comp_targetILNS1_3genE9ELNS1_11target_archE1100ELNS1_3gpuE3ELNS1_3repE0EEENS1_30default_config_static_selectorELNS0_4arch9wavefront6targetE1EEEvSY_
    .private_segment_fixed_size: 0
    .sgpr_count:     4
    .sgpr_spill_count: 0
    .symbol:         _ZN7rocprim17ROCPRIM_400000_NS6detail17trampoline_kernelINS0_14default_configENS1_29binary_search_config_selectorIfiEEZNS1_14transform_implILb0ES3_S5_N6thrust23THRUST_200600_302600_NS6detail15normal_iteratorINS8_7pointerIfNS8_11hip_rocprim16par_det_nosync_tENS8_11use_defaultESE_EEEENSA_INSB_IiSD_SE_SE_EEEEZNS1_13binary_searchIS3_S5_NSA_INS8_10device_ptrIfEEEESG_SI_NS1_16binary_search_opENS9_16wrapped_functionINS8_6system6detail7generic6detail18binary_search_lessEbEEEE10hipError_tPvRmT1_T2_T3_mmT4_T5_P12ihipStream_tbEUlRKfE_EESV_SZ_S10_mS11_S14_bEUlT_E_NS1_11comp_targetILNS1_3genE9ELNS1_11target_archE1100ELNS1_3gpuE3ELNS1_3repE0EEENS1_30default_config_static_selectorELNS0_4arch9wavefront6targetE1EEEvSY_.kd
    .uniform_work_group_size: 1
    .uses_dynamic_stack: false
    .vgpr_count:     0
    .vgpr_spill_count: 0
    .wavefront_size: 64
  - .args:
      - .offset:         0
        .size:           56
        .value_kind:     by_value
    .group_segment_fixed_size: 0
    .kernarg_segment_align: 8
    .kernarg_segment_size: 56
    .language:       OpenCL C
    .language_version:
      - 2
      - 0
    .max_flat_workgroup_size: 256
    .name:           _ZN7rocprim17ROCPRIM_400000_NS6detail17trampoline_kernelINS0_14default_configENS1_29binary_search_config_selectorIfiEEZNS1_14transform_implILb0ES3_S5_N6thrust23THRUST_200600_302600_NS6detail15normal_iteratorINS8_7pointerIfNS8_11hip_rocprim16par_det_nosync_tENS8_11use_defaultESE_EEEENSA_INSB_IiSD_SE_SE_EEEEZNS1_13binary_searchIS3_S5_NSA_INS8_10device_ptrIfEEEESG_SI_NS1_16binary_search_opENS9_16wrapped_functionINS8_6system6detail7generic6detail18binary_search_lessEbEEEE10hipError_tPvRmT1_T2_T3_mmT4_T5_P12ihipStream_tbEUlRKfE_EESV_SZ_S10_mS11_S14_bEUlT_E_NS1_11comp_targetILNS1_3genE8ELNS1_11target_archE1030ELNS1_3gpuE2ELNS1_3repE0EEENS1_30default_config_static_selectorELNS0_4arch9wavefront6targetE1EEEvSY_
    .private_segment_fixed_size: 0
    .sgpr_count:     4
    .sgpr_spill_count: 0
    .symbol:         _ZN7rocprim17ROCPRIM_400000_NS6detail17trampoline_kernelINS0_14default_configENS1_29binary_search_config_selectorIfiEEZNS1_14transform_implILb0ES3_S5_N6thrust23THRUST_200600_302600_NS6detail15normal_iteratorINS8_7pointerIfNS8_11hip_rocprim16par_det_nosync_tENS8_11use_defaultESE_EEEENSA_INSB_IiSD_SE_SE_EEEEZNS1_13binary_searchIS3_S5_NSA_INS8_10device_ptrIfEEEESG_SI_NS1_16binary_search_opENS9_16wrapped_functionINS8_6system6detail7generic6detail18binary_search_lessEbEEEE10hipError_tPvRmT1_T2_T3_mmT4_T5_P12ihipStream_tbEUlRKfE_EESV_SZ_S10_mS11_S14_bEUlT_E_NS1_11comp_targetILNS1_3genE8ELNS1_11target_archE1030ELNS1_3gpuE2ELNS1_3repE0EEENS1_30default_config_static_selectorELNS0_4arch9wavefront6targetE1EEEvSY_.kd
    .uniform_work_group_size: 1
    .uses_dynamic_stack: false
    .vgpr_count:     0
    .vgpr_spill_count: 0
    .wavefront_size: 64
  - .args:
      - .offset:         0
        .size:           56
        .value_kind:     by_value
    .group_segment_fixed_size: 0
    .kernarg_segment_align: 8
    .kernarg_segment_size: 56
    .language:       OpenCL C
    .language_version:
      - 2
      - 0
    .max_flat_workgroup_size: 256
    .name:           _ZN7rocprim17ROCPRIM_400000_NS6detail17trampoline_kernelINS0_14default_configENS1_29binary_search_config_selectorIfiEEZNS1_14transform_implILb0ES3_S5_N6thrust23THRUST_200600_302600_NS6detail15normal_iteratorINS8_7pointerIfNS8_11hip_rocprim9par_det_tENS8_11use_defaultESE_EEEENSA_INSB_IiSD_SE_SE_EEEEZNS1_13binary_searchIS3_S5_NSA_INS8_10device_ptrIfEEEESG_SI_NS1_16binary_search_opENS9_16wrapped_functionINS8_6system6detail7generic6detail18binary_search_lessEbEEEE10hipError_tPvRmT1_T2_T3_mmT4_T5_P12ihipStream_tbEUlRKfE_EESV_SZ_S10_mS11_S14_bEUlT_E_NS1_11comp_targetILNS1_3genE0ELNS1_11target_archE4294967295ELNS1_3gpuE0ELNS1_3repE0EEENS1_30default_config_static_selectorELNS0_4arch9wavefront6targetE1EEEvSY_
    .private_segment_fixed_size: 0
    .sgpr_count:     4
    .sgpr_spill_count: 0
    .symbol:         _ZN7rocprim17ROCPRIM_400000_NS6detail17trampoline_kernelINS0_14default_configENS1_29binary_search_config_selectorIfiEEZNS1_14transform_implILb0ES3_S5_N6thrust23THRUST_200600_302600_NS6detail15normal_iteratorINS8_7pointerIfNS8_11hip_rocprim9par_det_tENS8_11use_defaultESE_EEEENSA_INSB_IiSD_SE_SE_EEEEZNS1_13binary_searchIS3_S5_NSA_INS8_10device_ptrIfEEEESG_SI_NS1_16binary_search_opENS9_16wrapped_functionINS8_6system6detail7generic6detail18binary_search_lessEbEEEE10hipError_tPvRmT1_T2_T3_mmT4_T5_P12ihipStream_tbEUlRKfE_EESV_SZ_S10_mS11_S14_bEUlT_E_NS1_11comp_targetILNS1_3genE0ELNS1_11target_archE4294967295ELNS1_3gpuE0ELNS1_3repE0EEENS1_30default_config_static_selectorELNS0_4arch9wavefront6targetE1EEEvSY_.kd
    .uniform_work_group_size: 1
    .uses_dynamic_stack: false
    .vgpr_count:     0
    .vgpr_spill_count: 0
    .wavefront_size: 64
  - .args:
      - .offset:         0
        .size:           56
        .value_kind:     by_value
    .group_segment_fixed_size: 0
    .kernarg_segment_align: 8
    .kernarg_segment_size: 56
    .language:       OpenCL C
    .language_version:
      - 2
      - 0
    .max_flat_workgroup_size: 256
    .name:           _ZN7rocprim17ROCPRIM_400000_NS6detail17trampoline_kernelINS0_14default_configENS1_29binary_search_config_selectorIfiEEZNS1_14transform_implILb0ES3_S5_N6thrust23THRUST_200600_302600_NS6detail15normal_iteratorINS8_7pointerIfNS8_11hip_rocprim9par_det_tENS8_11use_defaultESE_EEEENSA_INSB_IiSD_SE_SE_EEEEZNS1_13binary_searchIS3_S5_NSA_INS8_10device_ptrIfEEEESG_SI_NS1_16binary_search_opENS9_16wrapped_functionINS8_6system6detail7generic6detail18binary_search_lessEbEEEE10hipError_tPvRmT1_T2_T3_mmT4_T5_P12ihipStream_tbEUlRKfE_EESV_SZ_S10_mS11_S14_bEUlT_E_NS1_11comp_targetILNS1_3genE5ELNS1_11target_archE942ELNS1_3gpuE9ELNS1_3repE0EEENS1_30default_config_static_selectorELNS0_4arch9wavefront6targetE1EEEvSY_
    .private_segment_fixed_size: 0
    .sgpr_count:     4
    .sgpr_spill_count: 0
    .symbol:         _ZN7rocprim17ROCPRIM_400000_NS6detail17trampoline_kernelINS0_14default_configENS1_29binary_search_config_selectorIfiEEZNS1_14transform_implILb0ES3_S5_N6thrust23THRUST_200600_302600_NS6detail15normal_iteratorINS8_7pointerIfNS8_11hip_rocprim9par_det_tENS8_11use_defaultESE_EEEENSA_INSB_IiSD_SE_SE_EEEEZNS1_13binary_searchIS3_S5_NSA_INS8_10device_ptrIfEEEESG_SI_NS1_16binary_search_opENS9_16wrapped_functionINS8_6system6detail7generic6detail18binary_search_lessEbEEEE10hipError_tPvRmT1_T2_T3_mmT4_T5_P12ihipStream_tbEUlRKfE_EESV_SZ_S10_mS11_S14_bEUlT_E_NS1_11comp_targetILNS1_3genE5ELNS1_11target_archE942ELNS1_3gpuE9ELNS1_3repE0EEENS1_30default_config_static_selectorELNS0_4arch9wavefront6targetE1EEEvSY_.kd
    .uniform_work_group_size: 1
    .uses_dynamic_stack: false
    .vgpr_count:     0
    .vgpr_spill_count: 0
    .wavefront_size: 64
  - .args:
      - .offset:         0
        .size:           56
        .value_kind:     by_value
    .group_segment_fixed_size: 0
    .kernarg_segment_align: 8
    .kernarg_segment_size: 56
    .language:       OpenCL C
    .language_version:
      - 2
      - 0
    .max_flat_workgroup_size: 256
    .name:           _ZN7rocprim17ROCPRIM_400000_NS6detail17trampoline_kernelINS0_14default_configENS1_29binary_search_config_selectorIfiEEZNS1_14transform_implILb0ES3_S5_N6thrust23THRUST_200600_302600_NS6detail15normal_iteratorINS8_7pointerIfNS8_11hip_rocprim9par_det_tENS8_11use_defaultESE_EEEENSA_INSB_IiSD_SE_SE_EEEEZNS1_13binary_searchIS3_S5_NSA_INS8_10device_ptrIfEEEESG_SI_NS1_16binary_search_opENS9_16wrapped_functionINS8_6system6detail7generic6detail18binary_search_lessEbEEEE10hipError_tPvRmT1_T2_T3_mmT4_T5_P12ihipStream_tbEUlRKfE_EESV_SZ_S10_mS11_S14_bEUlT_E_NS1_11comp_targetILNS1_3genE4ELNS1_11target_archE910ELNS1_3gpuE8ELNS1_3repE0EEENS1_30default_config_static_selectorELNS0_4arch9wavefront6targetE1EEEvSY_
    .private_segment_fixed_size: 0
    .sgpr_count:     4
    .sgpr_spill_count: 0
    .symbol:         _ZN7rocprim17ROCPRIM_400000_NS6detail17trampoline_kernelINS0_14default_configENS1_29binary_search_config_selectorIfiEEZNS1_14transform_implILb0ES3_S5_N6thrust23THRUST_200600_302600_NS6detail15normal_iteratorINS8_7pointerIfNS8_11hip_rocprim9par_det_tENS8_11use_defaultESE_EEEENSA_INSB_IiSD_SE_SE_EEEEZNS1_13binary_searchIS3_S5_NSA_INS8_10device_ptrIfEEEESG_SI_NS1_16binary_search_opENS9_16wrapped_functionINS8_6system6detail7generic6detail18binary_search_lessEbEEEE10hipError_tPvRmT1_T2_T3_mmT4_T5_P12ihipStream_tbEUlRKfE_EESV_SZ_S10_mS11_S14_bEUlT_E_NS1_11comp_targetILNS1_3genE4ELNS1_11target_archE910ELNS1_3gpuE8ELNS1_3repE0EEENS1_30default_config_static_selectorELNS0_4arch9wavefront6targetE1EEEvSY_.kd
    .uniform_work_group_size: 1
    .uses_dynamic_stack: false
    .vgpr_count:     0
    .vgpr_spill_count: 0
    .wavefront_size: 64
  - .args:
      - .offset:         0
        .size:           56
        .value_kind:     by_value
    .group_segment_fixed_size: 0
    .kernarg_segment_align: 8
    .kernarg_segment_size: 56
    .language:       OpenCL C
    .language_version:
      - 2
      - 0
    .max_flat_workgroup_size: 256
    .name:           _ZN7rocprim17ROCPRIM_400000_NS6detail17trampoline_kernelINS0_14default_configENS1_29binary_search_config_selectorIfiEEZNS1_14transform_implILb0ES3_S5_N6thrust23THRUST_200600_302600_NS6detail15normal_iteratorINS8_7pointerIfNS8_11hip_rocprim9par_det_tENS8_11use_defaultESE_EEEENSA_INSB_IiSD_SE_SE_EEEEZNS1_13binary_searchIS3_S5_NSA_INS8_10device_ptrIfEEEESG_SI_NS1_16binary_search_opENS9_16wrapped_functionINS8_6system6detail7generic6detail18binary_search_lessEbEEEE10hipError_tPvRmT1_T2_T3_mmT4_T5_P12ihipStream_tbEUlRKfE_EESV_SZ_S10_mS11_S14_bEUlT_E_NS1_11comp_targetILNS1_3genE3ELNS1_11target_archE908ELNS1_3gpuE7ELNS1_3repE0EEENS1_30default_config_static_selectorELNS0_4arch9wavefront6targetE1EEEvSY_
    .private_segment_fixed_size: 0
    .sgpr_count:     4
    .sgpr_spill_count: 0
    .symbol:         _ZN7rocprim17ROCPRIM_400000_NS6detail17trampoline_kernelINS0_14default_configENS1_29binary_search_config_selectorIfiEEZNS1_14transform_implILb0ES3_S5_N6thrust23THRUST_200600_302600_NS6detail15normal_iteratorINS8_7pointerIfNS8_11hip_rocprim9par_det_tENS8_11use_defaultESE_EEEENSA_INSB_IiSD_SE_SE_EEEEZNS1_13binary_searchIS3_S5_NSA_INS8_10device_ptrIfEEEESG_SI_NS1_16binary_search_opENS9_16wrapped_functionINS8_6system6detail7generic6detail18binary_search_lessEbEEEE10hipError_tPvRmT1_T2_T3_mmT4_T5_P12ihipStream_tbEUlRKfE_EESV_SZ_S10_mS11_S14_bEUlT_E_NS1_11comp_targetILNS1_3genE3ELNS1_11target_archE908ELNS1_3gpuE7ELNS1_3repE0EEENS1_30default_config_static_selectorELNS0_4arch9wavefront6targetE1EEEvSY_.kd
    .uniform_work_group_size: 1
    .uses_dynamic_stack: false
    .vgpr_count:     0
    .vgpr_spill_count: 0
    .wavefront_size: 64
  - .args:
      - .offset:         0
        .size:           56
        .value_kind:     by_value
      - .offset:         56
        .size:           4
        .value_kind:     hidden_block_count_x
      - .offset:         60
        .size:           4
        .value_kind:     hidden_block_count_y
      - .offset:         64
        .size:           4
        .value_kind:     hidden_block_count_z
      - .offset:         68
        .size:           2
        .value_kind:     hidden_group_size_x
      - .offset:         70
        .size:           2
        .value_kind:     hidden_group_size_y
      - .offset:         72
        .size:           2
        .value_kind:     hidden_group_size_z
      - .offset:         74
        .size:           2
        .value_kind:     hidden_remainder_x
      - .offset:         76
        .size:           2
        .value_kind:     hidden_remainder_y
      - .offset:         78
        .size:           2
        .value_kind:     hidden_remainder_z
      - .offset:         96
        .size:           8
        .value_kind:     hidden_global_offset_x
      - .offset:         104
        .size:           8
        .value_kind:     hidden_global_offset_y
      - .offset:         112
        .size:           8
        .value_kind:     hidden_global_offset_z
      - .offset:         120
        .size:           2
        .value_kind:     hidden_grid_dims
    .group_segment_fixed_size: 0
    .kernarg_segment_align: 8
    .kernarg_segment_size: 312
    .language:       OpenCL C
    .language_version:
      - 2
      - 0
    .max_flat_workgroup_size: 256
    .name:           _ZN7rocprim17ROCPRIM_400000_NS6detail17trampoline_kernelINS0_14default_configENS1_29binary_search_config_selectorIfiEEZNS1_14transform_implILb0ES3_S5_N6thrust23THRUST_200600_302600_NS6detail15normal_iteratorINS8_7pointerIfNS8_11hip_rocprim9par_det_tENS8_11use_defaultESE_EEEENSA_INSB_IiSD_SE_SE_EEEEZNS1_13binary_searchIS3_S5_NSA_INS8_10device_ptrIfEEEESG_SI_NS1_16binary_search_opENS9_16wrapped_functionINS8_6system6detail7generic6detail18binary_search_lessEbEEEE10hipError_tPvRmT1_T2_T3_mmT4_T5_P12ihipStream_tbEUlRKfE_EESV_SZ_S10_mS11_S14_bEUlT_E_NS1_11comp_targetILNS1_3genE2ELNS1_11target_archE906ELNS1_3gpuE6ELNS1_3repE0EEENS1_30default_config_static_selectorELNS0_4arch9wavefront6targetE1EEEvSY_
    .private_segment_fixed_size: 0
    .sgpr_count:     24
    .sgpr_spill_count: 0
    .symbol:         _ZN7rocprim17ROCPRIM_400000_NS6detail17trampoline_kernelINS0_14default_configENS1_29binary_search_config_selectorIfiEEZNS1_14transform_implILb0ES3_S5_N6thrust23THRUST_200600_302600_NS6detail15normal_iteratorINS8_7pointerIfNS8_11hip_rocprim9par_det_tENS8_11use_defaultESE_EEEENSA_INSB_IiSD_SE_SE_EEEEZNS1_13binary_searchIS3_S5_NSA_INS8_10device_ptrIfEEEESG_SI_NS1_16binary_search_opENS9_16wrapped_functionINS8_6system6detail7generic6detail18binary_search_lessEbEEEE10hipError_tPvRmT1_T2_T3_mmT4_T5_P12ihipStream_tbEUlRKfE_EESV_SZ_S10_mS11_S14_bEUlT_E_NS1_11comp_targetILNS1_3genE2ELNS1_11target_archE906ELNS1_3gpuE6ELNS1_3repE0EEENS1_30default_config_static_selectorELNS0_4arch9wavefront6targetE1EEEvSY_.kd
    .uniform_work_group_size: 1
    .uses_dynamic_stack: false
    .vgpr_count:     13
    .vgpr_spill_count: 0
    .wavefront_size: 64
  - .args:
      - .offset:         0
        .size:           56
        .value_kind:     by_value
    .group_segment_fixed_size: 0
    .kernarg_segment_align: 8
    .kernarg_segment_size: 56
    .language:       OpenCL C
    .language_version:
      - 2
      - 0
    .max_flat_workgroup_size: 128
    .name:           _ZN7rocprim17ROCPRIM_400000_NS6detail17trampoline_kernelINS0_14default_configENS1_29binary_search_config_selectorIfiEEZNS1_14transform_implILb0ES3_S5_N6thrust23THRUST_200600_302600_NS6detail15normal_iteratorINS8_7pointerIfNS8_11hip_rocprim9par_det_tENS8_11use_defaultESE_EEEENSA_INSB_IiSD_SE_SE_EEEEZNS1_13binary_searchIS3_S5_NSA_INS8_10device_ptrIfEEEESG_SI_NS1_16binary_search_opENS9_16wrapped_functionINS8_6system6detail7generic6detail18binary_search_lessEbEEEE10hipError_tPvRmT1_T2_T3_mmT4_T5_P12ihipStream_tbEUlRKfE_EESV_SZ_S10_mS11_S14_bEUlT_E_NS1_11comp_targetILNS1_3genE10ELNS1_11target_archE1201ELNS1_3gpuE5ELNS1_3repE0EEENS1_30default_config_static_selectorELNS0_4arch9wavefront6targetE1EEEvSY_
    .private_segment_fixed_size: 0
    .sgpr_count:     4
    .sgpr_spill_count: 0
    .symbol:         _ZN7rocprim17ROCPRIM_400000_NS6detail17trampoline_kernelINS0_14default_configENS1_29binary_search_config_selectorIfiEEZNS1_14transform_implILb0ES3_S5_N6thrust23THRUST_200600_302600_NS6detail15normal_iteratorINS8_7pointerIfNS8_11hip_rocprim9par_det_tENS8_11use_defaultESE_EEEENSA_INSB_IiSD_SE_SE_EEEEZNS1_13binary_searchIS3_S5_NSA_INS8_10device_ptrIfEEEESG_SI_NS1_16binary_search_opENS9_16wrapped_functionINS8_6system6detail7generic6detail18binary_search_lessEbEEEE10hipError_tPvRmT1_T2_T3_mmT4_T5_P12ihipStream_tbEUlRKfE_EESV_SZ_S10_mS11_S14_bEUlT_E_NS1_11comp_targetILNS1_3genE10ELNS1_11target_archE1201ELNS1_3gpuE5ELNS1_3repE0EEENS1_30default_config_static_selectorELNS0_4arch9wavefront6targetE1EEEvSY_.kd
    .uniform_work_group_size: 1
    .uses_dynamic_stack: false
    .vgpr_count:     0
    .vgpr_spill_count: 0
    .wavefront_size: 64
  - .args:
      - .offset:         0
        .size:           56
        .value_kind:     by_value
    .group_segment_fixed_size: 0
    .kernarg_segment_align: 8
    .kernarg_segment_size: 56
    .language:       OpenCL C
    .language_version:
      - 2
      - 0
    .max_flat_workgroup_size: 128
    .name:           _ZN7rocprim17ROCPRIM_400000_NS6detail17trampoline_kernelINS0_14default_configENS1_29binary_search_config_selectorIfiEEZNS1_14transform_implILb0ES3_S5_N6thrust23THRUST_200600_302600_NS6detail15normal_iteratorINS8_7pointerIfNS8_11hip_rocprim9par_det_tENS8_11use_defaultESE_EEEENSA_INSB_IiSD_SE_SE_EEEEZNS1_13binary_searchIS3_S5_NSA_INS8_10device_ptrIfEEEESG_SI_NS1_16binary_search_opENS9_16wrapped_functionINS8_6system6detail7generic6detail18binary_search_lessEbEEEE10hipError_tPvRmT1_T2_T3_mmT4_T5_P12ihipStream_tbEUlRKfE_EESV_SZ_S10_mS11_S14_bEUlT_E_NS1_11comp_targetILNS1_3genE10ELNS1_11target_archE1200ELNS1_3gpuE4ELNS1_3repE0EEENS1_30default_config_static_selectorELNS0_4arch9wavefront6targetE1EEEvSY_
    .private_segment_fixed_size: 0
    .sgpr_count:     4
    .sgpr_spill_count: 0
    .symbol:         _ZN7rocprim17ROCPRIM_400000_NS6detail17trampoline_kernelINS0_14default_configENS1_29binary_search_config_selectorIfiEEZNS1_14transform_implILb0ES3_S5_N6thrust23THRUST_200600_302600_NS6detail15normal_iteratorINS8_7pointerIfNS8_11hip_rocprim9par_det_tENS8_11use_defaultESE_EEEENSA_INSB_IiSD_SE_SE_EEEEZNS1_13binary_searchIS3_S5_NSA_INS8_10device_ptrIfEEEESG_SI_NS1_16binary_search_opENS9_16wrapped_functionINS8_6system6detail7generic6detail18binary_search_lessEbEEEE10hipError_tPvRmT1_T2_T3_mmT4_T5_P12ihipStream_tbEUlRKfE_EESV_SZ_S10_mS11_S14_bEUlT_E_NS1_11comp_targetILNS1_3genE10ELNS1_11target_archE1200ELNS1_3gpuE4ELNS1_3repE0EEENS1_30default_config_static_selectorELNS0_4arch9wavefront6targetE1EEEvSY_.kd
    .uniform_work_group_size: 1
    .uses_dynamic_stack: false
    .vgpr_count:     0
    .vgpr_spill_count: 0
    .wavefront_size: 64
  - .args:
      - .offset:         0
        .size:           56
        .value_kind:     by_value
    .group_segment_fixed_size: 0
    .kernarg_segment_align: 8
    .kernarg_segment_size: 56
    .language:       OpenCL C
    .language_version:
      - 2
      - 0
    .max_flat_workgroup_size: 256
    .name:           _ZN7rocprim17ROCPRIM_400000_NS6detail17trampoline_kernelINS0_14default_configENS1_29binary_search_config_selectorIfiEEZNS1_14transform_implILb0ES3_S5_N6thrust23THRUST_200600_302600_NS6detail15normal_iteratorINS8_7pointerIfNS8_11hip_rocprim9par_det_tENS8_11use_defaultESE_EEEENSA_INSB_IiSD_SE_SE_EEEEZNS1_13binary_searchIS3_S5_NSA_INS8_10device_ptrIfEEEESG_SI_NS1_16binary_search_opENS9_16wrapped_functionINS8_6system6detail7generic6detail18binary_search_lessEbEEEE10hipError_tPvRmT1_T2_T3_mmT4_T5_P12ihipStream_tbEUlRKfE_EESV_SZ_S10_mS11_S14_bEUlT_E_NS1_11comp_targetILNS1_3genE9ELNS1_11target_archE1100ELNS1_3gpuE3ELNS1_3repE0EEENS1_30default_config_static_selectorELNS0_4arch9wavefront6targetE1EEEvSY_
    .private_segment_fixed_size: 0
    .sgpr_count:     4
    .sgpr_spill_count: 0
    .symbol:         _ZN7rocprim17ROCPRIM_400000_NS6detail17trampoline_kernelINS0_14default_configENS1_29binary_search_config_selectorIfiEEZNS1_14transform_implILb0ES3_S5_N6thrust23THRUST_200600_302600_NS6detail15normal_iteratorINS8_7pointerIfNS8_11hip_rocprim9par_det_tENS8_11use_defaultESE_EEEENSA_INSB_IiSD_SE_SE_EEEEZNS1_13binary_searchIS3_S5_NSA_INS8_10device_ptrIfEEEESG_SI_NS1_16binary_search_opENS9_16wrapped_functionINS8_6system6detail7generic6detail18binary_search_lessEbEEEE10hipError_tPvRmT1_T2_T3_mmT4_T5_P12ihipStream_tbEUlRKfE_EESV_SZ_S10_mS11_S14_bEUlT_E_NS1_11comp_targetILNS1_3genE9ELNS1_11target_archE1100ELNS1_3gpuE3ELNS1_3repE0EEENS1_30default_config_static_selectorELNS0_4arch9wavefront6targetE1EEEvSY_.kd
    .uniform_work_group_size: 1
    .uses_dynamic_stack: false
    .vgpr_count:     0
    .vgpr_spill_count: 0
    .wavefront_size: 64
  - .args:
      - .offset:         0
        .size:           56
        .value_kind:     by_value
    .group_segment_fixed_size: 0
    .kernarg_segment_align: 8
    .kernarg_segment_size: 56
    .language:       OpenCL C
    .language_version:
      - 2
      - 0
    .max_flat_workgroup_size: 256
    .name:           _ZN7rocprim17ROCPRIM_400000_NS6detail17trampoline_kernelINS0_14default_configENS1_29binary_search_config_selectorIfiEEZNS1_14transform_implILb0ES3_S5_N6thrust23THRUST_200600_302600_NS6detail15normal_iteratorINS8_7pointerIfNS8_11hip_rocprim9par_det_tENS8_11use_defaultESE_EEEENSA_INSB_IiSD_SE_SE_EEEEZNS1_13binary_searchIS3_S5_NSA_INS8_10device_ptrIfEEEESG_SI_NS1_16binary_search_opENS9_16wrapped_functionINS8_6system6detail7generic6detail18binary_search_lessEbEEEE10hipError_tPvRmT1_T2_T3_mmT4_T5_P12ihipStream_tbEUlRKfE_EESV_SZ_S10_mS11_S14_bEUlT_E_NS1_11comp_targetILNS1_3genE8ELNS1_11target_archE1030ELNS1_3gpuE2ELNS1_3repE0EEENS1_30default_config_static_selectorELNS0_4arch9wavefront6targetE1EEEvSY_
    .private_segment_fixed_size: 0
    .sgpr_count:     4
    .sgpr_spill_count: 0
    .symbol:         _ZN7rocprim17ROCPRIM_400000_NS6detail17trampoline_kernelINS0_14default_configENS1_29binary_search_config_selectorIfiEEZNS1_14transform_implILb0ES3_S5_N6thrust23THRUST_200600_302600_NS6detail15normal_iteratorINS8_7pointerIfNS8_11hip_rocprim9par_det_tENS8_11use_defaultESE_EEEENSA_INSB_IiSD_SE_SE_EEEEZNS1_13binary_searchIS3_S5_NSA_INS8_10device_ptrIfEEEESG_SI_NS1_16binary_search_opENS9_16wrapped_functionINS8_6system6detail7generic6detail18binary_search_lessEbEEEE10hipError_tPvRmT1_T2_T3_mmT4_T5_P12ihipStream_tbEUlRKfE_EESV_SZ_S10_mS11_S14_bEUlT_E_NS1_11comp_targetILNS1_3genE8ELNS1_11target_archE1030ELNS1_3gpuE2ELNS1_3repE0EEENS1_30default_config_static_selectorELNS0_4arch9wavefront6targetE1EEEvSY_.kd
    .uniform_work_group_size: 1
    .uses_dynamic_stack: false
    .vgpr_count:     0
    .vgpr_spill_count: 0
    .wavefront_size: 64
  - .args:
      - .offset:         0
        .size:           56
        .value_kind:     by_value
    .group_segment_fixed_size: 0
    .kernarg_segment_align: 8
    .kernarg_segment_size: 56
    .language:       OpenCL C
    .language_version:
      - 2
      - 0
    .max_flat_workgroup_size: 256
    .name:           _ZN7rocprim17ROCPRIM_400000_NS6detail17trampoline_kernelINS0_14default_configENS1_29binary_search_config_selectorIfiEEZNS1_14transform_implILb0ES3_S5_N6thrust23THRUST_200600_302600_NS6detail15normal_iteratorINS8_7pointerIfNS8_11hip_rocprim5par_tENS8_11use_defaultESE_EEEENSA_INSB_IiSD_SE_SE_EEEEZNS1_13binary_searchIS3_S5_NSA_INS8_10device_ptrIfEEEESG_SI_NS1_16binary_search_opENS9_16wrapped_functionINS8_6system6detail7generic6detail18binary_search_lessEbEEEE10hipError_tPvRmT1_T2_T3_mmT4_T5_P12ihipStream_tbEUlRKfE_EESV_SZ_S10_mS11_S14_bEUlT_E_NS1_11comp_targetILNS1_3genE0ELNS1_11target_archE4294967295ELNS1_3gpuE0ELNS1_3repE0EEENS1_30default_config_static_selectorELNS0_4arch9wavefront6targetE1EEEvSY_
    .private_segment_fixed_size: 0
    .sgpr_count:     4
    .sgpr_spill_count: 0
    .symbol:         _ZN7rocprim17ROCPRIM_400000_NS6detail17trampoline_kernelINS0_14default_configENS1_29binary_search_config_selectorIfiEEZNS1_14transform_implILb0ES3_S5_N6thrust23THRUST_200600_302600_NS6detail15normal_iteratorINS8_7pointerIfNS8_11hip_rocprim5par_tENS8_11use_defaultESE_EEEENSA_INSB_IiSD_SE_SE_EEEEZNS1_13binary_searchIS3_S5_NSA_INS8_10device_ptrIfEEEESG_SI_NS1_16binary_search_opENS9_16wrapped_functionINS8_6system6detail7generic6detail18binary_search_lessEbEEEE10hipError_tPvRmT1_T2_T3_mmT4_T5_P12ihipStream_tbEUlRKfE_EESV_SZ_S10_mS11_S14_bEUlT_E_NS1_11comp_targetILNS1_3genE0ELNS1_11target_archE4294967295ELNS1_3gpuE0ELNS1_3repE0EEENS1_30default_config_static_selectorELNS0_4arch9wavefront6targetE1EEEvSY_.kd
    .uniform_work_group_size: 1
    .uses_dynamic_stack: false
    .vgpr_count:     0
    .vgpr_spill_count: 0
    .wavefront_size: 64
  - .args:
      - .offset:         0
        .size:           56
        .value_kind:     by_value
    .group_segment_fixed_size: 0
    .kernarg_segment_align: 8
    .kernarg_segment_size: 56
    .language:       OpenCL C
    .language_version:
      - 2
      - 0
    .max_flat_workgroup_size: 256
    .name:           _ZN7rocprim17ROCPRIM_400000_NS6detail17trampoline_kernelINS0_14default_configENS1_29binary_search_config_selectorIfiEEZNS1_14transform_implILb0ES3_S5_N6thrust23THRUST_200600_302600_NS6detail15normal_iteratorINS8_7pointerIfNS8_11hip_rocprim5par_tENS8_11use_defaultESE_EEEENSA_INSB_IiSD_SE_SE_EEEEZNS1_13binary_searchIS3_S5_NSA_INS8_10device_ptrIfEEEESG_SI_NS1_16binary_search_opENS9_16wrapped_functionINS8_6system6detail7generic6detail18binary_search_lessEbEEEE10hipError_tPvRmT1_T2_T3_mmT4_T5_P12ihipStream_tbEUlRKfE_EESV_SZ_S10_mS11_S14_bEUlT_E_NS1_11comp_targetILNS1_3genE5ELNS1_11target_archE942ELNS1_3gpuE9ELNS1_3repE0EEENS1_30default_config_static_selectorELNS0_4arch9wavefront6targetE1EEEvSY_
    .private_segment_fixed_size: 0
    .sgpr_count:     4
    .sgpr_spill_count: 0
    .symbol:         _ZN7rocprim17ROCPRIM_400000_NS6detail17trampoline_kernelINS0_14default_configENS1_29binary_search_config_selectorIfiEEZNS1_14transform_implILb0ES3_S5_N6thrust23THRUST_200600_302600_NS6detail15normal_iteratorINS8_7pointerIfNS8_11hip_rocprim5par_tENS8_11use_defaultESE_EEEENSA_INSB_IiSD_SE_SE_EEEEZNS1_13binary_searchIS3_S5_NSA_INS8_10device_ptrIfEEEESG_SI_NS1_16binary_search_opENS9_16wrapped_functionINS8_6system6detail7generic6detail18binary_search_lessEbEEEE10hipError_tPvRmT1_T2_T3_mmT4_T5_P12ihipStream_tbEUlRKfE_EESV_SZ_S10_mS11_S14_bEUlT_E_NS1_11comp_targetILNS1_3genE5ELNS1_11target_archE942ELNS1_3gpuE9ELNS1_3repE0EEENS1_30default_config_static_selectorELNS0_4arch9wavefront6targetE1EEEvSY_.kd
    .uniform_work_group_size: 1
    .uses_dynamic_stack: false
    .vgpr_count:     0
    .vgpr_spill_count: 0
    .wavefront_size: 64
  - .args:
      - .offset:         0
        .size:           56
        .value_kind:     by_value
    .group_segment_fixed_size: 0
    .kernarg_segment_align: 8
    .kernarg_segment_size: 56
    .language:       OpenCL C
    .language_version:
      - 2
      - 0
    .max_flat_workgroup_size: 256
    .name:           _ZN7rocprim17ROCPRIM_400000_NS6detail17trampoline_kernelINS0_14default_configENS1_29binary_search_config_selectorIfiEEZNS1_14transform_implILb0ES3_S5_N6thrust23THRUST_200600_302600_NS6detail15normal_iteratorINS8_7pointerIfNS8_11hip_rocprim5par_tENS8_11use_defaultESE_EEEENSA_INSB_IiSD_SE_SE_EEEEZNS1_13binary_searchIS3_S5_NSA_INS8_10device_ptrIfEEEESG_SI_NS1_16binary_search_opENS9_16wrapped_functionINS8_6system6detail7generic6detail18binary_search_lessEbEEEE10hipError_tPvRmT1_T2_T3_mmT4_T5_P12ihipStream_tbEUlRKfE_EESV_SZ_S10_mS11_S14_bEUlT_E_NS1_11comp_targetILNS1_3genE4ELNS1_11target_archE910ELNS1_3gpuE8ELNS1_3repE0EEENS1_30default_config_static_selectorELNS0_4arch9wavefront6targetE1EEEvSY_
    .private_segment_fixed_size: 0
    .sgpr_count:     4
    .sgpr_spill_count: 0
    .symbol:         _ZN7rocprim17ROCPRIM_400000_NS6detail17trampoline_kernelINS0_14default_configENS1_29binary_search_config_selectorIfiEEZNS1_14transform_implILb0ES3_S5_N6thrust23THRUST_200600_302600_NS6detail15normal_iteratorINS8_7pointerIfNS8_11hip_rocprim5par_tENS8_11use_defaultESE_EEEENSA_INSB_IiSD_SE_SE_EEEEZNS1_13binary_searchIS3_S5_NSA_INS8_10device_ptrIfEEEESG_SI_NS1_16binary_search_opENS9_16wrapped_functionINS8_6system6detail7generic6detail18binary_search_lessEbEEEE10hipError_tPvRmT1_T2_T3_mmT4_T5_P12ihipStream_tbEUlRKfE_EESV_SZ_S10_mS11_S14_bEUlT_E_NS1_11comp_targetILNS1_3genE4ELNS1_11target_archE910ELNS1_3gpuE8ELNS1_3repE0EEENS1_30default_config_static_selectorELNS0_4arch9wavefront6targetE1EEEvSY_.kd
    .uniform_work_group_size: 1
    .uses_dynamic_stack: false
    .vgpr_count:     0
    .vgpr_spill_count: 0
    .wavefront_size: 64
  - .args:
      - .offset:         0
        .size:           56
        .value_kind:     by_value
    .group_segment_fixed_size: 0
    .kernarg_segment_align: 8
    .kernarg_segment_size: 56
    .language:       OpenCL C
    .language_version:
      - 2
      - 0
    .max_flat_workgroup_size: 256
    .name:           _ZN7rocprim17ROCPRIM_400000_NS6detail17trampoline_kernelINS0_14default_configENS1_29binary_search_config_selectorIfiEEZNS1_14transform_implILb0ES3_S5_N6thrust23THRUST_200600_302600_NS6detail15normal_iteratorINS8_7pointerIfNS8_11hip_rocprim5par_tENS8_11use_defaultESE_EEEENSA_INSB_IiSD_SE_SE_EEEEZNS1_13binary_searchIS3_S5_NSA_INS8_10device_ptrIfEEEESG_SI_NS1_16binary_search_opENS9_16wrapped_functionINS8_6system6detail7generic6detail18binary_search_lessEbEEEE10hipError_tPvRmT1_T2_T3_mmT4_T5_P12ihipStream_tbEUlRKfE_EESV_SZ_S10_mS11_S14_bEUlT_E_NS1_11comp_targetILNS1_3genE3ELNS1_11target_archE908ELNS1_3gpuE7ELNS1_3repE0EEENS1_30default_config_static_selectorELNS0_4arch9wavefront6targetE1EEEvSY_
    .private_segment_fixed_size: 0
    .sgpr_count:     4
    .sgpr_spill_count: 0
    .symbol:         _ZN7rocprim17ROCPRIM_400000_NS6detail17trampoline_kernelINS0_14default_configENS1_29binary_search_config_selectorIfiEEZNS1_14transform_implILb0ES3_S5_N6thrust23THRUST_200600_302600_NS6detail15normal_iteratorINS8_7pointerIfNS8_11hip_rocprim5par_tENS8_11use_defaultESE_EEEENSA_INSB_IiSD_SE_SE_EEEEZNS1_13binary_searchIS3_S5_NSA_INS8_10device_ptrIfEEEESG_SI_NS1_16binary_search_opENS9_16wrapped_functionINS8_6system6detail7generic6detail18binary_search_lessEbEEEE10hipError_tPvRmT1_T2_T3_mmT4_T5_P12ihipStream_tbEUlRKfE_EESV_SZ_S10_mS11_S14_bEUlT_E_NS1_11comp_targetILNS1_3genE3ELNS1_11target_archE908ELNS1_3gpuE7ELNS1_3repE0EEENS1_30default_config_static_selectorELNS0_4arch9wavefront6targetE1EEEvSY_.kd
    .uniform_work_group_size: 1
    .uses_dynamic_stack: false
    .vgpr_count:     0
    .vgpr_spill_count: 0
    .wavefront_size: 64
  - .args:
      - .offset:         0
        .size:           56
        .value_kind:     by_value
      - .offset:         56
        .size:           4
        .value_kind:     hidden_block_count_x
      - .offset:         60
        .size:           4
        .value_kind:     hidden_block_count_y
      - .offset:         64
        .size:           4
        .value_kind:     hidden_block_count_z
      - .offset:         68
        .size:           2
        .value_kind:     hidden_group_size_x
      - .offset:         70
        .size:           2
        .value_kind:     hidden_group_size_y
      - .offset:         72
        .size:           2
        .value_kind:     hidden_group_size_z
      - .offset:         74
        .size:           2
        .value_kind:     hidden_remainder_x
      - .offset:         76
        .size:           2
        .value_kind:     hidden_remainder_y
      - .offset:         78
        .size:           2
        .value_kind:     hidden_remainder_z
      - .offset:         96
        .size:           8
        .value_kind:     hidden_global_offset_x
      - .offset:         104
        .size:           8
        .value_kind:     hidden_global_offset_y
      - .offset:         112
        .size:           8
        .value_kind:     hidden_global_offset_z
      - .offset:         120
        .size:           2
        .value_kind:     hidden_grid_dims
    .group_segment_fixed_size: 0
    .kernarg_segment_align: 8
    .kernarg_segment_size: 312
    .language:       OpenCL C
    .language_version:
      - 2
      - 0
    .max_flat_workgroup_size: 256
    .name:           _ZN7rocprim17ROCPRIM_400000_NS6detail17trampoline_kernelINS0_14default_configENS1_29binary_search_config_selectorIfiEEZNS1_14transform_implILb0ES3_S5_N6thrust23THRUST_200600_302600_NS6detail15normal_iteratorINS8_7pointerIfNS8_11hip_rocprim5par_tENS8_11use_defaultESE_EEEENSA_INSB_IiSD_SE_SE_EEEEZNS1_13binary_searchIS3_S5_NSA_INS8_10device_ptrIfEEEESG_SI_NS1_16binary_search_opENS9_16wrapped_functionINS8_6system6detail7generic6detail18binary_search_lessEbEEEE10hipError_tPvRmT1_T2_T3_mmT4_T5_P12ihipStream_tbEUlRKfE_EESV_SZ_S10_mS11_S14_bEUlT_E_NS1_11comp_targetILNS1_3genE2ELNS1_11target_archE906ELNS1_3gpuE6ELNS1_3repE0EEENS1_30default_config_static_selectorELNS0_4arch9wavefront6targetE1EEEvSY_
    .private_segment_fixed_size: 0
    .sgpr_count:     24
    .sgpr_spill_count: 0
    .symbol:         _ZN7rocprim17ROCPRIM_400000_NS6detail17trampoline_kernelINS0_14default_configENS1_29binary_search_config_selectorIfiEEZNS1_14transform_implILb0ES3_S5_N6thrust23THRUST_200600_302600_NS6detail15normal_iteratorINS8_7pointerIfNS8_11hip_rocprim5par_tENS8_11use_defaultESE_EEEENSA_INSB_IiSD_SE_SE_EEEEZNS1_13binary_searchIS3_S5_NSA_INS8_10device_ptrIfEEEESG_SI_NS1_16binary_search_opENS9_16wrapped_functionINS8_6system6detail7generic6detail18binary_search_lessEbEEEE10hipError_tPvRmT1_T2_T3_mmT4_T5_P12ihipStream_tbEUlRKfE_EESV_SZ_S10_mS11_S14_bEUlT_E_NS1_11comp_targetILNS1_3genE2ELNS1_11target_archE906ELNS1_3gpuE6ELNS1_3repE0EEENS1_30default_config_static_selectorELNS0_4arch9wavefront6targetE1EEEvSY_.kd
    .uniform_work_group_size: 1
    .uses_dynamic_stack: false
    .vgpr_count:     13
    .vgpr_spill_count: 0
    .wavefront_size: 64
  - .args:
      - .offset:         0
        .size:           56
        .value_kind:     by_value
    .group_segment_fixed_size: 0
    .kernarg_segment_align: 8
    .kernarg_segment_size: 56
    .language:       OpenCL C
    .language_version:
      - 2
      - 0
    .max_flat_workgroup_size: 128
    .name:           _ZN7rocprim17ROCPRIM_400000_NS6detail17trampoline_kernelINS0_14default_configENS1_29binary_search_config_selectorIfiEEZNS1_14transform_implILb0ES3_S5_N6thrust23THRUST_200600_302600_NS6detail15normal_iteratorINS8_7pointerIfNS8_11hip_rocprim5par_tENS8_11use_defaultESE_EEEENSA_INSB_IiSD_SE_SE_EEEEZNS1_13binary_searchIS3_S5_NSA_INS8_10device_ptrIfEEEESG_SI_NS1_16binary_search_opENS9_16wrapped_functionINS8_6system6detail7generic6detail18binary_search_lessEbEEEE10hipError_tPvRmT1_T2_T3_mmT4_T5_P12ihipStream_tbEUlRKfE_EESV_SZ_S10_mS11_S14_bEUlT_E_NS1_11comp_targetILNS1_3genE10ELNS1_11target_archE1201ELNS1_3gpuE5ELNS1_3repE0EEENS1_30default_config_static_selectorELNS0_4arch9wavefront6targetE1EEEvSY_
    .private_segment_fixed_size: 0
    .sgpr_count:     4
    .sgpr_spill_count: 0
    .symbol:         _ZN7rocprim17ROCPRIM_400000_NS6detail17trampoline_kernelINS0_14default_configENS1_29binary_search_config_selectorIfiEEZNS1_14transform_implILb0ES3_S5_N6thrust23THRUST_200600_302600_NS6detail15normal_iteratorINS8_7pointerIfNS8_11hip_rocprim5par_tENS8_11use_defaultESE_EEEENSA_INSB_IiSD_SE_SE_EEEEZNS1_13binary_searchIS3_S5_NSA_INS8_10device_ptrIfEEEESG_SI_NS1_16binary_search_opENS9_16wrapped_functionINS8_6system6detail7generic6detail18binary_search_lessEbEEEE10hipError_tPvRmT1_T2_T3_mmT4_T5_P12ihipStream_tbEUlRKfE_EESV_SZ_S10_mS11_S14_bEUlT_E_NS1_11comp_targetILNS1_3genE10ELNS1_11target_archE1201ELNS1_3gpuE5ELNS1_3repE0EEENS1_30default_config_static_selectorELNS0_4arch9wavefront6targetE1EEEvSY_.kd
    .uniform_work_group_size: 1
    .uses_dynamic_stack: false
    .vgpr_count:     0
    .vgpr_spill_count: 0
    .wavefront_size: 64
  - .args:
      - .offset:         0
        .size:           56
        .value_kind:     by_value
    .group_segment_fixed_size: 0
    .kernarg_segment_align: 8
    .kernarg_segment_size: 56
    .language:       OpenCL C
    .language_version:
      - 2
      - 0
    .max_flat_workgroup_size: 128
    .name:           _ZN7rocprim17ROCPRIM_400000_NS6detail17trampoline_kernelINS0_14default_configENS1_29binary_search_config_selectorIfiEEZNS1_14transform_implILb0ES3_S5_N6thrust23THRUST_200600_302600_NS6detail15normal_iteratorINS8_7pointerIfNS8_11hip_rocprim5par_tENS8_11use_defaultESE_EEEENSA_INSB_IiSD_SE_SE_EEEEZNS1_13binary_searchIS3_S5_NSA_INS8_10device_ptrIfEEEESG_SI_NS1_16binary_search_opENS9_16wrapped_functionINS8_6system6detail7generic6detail18binary_search_lessEbEEEE10hipError_tPvRmT1_T2_T3_mmT4_T5_P12ihipStream_tbEUlRKfE_EESV_SZ_S10_mS11_S14_bEUlT_E_NS1_11comp_targetILNS1_3genE10ELNS1_11target_archE1200ELNS1_3gpuE4ELNS1_3repE0EEENS1_30default_config_static_selectorELNS0_4arch9wavefront6targetE1EEEvSY_
    .private_segment_fixed_size: 0
    .sgpr_count:     4
    .sgpr_spill_count: 0
    .symbol:         _ZN7rocprim17ROCPRIM_400000_NS6detail17trampoline_kernelINS0_14default_configENS1_29binary_search_config_selectorIfiEEZNS1_14transform_implILb0ES3_S5_N6thrust23THRUST_200600_302600_NS6detail15normal_iteratorINS8_7pointerIfNS8_11hip_rocprim5par_tENS8_11use_defaultESE_EEEENSA_INSB_IiSD_SE_SE_EEEEZNS1_13binary_searchIS3_S5_NSA_INS8_10device_ptrIfEEEESG_SI_NS1_16binary_search_opENS9_16wrapped_functionINS8_6system6detail7generic6detail18binary_search_lessEbEEEE10hipError_tPvRmT1_T2_T3_mmT4_T5_P12ihipStream_tbEUlRKfE_EESV_SZ_S10_mS11_S14_bEUlT_E_NS1_11comp_targetILNS1_3genE10ELNS1_11target_archE1200ELNS1_3gpuE4ELNS1_3repE0EEENS1_30default_config_static_selectorELNS0_4arch9wavefront6targetE1EEEvSY_.kd
    .uniform_work_group_size: 1
    .uses_dynamic_stack: false
    .vgpr_count:     0
    .vgpr_spill_count: 0
    .wavefront_size: 64
  - .args:
      - .offset:         0
        .size:           56
        .value_kind:     by_value
    .group_segment_fixed_size: 0
    .kernarg_segment_align: 8
    .kernarg_segment_size: 56
    .language:       OpenCL C
    .language_version:
      - 2
      - 0
    .max_flat_workgroup_size: 256
    .name:           _ZN7rocprim17ROCPRIM_400000_NS6detail17trampoline_kernelINS0_14default_configENS1_29binary_search_config_selectorIfiEEZNS1_14transform_implILb0ES3_S5_N6thrust23THRUST_200600_302600_NS6detail15normal_iteratorINS8_7pointerIfNS8_11hip_rocprim5par_tENS8_11use_defaultESE_EEEENSA_INSB_IiSD_SE_SE_EEEEZNS1_13binary_searchIS3_S5_NSA_INS8_10device_ptrIfEEEESG_SI_NS1_16binary_search_opENS9_16wrapped_functionINS8_6system6detail7generic6detail18binary_search_lessEbEEEE10hipError_tPvRmT1_T2_T3_mmT4_T5_P12ihipStream_tbEUlRKfE_EESV_SZ_S10_mS11_S14_bEUlT_E_NS1_11comp_targetILNS1_3genE9ELNS1_11target_archE1100ELNS1_3gpuE3ELNS1_3repE0EEENS1_30default_config_static_selectorELNS0_4arch9wavefront6targetE1EEEvSY_
    .private_segment_fixed_size: 0
    .sgpr_count:     4
    .sgpr_spill_count: 0
    .symbol:         _ZN7rocprim17ROCPRIM_400000_NS6detail17trampoline_kernelINS0_14default_configENS1_29binary_search_config_selectorIfiEEZNS1_14transform_implILb0ES3_S5_N6thrust23THRUST_200600_302600_NS6detail15normal_iteratorINS8_7pointerIfNS8_11hip_rocprim5par_tENS8_11use_defaultESE_EEEENSA_INSB_IiSD_SE_SE_EEEEZNS1_13binary_searchIS3_S5_NSA_INS8_10device_ptrIfEEEESG_SI_NS1_16binary_search_opENS9_16wrapped_functionINS8_6system6detail7generic6detail18binary_search_lessEbEEEE10hipError_tPvRmT1_T2_T3_mmT4_T5_P12ihipStream_tbEUlRKfE_EESV_SZ_S10_mS11_S14_bEUlT_E_NS1_11comp_targetILNS1_3genE9ELNS1_11target_archE1100ELNS1_3gpuE3ELNS1_3repE0EEENS1_30default_config_static_selectorELNS0_4arch9wavefront6targetE1EEEvSY_.kd
    .uniform_work_group_size: 1
    .uses_dynamic_stack: false
    .vgpr_count:     0
    .vgpr_spill_count: 0
    .wavefront_size: 64
  - .args:
      - .offset:         0
        .size:           56
        .value_kind:     by_value
    .group_segment_fixed_size: 0
    .kernarg_segment_align: 8
    .kernarg_segment_size: 56
    .language:       OpenCL C
    .language_version:
      - 2
      - 0
    .max_flat_workgroup_size: 256
    .name:           _ZN7rocprim17ROCPRIM_400000_NS6detail17trampoline_kernelINS0_14default_configENS1_29binary_search_config_selectorIfiEEZNS1_14transform_implILb0ES3_S5_N6thrust23THRUST_200600_302600_NS6detail15normal_iteratorINS8_7pointerIfNS8_11hip_rocprim5par_tENS8_11use_defaultESE_EEEENSA_INSB_IiSD_SE_SE_EEEEZNS1_13binary_searchIS3_S5_NSA_INS8_10device_ptrIfEEEESG_SI_NS1_16binary_search_opENS9_16wrapped_functionINS8_6system6detail7generic6detail18binary_search_lessEbEEEE10hipError_tPvRmT1_T2_T3_mmT4_T5_P12ihipStream_tbEUlRKfE_EESV_SZ_S10_mS11_S14_bEUlT_E_NS1_11comp_targetILNS1_3genE8ELNS1_11target_archE1030ELNS1_3gpuE2ELNS1_3repE0EEENS1_30default_config_static_selectorELNS0_4arch9wavefront6targetE1EEEvSY_
    .private_segment_fixed_size: 0
    .sgpr_count:     4
    .sgpr_spill_count: 0
    .symbol:         _ZN7rocprim17ROCPRIM_400000_NS6detail17trampoline_kernelINS0_14default_configENS1_29binary_search_config_selectorIfiEEZNS1_14transform_implILb0ES3_S5_N6thrust23THRUST_200600_302600_NS6detail15normal_iteratorINS8_7pointerIfNS8_11hip_rocprim5par_tENS8_11use_defaultESE_EEEENSA_INSB_IiSD_SE_SE_EEEEZNS1_13binary_searchIS3_S5_NSA_INS8_10device_ptrIfEEEESG_SI_NS1_16binary_search_opENS9_16wrapped_functionINS8_6system6detail7generic6detail18binary_search_lessEbEEEE10hipError_tPvRmT1_T2_T3_mmT4_T5_P12ihipStream_tbEUlRKfE_EESV_SZ_S10_mS11_S14_bEUlT_E_NS1_11comp_targetILNS1_3genE8ELNS1_11target_archE1030ELNS1_3gpuE2ELNS1_3repE0EEENS1_30default_config_static_selectorELNS0_4arch9wavefront6targetE1EEEvSY_.kd
    .uniform_work_group_size: 1
    .uses_dynamic_stack: false
    .vgpr_count:     0
    .vgpr_spill_count: 0
    .wavefront_size: 64
  - .args:
      - .offset:         0
        .size:           56
        .value_kind:     by_value
    .group_segment_fixed_size: 0
    .kernarg_segment_align: 8
    .kernarg_segment_size: 56
    .language:       OpenCL C
    .language_version:
      - 2
      - 0
    .max_flat_workgroup_size: 256
    .name:           _ZN7rocprim17ROCPRIM_400000_NS6detail17trampoline_kernelINS0_14default_configENS1_29binary_search_config_selectorIyiEEZNS1_14transform_implILb0ES3_S5_N6thrust23THRUST_200600_302600_NS6detail15normal_iteratorINS8_7pointerIyNS8_11hip_rocprim5par_tENS8_11use_defaultESE_EEEENSA_INSB_IiSD_SE_SE_EEEEZNS1_13binary_searchIS3_S5_NSA_INS8_10device_ptrIyEEEESG_SI_NS1_16binary_search_opENS9_16wrapped_functionINS8_6system6detail7generic6detail18binary_search_lessEbEEEE10hipError_tPvRmT1_T2_T3_mmT4_T5_P12ihipStream_tbEUlRKyE_EESV_SZ_S10_mS11_S14_bEUlT_E_NS1_11comp_targetILNS1_3genE0ELNS1_11target_archE4294967295ELNS1_3gpuE0ELNS1_3repE0EEENS1_30default_config_static_selectorELNS0_4arch9wavefront6targetE1EEEvSY_
    .private_segment_fixed_size: 0
    .sgpr_count:     4
    .sgpr_spill_count: 0
    .symbol:         _ZN7rocprim17ROCPRIM_400000_NS6detail17trampoline_kernelINS0_14default_configENS1_29binary_search_config_selectorIyiEEZNS1_14transform_implILb0ES3_S5_N6thrust23THRUST_200600_302600_NS6detail15normal_iteratorINS8_7pointerIyNS8_11hip_rocprim5par_tENS8_11use_defaultESE_EEEENSA_INSB_IiSD_SE_SE_EEEEZNS1_13binary_searchIS3_S5_NSA_INS8_10device_ptrIyEEEESG_SI_NS1_16binary_search_opENS9_16wrapped_functionINS8_6system6detail7generic6detail18binary_search_lessEbEEEE10hipError_tPvRmT1_T2_T3_mmT4_T5_P12ihipStream_tbEUlRKyE_EESV_SZ_S10_mS11_S14_bEUlT_E_NS1_11comp_targetILNS1_3genE0ELNS1_11target_archE4294967295ELNS1_3gpuE0ELNS1_3repE0EEENS1_30default_config_static_selectorELNS0_4arch9wavefront6targetE1EEEvSY_.kd
    .uniform_work_group_size: 1
    .uses_dynamic_stack: false
    .vgpr_count:     0
    .vgpr_spill_count: 0
    .wavefront_size: 64
  - .args:
      - .offset:         0
        .size:           56
        .value_kind:     by_value
    .group_segment_fixed_size: 0
    .kernarg_segment_align: 8
    .kernarg_segment_size: 56
    .language:       OpenCL C
    .language_version:
      - 2
      - 0
    .max_flat_workgroup_size: 64
    .name:           _ZN7rocprim17ROCPRIM_400000_NS6detail17trampoline_kernelINS0_14default_configENS1_29binary_search_config_selectorIyiEEZNS1_14transform_implILb0ES3_S5_N6thrust23THRUST_200600_302600_NS6detail15normal_iteratorINS8_7pointerIyNS8_11hip_rocprim5par_tENS8_11use_defaultESE_EEEENSA_INSB_IiSD_SE_SE_EEEEZNS1_13binary_searchIS3_S5_NSA_INS8_10device_ptrIyEEEESG_SI_NS1_16binary_search_opENS9_16wrapped_functionINS8_6system6detail7generic6detail18binary_search_lessEbEEEE10hipError_tPvRmT1_T2_T3_mmT4_T5_P12ihipStream_tbEUlRKyE_EESV_SZ_S10_mS11_S14_bEUlT_E_NS1_11comp_targetILNS1_3genE5ELNS1_11target_archE942ELNS1_3gpuE9ELNS1_3repE0EEENS1_30default_config_static_selectorELNS0_4arch9wavefront6targetE1EEEvSY_
    .private_segment_fixed_size: 0
    .sgpr_count:     4
    .sgpr_spill_count: 0
    .symbol:         _ZN7rocprim17ROCPRIM_400000_NS6detail17trampoline_kernelINS0_14default_configENS1_29binary_search_config_selectorIyiEEZNS1_14transform_implILb0ES3_S5_N6thrust23THRUST_200600_302600_NS6detail15normal_iteratorINS8_7pointerIyNS8_11hip_rocprim5par_tENS8_11use_defaultESE_EEEENSA_INSB_IiSD_SE_SE_EEEEZNS1_13binary_searchIS3_S5_NSA_INS8_10device_ptrIyEEEESG_SI_NS1_16binary_search_opENS9_16wrapped_functionINS8_6system6detail7generic6detail18binary_search_lessEbEEEE10hipError_tPvRmT1_T2_T3_mmT4_T5_P12ihipStream_tbEUlRKyE_EESV_SZ_S10_mS11_S14_bEUlT_E_NS1_11comp_targetILNS1_3genE5ELNS1_11target_archE942ELNS1_3gpuE9ELNS1_3repE0EEENS1_30default_config_static_selectorELNS0_4arch9wavefront6targetE1EEEvSY_.kd
    .uniform_work_group_size: 1
    .uses_dynamic_stack: false
    .vgpr_count:     0
    .vgpr_spill_count: 0
    .wavefront_size: 64
  - .args:
      - .offset:         0
        .size:           56
        .value_kind:     by_value
    .group_segment_fixed_size: 0
    .kernarg_segment_align: 8
    .kernarg_segment_size: 56
    .language:       OpenCL C
    .language_version:
      - 2
      - 0
    .max_flat_workgroup_size: 64
    .name:           _ZN7rocprim17ROCPRIM_400000_NS6detail17trampoline_kernelINS0_14default_configENS1_29binary_search_config_selectorIyiEEZNS1_14transform_implILb0ES3_S5_N6thrust23THRUST_200600_302600_NS6detail15normal_iteratorINS8_7pointerIyNS8_11hip_rocprim5par_tENS8_11use_defaultESE_EEEENSA_INSB_IiSD_SE_SE_EEEEZNS1_13binary_searchIS3_S5_NSA_INS8_10device_ptrIyEEEESG_SI_NS1_16binary_search_opENS9_16wrapped_functionINS8_6system6detail7generic6detail18binary_search_lessEbEEEE10hipError_tPvRmT1_T2_T3_mmT4_T5_P12ihipStream_tbEUlRKyE_EESV_SZ_S10_mS11_S14_bEUlT_E_NS1_11comp_targetILNS1_3genE4ELNS1_11target_archE910ELNS1_3gpuE8ELNS1_3repE0EEENS1_30default_config_static_selectorELNS0_4arch9wavefront6targetE1EEEvSY_
    .private_segment_fixed_size: 0
    .sgpr_count:     4
    .sgpr_spill_count: 0
    .symbol:         _ZN7rocprim17ROCPRIM_400000_NS6detail17trampoline_kernelINS0_14default_configENS1_29binary_search_config_selectorIyiEEZNS1_14transform_implILb0ES3_S5_N6thrust23THRUST_200600_302600_NS6detail15normal_iteratorINS8_7pointerIyNS8_11hip_rocprim5par_tENS8_11use_defaultESE_EEEENSA_INSB_IiSD_SE_SE_EEEEZNS1_13binary_searchIS3_S5_NSA_INS8_10device_ptrIyEEEESG_SI_NS1_16binary_search_opENS9_16wrapped_functionINS8_6system6detail7generic6detail18binary_search_lessEbEEEE10hipError_tPvRmT1_T2_T3_mmT4_T5_P12ihipStream_tbEUlRKyE_EESV_SZ_S10_mS11_S14_bEUlT_E_NS1_11comp_targetILNS1_3genE4ELNS1_11target_archE910ELNS1_3gpuE8ELNS1_3repE0EEENS1_30default_config_static_selectorELNS0_4arch9wavefront6targetE1EEEvSY_.kd
    .uniform_work_group_size: 1
    .uses_dynamic_stack: false
    .vgpr_count:     0
    .vgpr_spill_count: 0
    .wavefront_size: 64
  - .args:
      - .offset:         0
        .size:           56
        .value_kind:     by_value
    .group_segment_fixed_size: 0
    .kernarg_segment_align: 8
    .kernarg_segment_size: 56
    .language:       OpenCL C
    .language_version:
      - 2
      - 0
    .max_flat_workgroup_size: 256
    .name:           _ZN7rocprim17ROCPRIM_400000_NS6detail17trampoline_kernelINS0_14default_configENS1_29binary_search_config_selectorIyiEEZNS1_14transform_implILb0ES3_S5_N6thrust23THRUST_200600_302600_NS6detail15normal_iteratorINS8_7pointerIyNS8_11hip_rocprim5par_tENS8_11use_defaultESE_EEEENSA_INSB_IiSD_SE_SE_EEEEZNS1_13binary_searchIS3_S5_NSA_INS8_10device_ptrIyEEEESG_SI_NS1_16binary_search_opENS9_16wrapped_functionINS8_6system6detail7generic6detail18binary_search_lessEbEEEE10hipError_tPvRmT1_T2_T3_mmT4_T5_P12ihipStream_tbEUlRKyE_EESV_SZ_S10_mS11_S14_bEUlT_E_NS1_11comp_targetILNS1_3genE3ELNS1_11target_archE908ELNS1_3gpuE7ELNS1_3repE0EEENS1_30default_config_static_selectorELNS0_4arch9wavefront6targetE1EEEvSY_
    .private_segment_fixed_size: 0
    .sgpr_count:     4
    .sgpr_spill_count: 0
    .symbol:         _ZN7rocprim17ROCPRIM_400000_NS6detail17trampoline_kernelINS0_14default_configENS1_29binary_search_config_selectorIyiEEZNS1_14transform_implILb0ES3_S5_N6thrust23THRUST_200600_302600_NS6detail15normal_iteratorINS8_7pointerIyNS8_11hip_rocprim5par_tENS8_11use_defaultESE_EEEENSA_INSB_IiSD_SE_SE_EEEEZNS1_13binary_searchIS3_S5_NSA_INS8_10device_ptrIyEEEESG_SI_NS1_16binary_search_opENS9_16wrapped_functionINS8_6system6detail7generic6detail18binary_search_lessEbEEEE10hipError_tPvRmT1_T2_T3_mmT4_T5_P12ihipStream_tbEUlRKyE_EESV_SZ_S10_mS11_S14_bEUlT_E_NS1_11comp_targetILNS1_3genE3ELNS1_11target_archE908ELNS1_3gpuE7ELNS1_3repE0EEENS1_30default_config_static_selectorELNS0_4arch9wavefront6targetE1EEEvSY_.kd
    .uniform_work_group_size: 1
    .uses_dynamic_stack: false
    .vgpr_count:     0
    .vgpr_spill_count: 0
    .wavefront_size: 64
  - .args:
      - .offset:         0
        .size:           56
        .value_kind:     by_value
      - .offset:         56
        .size:           4
        .value_kind:     hidden_block_count_x
      - .offset:         60
        .size:           4
        .value_kind:     hidden_block_count_y
      - .offset:         64
        .size:           4
        .value_kind:     hidden_block_count_z
      - .offset:         68
        .size:           2
        .value_kind:     hidden_group_size_x
      - .offset:         70
        .size:           2
        .value_kind:     hidden_group_size_y
      - .offset:         72
        .size:           2
        .value_kind:     hidden_group_size_z
      - .offset:         74
        .size:           2
        .value_kind:     hidden_remainder_x
      - .offset:         76
        .size:           2
        .value_kind:     hidden_remainder_y
      - .offset:         78
        .size:           2
        .value_kind:     hidden_remainder_z
      - .offset:         96
        .size:           8
        .value_kind:     hidden_global_offset_x
      - .offset:         104
        .size:           8
        .value_kind:     hidden_global_offset_y
      - .offset:         112
        .size:           8
        .value_kind:     hidden_global_offset_z
      - .offset:         120
        .size:           2
        .value_kind:     hidden_grid_dims
    .group_segment_fixed_size: 0
    .kernarg_segment_align: 8
    .kernarg_segment_size: 312
    .language:       OpenCL C
    .language_version:
      - 2
      - 0
    .max_flat_workgroup_size: 256
    .name:           _ZN7rocprim17ROCPRIM_400000_NS6detail17trampoline_kernelINS0_14default_configENS1_29binary_search_config_selectorIyiEEZNS1_14transform_implILb0ES3_S5_N6thrust23THRUST_200600_302600_NS6detail15normal_iteratorINS8_7pointerIyNS8_11hip_rocprim5par_tENS8_11use_defaultESE_EEEENSA_INSB_IiSD_SE_SE_EEEEZNS1_13binary_searchIS3_S5_NSA_INS8_10device_ptrIyEEEESG_SI_NS1_16binary_search_opENS9_16wrapped_functionINS8_6system6detail7generic6detail18binary_search_lessEbEEEE10hipError_tPvRmT1_T2_T3_mmT4_T5_P12ihipStream_tbEUlRKyE_EESV_SZ_S10_mS11_S14_bEUlT_E_NS1_11comp_targetILNS1_3genE2ELNS1_11target_archE906ELNS1_3gpuE6ELNS1_3repE0EEENS1_30default_config_static_selectorELNS0_4arch9wavefront6targetE1EEEvSY_
    .private_segment_fixed_size: 0
    .sgpr_count:     24
    .sgpr_spill_count: 0
    .symbol:         _ZN7rocprim17ROCPRIM_400000_NS6detail17trampoline_kernelINS0_14default_configENS1_29binary_search_config_selectorIyiEEZNS1_14transform_implILb0ES3_S5_N6thrust23THRUST_200600_302600_NS6detail15normal_iteratorINS8_7pointerIyNS8_11hip_rocprim5par_tENS8_11use_defaultESE_EEEENSA_INSB_IiSD_SE_SE_EEEEZNS1_13binary_searchIS3_S5_NSA_INS8_10device_ptrIyEEEESG_SI_NS1_16binary_search_opENS9_16wrapped_functionINS8_6system6detail7generic6detail18binary_search_lessEbEEEE10hipError_tPvRmT1_T2_T3_mmT4_T5_P12ihipStream_tbEUlRKyE_EESV_SZ_S10_mS11_S14_bEUlT_E_NS1_11comp_targetILNS1_3genE2ELNS1_11target_archE906ELNS1_3gpuE6ELNS1_3repE0EEENS1_30default_config_static_selectorELNS0_4arch9wavefront6targetE1EEEvSY_.kd
    .uniform_work_group_size: 1
    .uses_dynamic_stack: false
    .vgpr_count:     15
    .vgpr_spill_count: 0
    .wavefront_size: 64
  - .args:
      - .offset:         0
        .size:           56
        .value_kind:     by_value
    .group_segment_fixed_size: 0
    .kernarg_segment_align: 8
    .kernarg_segment_size: 56
    .language:       OpenCL C
    .language_version:
      - 2
      - 0
    .max_flat_workgroup_size: 128
    .name:           _ZN7rocprim17ROCPRIM_400000_NS6detail17trampoline_kernelINS0_14default_configENS1_29binary_search_config_selectorIyiEEZNS1_14transform_implILb0ES3_S5_N6thrust23THRUST_200600_302600_NS6detail15normal_iteratorINS8_7pointerIyNS8_11hip_rocprim5par_tENS8_11use_defaultESE_EEEENSA_INSB_IiSD_SE_SE_EEEEZNS1_13binary_searchIS3_S5_NSA_INS8_10device_ptrIyEEEESG_SI_NS1_16binary_search_opENS9_16wrapped_functionINS8_6system6detail7generic6detail18binary_search_lessEbEEEE10hipError_tPvRmT1_T2_T3_mmT4_T5_P12ihipStream_tbEUlRKyE_EESV_SZ_S10_mS11_S14_bEUlT_E_NS1_11comp_targetILNS1_3genE10ELNS1_11target_archE1201ELNS1_3gpuE5ELNS1_3repE0EEENS1_30default_config_static_selectorELNS0_4arch9wavefront6targetE1EEEvSY_
    .private_segment_fixed_size: 0
    .sgpr_count:     4
    .sgpr_spill_count: 0
    .symbol:         _ZN7rocprim17ROCPRIM_400000_NS6detail17trampoline_kernelINS0_14default_configENS1_29binary_search_config_selectorIyiEEZNS1_14transform_implILb0ES3_S5_N6thrust23THRUST_200600_302600_NS6detail15normal_iteratorINS8_7pointerIyNS8_11hip_rocprim5par_tENS8_11use_defaultESE_EEEENSA_INSB_IiSD_SE_SE_EEEEZNS1_13binary_searchIS3_S5_NSA_INS8_10device_ptrIyEEEESG_SI_NS1_16binary_search_opENS9_16wrapped_functionINS8_6system6detail7generic6detail18binary_search_lessEbEEEE10hipError_tPvRmT1_T2_T3_mmT4_T5_P12ihipStream_tbEUlRKyE_EESV_SZ_S10_mS11_S14_bEUlT_E_NS1_11comp_targetILNS1_3genE10ELNS1_11target_archE1201ELNS1_3gpuE5ELNS1_3repE0EEENS1_30default_config_static_selectorELNS0_4arch9wavefront6targetE1EEEvSY_.kd
    .uniform_work_group_size: 1
    .uses_dynamic_stack: false
    .vgpr_count:     0
    .vgpr_spill_count: 0
    .wavefront_size: 64
  - .args:
      - .offset:         0
        .size:           56
        .value_kind:     by_value
    .group_segment_fixed_size: 0
    .kernarg_segment_align: 8
    .kernarg_segment_size: 56
    .language:       OpenCL C
    .language_version:
      - 2
      - 0
    .max_flat_workgroup_size: 128
    .name:           _ZN7rocprim17ROCPRIM_400000_NS6detail17trampoline_kernelINS0_14default_configENS1_29binary_search_config_selectorIyiEEZNS1_14transform_implILb0ES3_S5_N6thrust23THRUST_200600_302600_NS6detail15normal_iteratorINS8_7pointerIyNS8_11hip_rocprim5par_tENS8_11use_defaultESE_EEEENSA_INSB_IiSD_SE_SE_EEEEZNS1_13binary_searchIS3_S5_NSA_INS8_10device_ptrIyEEEESG_SI_NS1_16binary_search_opENS9_16wrapped_functionINS8_6system6detail7generic6detail18binary_search_lessEbEEEE10hipError_tPvRmT1_T2_T3_mmT4_T5_P12ihipStream_tbEUlRKyE_EESV_SZ_S10_mS11_S14_bEUlT_E_NS1_11comp_targetILNS1_3genE10ELNS1_11target_archE1200ELNS1_3gpuE4ELNS1_3repE0EEENS1_30default_config_static_selectorELNS0_4arch9wavefront6targetE1EEEvSY_
    .private_segment_fixed_size: 0
    .sgpr_count:     4
    .sgpr_spill_count: 0
    .symbol:         _ZN7rocprim17ROCPRIM_400000_NS6detail17trampoline_kernelINS0_14default_configENS1_29binary_search_config_selectorIyiEEZNS1_14transform_implILb0ES3_S5_N6thrust23THRUST_200600_302600_NS6detail15normal_iteratorINS8_7pointerIyNS8_11hip_rocprim5par_tENS8_11use_defaultESE_EEEENSA_INSB_IiSD_SE_SE_EEEEZNS1_13binary_searchIS3_S5_NSA_INS8_10device_ptrIyEEEESG_SI_NS1_16binary_search_opENS9_16wrapped_functionINS8_6system6detail7generic6detail18binary_search_lessEbEEEE10hipError_tPvRmT1_T2_T3_mmT4_T5_P12ihipStream_tbEUlRKyE_EESV_SZ_S10_mS11_S14_bEUlT_E_NS1_11comp_targetILNS1_3genE10ELNS1_11target_archE1200ELNS1_3gpuE4ELNS1_3repE0EEENS1_30default_config_static_selectorELNS0_4arch9wavefront6targetE1EEEvSY_.kd
    .uniform_work_group_size: 1
    .uses_dynamic_stack: false
    .vgpr_count:     0
    .vgpr_spill_count: 0
    .wavefront_size: 64
  - .args:
      - .offset:         0
        .size:           56
        .value_kind:     by_value
    .group_segment_fixed_size: 0
    .kernarg_segment_align: 8
    .kernarg_segment_size: 56
    .language:       OpenCL C
    .language_version:
      - 2
      - 0
    .max_flat_workgroup_size: 256
    .name:           _ZN7rocprim17ROCPRIM_400000_NS6detail17trampoline_kernelINS0_14default_configENS1_29binary_search_config_selectorIyiEEZNS1_14transform_implILb0ES3_S5_N6thrust23THRUST_200600_302600_NS6detail15normal_iteratorINS8_7pointerIyNS8_11hip_rocprim5par_tENS8_11use_defaultESE_EEEENSA_INSB_IiSD_SE_SE_EEEEZNS1_13binary_searchIS3_S5_NSA_INS8_10device_ptrIyEEEESG_SI_NS1_16binary_search_opENS9_16wrapped_functionINS8_6system6detail7generic6detail18binary_search_lessEbEEEE10hipError_tPvRmT1_T2_T3_mmT4_T5_P12ihipStream_tbEUlRKyE_EESV_SZ_S10_mS11_S14_bEUlT_E_NS1_11comp_targetILNS1_3genE9ELNS1_11target_archE1100ELNS1_3gpuE3ELNS1_3repE0EEENS1_30default_config_static_selectorELNS0_4arch9wavefront6targetE1EEEvSY_
    .private_segment_fixed_size: 0
    .sgpr_count:     4
    .sgpr_spill_count: 0
    .symbol:         _ZN7rocprim17ROCPRIM_400000_NS6detail17trampoline_kernelINS0_14default_configENS1_29binary_search_config_selectorIyiEEZNS1_14transform_implILb0ES3_S5_N6thrust23THRUST_200600_302600_NS6detail15normal_iteratorINS8_7pointerIyNS8_11hip_rocprim5par_tENS8_11use_defaultESE_EEEENSA_INSB_IiSD_SE_SE_EEEEZNS1_13binary_searchIS3_S5_NSA_INS8_10device_ptrIyEEEESG_SI_NS1_16binary_search_opENS9_16wrapped_functionINS8_6system6detail7generic6detail18binary_search_lessEbEEEE10hipError_tPvRmT1_T2_T3_mmT4_T5_P12ihipStream_tbEUlRKyE_EESV_SZ_S10_mS11_S14_bEUlT_E_NS1_11comp_targetILNS1_3genE9ELNS1_11target_archE1100ELNS1_3gpuE3ELNS1_3repE0EEENS1_30default_config_static_selectorELNS0_4arch9wavefront6targetE1EEEvSY_.kd
    .uniform_work_group_size: 1
    .uses_dynamic_stack: false
    .vgpr_count:     0
    .vgpr_spill_count: 0
    .wavefront_size: 64
  - .args:
      - .offset:         0
        .size:           56
        .value_kind:     by_value
    .group_segment_fixed_size: 0
    .kernarg_segment_align: 8
    .kernarg_segment_size: 56
    .language:       OpenCL C
    .language_version:
      - 2
      - 0
    .max_flat_workgroup_size: 256
    .name:           _ZN7rocprim17ROCPRIM_400000_NS6detail17trampoline_kernelINS0_14default_configENS1_29binary_search_config_selectorIyiEEZNS1_14transform_implILb0ES3_S5_N6thrust23THRUST_200600_302600_NS6detail15normal_iteratorINS8_7pointerIyNS8_11hip_rocprim5par_tENS8_11use_defaultESE_EEEENSA_INSB_IiSD_SE_SE_EEEEZNS1_13binary_searchIS3_S5_NSA_INS8_10device_ptrIyEEEESG_SI_NS1_16binary_search_opENS9_16wrapped_functionINS8_6system6detail7generic6detail18binary_search_lessEbEEEE10hipError_tPvRmT1_T2_T3_mmT4_T5_P12ihipStream_tbEUlRKyE_EESV_SZ_S10_mS11_S14_bEUlT_E_NS1_11comp_targetILNS1_3genE8ELNS1_11target_archE1030ELNS1_3gpuE2ELNS1_3repE0EEENS1_30default_config_static_selectorELNS0_4arch9wavefront6targetE1EEEvSY_
    .private_segment_fixed_size: 0
    .sgpr_count:     4
    .sgpr_spill_count: 0
    .symbol:         _ZN7rocprim17ROCPRIM_400000_NS6detail17trampoline_kernelINS0_14default_configENS1_29binary_search_config_selectorIyiEEZNS1_14transform_implILb0ES3_S5_N6thrust23THRUST_200600_302600_NS6detail15normal_iteratorINS8_7pointerIyNS8_11hip_rocprim5par_tENS8_11use_defaultESE_EEEENSA_INSB_IiSD_SE_SE_EEEEZNS1_13binary_searchIS3_S5_NSA_INS8_10device_ptrIyEEEESG_SI_NS1_16binary_search_opENS9_16wrapped_functionINS8_6system6detail7generic6detail18binary_search_lessEbEEEE10hipError_tPvRmT1_T2_T3_mmT4_T5_P12ihipStream_tbEUlRKyE_EESV_SZ_S10_mS11_S14_bEUlT_E_NS1_11comp_targetILNS1_3genE8ELNS1_11target_archE1030ELNS1_3gpuE2ELNS1_3repE0EEENS1_30default_config_static_selectorELNS0_4arch9wavefront6targetE1EEEvSY_.kd
    .uniform_work_group_size: 1
    .uses_dynamic_stack: false
    .vgpr_count:     0
    .vgpr_spill_count: 0
    .wavefront_size: 64
  - .args:
      - .offset:         0
        .size:           56
        .value_kind:     by_value
    .group_segment_fixed_size: 0
    .kernarg_segment_align: 8
    .kernarg_segment_size: 56
    .language:       OpenCL C
    .language_version:
      - 2
      - 0
    .max_flat_workgroup_size: 256
    .name:           _ZN7rocprim17ROCPRIM_400000_NS6detail17trampoline_kernelINS0_14default_configENS1_29binary_search_config_selectorIjiEEZNS1_14transform_implILb0ES3_S5_N6thrust23THRUST_200600_302600_NS6detail15normal_iteratorINS8_7pointerIjNS8_11hip_rocprim5par_tENS8_11use_defaultESE_EEEENSA_INSB_IiSD_SE_SE_EEEEZNS1_13binary_searchIS3_S5_NSA_INS8_10device_ptrIjEEEESG_SI_NS1_16binary_search_opENS9_16wrapped_functionINS8_6system6detail7generic6detail18binary_search_lessEbEEEE10hipError_tPvRmT1_T2_T3_mmT4_T5_P12ihipStream_tbEUlRKjE_EESV_SZ_S10_mS11_S14_bEUlT_E_NS1_11comp_targetILNS1_3genE0ELNS1_11target_archE4294967295ELNS1_3gpuE0ELNS1_3repE0EEENS1_30default_config_static_selectorELNS0_4arch9wavefront6targetE1EEEvSY_
    .private_segment_fixed_size: 0
    .sgpr_count:     4
    .sgpr_spill_count: 0
    .symbol:         _ZN7rocprim17ROCPRIM_400000_NS6detail17trampoline_kernelINS0_14default_configENS1_29binary_search_config_selectorIjiEEZNS1_14transform_implILb0ES3_S5_N6thrust23THRUST_200600_302600_NS6detail15normal_iteratorINS8_7pointerIjNS8_11hip_rocprim5par_tENS8_11use_defaultESE_EEEENSA_INSB_IiSD_SE_SE_EEEEZNS1_13binary_searchIS3_S5_NSA_INS8_10device_ptrIjEEEESG_SI_NS1_16binary_search_opENS9_16wrapped_functionINS8_6system6detail7generic6detail18binary_search_lessEbEEEE10hipError_tPvRmT1_T2_T3_mmT4_T5_P12ihipStream_tbEUlRKjE_EESV_SZ_S10_mS11_S14_bEUlT_E_NS1_11comp_targetILNS1_3genE0ELNS1_11target_archE4294967295ELNS1_3gpuE0ELNS1_3repE0EEENS1_30default_config_static_selectorELNS0_4arch9wavefront6targetE1EEEvSY_.kd
    .uniform_work_group_size: 1
    .uses_dynamic_stack: false
    .vgpr_count:     0
    .vgpr_spill_count: 0
    .wavefront_size: 64
  - .args:
      - .offset:         0
        .size:           56
        .value_kind:     by_value
    .group_segment_fixed_size: 0
    .kernarg_segment_align: 8
    .kernarg_segment_size: 56
    .language:       OpenCL C
    .language_version:
      - 2
      - 0
    .max_flat_workgroup_size: 256
    .name:           _ZN7rocprim17ROCPRIM_400000_NS6detail17trampoline_kernelINS0_14default_configENS1_29binary_search_config_selectorIjiEEZNS1_14transform_implILb0ES3_S5_N6thrust23THRUST_200600_302600_NS6detail15normal_iteratorINS8_7pointerIjNS8_11hip_rocprim5par_tENS8_11use_defaultESE_EEEENSA_INSB_IiSD_SE_SE_EEEEZNS1_13binary_searchIS3_S5_NSA_INS8_10device_ptrIjEEEESG_SI_NS1_16binary_search_opENS9_16wrapped_functionINS8_6system6detail7generic6detail18binary_search_lessEbEEEE10hipError_tPvRmT1_T2_T3_mmT4_T5_P12ihipStream_tbEUlRKjE_EESV_SZ_S10_mS11_S14_bEUlT_E_NS1_11comp_targetILNS1_3genE5ELNS1_11target_archE942ELNS1_3gpuE9ELNS1_3repE0EEENS1_30default_config_static_selectorELNS0_4arch9wavefront6targetE1EEEvSY_
    .private_segment_fixed_size: 0
    .sgpr_count:     4
    .sgpr_spill_count: 0
    .symbol:         _ZN7rocprim17ROCPRIM_400000_NS6detail17trampoline_kernelINS0_14default_configENS1_29binary_search_config_selectorIjiEEZNS1_14transform_implILb0ES3_S5_N6thrust23THRUST_200600_302600_NS6detail15normal_iteratorINS8_7pointerIjNS8_11hip_rocprim5par_tENS8_11use_defaultESE_EEEENSA_INSB_IiSD_SE_SE_EEEEZNS1_13binary_searchIS3_S5_NSA_INS8_10device_ptrIjEEEESG_SI_NS1_16binary_search_opENS9_16wrapped_functionINS8_6system6detail7generic6detail18binary_search_lessEbEEEE10hipError_tPvRmT1_T2_T3_mmT4_T5_P12ihipStream_tbEUlRKjE_EESV_SZ_S10_mS11_S14_bEUlT_E_NS1_11comp_targetILNS1_3genE5ELNS1_11target_archE942ELNS1_3gpuE9ELNS1_3repE0EEENS1_30default_config_static_selectorELNS0_4arch9wavefront6targetE1EEEvSY_.kd
    .uniform_work_group_size: 1
    .uses_dynamic_stack: false
    .vgpr_count:     0
    .vgpr_spill_count: 0
    .wavefront_size: 64
  - .args:
      - .offset:         0
        .size:           56
        .value_kind:     by_value
    .group_segment_fixed_size: 0
    .kernarg_segment_align: 8
    .kernarg_segment_size: 56
    .language:       OpenCL C
    .language_version:
      - 2
      - 0
    .max_flat_workgroup_size: 256
    .name:           _ZN7rocprim17ROCPRIM_400000_NS6detail17trampoline_kernelINS0_14default_configENS1_29binary_search_config_selectorIjiEEZNS1_14transform_implILb0ES3_S5_N6thrust23THRUST_200600_302600_NS6detail15normal_iteratorINS8_7pointerIjNS8_11hip_rocprim5par_tENS8_11use_defaultESE_EEEENSA_INSB_IiSD_SE_SE_EEEEZNS1_13binary_searchIS3_S5_NSA_INS8_10device_ptrIjEEEESG_SI_NS1_16binary_search_opENS9_16wrapped_functionINS8_6system6detail7generic6detail18binary_search_lessEbEEEE10hipError_tPvRmT1_T2_T3_mmT4_T5_P12ihipStream_tbEUlRKjE_EESV_SZ_S10_mS11_S14_bEUlT_E_NS1_11comp_targetILNS1_3genE4ELNS1_11target_archE910ELNS1_3gpuE8ELNS1_3repE0EEENS1_30default_config_static_selectorELNS0_4arch9wavefront6targetE1EEEvSY_
    .private_segment_fixed_size: 0
    .sgpr_count:     4
    .sgpr_spill_count: 0
    .symbol:         _ZN7rocprim17ROCPRIM_400000_NS6detail17trampoline_kernelINS0_14default_configENS1_29binary_search_config_selectorIjiEEZNS1_14transform_implILb0ES3_S5_N6thrust23THRUST_200600_302600_NS6detail15normal_iteratorINS8_7pointerIjNS8_11hip_rocprim5par_tENS8_11use_defaultESE_EEEENSA_INSB_IiSD_SE_SE_EEEEZNS1_13binary_searchIS3_S5_NSA_INS8_10device_ptrIjEEEESG_SI_NS1_16binary_search_opENS9_16wrapped_functionINS8_6system6detail7generic6detail18binary_search_lessEbEEEE10hipError_tPvRmT1_T2_T3_mmT4_T5_P12ihipStream_tbEUlRKjE_EESV_SZ_S10_mS11_S14_bEUlT_E_NS1_11comp_targetILNS1_3genE4ELNS1_11target_archE910ELNS1_3gpuE8ELNS1_3repE0EEENS1_30default_config_static_selectorELNS0_4arch9wavefront6targetE1EEEvSY_.kd
    .uniform_work_group_size: 1
    .uses_dynamic_stack: false
    .vgpr_count:     0
    .vgpr_spill_count: 0
    .wavefront_size: 64
  - .args:
      - .offset:         0
        .size:           56
        .value_kind:     by_value
    .group_segment_fixed_size: 0
    .kernarg_segment_align: 8
    .kernarg_segment_size: 56
    .language:       OpenCL C
    .language_version:
      - 2
      - 0
    .max_flat_workgroup_size: 256
    .name:           _ZN7rocprim17ROCPRIM_400000_NS6detail17trampoline_kernelINS0_14default_configENS1_29binary_search_config_selectorIjiEEZNS1_14transform_implILb0ES3_S5_N6thrust23THRUST_200600_302600_NS6detail15normal_iteratorINS8_7pointerIjNS8_11hip_rocprim5par_tENS8_11use_defaultESE_EEEENSA_INSB_IiSD_SE_SE_EEEEZNS1_13binary_searchIS3_S5_NSA_INS8_10device_ptrIjEEEESG_SI_NS1_16binary_search_opENS9_16wrapped_functionINS8_6system6detail7generic6detail18binary_search_lessEbEEEE10hipError_tPvRmT1_T2_T3_mmT4_T5_P12ihipStream_tbEUlRKjE_EESV_SZ_S10_mS11_S14_bEUlT_E_NS1_11comp_targetILNS1_3genE3ELNS1_11target_archE908ELNS1_3gpuE7ELNS1_3repE0EEENS1_30default_config_static_selectorELNS0_4arch9wavefront6targetE1EEEvSY_
    .private_segment_fixed_size: 0
    .sgpr_count:     4
    .sgpr_spill_count: 0
    .symbol:         _ZN7rocprim17ROCPRIM_400000_NS6detail17trampoline_kernelINS0_14default_configENS1_29binary_search_config_selectorIjiEEZNS1_14transform_implILb0ES3_S5_N6thrust23THRUST_200600_302600_NS6detail15normal_iteratorINS8_7pointerIjNS8_11hip_rocprim5par_tENS8_11use_defaultESE_EEEENSA_INSB_IiSD_SE_SE_EEEEZNS1_13binary_searchIS3_S5_NSA_INS8_10device_ptrIjEEEESG_SI_NS1_16binary_search_opENS9_16wrapped_functionINS8_6system6detail7generic6detail18binary_search_lessEbEEEE10hipError_tPvRmT1_T2_T3_mmT4_T5_P12ihipStream_tbEUlRKjE_EESV_SZ_S10_mS11_S14_bEUlT_E_NS1_11comp_targetILNS1_3genE3ELNS1_11target_archE908ELNS1_3gpuE7ELNS1_3repE0EEENS1_30default_config_static_selectorELNS0_4arch9wavefront6targetE1EEEvSY_.kd
    .uniform_work_group_size: 1
    .uses_dynamic_stack: false
    .vgpr_count:     0
    .vgpr_spill_count: 0
    .wavefront_size: 64
  - .args:
      - .offset:         0
        .size:           56
        .value_kind:     by_value
      - .offset:         56
        .size:           4
        .value_kind:     hidden_block_count_x
      - .offset:         60
        .size:           4
        .value_kind:     hidden_block_count_y
      - .offset:         64
        .size:           4
        .value_kind:     hidden_block_count_z
      - .offset:         68
        .size:           2
        .value_kind:     hidden_group_size_x
      - .offset:         70
        .size:           2
        .value_kind:     hidden_group_size_y
      - .offset:         72
        .size:           2
        .value_kind:     hidden_group_size_z
      - .offset:         74
        .size:           2
        .value_kind:     hidden_remainder_x
      - .offset:         76
        .size:           2
        .value_kind:     hidden_remainder_y
      - .offset:         78
        .size:           2
        .value_kind:     hidden_remainder_z
      - .offset:         96
        .size:           8
        .value_kind:     hidden_global_offset_x
      - .offset:         104
        .size:           8
        .value_kind:     hidden_global_offset_y
      - .offset:         112
        .size:           8
        .value_kind:     hidden_global_offset_z
      - .offset:         120
        .size:           2
        .value_kind:     hidden_grid_dims
    .group_segment_fixed_size: 0
    .kernarg_segment_align: 8
    .kernarg_segment_size: 312
    .language:       OpenCL C
    .language_version:
      - 2
      - 0
    .max_flat_workgroup_size: 256
    .name:           _ZN7rocprim17ROCPRIM_400000_NS6detail17trampoline_kernelINS0_14default_configENS1_29binary_search_config_selectorIjiEEZNS1_14transform_implILb0ES3_S5_N6thrust23THRUST_200600_302600_NS6detail15normal_iteratorINS8_7pointerIjNS8_11hip_rocprim5par_tENS8_11use_defaultESE_EEEENSA_INSB_IiSD_SE_SE_EEEEZNS1_13binary_searchIS3_S5_NSA_INS8_10device_ptrIjEEEESG_SI_NS1_16binary_search_opENS9_16wrapped_functionINS8_6system6detail7generic6detail18binary_search_lessEbEEEE10hipError_tPvRmT1_T2_T3_mmT4_T5_P12ihipStream_tbEUlRKjE_EESV_SZ_S10_mS11_S14_bEUlT_E_NS1_11comp_targetILNS1_3genE2ELNS1_11target_archE906ELNS1_3gpuE6ELNS1_3repE0EEENS1_30default_config_static_selectorELNS0_4arch9wavefront6targetE1EEEvSY_
    .private_segment_fixed_size: 0
    .sgpr_count:     24
    .sgpr_spill_count: 0
    .symbol:         _ZN7rocprim17ROCPRIM_400000_NS6detail17trampoline_kernelINS0_14default_configENS1_29binary_search_config_selectorIjiEEZNS1_14transform_implILb0ES3_S5_N6thrust23THRUST_200600_302600_NS6detail15normal_iteratorINS8_7pointerIjNS8_11hip_rocprim5par_tENS8_11use_defaultESE_EEEENSA_INSB_IiSD_SE_SE_EEEEZNS1_13binary_searchIS3_S5_NSA_INS8_10device_ptrIjEEEESG_SI_NS1_16binary_search_opENS9_16wrapped_functionINS8_6system6detail7generic6detail18binary_search_lessEbEEEE10hipError_tPvRmT1_T2_T3_mmT4_T5_P12ihipStream_tbEUlRKjE_EESV_SZ_S10_mS11_S14_bEUlT_E_NS1_11comp_targetILNS1_3genE2ELNS1_11target_archE906ELNS1_3gpuE6ELNS1_3repE0EEENS1_30default_config_static_selectorELNS0_4arch9wavefront6targetE1EEEvSY_.kd
    .uniform_work_group_size: 1
    .uses_dynamic_stack: false
    .vgpr_count:     13
    .vgpr_spill_count: 0
    .wavefront_size: 64
  - .args:
      - .offset:         0
        .size:           56
        .value_kind:     by_value
    .group_segment_fixed_size: 0
    .kernarg_segment_align: 8
    .kernarg_segment_size: 56
    .language:       OpenCL C
    .language_version:
      - 2
      - 0
    .max_flat_workgroup_size: 128
    .name:           _ZN7rocprim17ROCPRIM_400000_NS6detail17trampoline_kernelINS0_14default_configENS1_29binary_search_config_selectorIjiEEZNS1_14transform_implILb0ES3_S5_N6thrust23THRUST_200600_302600_NS6detail15normal_iteratorINS8_7pointerIjNS8_11hip_rocprim5par_tENS8_11use_defaultESE_EEEENSA_INSB_IiSD_SE_SE_EEEEZNS1_13binary_searchIS3_S5_NSA_INS8_10device_ptrIjEEEESG_SI_NS1_16binary_search_opENS9_16wrapped_functionINS8_6system6detail7generic6detail18binary_search_lessEbEEEE10hipError_tPvRmT1_T2_T3_mmT4_T5_P12ihipStream_tbEUlRKjE_EESV_SZ_S10_mS11_S14_bEUlT_E_NS1_11comp_targetILNS1_3genE10ELNS1_11target_archE1201ELNS1_3gpuE5ELNS1_3repE0EEENS1_30default_config_static_selectorELNS0_4arch9wavefront6targetE1EEEvSY_
    .private_segment_fixed_size: 0
    .sgpr_count:     4
    .sgpr_spill_count: 0
    .symbol:         _ZN7rocprim17ROCPRIM_400000_NS6detail17trampoline_kernelINS0_14default_configENS1_29binary_search_config_selectorIjiEEZNS1_14transform_implILb0ES3_S5_N6thrust23THRUST_200600_302600_NS6detail15normal_iteratorINS8_7pointerIjNS8_11hip_rocprim5par_tENS8_11use_defaultESE_EEEENSA_INSB_IiSD_SE_SE_EEEEZNS1_13binary_searchIS3_S5_NSA_INS8_10device_ptrIjEEEESG_SI_NS1_16binary_search_opENS9_16wrapped_functionINS8_6system6detail7generic6detail18binary_search_lessEbEEEE10hipError_tPvRmT1_T2_T3_mmT4_T5_P12ihipStream_tbEUlRKjE_EESV_SZ_S10_mS11_S14_bEUlT_E_NS1_11comp_targetILNS1_3genE10ELNS1_11target_archE1201ELNS1_3gpuE5ELNS1_3repE0EEENS1_30default_config_static_selectorELNS0_4arch9wavefront6targetE1EEEvSY_.kd
    .uniform_work_group_size: 1
    .uses_dynamic_stack: false
    .vgpr_count:     0
    .vgpr_spill_count: 0
    .wavefront_size: 64
  - .args:
      - .offset:         0
        .size:           56
        .value_kind:     by_value
    .group_segment_fixed_size: 0
    .kernarg_segment_align: 8
    .kernarg_segment_size: 56
    .language:       OpenCL C
    .language_version:
      - 2
      - 0
    .max_flat_workgroup_size: 128
    .name:           _ZN7rocprim17ROCPRIM_400000_NS6detail17trampoline_kernelINS0_14default_configENS1_29binary_search_config_selectorIjiEEZNS1_14transform_implILb0ES3_S5_N6thrust23THRUST_200600_302600_NS6detail15normal_iteratorINS8_7pointerIjNS8_11hip_rocprim5par_tENS8_11use_defaultESE_EEEENSA_INSB_IiSD_SE_SE_EEEEZNS1_13binary_searchIS3_S5_NSA_INS8_10device_ptrIjEEEESG_SI_NS1_16binary_search_opENS9_16wrapped_functionINS8_6system6detail7generic6detail18binary_search_lessEbEEEE10hipError_tPvRmT1_T2_T3_mmT4_T5_P12ihipStream_tbEUlRKjE_EESV_SZ_S10_mS11_S14_bEUlT_E_NS1_11comp_targetILNS1_3genE10ELNS1_11target_archE1200ELNS1_3gpuE4ELNS1_3repE0EEENS1_30default_config_static_selectorELNS0_4arch9wavefront6targetE1EEEvSY_
    .private_segment_fixed_size: 0
    .sgpr_count:     4
    .sgpr_spill_count: 0
    .symbol:         _ZN7rocprim17ROCPRIM_400000_NS6detail17trampoline_kernelINS0_14default_configENS1_29binary_search_config_selectorIjiEEZNS1_14transform_implILb0ES3_S5_N6thrust23THRUST_200600_302600_NS6detail15normal_iteratorINS8_7pointerIjNS8_11hip_rocprim5par_tENS8_11use_defaultESE_EEEENSA_INSB_IiSD_SE_SE_EEEEZNS1_13binary_searchIS3_S5_NSA_INS8_10device_ptrIjEEEESG_SI_NS1_16binary_search_opENS9_16wrapped_functionINS8_6system6detail7generic6detail18binary_search_lessEbEEEE10hipError_tPvRmT1_T2_T3_mmT4_T5_P12ihipStream_tbEUlRKjE_EESV_SZ_S10_mS11_S14_bEUlT_E_NS1_11comp_targetILNS1_3genE10ELNS1_11target_archE1200ELNS1_3gpuE4ELNS1_3repE0EEENS1_30default_config_static_selectorELNS0_4arch9wavefront6targetE1EEEvSY_.kd
    .uniform_work_group_size: 1
    .uses_dynamic_stack: false
    .vgpr_count:     0
    .vgpr_spill_count: 0
    .wavefront_size: 64
  - .args:
      - .offset:         0
        .size:           56
        .value_kind:     by_value
    .group_segment_fixed_size: 0
    .kernarg_segment_align: 8
    .kernarg_segment_size: 56
    .language:       OpenCL C
    .language_version:
      - 2
      - 0
    .max_flat_workgroup_size: 256
    .name:           _ZN7rocprim17ROCPRIM_400000_NS6detail17trampoline_kernelINS0_14default_configENS1_29binary_search_config_selectorIjiEEZNS1_14transform_implILb0ES3_S5_N6thrust23THRUST_200600_302600_NS6detail15normal_iteratorINS8_7pointerIjNS8_11hip_rocprim5par_tENS8_11use_defaultESE_EEEENSA_INSB_IiSD_SE_SE_EEEEZNS1_13binary_searchIS3_S5_NSA_INS8_10device_ptrIjEEEESG_SI_NS1_16binary_search_opENS9_16wrapped_functionINS8_6system6detail7generic6detail18binary_search_lessEbEEEE10hipError_tPvRmT1_T2_T3_mmT4_T5_P12ihipStream_tbEUlRKjE_EESV_SZ_S10_mS11_S14_bEUlT_E_NS1_11comp_targetILNS1_3genE9ELNS1_11target_archE1100ELNS1_3gpuE3ELNS1_3repE0EEENS1_30default_config_static_selectorELNS0_4arch9wavefront6targetE1EEEvSY_
    .private_segment_fixed_size: 0
    .sgpr_count:     4
    .sgpr_spill_count: 0
    .symbol:         _ZN7rocprim17ROCPRIM_400000_NS6detail17trampoline_kernelINS0_14default_configENS1_29binary_search_config_selectorIjiEEZNS1_14transform_implILb0ES3_S5_N6thrust23THRUST_200600_302600_NS6detail15normal_iteratorINS8_7pointerIjNS8_11hip_rocprim5par_tENS8_11use_defaultESE_EEEENSA_INSB_IiSD_SE_SE_EEEEZNS1_13binary_searchIS3_S5_NSA_INS8_10device_ptrIjEEEESG_SI_NS1_16binary_search_opENS9_16wrapped_functionINS8_6system6detail7generic6detail18binary_search_lessEbEEEE10hipError_tPvRmT1_T2_T3_mmT4_T5_P12ihipStream_tbEUlRKjE_EESV_SZ_S10_mS11_S14_bEUlT_E_NS1_11comp_targetILNS1_3genE9ELNS1_11target_archE1100ELNS1_3gpuE3ELNS1_3repE0EEENS1_30default_config_static_selectorELNS0_4arch9wavefront6targetE1EEEvSY_.kd
    .uniform_work_group_size: 1
    .uses_dynamic_stack: false
    .vgpr_count:     0
    .vgpr_spill_count: 0
    .wavefront_size: 64
  - .args:
      - .offset:         0
        .size:           56
        .value_kind:     by_value
    .group_segment_fixed_size: 0
    .kernarg_segment_align: 8
    .kernarg_segment_size: 56
    .language:       OpenCL C
    .language_version:
      - 2
      - 0
    .max_flat_workgroup_size: 256
    .name:           _ZN7rocprim17ROCPRIM_400000_NS6detail17trampoline_kernelINS0_14default_configENS1_29binary_search_config_selectorIjiEEZNS1_14transform_implILb0ES3_S5_N6thrust23THRUST_200600_302600_NS6detail15normal_iteratorINS8_7pointerIjNS8_11hip_rocprim5par_tENS8_11use_defaultESE_EEEENSA_INSB_IiSD_SE_SE_EEEEZNS1_13binary_searchIS3_S5_NSA_INS8_10device_ptrIjEEEESG_SI_NS1_16binary_search_opENS9_16wrapped_functionINS8_6system6detail7generic6detail18binary_search_lessEbEEEE10hipError_tPvRmT1_T2_T3_mmT4_T5_P12ihipStream_tbEUlRKjE_EESV_SZ_S10_mS11_S14_bEUlT_E_NS1_11comp_targetILNS1_3genE8ELNS1_11target_archE1030ELNS1_3gpuE2ELNS1_3repE0EEENS1_30default_config_static_selectorELNS0_4arch9wavefront6targetE1EEEvSY_
    .private_segment_fixed_size: 0
    .sgpr_count:     4
    .sgpr_spill_count: 0
    .symbol:         _ZN7rocprim17ROCPRIM_400000_NS6detail17trampoline_kernelINS0_14default_configENS1_29binary_search_config_selectorIjiEEZNS1_14transform_implILb0ES3_S5_N6thrust23THRUST_200600_302600_NS6detail15normal_iteratorINS8_7pointerIjNS8_11hip_rocprim5par_tENS8_11use_defaultESE_EEEENSA_INSB_IiSD_SE_SE_EEEEZNS1_13binary_searchIS3_S5_NSA_INS8_10device_ptrIjEEEESG_SI_NS1_16binary_search_opENS9_16wrapped_functionINS8_6system6detail7generic6detail18binary_search_lessEbEEEE10hipError_tPvRmT1_T2_T3_mmT4_T5_P12ihipStream_tbEUlRKjE_EESV_SZ_S10_mS11_S14_bEUlT_E_NS1_11comp_targetILNS1_3genE8ELNS1_11target_archE1030ELNS1_3gpuE2ELNS1_3repE0EEENS1_30default_config_static_selectorELNS0_4arch9wavefront6targetE1EEEvSY_.kd
    .uniform_work_group_size: 1
    .uses_dynamic_stack: false
    .vgpr_count:     0
    .vgpr_spill_count: 0
    .wavefront_size: 64
  - .args:
      - .offset:         0
        .size:           56
        .value_kind:     by_value
    .group_segment_fixed_size: 0
    .kernarg_segment_align: 8
    .kernarg_segment_size: 56
    .language:       OpenCL C
    .language_version:
      - 2
      - 0
    .max_flat_workgroup_size: 128
    .name:           _ZN7rocprim17ROCPRIM_400000_NS6detail17trampoline_kernelINS0_14default_configENS1_29binary_search_config_selectorItiEEZNS1_14transform_implILb0ES3_S5_N6thrust23THRUST_200600_302600_NS6detail15normal_iteratorINS8_7pointerItNS8_11hip_rocprim5par_tENS8_11use_defaultESE_EEEENSA_INSB_IiSD_SE_SE_EEEEZNS1_13binary_searchIS3_S5_NSA_INS8_10device_ptrItEEEESG_SI_NS1_16binary_search_opENS9_16wrapped_functionINS8_6system6detail7generic6detail18binary_search_lessEbEEEE10hipError_tPvRmT1_T2_T3_mmT4_T5_P12ihipStream_tbEUlRKtE_EESV_SZ_S10_mS11_S14_bEUlT_E_NS1_11comp_targetILNS1_3genE0ELNS1_11target_archE4294967295ELNS1_3gpuE0ELNS1_3repE0EEENS1_30default_config_static_selectorELNS0_4arch9wavefront6targetE1EEEvSY_
    .private_segment_fixed_size: 0
    .sgpr_count:     4
    .sgpr_spill_count: 0
    .symbol:         _ZN7rocprim17ROCPRIM_400000_NS6detail17trampoline_kernelINS0_14default_configENS1_29binary_search_config_selectorItiEEZNS1_14transform_implILb0ES3_S5_N6thrust23THRUST_200600_302600_NS6detail15normal_iteratorINS8_7pointerItNS8_11hip_rocprim5par_tENS8_11use_defaultESE_EEEENSA_INSB_IiSD_SE_SE_EEEEZNS1_13binary_searchIS3_S5_NSA_INS8_10device_ptrItEEEESG_SI_NS1_16binary_search_opENS9_16wrapped_functionINS8_6system6detail7generic6detail18binary_search_lessEbEEEE10hipError_tPvRmT1_T2_T3_mmT4_T5_P12ihipStream_tbEUlRKtE_EESV_SZ_S10_mS11_S14_bEUlT_E_NS1_11comp_targetILNS1_3genE0ELNS1_11target_archE4294967295ELNS1_3gpuE0ELNS1_3repE0EEENS1_30default_config_static_selectorELNS0_4arch9wavefront6targetE1EEEvSY_.kd
    .uniform_work_group_size: 1
    .uses_dynamic_stack: false
    .vgpr_count:     0
    .vgpr_spill_count: 0
    .wavefront_size: 64
  - .args:
      - .offset:         0
        .size:           56
        .value_kind:     by_value
    .group_segment_fixed_size: 0
    .kernarg_segment_align: 8
    .kernarg_segment_size: 56
    .language:       OpenCL C
    .language_version:
      - 2
      - 0
    .max_flat_workgroup_size: 256
    .name:           _ZN7rocprim17ROCPRIM_400000_NS6detail17trampoline_kernelINS0_14default_configENS1_29binary_search_config_selectorItiEEZNS1_14transform_implILb0ES3_S5_N6thrust23THRUST_200600_302600_NS6detail15normal_iteratorINS8_7pointerItNS8_11hip_rocprim5par_tENS8_11use_defaultESE_EEEENSA_INSB_IiSD_SE_SE_EEEEZNS1_13binary_searchIS3_S5_NSA_INS8_10device_ptrItEEEESG_SI_NS1_16binary_search_opENS9_16wrapped_functionINS8_6system6detail7generic6detail18binary_search_lessEbEEEE10hipError_tPvRmT1_T2_T3_mmT4_T5_P12ihipStream_tbEUlRKtE_EESV_SZ_S10_mS11_S14_bEUlT_E_NS1_11comp_targetILNS1_3genE5ELNS1_11target_archE942ELNS1_3gpuE9ELNS1_3repE0EEENS1_30default_config_static_selectorELNS0_4arch9wavefront6targetE1EEEvSY_
    .private_segment_fixed_size: 0
    .sgpr_count:     4
    .sgpr_spill_count: 0
    .symbol:         _ZN7rocprim17ROCPRIM_400000_NS6detail17trampoline_kernelINS0_14default_configENS1_29binary_search_config_selectorItiEEZNS1_14transform_implILb0ES3_S5_N6thrust23THRUST_200600_302600_NS6detail15normal_iteratorINS8_7pointerItNS8_11hip_rocprim5par_tENS8_11use_defaultESE_EEEENSA_INSB_IiSD_SE_SE_EEEEZNS1_13binary_searchIS3_S5_NSA_INS8_10device_ptrItEEEESG_SI_NS1_16binary_search_opENS9_16wrapped_functionINS8_6system6detail7generic6detail18binary_search_lessEbEEEE10hipError_tPvRmT1_T2_T3_mmT4_T5_P12ihipStream_tbEUlRKtE_EESV_SZ_S10_mS11_S14_bEUlT_E_NS1_11comp_targetILNS1_3genE5ELNS1_11target_archE942ELNS1_3gpuE9ELNS1_3repE0EEENS1_30default_config_static_selectorELNS0_4arch9wavefront6targetE1EEEvSY_.kd
    .uniform_work_group_size: 1
    .uses_dynamic_stack: false
    .vgpr_count:     0
    .vgpr_spill_count: 0
    .wavefront_size: 64
  - .args:
      - .offset:         0
        .size:           56
        .value_kind:     by_value
    .group_segment_fixed_size: 0
    .kernarg_segment_align: 8
    .kernarg_segment_size: 56
    .language:       OpenCL C
    .language_version:
      - 2
      - 0
    .max_flat_workgroup_size: 256
    .name:           _ZN7rocprim17ROCPRIM_400000_NS6detail17trampoline_kernelINS0_14default_configENS1_29binary_search_config_selectorItiEEZNS1_14transform_implILb0ES3_S5_N6thrust23THRUST_200600_302600_NS6detail15normal_iteratorINS8_7pointerItNS8_11hip_rocprim5par_tENS8_11use_defaultESE_EEEENSA_INSB_IiSD_SE_SE_EEEEZNS1_13binary_searchIS3_S5_NSA_INS8_10device_ptrItEEEESG_SI_NS1_16binary_search_opENS9_16wrapped_functionINS8_6system6detail7generic6detail18binary_search_lessEbEEEE10hipError_tPvRmT1_T2_T3_mmT4_T5_P12ihipStream_tbEUlRKtE_EESV_SZ_S10_mS11_S14_bEUlT_E_NS1_11comp_targetILNS1_3genE4ELNS1_11target_archE910ELNS1_3gpuE8ELNS1_3repE0EEENS1_30default_config_static_selectorELNS0_4arch9wavefront6targetE1EEEvSY_
    .private_segment_fixed_size: 0
    .sgpr_count:     4
    .sgpr_spill_count: 0
    .symbol:         _ZN7rocprim17ROCPRIM_400000_NS6detail17trampoline_kernelINS0_14default_configENS1_29binary_search_config_selectorItiEEZNS1_14transform_implILb0ES3_S5_N6thrust23THRUST_200600_302600_NS6detail15normal_iteratorINS8_7pointerItNS8_11hip_rocprim5par_tENS8_11use_defaultESE_EEEENSA_INSB_IiSD_SE_SE_EEEEZNS1_13binary_searchIS3_S5_NSA_INS8_10device_ptrItEEEESG_SI_NS1_16binary_search_opENS9_16wrapped_functionINS8_6system6detail7generic6detail18binary_search_lessEbEEEE10hipError_tPvRmT1_T2_T3_mmT4_T5_P12ihipStream_tbEUlRKtE_EESV_SZ_S10_mS11_S14_bEUlT_E_NS1_11comp_targetILNS1_3genE4ELNS1_11target_archE910ELNS1_3gpuE8ELNS1_3repE0EEENS1_30default_config_static_selectorELNS0_4arch9wavefront6targetE1EEEvSY_.kd
    .uniform_work_group_size: 1
    .uses_dynamic_stack: false
    .vgpr_count:     0
    .vgpr_spill_count: 0
    .wavefront_size: 64
  - .args:
      - .offset:         0
        .size:           56
        .value_kind:     by_value
    .group_segment_fixed_size: 0
    .kernarg_segment_align: 8
    .kernarg_segment_size: 56
    .language:       OpenCL C
    .language_version:
      - 2
      - 0
    .max_flat_workgroup_size: 128
    .name:           _ZN7rocprim17ROCPRIM_400000_NS6detail17trampoline_kernelINS0_14default_configENS1_29binary_search_config_selectorItiEEZNS1_14transform_implILb0ES3_S5_N6thrust23THRUST_200600_302600_NS6detail15normal_iteratorINS8_7pointerItNS8_11hip_rocprim5par_tENS8_11use_defaultESE_EEEENSA_INSB_IiSD_SE_SE_EEEEZNS1_13binary_searchIS3_S5_NSA_INS8_10device_ptrItEEEESG_SI_NS1_16binary_search_opENS9_16wrapped_functionINS8_6system6detail7generic6detail18binary_search_lessEbEEEE10hipError_tPvRmT1_T2_T3_mmT4_T5_P12ihipStream_tbEUlRKtE_EESV_SZ_S10_mS11_S14_bEUlT_E_NS1_11comp_targetILNS1_3genE3ELNS1_11target_archE908ELNS1_3gpuE7ELNS1_3repE0EEENS1_30default_config_static_selectorELNS0_4arch9wavefront6targetE1EEEvSY_
    .private_segment_fixed_size: 0
    .sgpr_count:     4
    .sgpr_spill_count: 0
    .symbol:         _ZN7rocprim17ROCPRIM_400000_NS6detail17trampoline_kernelINS0_14default_configENS1_29binary_search_config_selectorItiEEZNS1_14transform_implILb0ES3_S5_N6thrust23THRUST_200600_302600_NS6detail15normal_iteratorINS8_7pointerItNS8_11hip_rocprim5par_tENS8_11use_defaultESE_EEEENSA_INSB_IiSD_SE_SE_EEEEZNS1_13binary_searchIS3_S5_NSA_INS8_10device_ptrItEEEESG_SI_NS1_16binary_search_opENS9_16wrapped_functionINS8_6system6detail7generic6detail18binary_search_lessEbEEEE10hipError_tPvRmT1_T2_T3_mmT4_T5_P12ihipStream_tbEUlRKtE_EESV_SZ_S10_mS11_S14_bEUlT_E_NS1_11comp_targetILNS1_3genE3ELNS1_11target_archE908ELNS1_3gpuE7ELNS1_3repE0EEENS1_30default_config_static_selectorELNS0_4arch9wavefront6targetE1EEEvSY_.kd
    .uniform_work_group_size: 1
    .uses_dynamic_stack: false
    .vgpr_count:     0
    .vgpr_spill_count: 0
    .wavefront_size: 64
  - .args:
      - .offset:         0
        .size:           56
        .value_kind:     by_value
      - .offset:         56
        .size:           4
        .value_kind:     hidden_block_count_x
      - .offset:         60
        .size:           4
        .value_kind:     hidden_block_count_y
      - .offset:         64
        .size:           4
        .value_kind:     hidden_block_count_z
      - .offset:         68
        .size:           2
        .value_kind:     hidden_group_size_x
      - .offset:         70
        .size:           2
        .value_kind:     hidden_group_size_y
      - .offset:         72
        .size:           2
        .value_kind:     hidden_group_size_z
      - .offset:         74
        .size:           2
        .value_kind:     hidden_remainder_x
      - .offset:         76
        .size:           2
        .value_kind:     hidden_remainder_y
      - .offset:         78
        .size:           2
        .value_kind:     hidden_remainder_z
      - .offset:         96
        .size:           8
        .value_kind:     hidden_global_offset_x
      - .offset:         104
        .size:           8
        .value_kind:     hidden_global_offset_y
      - .offset:         112
        .size:           8
        .value_kind:     hidden_global_offset_z
      - .offset:         120
        .size:           2
        .value_kind:     hidden_grid_dims
    .group_segment_fixed_size: 0
    .kernarg_segment_align: 8
    .kernarg_segment_size: 312
    .language:       OpenCL C
    .language_version:
      - 2
      - 0
    .max_flat_workgroup_size: 256
    .name:           _ZN7rocprim17ROCPRIM_400000_NS6detail17trampoline_kernelINS0_14default_configENS1_29binary_search_config_selectorItiEEZNS1_14transform_implILb0ES3_S5_N6thrust23THRUST_200600_302600_NS6detail15normal_iteratorINS8_7pointerItNS8_11hip_rocprim5par_tENS8_11use_defaultESE_EEEENSA_INSB_IiSD_SE_SE_EEEEZNS1_13binary_searchIS3_S5_NSA_INS8_10device_ptrItEEEESG_SI_NS1_16binary_search_opENS9_16wrapped_functionINS8_6system6detail7generic6detail18binary_search_lessEbEEEE10hipError_tPvRmT1_T2_T3_mmT4_T5_P12ihipStream_tbEUlRKtE_EESV_SZ_S10_mS11_S14_bEUlT_E_NS1_11comp_targetILNS1_3genE2ELNS1_11target_archE906ELNS1_3gpuE6ELNS1_3repE0EEENS1_30default_config_static_selectorELNS0_4arch9wavefront6targetE1EEEvSY_
    .private_segment_fixed_size: 0
    .sgpr_count:     30
    .sgpr_spill_count: 0
    .symbol:         _ZN7rocprim17ROCPRIM_400000_NS6detail17trampoline_kernelINS0_14default_configENS1_29binary_search_config_selectorItiEEZNS1_14transform_implILb0ES3_S5_N6thrust23THRUST_200600_302600_NS6detail15normal_iteratorINS8_7pointerItNS8_11hip_rocprim5par_tENS8_11use_defaultESE_EEEENSA_INSB_IiSD_SE_SE_EEEEZNS1_13binary_searchIS3_S5_NSA_INS8_10device_ptrItEEEESG_SI_NS1_16binary_search_opENS9_16wrapped_functionINS8_6system6detail7generic6detail18binary_search_lessEbEEEE10hipError_tPvRmT1_T2_T3_mmT4_T5_P12ihipStream_tbEUlRKtE_EESV_SZ_S10_mS11_S14_bEUlT_E_NS1_11comp_targetILNS1_3genE2ELNS1_11target_archE906ELNS1_3gpuE6ELNS1_3repE0EEENS1_30default_config_static_selectorELNS0_4arch9wavefront6targetE1EEEvSY_.kd
    .uniform_work_group_size: 1
    .uses_dynamic_stack: false
    .vgpr_count:     16
    .vgpr_spill_count: 0
    .wavefront_size: 64
  - .args:
      - .offset:         0
        .size:           56
        .value_kind:     by_value
    .group_segment_fixed_size: 0
    .kernarg_segment_align: 8
    .kernarg_segment_size: 56
    .language:       OpenCL C
    .language_version:
      - 2
      - 0
    .max_flat_workgroup_size: 256
    .name:           _ZN7rocprim17ROCPRIM_400000_NS6detail17trampoline_kernelINS0_14default_configENS1_29binary_search_config_selectorItiEEZNS1_14transform_implILb0ES3_S5_N6thrust23THRUST_200600_302600_NS6detail15normal_iteratorINS8_7pointerItNS8_11hip_rocprim5par_tENS8_11use_defaultESE_EEEENSA_INSB_IiSD_SE_SE_EEEEZNS1_13binary_searchIS3_S5_NSA_INS8_10device_ptrItEEEESG_SI_NS1_16binary_search_opENS9_16wrapped_functionINS8_6system6detail7generic6detail18binary_search_lessEbEEEE10hipError_tPvRmT1_T2_T3_mmT4_T5_P12ihipStream_tbEUlRKtE_EESV_SZ_S10_mS11_S14_bEUlT_E_NS1_11comp_targetILNS1_3genE10ELNS1_11target_archE1201ELNS1_3gpuE5ELNS1_3repE0EEENS1_30default_config_static_selectorELNS0_4arch9wavefront6targetE1EEEvSY_
    .private_segment_fixed_size: 0
    .sgpr_count:     4
    .sgpr_spill_count: 0
    .symbol:         _ZN7rocprim17ROCPRIM_400000_NS6detail17trampoline_kernelINS0_14default_configENS1_29binary_search_config_selectorItiEEZNS1_14transform_implILb0ES3_S5_N6thrust23THRUST_200600_302600_NS6detail15normal_iteratorINS8_7pointerItNS8_11hip_rocprim5par_tENS8_11use_defaultESE_EEEENSA_INSB_IiSD_SE_SE_EEEEZNS1_13binary_searchIS3_S5_NSA_INS8_10device_ptrItEEEESG_SI_NS1_16binary_search_opENS9_16wrapped_functionINS8_6system6detail7generic6detail18binary_search_lessEbEEEE10hipError_tPvRmT1_T2_T3_mmT4_T5_P12ihipStream_tbEUlRKtE_EESV_SZ_S10_mS11_S14_bEUlT_E_NS1_11comp_targetILNS1_3genE10ELNS1_11target_archE1201ELNS1_3gpuE5ELNS1_3repE0EEENS1_30default_config_static_selectorELNS0_4arch9wavefront6targetE1EEEvSY_.kd
    .uniform_work_group_size: 1
    .uses_dynamic_stack: false
    .vgpr_count:     0
    .vgpr_spill_count: 0
    .wavefront_size: 64
  - .args:
      - .offset:         0
        .size:           56
        .value_kind:     by_value
    .group_segment_fixed_size: 0
    .kernarg_segment_align: 8
    .kernarg_segment_size: 56
    .language:       OpenCL C
    .language_version:
      - 2
      - 0
    .max_flat_workgroup_size: 256
    .name:           _ZN7rocprim17ROCPRIM_400000_NS6detail17trampoline_kernelINS0_14default_configENS1_29binary_search_config_selectorItiEEZNS1_14transform_implILb0ES3_S5_N6thrust23THRUST_200600_302600_NS6detail15normal_iteratorINS8_7pointerItNS8_11hip_rocprim5par_tENS8_11use_defaultESE_EEEENSA_INSB_IiSD_SE_SE_EEEEZNS1_13binary_searchIS3_S5_NSA_INS8_10device_ptrItEEEESG_SI_NS1_16binary_search_opENS9_16wrapped_functionINS8_6system6detail7generic6detail18binary_search_lessEbEEEE10hipError_tPvRmT1_T2_T3_mmT4_T5_P12ihipStream_tbEUlRKtE_EESV_SZ_S10_mS11_S14_bEUlT_E_NS1_11comp_targetILNS1_3genE10ELNS1_11target_archE1200ELNS1_3gpuE4ELNS1_3repE0EEENS1_30default_config_static_selectorELNS0_4arch9wavefront6targetE1EEEvSY_
    .private_segment_fixed_size: 0
    .sgpr_count:     4
    .sgpr_spill_count: 0
    .symbol:         _ZN7rocprim17ROCPRIM_400000_NS6detail17trampoline_kernelINS0_14default_configENS1_29binary_search_config_selectorItiEEZNS1_14transform_implILb0ES3_S5_N6thrust23THRUST_200600_302600_NS6detail15normal_iteratorINS8_7pointerItNS8_11hip_rocprim5par_tENS8_11use_defaultESE_EEEENSA_INSB_IiSD_SE_SE_EEEEZNS1_13binary_searchIS3_S5_NSA_INS8_10device_ptrItEEEESG_SI_NS1_16binary_search_opENS9_16wrapped_functionINS8_6system6detail7generic6detail18binary_search_lessEbEEEE10hipError_tPvRmT1_T2_T3_mmT4_T5_P12ihipStream_tbEUlRKtE_EESV_SZ_S10_mS11_S14_bEUlT_E_NS1_11comp_targetILNS1_3genE10ELNS1_11target_archE1200ELNS1_3gpuE4ELNS1_3repE0EEENS1_30default_config_static_selectorELNS0_4arch9wavefront6targetE1EEEvSY_.kd
    .uniform_work_group_size: 1
    .uses_dynamic_stack: false
    .vgpr_count:     0
    .vgpr_spill_count: 0
    .wavefront_size: 64
  - .args:
      - .offset:         0
        .size:           56
        .value_kind:     by_value
    .group_segment_fixed_size: 0
    .kernarg_segment_align: 8
    .kernarg_segment_size: 56
    .language:       OpenCL C
    .language_version:
      - 2
      - 0
    .max_flat_workgroup_size: 64
    .name:           _ZN7rocprim17ROCPRIM_400000_NS6detail17trampoline_kernelINS0_14default_configENS1_29binary_search_config_selectorItiEEZNS1_14transform_implILb0ES3_S5_N6thrust23THRUST_200600_302600_NS6detail15normal_iteratorINS8_7pointerItNS8_11hip_rocprim5par_tENS8_11use_defaultESE_EEEENSA_INSB_IiSD_SE_SE_EEEEZNS1_13binary_searchIS3_S5_NSA_INS8_10device_ptrItEEEESG_SI_NS1_16binary_search_opENS9_16wrapped_functionINS8_6system6detail7generic6detail18binary_search_lessEbEEEE10hipError_tPvRmT1_T2_T3_mmT4_T5_P12ihipStream_tbEUlRKtE_EESV_SZ_S10_mS11_S14_bEUlT_E_NS1_11comp_targetILNS1_3genE9ELNS1_11target_archE1100ELNS1_3gpuE3ELNS1_3repE0EEENS1_30default_config_static_selectorELNS0_4arch9wavefront6targetE1EEEvSY_
    .private_segment_fixed_size: 0
    .sgpr_count:     4
    .sgpr_spill_count: 0
    .symbol:         _ZN7rocprim17ROCPRIM_400000_NS6detail17trampoline_kernelINS0_14default_configENS1_29binary_search_config_selectorItiEEZNS1_14transform_implILb0ES3_S5_N6thrust23THRUST_200600_302600_NS6detail15normal_iteratorINS8_7pointerItNS8_11hip_rocprim5par_tENS8_11use_defaultESE_EEEENSA_INSB_IiSD_SE_SE_EEEEZNS1_13binary_searchIS3_S5_NSA_INS8_10device_ptrItEEEESG_SI_NS1_16binary_search_opENS9_16wrapped_functionINS8_6system6detail7generic6detail18binary_search_lessEbEEEE10hipError_tPvRmT1_T2_T3_mmT4_T5_P12ihipStream_tbEUlRKtE_EESV_SZ_S10_mS11_S14_bEUlT_E_NS1_11comp_targetILNS1_3genE9ELNS1_11target_archE1100ELNS1_3gpuE3ELNS1_3repE0EEENS1_30default_config_static_selectorELNS0_4arch9wavefront6targetE1EEEvSY_.kd
    .uniform_work_group_size: 1
    .uses_dynamic_stack: false
    .vgpr_count:     0
    .vgpr_spill_count: 0
    .wavefront_size: 64
  - .args:
      - .offset:         0
        .size:           56
        .value_kind:     by_value
    .group_segment_fixed_size: 0
    .kernarg_segment_align: 8
    .kernarg_segment_size: 56
    .language:       OpenCL C
    .language_version:
      - 2
      - 0
    .max_flat_workgroup_size: 128
    .name:           _ZN7rocprim17ROCPRIM_400000_NS6detail17trampoline_kernelINS0_14default_configENS1_29binary_search_config_selectorItiEEZNS1_14transform_implILb0ES3_S5_N6thrust23THRUST_200600_302600_NS6detail15normal_iteratorINS8_7pointerItNS8_11hip_rocprim5par_tENS8_11use_defaultESE_EEEENSA_INSB_IiSD_SE_SE_EEEEZNS1_13binary_searchIS3_S5_NSA_INS8_10device_ptrItEEEESG_SI_NS1_16binary_search_opENS9_16wrapped_functionINS8_6system6detail7generic6detail18binary_search_lessEbEEEE10hipError_tPvRmT1_T2_T3_mmT4_T5_P12ihipStream_tbEUlRKtE_EESV_SZ_S10_mS11_S14_bEUlT_E_NS1_11comp_targetILNS1_3genE8ELNS1_11target_archE1030ELNS1_3gpuE2ELNS1_3repE0EEENS1_30default_config_static_selectorELNS0_4arch9wavefront6targetE1EEEvSY_
    .private_segment_fixed_size: 0
    .sgpr_count:     4
    .sgpr_spill_count: 0
    .symbol:         _ZN7rocprim17ROCPRIM_400000_NS6detail17trampoline_kernelINS0_14default_configENS1_29binary_search_config_selectorItiEEZNS1_14transform_implILb0ES3_S5_N6thrust23THRUST_200600_302600_NS6detail15normal_iteratorINS8_7pointerItNS8_11hip_rocprim5par_tENS8_11use_defaultESE_EEEENSA_INSB_IiSD_SE_SE_EEEEZNS1_13binary_searchIS3_S5_NSA_INS8_10device_ptrItEEEESG_SI_NS1_16binary_search_opENS9_16wrapped_functionINS8_6system6detail7generic6detail18binary_search_lessEbEEEE10hipError_tPvRmT1_T2_T3_mmT4_T5_P12ihipStream_tbEUlRKtE_EESV_SZ_S10_mS11_S14_bEUlT_E_NS1_11comp_targetILNS1_3genE8ELNS1_11target_archE1030ELNS1_3gpuE2ELNS1_3repE0EEENS1_30default_config_static_selectorELNS0_4arch9wavefront6targetE1EEEvSY_.kd
    .uniform_work_group_size: 1
    .uses_dynamic_stack: false
    .vgpr_count:     0
    .vgpr_spill_count: 0
    .wavefront_size: 64
  - .args:
      - .offset:         0
        .size:           56
        .value_kind:     by_value
    .group_segment_fixed_size: 0
    .kernarg_segment_align: 8
    .kernarg_segment_size: 56
    .language:       OpenCL C
    .language_version:
      - 2
      - 0
    .max_flat_workgroup_size: 256
    .name:           _ZN7rocprim17ROCPRIM_400000_NS6detail17trampoline_kernelINS0_14default_configENS1_29binary_search_config_selectorIxiEEZNS1_14transform_implILb0ES3_S5_N6thrust23THRUST_200600_302600_NS6detail15normal_iteratorINS8_7pointerIxNS8_11hip_rocprim5par_tENS8_11use_defaultESE_EEEENSA_INSB_IiSD_SE_SE_EEEEZNS1_13binary_searchIS3_S5_NSA_INS8_10device_ptrIxEEEESG_SI_NS1_16binary_search_opENS9_16wrapped_functionINS8_6system6detail7generic6detail18binary_search_lessEbEEEE10hipError_tPvRmT1_T2_T3_mmT4_T5_P12ihipStream_tbEUlRKxE_EESV_SZ_S10_mS11_S14_bEUlT_E_NS1_11comp_targetILNS1_3genE0ELNS1_11target_archE4294967295ELNS1_3gpuE0ELNS1_3repE0EEENS1_30default_config_static_selectorELNS0_4arch9wavefront6targetE1EEEvSY_
    .private_segment_fixed_size: 0
    .sgpr_count:     4
    .sgpr_spill_count: 0
    .symbol:         _ZN7rocprim17ROCPRIM_400000_NS6detail17trampoline_kernelINS0_14default_configENS1_29binary_search_config_selectorIxiEEZNS1_14transform_implILb0ES3_S5_N6thrust23THRUST_200600_302600_NS6detail15normal_iteratorINS8_7pointerIxNS8_11hip_rocprim5par_tENS8_11use_defaultESE_EEEENSA_INSB_IiSD_SE_SE_EEEEZNS1_13binary_searchIS3_S5_NSA_INS8_10device_ptrIxEEEESG_SI_NS1_16binary_search_opENS9_16wrapped_functionINS8_6system6detail7generic6detail18binary_search_lessEbEEEE10hipError_tPvRmT1_T2_T3_mmT4_T5_P12ihipStream_tbEUlRKxE_EESV_SZ_S10_mS11_S14_bEUlT_E_NS1_11comp_targetILNS1_3genE0ELNS1_11target_archE4294967295ELNS1_3gpuE0ELNS1_3repE0EEENS1_30default_config_static_selectorELNS0_4arch9wavefront6targetE1EEEvSY_.kd
    .uniform_work_group_size: 1
    .uses_dynamic_stack: false
    .vgpr_count:     0
    .vgpr_spill_count: 0
    .wavefront_size: 64
  - .args:
      - .offset:         0
        .size:           56
        .value_kind:     by_value
    .group_segment_fixed_size: 0
    .kernarg_segment_align: 8
    .kernarg_segment_size: 56
    .language:       OpenCL C
    .language_version:
      - 2
      - 0
    .max_flat_workgroup_size: 64
    .name:           _ZN7rocprim17ROCPRIM_400000_NS6detail17trampoline_kernelINS0_14default_configENS1_29binary_search_config_selectorIxiEEZNS1_14transform_implILb0ES3_S5_N6thrust23THRUST_200600_302600_NS6detail15normal_iteratorINS8_7pointerIxNS8_11hip_rocprim5par_tENS8_11use_defaultESE_EEEENSA_INSB_IiSD_SE_SE_EEEEZNS1_13binary_searchIS3_S5_NSA_INS8_10device_ptrIxEEEESG_SI_NS1_16binary_search_opENS9_16wrapped_functionINS8_6system6detail7generic6detail18binary_search_lessEbEEEE10hipError_tPvRmT1_T2_T3_mmT4_T5_P12ihipStream_tbEUlRKxE_EESV_SZ_S10_mS11_S14_bEUlT_E_NS1_11comp_targetILNS1_3genE5ELNS1_11target_archE942ELNS1_3gpuE9ELNS1_3repE0EEENS1_30default_config_static_selectorELNS0_4arch9wavefront6targetE1EEEvSY_
    .private_segment_fixed_size: 0
    .sgpr_count:     4
    .sgpr_spill_count: 0
    .symbol:         _ZN7rocprim17ROCPRIM_400000_NS6detail17trampoline_kernelINS0_14default_configENS1_29binary_search_config_selectorIxiEEZNS1_14transform_implILb0ES3_S5_N6thrust23THRUST_200600_302600_NS6detail15normal_iteratorINS8_7pointerIxNS8_11hip_rocprim5par_tENS8_11use_defaultESE_EEEENSA_INSB_IiSD_SE_SE_EEEEZNS1_13binary_searchIS3_S5_NSA_INS8_10device_ptrIxEEEESG_SI_NS1_16binary_search_opENS9_16wrapped_functionINS8_6system6detail7generic6detail18binary_search_lessEbEEEE10hipError_tPvRmT1_T2_T3_mmT4_T5_P12ihipStream_tbEUlRKxE_EESV_SZ_S10_mS11_S14_bEUlT_E_NS1_11comp_targetILNS1_3genE5ELNS1_11target_archE942ELNS1_3gpuE9ELNS1_3repE0EEENS1_30default_config_static_selectorELNS0_4arch9wavefront6targetE1EEEvSY_.kd
    .uniform_work_group_size: 1
    .uses_dynamic_stack: false
    .vgpr_count:     0
    .vgpr_spill_count: 0
    .wavefront_size: 64
  - .args:
      - .offset:         0
        .size:           56
        .value_kind:     by_value
    .group_segment_fixed_size: 0
    .kernarg_segment_align: 8
    .kernarg_segment_size: 56
    .language:       OpenCL C
    .language_version:
      - 2
      - 0
    .max_flat_workgroup_size: 64
    .name:           _ZN7rocprim17ROCPRIM_400000_NS6detail17trampoline_kernelINS0_14default_configENS1_29binary_search_config_selectorIxiEEZNS1_14transform_implILb0ES3_S5_N6thrust23THRUST_200600_302600_NS6detail15normal_iteratorINS8_7pointerIxNS8_11hip_rocprim5par_tENS8_11use_defaultESE_EEEENSA_INSB_IiSD_SE_SE_EEEEZNS1_13binary_searchIS3_S5_NSA_INS8_10device_ptrIxEEEESG_SI_NS1_16binary_search_opENS9_16wrapped_functionINS8_6system6detail7generic6detail18binary_search_lessEbEEEE10hipError_tPvRmT1_T2_T3_mmT4_T5_P12ihipStream_tbEUlRKxE_EESV_SZ_S10_mS11_S14_bEUlT_E_NS1_11comp_targetILNS1_3genE4ELNS1_11target_archE910ELNS1_3gpuE8ELNS1_3repE0EEENS1_30default_config_static_selectorELNS0_4arch9wavefront6targetE1EEEvSY_
    .private_segment_fixed_size: 0
    .sgpr_count:     4
    .sgpr_spill_count: 0
    .symbol:         _ZN7rocprim17ROCPRIM_400000_NS6detail17trampoline_kernelINS0_14default_configENS1_29binary_search_config_selectorIxiEEZNS1_14transform_implILb0ES3_S5_N6thrust23THRUST_200600_302600_NS6detail15normal_iteratorINS8_7pointerIxNS8_11hip_rocprim5par_tENS8_11use_defaultESE_EEEENSA_INSB_IiSD_SE_SE_EEEEZNS1_13binary_searchIS3_S5_NSA_INS8_10device_ptrIxEEEESG_SI_NS1_16binary_search_opENS9_16wrapped_functionINS8_6system6detail7generic6detail18binary_search_lessEbEEEE10hipError_tPvRmT1_T2_T3_mmT4_T5_P12ihipStream_tbEUlRKxE_EESV_SZ_S10_mS11_S14_bEUlT_E_NS1_11comp_targetILNS1_3genE4ELNS1_11target_archE910ELNS1_3gpuE8ELNS1_3repE0EEENS1_30default_config_static_selectorELNS0_4arch9wavefront6targetE1EEEvSY_.kd
    .uniform_work_group_size: 1
    .uses_dynamic_stack: false
    .vgpr_count:     0
    .vgpr_spill_count: 0
    .wavefront_size: 64
  - .args:
      - .offset:         0
        .size:           56
        .value_kind:     by_value
    .group_segment_fixed_size: 0
    .kernarg_segment_align: 8
    .kernarg_segment_size: 56
    .language:       OpenCL C
    .language_version:
      - 2
      - 0
    .max_flat_workgroup_size: 256
    .name:           _ZN7rocprim17ROCPRIM_400000_NS6detail17trampoline_kernelINS0_14default_configENS1_29binary_search_config_selectorIxiEEZNS1_14transform_implILb0ES3_S5_N6thrust23THRUST_200600_302600_NS6detail15normal_iteratorINS8_7pointerIxNS8_11hip_rocprim5par_tENS8_11use_defaultESE_EEEENSA_INSB_IiSD_SE_SE_EEEEZNS1_13binary_searchIS3_S5_NSA_INS8_10device_ptrIxEEEESG_SI_NS1_16binary_search_opENS9_16wrapped_functionINS8_6system6detail7generic6detail18binary_search_lessEbEEEE10hipError_tPvRmT1_T2_T3_mmT4_T5_P12ihipStream_tbEUlRKxE_EESV_SZ_S10_mS11_S14_bEUlT_E_NS1_11comp_targetILNS1_3genE3ELNS1_11target_archE908ELNS1_3gpuE7ELNS1_3repE0EEENS1_30default_config_static_selectorELNS0_4arch9wavefront6targetE1EEEvSY_
    .private_segment_fixed_size: 0
    .sgpr_count:     4
    .sgpr_spill_count: 0
    .symbol:         _ZN7rocprim17ROCPRIM_400000_NS6detail17trampoline_kernelINS0_14default_configENS1_29binary_search_config_selectorIxiEEZNS1_14transform_implILb0ES3_S5_N6thrust23THRUST_200600_302600_NS6detail15normal_iteratorINS8_7pointerIxNS8_11hip_rocprim5par_tENS8_11use_defaultESE_EEEENSA_INSB_IiSD_SE_SE_EEEEZNS1_13binary_searchIS3_S5_NSA_INS8_10device_ptrIxEEEESG_SI_NS1_16binary_search_opENS9_16wrapped_functionINS8_6system6detail7generic6detail18binary_search_lessEbEEEE10hipError_tPvRmT1_T2_T3_mmT4_T5_P12ihipStream_tbEUlRKxE_EESV_SZ_S10_mS11_S14_bEUlT_E_NS1_11comp_targetILNS1_3genE3ELNS1_11target_archE908ELNS1_3gpuE7ELNS1_3repE0EEENS1_30default_config_static_selectorELNS0_4arch9wavefront6targetE1EEEvSY_.kd
    .uniform_work_group_size: 1
    .uses_dynamic_stack: false
    .vgpr_count:     0
    .vgpr_spill_count: 0
    .wavefront_size: 64
  - .args:
      - .offset:         0
        .size:           56
        .value_kind:     by_value
      - .offset:         56
        .size:           4
        .value_kind:     hidden_block_count_x
      - .offset:         60
        .size:           4
        .value_kind:     hidden_block_count_y
      - .offset:         64
        .size:           4
        .value_kind:     hidden_block_count_z
      - .offset:         68
        .size:           2
        .value_kind:     hidden_group_size_x
      - .offset:         70
        .size:           2
        .value_kind:     hidden_group_size_y
      - .offset:         72
        .size:           2
        .value_kind:     hidden_group_size_z
      - .offset:         74
        .size:           2
        .value_kind:     hidden_remainder_x
      - .offset:         76
        .size:           2
        .value_kind:     hidden_remainder_y
      - .offset:         78
        .size:           2
        .value_kind:     hidden_remainder_z
      - .offset:         96
        .size:           8
        .value_kind:     hidden_global_offset_x
      - .offset:         104
        .size:           8
        .value_kind:     hidden_global_offset_y
      - .offset:         112
        .size:           8
        .value_kind:     hidden_global_offset_z
      - .offset:         120
        .size:           2
        .value_kind:     hidden_grid_dims
    .group_segment_fixed_size: 0
    .kernarg_segment_align: 8
    .kernarg_segment_size: 312
    .language:       OpenCL C
    .language_version:
      - 2
      - 0
    .max_flat_workgroup_size: 256
    .name:           _ZN7rocprim17ROCPRIM_400000_NS6detail17trampoline_kernelINS0_14default_configENS1_29binary_search_config_selectorIxiEEZNS1_14transform_implILb0ES3_S5_N6thrust23THRUST_200600_302600_NS6detail15normal_iteratorINS8_7pointerIxNS8_11hip_rocprim5par_tENS8_11use_defaultESE_EEEENSA_INSB_IiSD_SE_SE_EEEEZNS1_13binary_searchIS3_S5_NSA_INS8_10device_ptrIxEEEESG_SI_NS1_16binary_search_opENS9_16wrapped_functionINS8_6system6detail7generic6detail18binary_search_lessEbEEEE10hipError_tPvRmT1_T2_T3_mmT4_T5_P12ihipStream_tbEUlRKxE_EESV_SZ_S10_mS11_S14_bEUlT_E_NS1_11comp_targetILNS1_3genE2ELNS1_11target_archE906ELNS1_3gpuE6ELNS1_3repE0EEENS1_30default_config_static_selectorELNS0_4arch9wavefront6targetE1EEEvSY_
    .private_segment_fixed_size: 0
    .sgpr_count:     24
    .sgpr_spill_count: 0
    .symbol:         _ZN7rocprim17ROCPRIM_400000_NS6detail17trampoline_kernelINS0_14default_configENS1_29binary_search_config_selectorIxiEEZNS1_14transform_implILb0ES3_S5_N6thrust23THRUST_200600_302600_NS6detail15normal_iteratorINS8_7pointerIxNS8_11hip_rocprim5par_tENS8_11use_defaultESE_EEEENSA_INSB_IiSD_SE_SE_EEEEZNS1_13binary_searchIS3_S5_NSA_INS8_10device_ptrIxEEEESG_SI_NS1_16binary_search_opENS9_16wrapped_functionINS8_6system6detail7generic6detail18binary_search_lessEbEEEE10hipError_tPvRmT1_T2_T3_mmT4_T5_P12ihipStream_tbEUlRKxE_EESV_SZ_S10_mS11_S14_bEUlT_E_NS1_11comp_targetILNS1_3genE2ELNS1_11target_archE906ELNS1_3gpuE6ELNS1_3repE0EEENS1_30default_config_static_selectorELNS0_4arch9wavefront6targetE1EEEvSY_.kd
    .uniform_work_group_size: 1
    .uses_dynamic_stack: false
    .vgpr_count:     15
    .vgpr_spill_count: 0
    .wavefront_size: 64
  - .args:
      - .offset:         0
        .size:           56
        .value_kind:     by_value
    .group_segment_fixed_size: 0
    .kernarg_segment_align: 8
    .kernarg_segment_size: 56
    .language:       OpenCL C
    .language_version:
      - 2
      - 0
    .max_flat_workgroup_size: 128
    .name:           _ZN7rocprim17ROCPRIM_400000_NS6detail17trampoline_kernelINS0_14default_configENS1_29binary_search_config_selectorIxiEEZNS1_14transform_implILb0ES3_S5_N6thrust23THRUST_200600_302600_NS6detail15normal_iteratorINS8_7pointerIxNS8_11hip_rocprim5par_tENS8_11use_defaultESE_EEEENSA_INSB_IiSD_SE_SE_EEEEZNS1_13binary_searchIS3_S5_NSA_INS8_10device_ptrIxEEEESG_SI_NS1_16binary_search_opENS9_16wrapped_functionINS8_6system6detail7generic6detail18binary_search_lessEbEEEE10hipError_tPvRmT1_T2_T3_mmT4_T5_P12ihipStream_tbEUlRKxE_EESV_SZ_S10_mS11_S14_bEUlT_E_NS1_11comp_targetILNS1_3genE10ELNS1_11target_archE1201ELNS1_3gpuE5ELNS1_3repE0EEENS1_30default_config_static_selectorELNS0_4arch9wavefront6targetE1EEEvSY_
    .private_segment_fixed_size: 0
    .sgpr_count:     4
    .sgpr_spill_count: 0
    .symbol:         _ZN7rocprim17ROCPRIM_400000_NS6detail17trampoline_kernelINS0_14default_configENS1_29binary_search_config_selectorIxiEEZNS1_14transform_implILb0ES3_S5_N6thrust23THRUST_200600_302600_NS6detail15normal_iteratorINS8_7pointerIxNS8_11hip_rocprim5par_tENS8_11use_defaultESE_EEEENSA_INSB_IiSD_SE_SE_EEEEZNS1_13binary_searchIS3_S5_NSA_INS8_10device_ptrIxEEEESG_SI_NS1_16binary_search_opENS9_16wrapped_functionINS8_6system6detail7generic6detail18binary_search_lessEbEEEE10hipError_tPvRmT1_T2_T3_mmT4_T5_P12ihipStream_tbEUlRKxE_EESV_SZ_S10_mS11_S14_bEUlT_E_NS1_11comp_targetILNS1_3genE10ELNS1_11target_archE1201ELNS1_3gpuE5ELNS1_3repE0EEENS1_30default_config_static_selectorELNS0_4arch9wavefront6targetE1EEEvSY_.kd
    .uniform_work_group_size: 1
    .uses_dynamic_stack: false
    .vgpr_count:     0
    .vgpr_spill_count: 0
    .wavefront_size: 64
  - .args:
      - .offset:         0
        .size:           56
        .value_kind:     by_value
    .group_segment_fixed_size: 0
    .kernarg_segment_align: 8
    .kernarg_segment_size: 56
    .language:       OpenCL C
    .language_version:
      - 2
      - 0
    .max_flat_workgroup_size: 128
    .name:           _ZN7rocprim17ROCPRIM_400000_NS6detail17trampoline_kernelINS0_14default_configENS1_29binary_search_config_selectorIxiEEZNS1_14transform_implILb0ES3_S5_N6thrust23THRUST_200600_302600_NS6detail15normal_iteratorINS8_7pointerIxNS8_11hip_rocprim5par_tENS8_11use_defaultESE_EEEENSA_INSB_IiSD_SE_SE_EEEEZNS1_13binary_searchIS3_S5_NSA_INS8_10device_ptrIxEEEESG_SI_NS1_16binary_search_opENS9_16wrapped_functionINS8_6system6detail7generic6detail18binary_search_lessEbEEEE10hipError_tPvRmT1_T2_T3_mmT4_T5_P12ihipStream_tbEUlRKxE_EESV_SZ_S10_mS11_S14_bEUlT_E_NS1_11comp_targetILNS1_3genE10ELNS1_11target_archE1200ELNS1_3gpuE4ELNS1_3repE0EEENS1_30default_config_static_selectorELNS0_4arch9wavefront6targetE1EEEvSY_
    .private_segment_fixed_size: 0
    .sgpr_count:     4
    .sgpr_spill_count: 0
    .symbol:         _ZN7rocprim17ROCPRIM_400000_NS6detail17trampoline_kernelINS0_14default_configENS1_29binary_search_config_selectorIxiEEZNS1_14transform_implILb0ES3_S5_N6thrust23THRUST_200600_302600_NS6detail15normal_iteratorINS8_7pointerIxNS8_11hip_rocprim5par_tENS8_11use_defaultESE_EEEENSA_INSB_IiSD_SE_SE_EEEEZNS1_13binary_searchIS3_S5_NSA_INS8_10device_ptrIxEEEESG_SI_NS1_16binary_search_opENS9_16wrapped_functionINS8_6system6detail7generic6detail18binary_search_lessEbEEEE10hipError_tPvRmT1_T2_T3_mmT4_T5_P12ihipStream_tbEUlRKxE_EESV_SZ_S10_mS11_S14_bEUlT_E_NS1_11comp_targetILNS1_3genE10ELNS1_11target_archE1200ELNS1_3gpuE4ELNS1_3repE0EEENS1_30default_config_static_selectorELNS0_4arch9wavefront6targetE1EEEvSY_.kd
    .uniform_work_group_size: 1
    .uses_dynamic_stack: false
    .vgpr_count:     0
    .vgpr_spill_count: 0
    .wavefront_size: 64
  - .args:
      - .offset:         0
        .size:           56
        .value_kind:     by_value
    .group_segment_fixed_size: 0
    .kernarg_segment_align: 8
    .kernarg_segment_size: 56
    .language:       OpenCL C
    .language_version:
      - 2
      - 0
    .max_flat_workgroup_size: 256
    .name:           _ZN7rocprim17ROCPRIM_400000_NS6detail17trampoline_kernelINS0_14default_configENS1_29binary_search_config_selectorIxiEEZNS1_14transform_implILb0ES3_S5_N6thrust23THRUST_200600_302600_NS6detail15normal_iteratorINS8_7pointerIxNS8_11hip_rocprim5par_tENS8_11use_defaultESE_EEEENSA_INSB_IiSD_SE_SE_EEEEZNS1_13binary_searchIS3_S5_NSA_INS8_10device_ptrIxEEEESG_SI_NS1_16binary_search_opENS9_16wrapped_functionINS8_6system6detail7generic6detail18binary_search_lessEbEEEE10hipError_tPvRmT1_T2_T3_mmT4_T5_P12ihipStream_tbEUlRKxE_EESV_SZ_S10_mS11_S14_bEUlT_E_NS1_11comp_targetILNS1_3genE9ELNS1_11target_archE1100ELNS1_3gpuE3ELNS1_3repE0EEENS1_30default_config_static_selectorELNS0_4arch9wavefront6targetE1EEEvSY_
    .private_segment_fixed_size: 0
    .sgpr_count:     4
    .sgpr_spill_count: 0
    .symbol:         _ZN7rocprim17ROCPRIM_400000_NS6detail17trampoline_kernelINS0_14default_configENS1_29binary_search_config_selectorIxiEEZNS1_14transform_implILb0ES3_S5_N6thrust23THRUST_200600_302600_NS6detail15normal_iteratorINS8_7pointerIxNS8_11hip_rocprim5par_tENS8_11use_defaultESE_EEEENSA_INSB_IiSD_SE_SE_EEEEZNS1_13binary_searchIS3_S5_NSA_INS8_10device_ptrIxEEEESG_SI_NS1_16binary_search_opENS9_16wrapped_functionINS8_6system6detail7generic6detail18binary_search_lessEbEEEE10hipError_tPvRmT1_T2_T3_mmT4_T5_P12ihipStream_tbEUlRKxE_EESV_SZ_S10_mS11_S14_bEUlT_E_NS1_11comp_targetILNS1_3genE9ELNS1_11target_archE1100ELNS1_3gpuE3ELNS1_3repE0EEENS1_30default_config_static_selectorELNS0_4arch9wavefront6targetE1EEEvSY_.kd
    .uniform_work_group_size: 1
    .uses_dynamic_stack: false
    .vgpr_count:     0
    .vgpr_spill_count: 0
    .wavefront_size: 64
  - .args:
      - .offset:         0
        .size:           56
        .value_kind:     by_value
    .group_segment_fixed_size: 0
    .kernarg_segment_align: 8
    .kernarg_segment_size: 56
    .language:       OpenCL C
    .language_version:
      - 2
      - 0
    .max_flat_workgroup_size: 256
    .name:           _ZN7rocprim17ROCPRIM_400000_NS6detail17trampoline_kernelINS0_14default_configENS1_29binary_search_config_selectorIxiEEZNS1_14transform_implILb0ES3_S5_N6thrust23THRUST_200600_302600_NS6detail15normal_iteratorINS8_7pointerIxNS8_11hip_rocprim5par_tENS8_11use_defaultESE_EEEENSA_INSB_IiSD_SE_SE_EEEEZNS1_13binary_searchIS3_S5_NSA_INS8_10device_ptrIxEEEESG_SI_NS1_16binary_search_opENS9_16wrapped_functionINS8_6system6detail7generic6detail18binary_search_lessEbEEEE10hipError_tPvRmT1_T2_T3_mmT4_T5_P12ihipStream_tbEUlRKxE_EESV_SZ_S10_mS11_S14_bEUlT_E_NS1_11comp_targetILNS1_3genE8ELNS1_11target_archE1030ELNS1_3gpuE2ELNS1_3repE0EEENS1_30default_config_static_selectorELNS0_4arch9wavefront6targetE1EEEvSY_
    .private_segment_fixed_size: 0
    .sgpr_count:     4
    .sgpr_spill_count: 0
    .symbol:         _ZN7rocprim17ROCPRIM_400000_NS6detail17trampoline_kernelINS0_14default_configENS1_29binary_search_config_selectorIxiEEZNS1_14transform_implILb0ES3_S5_N6thrust23THRUST_200600_302600_NS6detail15normal_iteratorINS8_7pointerIxNS8_11hip_rocprim5par_tENS8_11use_defaultESE_EEEENSA_INSB_IiSD_SE_SE_EEEEZNS1_13binary_searchIS3_S5_NSA_INS8_10device_ptrIxEEEESG_SI_NS1_16binary_search_opENS9_16wrapped_functionINS8_6system6detail7generic6detail18binary_search_lessEbEEEE10hipError_tPvRmT1_T2_T3_mmT4_T5_P12ihipStream_tbEUlRKxE_EESV_SZ_S10_mS11_S14_bEUlT_E_NS1_11comp_targetILNS1_3genE8ELNS1_11target_archE1030ELNS1_3gpuE2ELNS1_3repE0EEENS1_30default_config_static_selectorELNS0_4arch9wavefront6targetE1EEEvSY_.kd
    .uniform_work_group_size: 1
    .uses_dynamic_stack: false
    .vgpr_count:     0
    .vgpr_spill_count: 0
    .wavefront_size: 64
  - .args:
      - .offset:         0
        .size:           56
        .value_kind:     by_value
    .group_segment_fixed_size: 0
    .kernarg_segment_align: 8
    .kernarg_segment_size: 56
    .language:       OpenCL C
    .language_version:
      - 2
      - 0
    .max_flat_workgroup_size: 256
    .name:           _ZN7rocprim17ROCPRIM_400000_NS6detail17trampoline_kernelINS0_14default_configENS1_29binary_search_config_selectorIiiEEZNS1_14transform_implILb0ES3_S5_N6thrust23THRUST_200600_302600_NS6detail15normal_iteratorINS8_7pointerIiNS8_11hip_rocprim12par_nosync_tENS8_11use_defaultESE_EEEESG_ZNS1_13binary_searchIS3_S5_NSA_INS8_10device_ptrIiEEEESG_SG_NS1_16binary_search_opENS9_16wrapped_functionINS8_6system6detail7generic6detail18binary_search_lessEbEEEE10hipError_tPvRmT1_T2_T3_mmT4_T5_P12ihipStream_tbEUlRKiE_EEST_SX_SY_mSZ_S12_bEUlT_E_NS1_11comp_targetILNS1_3genE0ELNS1_11target_archE4294967295ELNS1_3gpuE0ELNS1_3repE0EEENS1_30default_config_static_selectorELNS0_4arch9wavefront6targetE1EEEvSW_
    .private_segment_fixed_size: 0
    .sgpr_count:     4
    .sgpr_spill_count: 0
    .symbol:         _ZN7rocprim17ROCPRIM_400000_NS6detail17trampoline_kernelINS0_14default_configENS1_29binary_search_config_selectorIiiEEZNS1_14transform_implILb0ES3_S5_N6thrust23THRUST_200600_302600_NS6detail15normal_iteratorINS8_7pointerIiNS8_11hip_rocprim12par_nosync_tENS8_11use_defaultESE_EEEESG_ZNS1_13binary_searchIS3_S5_NSA_INS8_10device_ptrIiEEEESG_SG_NS1_16binary_search_opENS9_16wrapped_functionINS8_6system6detail7generic6detail18binary_search_lessEbEEEE10hipError_tPvRmT1_T2_T3_mmT4_T5_P12ihipStream_tbEUlRKiE_EEST_SX_SY_mSZ_S12_bEUlT_E_NS1_11comp_targetILNS1_3genE0ELNS1_11target_archE4294967295ELNS1_3gpuE0ELNS1_3repE0EEENS1_30default_config_static_selectorELNS0_4arch9wavefront6targetE1EEEvSW_.kd
    .uniform_work_group_size: 1
    .uses_dynamic_stack: false
    .vgpr_count:     0
    .vgpr_spill_count: 0
    .wavefront_size: 64
  - .args:
      - .offset:         0
        .size:           56
        .value_kind:     by_value
    .group_segment_fixed_size: 0
    .kernarg_segment_align: 8
    .kernarg_segment_size: 56
    .language:       OpenCL C
    .language_version:
      - 2
      - 0
    .max_flat_workgroup_size: 256
    .name:           _ZN7rocprim17ROCPRIM_400000_NS6detail17trampoline_kernelINS0_14default_configENS1_29binary_search_config_selectorIiiEEZNS1_14transform_implILb0ES3_S5_N6thrust23THRUST_200600_302600_NS6detail15normal_iteratorINS8_7pointerIiNS8_11hip_rocprim12par_nosync_tENS8_11use_defaultESE_EEEESG_ZNS1_13binary_searchIS3_S5_NSA_INS8_10device_ptrIiEEEESG_SG_NS1_16binary_search_opENS9_16wrapped_functionINS8_6system6detail7generic6detail18binary_search_lessEbEEEE10hipError_tPvRmT1_T2_T3_mmT4_T5_P12ihipStream_tbEUlRKiE_EEST_SX_SY_mSZ_S12_bEUlT_E_NS1_11comp_targetILNS1_3genE5ELNS1_11target_archE942ELNS1_3gpuE9ELNS1_3repE0EEENS1_30default_config_static_selectorELNS0_4arch9wavefront6targetE1EEEvSW_
    .private_segment_fixed_size: 0
    .sgpr_count:     4
    .sgpr_spill_count: 0
    .symbol:         _ZN7rocprim17ROCPRIM_400000_NS6detail17trampoline_kernelINS0_14default_configENS1_29binary_search_config_selectorIiiEEZNS1_14transform_implILb0ES3_S5_N6thrust23THRUST_200600_302600_NS6detail15normal_iteratorINS8_7pointerIiNS8_11hip_rocprim12par_nosync_tENS8_11use_defaultESE_EEEESG_ZNS1_13binary_searchIS3_S5_NSA_INS8_10device_ptrIiEEEESG_SG_NS1_16binary_search_opENS9_16wrapped_functionINS8_6system6detail7generic6detail18binary_search_lessEbEEEE10hipError_tPvRmT1_T2_T3_mmT4_T5_P12ihipStream_tbEUlRKiE_EEST_SX_SY_mSZ_S12_bEUlT_E_NS1_11comp_targetILNS1_3genE5ELNS1_11target_archE942ELNS1_3gpuE9ELNS1_3repE0EEENS1_30default_config_static_selectorELNS0_4arch9wavefront6targetE1EEEvSW_.kd
    .uniform_work_group_size: 1
    .uses_dynamic_stack: false
    .vgpr_count:     0
    .vgpr_spill_count: 0
    .wavefront_size: 64
  - .args:
      - .offset:         0
        .size:           56
        .value_kind:     by_value
    .group_segment_fixed_size: 0
    .kernarg_segment_align: 8
    .kernarg_segment_size: 56
    .language:       OpenCL C
    .language_version:
      - 2
      - 0
    .max_flat_workgroup_size: 256
    .name:           _ZN7rocprim17ROCPRIM_400000_NS6detail17trampoline_kernelINS0_14default_configENS1_29binary_search_config_selectorIiiEEZNS1_14transform_implILb0ES3_S5_N6thrust23THRUST_200600_302600_NS6detail15normal_iteratorINS8_7pointerIiNS8_11hip_rocprim12par_nosync_tENS8_11use_defaultESE_EEEESG_ZNS1_13binary_searchIS3_S5_NSA_INS8_10device_ptrIiEEEESG_SG_NS1_16binary_search_opENS9_16wrapped_functionINS8_6system6detail7generic6detail18binary_search_lessEbEEEE10hipError_tPvRmT1_T2_T3_mmT4_T5_P12ihipStream_tbEUlRKiE_EEST_SX_SY_mSZ_S12_bEUlT_E_NS1_11comp_targetILNS1_3genE4ELNS1_11target_archE910ELNS1_3gpuE8ELNS1_3repE0EEENS1_30default_config_static_selectorELNS0_4arch9wavefront6targetE1EEEvSW_
    .private_segment_fixed_size: 0
    .sgpr_count:     4
    .sgpr_spill_count: 0
    .symbol:         _ZN7rocprim17ROCPRIM_400000_NS6detail17trampoline_kernelINS0_14default_configENS1_29binary_search_config_selectorIiiEEZNS1_14transform_implILb0ES3_S5_N6thrust23THRUST_200600_302600_NS6detail15normal_iteratorINS8_7pointerIiNS8_11hip_rocprim12par_nosync_tENS8_11use_defaultESE_EEEESG_ZNS1_13binary_searchIS3_S5_NSA_INS8_10device_ptrIiEEEESG_SG_NS1_16binary_search_opENS9_16wrapped_functionINS8_6system6detail7generic6detail18binary_search_lessEbEEEE10hipError_tPvRmT1_T2_T3_mmT4_T5_P12ihipStream_tbEUlRKiE_EEST_SX_SY_mSZ_S12_bEUlT_E_NS1_11comp_targetILNS1_3genE4ELNS1_11target_archE910ELNS1_3gpuE8ELNS1_3repE0EEENS1_30default_config_static_selectorELNS0_4arch9wavefront6targetE1EEEvSW_.kd
    .uniform_work_group_size: 1
    .uses_dynamic_stack: false
    .vgpr_count:     0
    .vgpr_spill_count: 0
    .wavefront_size: 64
  - .args:
      - .offset:         0
        .size:           56
        .value_kind:     by_value
    .group_segment_fixed_size: 0
    .kernarg_segment_align: 8
    .kernarg_segment_size: 56
    .language:       OpenCL C
    .language_version:
      - 2
      - 0
    .max_flat_workgroup_size: 256
    .name:           _ZN7rocprim17ROCPRIM_400000_NS6detail17trampoline_kernelINS0_14default_configENS1_29binary_search_config_selectorIiiEEZNS1_14transform_implILb0ES3_S5_N6thrust23THRUST_200600_302600_NS6detail15normal_iteratorINS8_7pointerIiNS8_11hip_rocprim12par_nosync_tENS8_11use_defaultESE_EEEESG_ZNS1_13binary_searchIS3_S5_NSA_INS8_10device_ptrIiEEEESG_SG_NS1_16binary_search_opENS9_16wrapped_functionINS8_6system6detail7generic6detail18binary_search_lessEbEEEE10hipError_tPvRmT1_T2_T3_mmT4_T5_P12ihipStream_tbEUlRKiE_EEST_SX_SY_mSZ_S12_bEUlT_E_NS1_11comp_targetILNS1_3genE3ELNS1_11target_archE908ELNS1_3gpuE7ELNS1_3repE0EEENS1_30default_config_static_selectorELNS0_4arch9wavefront6targetE1EEEvSW_
    .private_segment_fixed_size: 0
    .sgpr_count:     4
    .sgpr_spill_count: 0
    .symbol:         _ZN7rocprim17ROCPRIM_400000_NS6detail17trampoline_kernelINS0_14default_configENS1_29binary_search_config_selectorIiiEEZNS1_14transform_implILb0ES3_S5_N6thrust23THRUST_200600_302600_NS6detail15normal_iteratorINS8_7pointerIiNS8_11hip_rocprim12par_nosync_tENS8_11use_defaultESE_EEEESG_ZNS1_13binary_searchIS3_S5_NSA_INS8_10device_ptrIiEEEESG_SG_NS1_16binary_search_opENS9_16wrapped_functionINS8_6system6detail7generic6detail18binary_search_lessEbEEEE10hipError_tPvRmT1_T2_T3_mmT4_T5_P12ihipStream_tbEUlRKiE_EEST_SX_SY_mSZ_S12_bEUlT_E_NS1_11comp_targetILNS1_3genE3ELNS1_11target_archE908ELNS1_3gpuE7ELNS1_3repE0EEENS1_30default_config_static_selectorELNS0_4arch9wavefront6targetE1EEEvSW_.kd
    .uniform_work_group_size: 1
    .uses_dynamic_stack: false
    .vgpr_count:     0
    .vgpr_spill_count: 0
    .wavefront_size: 64
  - .args:
      - .offset:         0
        .size:           56
        .value_kind:     by_value
      - .offset:         56
        .size:           4
        .value_kind:     hidden_block_count_x
      - .offset:         60
        .size:           4
        .value_kind:     hidden_block_count_y
      - .offset:         64
        .size:           4
        .value_kind:     hidden_block_count_z
      - .offset:         68
        .size:           2
        .value_kind:     hidden_group_size_x
      - .offset:         70
        .size:           2
        .value_kind:     hidden_group_size_y
      - .offset:         72
        .size:           2
        .value_kind:     hidden_group_size_z
      - .offset:         74
        .size:           2
        .value_kind:     hidden_remainder_x
      - .offset:         76
        .size:           2
        .value_kind:     hidden_remainder_y
      - .offset:         78
        .size:           2
        .value_kind:     hidden_remainder_z
      - .offset:         96
        .size:           8
        .value_kind:     hidden_global_offset_x
      - .offset:         104
        .size:           8
        .value_kind:     hidden_global_offset_y
      - .offset:         112
        .size:           8
        .value_kind:     hidden_global_offset_z
      - .offset:         120
        .size:           2
        .value_kind:     hidden_grid_dims
    .group_segment_fixed_size: 0
    .kernarg_segment_align: 8
    .kernarg_segment_size: 312
    .language:       OpenCL C
    .language_version:
      - 2
      - 0
    .max_flat_workgroup_size: 256
    .name:           _ZN7rocprim17ROCPRIM_400000_NS6detail17trampoline_kernelINS0_14default_configENS1_29binary_search_config_selectorIiiEEZNS1_14transform_implILb0ES3_S5_N6thrust23THRUST_200600_302600_NS6detail15normal_iteratorINS8_7pointerIiNS8_11hip_rocprim12par_nosync_tENS8_11use_defaultESE_EEEESG_ZNS1_13binary_searchIS3_S5_NSA_INS8_10device_ptrIiEEEESG_SG_NS1_16binary_search_opENS9_16wrapped_functionINS8_6system6detail7generic6detail18binary_search_lessEbEEEE10hipError_tPvRmT1_T2_T3_mmT4_T5_P12ihipStream_tbEUlRKiE_EEST_SX_SY_mSZ_S12_bEUlT_E_NS1_11comp_targetILNS1_3genE2ELNS1_11target_archE906ELNS1_3gpuE6ELNS1_3repE0EEENS1_30default_config_static_selectorELNS0_4arch9wavefront6targetE1EEEvSW_
    .private_segment_fixed_size: 0
    .sgpr_count:     24
    .sgpr_spill_count: 0
    .symbol:         _ZN7rocprim17ROCPRIM_400000_NS6detail17trampoline_kernelINS0_14default_configENS1_29binary_search_config_selectorIiiEEZNS1_14transform_implILb0ES3_S5_N6thrust23THRUST_200600_302600_NS6detail15normal_iteratorINS8_7pointerIiNS8_11hip_rocprim12par_nosync_tENS8_11use_defaultESE_EEEESG_ZNS1_13binary_searchIS3_S5_NSA_INS8_10device_ptrIiEEEESG_SG_NS1_16binary_search_opENS9_16wrapped_functionINS8_6system6detail7generic6detail18binary_search_lessEbEEEE10hipError_tPvRmT1_T2_T3_mmT4_T5_P12ihipStream_tbEUlRKiE_EEST_SX_SY_mSZ_S12_bEUlT_E_NS1_11comp_targetILNS1_3genE2ELNS1_11target_archE906ELNS1_3gpuE6ELNS1_3repE0EEENS1_30default_config_static_selectorELNS0_4arch9wavefront6targetE1EEEvSW_.kd
    .uniform_work_group_size: 1
    .uses_dynamic_stack: false
    .vgpr_count:     13
    .vgpr_spill_count: 0
    .wavefront_size: 64
  - .args:
      - .offset:         0
        .size:           56
        .value_kind:     by_value
    .group_segment_fixed_size: 0
    .kernarg_segment_align: 8
    .kernarg_segment_size: 56
    .language:       OpenCL C
    .language_version:
      - 2
      - 0
    .max_flat_workgroup_size: 128
    .name:           _ZN7rocprim17ROCPRIM_400000_NS6detail17trampoline_kernelINS0_14default_configENS1_29binary_search_config_selectorIiiEEZNS1_14transform_implILb0ES3_S5_N6thrust23THRUST_200600_302600_NS6detail15normal_iteratorINS8_7pointerIiNS8_11hip_rocprim12par_nosync_tENS8_11use_defaultESE_EEEESG_ZNS1_13binary_searchIS3_S5_NSA_INS8_10device_ptrIiEEEESG_SG_NS1_16binary_search_opENS9_16wrapped_functionINS8_6system6detail7generic6detail18binary_search_lessEbEEEE10hipError_tPvRmT1_T2_T3_mmT4_T5_P12ihipStream_tbEUlRKiE_EEST_SX_SY_mSZ_S12_bEUlT_E_NS1_11comp_targetILNS1_3genE10ELNS1_11target_archE1201ELNS1_3gpuE5ELNS1_3repE0EEENS1_30default_config_static_selectorELNS0_4arch9wavefront6targetE1EEEvSW_
    .private_segment_fixed_size: 0
    .sgpr_count:     4
    .sgpr_spill_count: 0
    .symbol:         _ZN7rocprim17ROCPRIM_400000_NS6detail17trampoline_kernelINS0_14default_configENS1_29binary_search_config_selectorIiiEEZNS1_14transform_implILb0ES3_S5_N6thrust23THRUST_200600_302600_NS6detail15normal_iteratorINS8_7pointerIiNS8_11hip_rocprim12par_nosync_tENS8_11use_defaultESE_EEEESG_ZNS1_13binary_searchIS3_S5_NSA_INS8_10device_ptrIiEEEESG_SG_NS1_16binary_search_opENS9_16wrapped_functionINS8_6system6detail7generic6detail18binary_search_lessEbEEEE10hipError_tPvRmT1_T2_T3_mmT4_T5_P12ihipStream_tbEUlRKiE_EEST_SX_SY_mSZ_S12_bEUlT_E_NS1_11comp_targetILNS1_3genE10ELNS1_11target_archE1201ELNS1_3gpuE5ELNS1_3repE0EEENS1_30default_config_static_selectorELNS0_4arch9wavefront6targetE1EEEvSW_.kd
    .uniform_work_group_size: 1
    .uses_dynamic_stack: false
    .vgpr_count:     0
    .vgpr_spill_count: 0
    .wavefront_size: 64
  - .args:
      - .offset:         0
        .size:           56
        .value_kind:     by_value
    .group_segment_fixed_size: 0
    .kernarg_segment_align: 8
    .kernarg_segment_size: 56
    .language:       OpenCL C
    .language_version:
      - 2
      - 0
    .max_flat_workgroup_size: 128
    .name:           _ZN7rocprim17ROCPRIM_400000_NS6detail17trampoline_kernelINS0_14default_configENS1_29binary_search_config_selectorIiiEEZNS1_14transform_implILb0ES3_S5_N6thrust23THRUST_200600_302600_NS6detail15normal_iteratorINS8_7pointerIiNS8_11hip_rocprim12par_nosync_tENS8_11use_defaultESE_EEEESG_ZNS1_13binary_searchIS3_S5_NSA_INS8_10device_ptrIiEEEESG_SG_NS1_16binary_search_opENS9_16wrapped_functionINS8_6system6detail7generic6detail18binary_search_lessEbEEEE10hipError_tPvRmT1_T2_T3_mmT4_T5_P12ihipStream_tbEUlRKiE_EEST_SX_SY_mSZ_S12_bEUlT_E_NS1_11comp_targetILNS1_3genE10ELNS1_11target_archE1200ELNS1_3gpuE4ELNS1_3repE0EEENS1_30default_config_static_selectorELNS0_4arch9wavefront6targetE1EEEvSW_
    .private_segment_fixed_size: 0
    .sgpr_count:     4
    .sgpr_spill_count: 0
    .symbol:         _ZN7rocprim17ROCPRIM_400000_NS6detail17trampoline_kernelINS0_14default_configENS1_29binary_search_config_selectorIiiEEZNS1_14transform_implILb0ES3_S5_N6thrust23THRUST_200600_302600_NS6detail15normal_iteratorINS8_7pointerIiNS8_11hip_rocprim12par_nosync_tENS8_11use_defaultESE_EEEESG_ZNS1_13binary_searchIS3_S5_NSA_INS8_10device_ptrIiEEEESG_SG_NS1_16binary_search_opENS9_16wrapped_functionINS8_6system6detail7generic6detail18binary_search_lessEbEEEE10hipError_tPvRmT1_T2_T3_mmT4_T5_P12ihipStream_tbEUlRKiE_EEST_SX_SY_mSZ_S12_bEUlT_E_NS1_11comp_targetILNS1_3genE10ELNS1_11target_archE1200ELNS1_3gpuE4ELNS1_3repE0EEENS1_30default_config_static_selectorELNS0_4arch9wavefront6targetE1EEEvSW_.kd
    .uniform_work_group_size: 1
    .uses_dynamic_stack: false
    .vgpr_count:     0
    .vgpr_spill_count: 0
    .wavefront_size: 64
  - .args:
      - .offset:         0
        .size:           56
        .value_kind:     by_value
    .group_segment_fixed_size: 0
    .kernarg_segment_align: 8
    .kernarg_segment_size: 56
    .language:       OpenCL C
    .language_version:
      - 2
      - 0
    .max_flat_workgroup_size: 256
    .name:           _ZN7rocprim17ROCPRIM_400000_NS6detail17trampoline_kernelINS0_14default_configENS1_29binary_search_config_selectorIiiEEZNS1_14transform_implILb0ES3_S5_N6thrust23THRUST_200600_302600_NS6detail15normal_iteratorINS8_7pointerIiNS8_11hip_rocprim12par_nosync_tENS8_11use_defaultESE_EEEESG_ZNS1_13binary_searchIS3_S5_NSA_INS8_10device_ptrIiEEEESG_SG_NS1_16binary_search_opENS9_16wrapped_functionINS8_6system6detail7generic6detail18binary_search_lessEbEEEE10hipError_tPvRmT1_T2_T3_mmT4_T5_P12ihipStream_tbEUlRKiE_EEST_SX_SY_mSZ_S12_bEUlT_E_NS1_11comp_targetILNS1_3genE9ELNS1_11target_archE1100ELNS1_3gpuE3ELNS1_3repE0EEENS1_30default_config_static_selectorELNS0_4arch9wavefront6targetE1EEEvSW_
    .private_segment_fixed_size: 0
    .sgpr_count:     4
    .sgpr_spill_count: 0
    .symbol:         _ZN7rocprim17ROCPRIM_400000_NS6detail17trampoline_kernelINS0_14default_configENS1_29binary_search_config_selectorIiiEEZNS1_14transform_implILb0ES3_S5_N6thrust23THRUST_200600_302600_NS6detail15normal_iteratorINS8_7pointerIiNS8_11hip_rocprim12par_nosync_tENS8_11use_defaultESE_EEEESG_ZNS1_13binary_searchIS3_S5_NSA_INS8_10device_ptrIiEEEESG_SG_NS1_16binary_search_opENS9_16wrapped_functionINS8_6system6detail7generic6detail18binary_search_lessEbEEEE10hipError_tPvRmT1_T2_T3_mmT4_T5_P12ihipStream_tbEUlRKiE_EEST_SX_SY_mSZ_S12_bEUlT_E_NS1_11comp_targetILNS1_3genE9ELNS1_11target_archE1100ELNS1_3gpuE3ELNS1_3repE0EEENS1_30default_config_static_selectorELNS0_4arch9wavefront6targetE1EEEvSW_.kd
    .uniform_work_group_size: 1
    .uses_dynamic_stack: false
    .vgpr_count:     0
    .vgpr_spill_count: 0
    .wavefront_size: 64
  - .args:
      - .offset:         0
        .size:           56
        .value_kind:     by_value
    .group_segment_fixed_size: 0
    .kernarg_segment_align: 8
    .kernarg_segment_size: 56
    .language:       OpenCL C
    .language_version:
      - 2
      - 0
    .max_flat_workgroup_size: 256
    .name:           _ZN7rocprim17ROCPRIM_400000_NS6detail17trampoline_kernelINS0_14default_configENS1_29binary_search_config_selectorIiiEEZNS1_14transform_implILb0ES3_S5_N6thrust23THRUST_200600_302600_NS6detail15normal_iteratorINS8_7pointerIiNS8_11hip_rocprim12par_nosync_tENS8_11use_defaultESE_EEEESG_ZNS1_13binary_searchIS3_S5_NSA_INS8_10device_ptrIiEEEESG_SG_NS1_16binary_search_opENS9_16wrapped_functionINS8_6system6detail7generic6detail18binary_search_lessEbEEEE10hipError_tPvRmT1_T2_T3_mmT4_T5_P12ihipStream_tbEUlRKiE_EEST_SX_SY_mSZ_S12_bEUlT_E_NS1_11comp_targetILNS1_3genE8ELNS1_11target_archE1030ELNS1_3gpuE2ELNS1_3repE0EEENS1_30default_config_static_selectorELNS0_4arch9wavefront6targetE1EEEvSW_
    .private_segment_fixed_size: 0
    .sgpr_count:     4
    .sgpr_spill_count: 0
    .symbol:         _ZN7rocprim17ROCPRIM_400000_NS6detail17trampoline_kernelINS0_14default_configENS1_29binary_search_config_selectorIiiEEZNS1_14transform_implILb0ES3_S5_N6thrust23THRUST_200600_302600_NS6detail15normal_iteratorINS8_7pointerIiNS8_11hip_rocprim12par_nosync_tENS8_11use_defaultESE_EEEESG_ZNS1_13binary_searchIS3_S5_NSA_INS8_10device_ptrIiEEEESG_SG_NS1_16binary_search_opENS9_16wrapped_functionINS8_6system6detail7generic6detail18binary_search_lessEbEEEE10hipError_tPvRmT1_T2_T3_mmT4_T5_P12ihipStream_tbEUlRKiE_EEST_SX_SY_mSZ_S12_bEUlT_E_NS1_11comp_targetILNS1_3genE8ELNS1_11target_archE1030ELNS1_3gpuE2ELNS1_3repE0EEENS1_30default_config_static_selectorELNS0_4arch9wavefront6targetE1EEEvSW_.kd
    .uniform_work_group_size: 1
    .uses_dynamic_stack: false
    .vgpr_count:     0
    .vgpr_spill_count: 0
    .wavefront_size: 64
  - .args:
      - .offset:         0
        .size:           56
        .value_kind:     by_value
    .group_segment_fixed_size: 0
    .kernarg_segment_align: 8
    .kernarg_segment_size: 56
    .language:       OpenCL C
    .language_version:
      - 2
      - 0
    .max_flat_workgroup_size: 256
    .name:           _ZN7rocprim17ROCPRIM_400000_NS6detail17trampoline_kernelINS0_14default_configENS1_29binary_search_config_selectorIiiEEZNS1_14transform_implILb0ES3_S5_N6thrust23THRUST_200600_302600_NS6detail15normal_iteratorINS8_7pointerIiNS8_11hip_rocprim5par_tENS8_11use_defaultESE_EEEESG_ZNS1_13binary_searchIS3_S5_NSA_INS8_10device_ptrIiEEEESG_SG_NS1_16binary_search_opENS9_16wrapped_functionINS8_6system6detail7generic6detail18binary_search_lessEbEEEE10hipError_tPvRmT1_T2_T3_mmT4_T5_P12ihipStream_tbEUlRKiE_EEST_SX_SY_mSZ_S12_bEUlT_E_NS1_11comp_targetILNS1_3genE0ELNS1_11target_archE4294967295ELNS1_3gpuE0ELNS1_3repE0EEENS1_30default_config_static_selectorELNS0_4arch9wavefront6targetE1EEEvSW_
    .private_segment_fixed_size: 0
    .sgpr_count:     4
    .sgpr_spill_count: 0
    .symbol:         _ZN7rocprim17ROCPRIM_400000_NS6detail17trampoline_kernelINS0_14default_configENS1_29binary_search_config_selectorIiiEEZNS1_14transform_implILb0ES3_S5_N6thrust23THRUST_200600_302600_NS6detail15normal_iteratorINS8_7pointerIiNS8_11hip_rocprim5par_tENS8_11use_defaultESE_EEEESG_ZNS1_13binary_searchIS3_S5_NSA_INS8_10device_ptrIiEEEESG_SG_NS1_16binary_search_opENS9_16wrapped_functionINS8_6system6detail7generic6detail18binary_search_lessEbEEEE10hipError_tPvRmT1_T2_T3_mmT4_T5_P12ihipStream_tbEUlRKiE_EEST_SX_SY_mSZ_S12_bEUlT_E_NS1_11comp_targetILNS1_3genE0ELNS1_11target_archE4294967295ELNS1_3gpuE0ELNS1_3repE0EEENS1_30default_config_static_selectorELNS0_4arch9wavefront6targetE1EEEvSW_.kd
    .uniform_work_group_size: 1
    .uses_dynamic_stack: false
    .vgpr_count:     0
    .vgpr_spill_count: 0
    .wavefront_size: 64
  - .args:
      - .offset:         0
        .size:           56
        .value_kind:     by_value
    .group_segment_fixed_size: 0
    .kernarg_segment_align: 8
    .kernarg_segment_size: 56
    .language:       OpenCL C
    .language_version:
      - 2
      - 0
    .max_flat_workgroup_size: 256
    .name:           _ZN7rocprim17ROCPRIM_400000_NS6detail17trampoline_kernelINS0_14default_configENS1_29binary_search_config_selectorIiiEEZNS1_14transform_implILb0ES3_S5_N6thrust23THRUST_200600_302600_NS6detail15normal_iteratorINS8_7pointerIiNS8_11hip_rocprim5par_tENS8_11use_defaultESE_EEEESG_ZNS1_13binary_searchIS3_S5_NSA_INS8_10device_ptrIiEEEESG_SG_NS1_16binary_search_opENS9_16wrapped_functionINS8_6system6detail7generic6detail18binary_search_lessEbEEEE10hipError_tPvRmT1_T2_T3_mmT4_T5_P12ihipStream_tbEUlRKiE_EEST_SX_SY_mSZ_S12_bEUlT_E_NS1_11comp_targetILNS1_3genE5ELNS1_11target_archE942ELNS1_3gpuE9ELNS1_3repE0EEENS1_30default_config_static_selectorELNS0_4arch9wavefront6targetE1EEEvSW_
    .private_segment_fixed_size: 0
    .sgpr_count:     4
    .sgpr_spill_count: 0
    .symbol:         _ZN7rocprim17ROCPRIM_400000_NS6detail17trampoline_kernelINS0_14default_configENS1_29binary_search_config_selectorIiiEEZNS1_14transform_implILb0ES3_S5_N6thrust23THRUST_200600_302600_NS6detail15normal_iteratorINS8_7pointerIiNS8_11hip_rocprim5par_tENS8_11use_defaultESE_EEEESG_ZNS1_13binary_searchIS3_S5_NSA_INS8_10device_ptrIiEEEESG_SG_NS1_16binary_search_opENS9_16wrapped_functionINS8_6system6detail7generic6detail18binary_search_lessEbEEEE10hipError_tPvRmT1_T2_T3_mmT4_T5_P12ihipStream_tbEUlRKiE_EEST_SX_SY_mSZ_S12_bEUlT_E_NS1_11comp_targetILNS1_3genE5ELNS1_11target_archE942ELNS1_3gpuE9ELNS1_3repE0EEENS1_30default_config_static_selectorELNS0_4arch9wavefront6targetE1EEEvSW_.kd
    .uniform_work_group_size: 1
    .uses_dynamic_stack: false
    .vgpr_count:     0
    .vgpr_spill_count: 0
    .wavefront_size: 64
  - .args:
      - .offset:         0
        .size:           56
        .value_kind:     by_value
    .group_segment_fixed_size: 0
    .kernarg_segment_align: 8
    .kernarg_segment_size: 56
    .language:       OpenCL C
    .language_version:
      - 2
      - 0
    .max_flat_workgroup_size: 256
    .name:           _ZN7rocprim17ROCPRIM_400000_NS6detail17trampoline_kernelINS0_14default_configENS1_29binary_search_config_selectorIiiEEZNS1_14transform_implILb0ES3_S5_N6thrust23THRUST_200600_302600_NS6detail15normal_iteratorINS8_7pointerIiNS8_11hip_rocprim5par_tENS8_11use_defaultESE_EEEESG_ZNS1_13binary_searchIS3_S5_NSA_INS8_10device_ptrIiEEEESG_SG_NS1_16binary_search_opENS9_16wrapped_functionINS8_6system6detail7generic6detail18binary_search_lessEbEEEE10hipError_tPvRmT1_T2_T3_mmT4_T5_P12ihipStream_tbEUlRKiE_EEST_SX_SY_mSZ_S12_bEUlT_E_NS1_11comp_targetILNS1_3genE4ELNS1_11target_archE910ELNS1_3gpuE8ELNS1_3repE0EEENS1_30default_config_static_selectorELNS0_4arch9wavefront6targetE1EEEvSW_
    .private_segment_fixed_size: 0
    .sgpr_count:     4
    .sgpr_spill_count: 0
    .symbol:         _ZN7rocprim17ROCPRIM_400000_NS6detail17trampoline_kernelINS0_14default_configENS1_29binary_search_config_selectorIiiEEZNS1_14transform_implILb0ES3_S5_N6thrust23THRUST_200600_302600_NS6detail15normal_iteratorINS8_7pointerIiNS8_11hip_rocprim5par_tENS8_11use_defaultESE_EEEESG_ZNS1_13binary_searchIS3_S5_NSA_INS8_10device_ptrIiEEEESG_SG_NS1_16binary_search_opENS9_16wrapped_functionINS8_6system6detail7generic6detail18binary_search_lessEbEEEE10hipError_tPvRmT1_T2_T3_mmT4_T5_P12ihipStream_tbEUlRKiE_EEST_SX_SY_mSZ_S12_bEUlT_E_NS1_11comp_targetILNS1_3genE4ELNS1_11target_archE910ELNS1_3gpuE8ELNS1_3repE0EEENS1_30default_config_static_selectorELNS0_4arch9wavefront6targetE1EEEvSW_.kd
    .uniform_work_group_size: 1
    .uses_dynamic_stack: false
    .vgpr_count:     0
    .vgpr_spill_count: 0
    .wavefront_size: 64
  - .args:
      - .offset:         0
        .size:           56
        .value_kind:     by_value
    .group_segment_fixed_size: 0
    .kernarg_segment_align: 8
    .kernarg_segment_size: 56
    .language:       OpenCL C
    .language_version:
      - 2
      - 0
    .max_flat_workgroup_size: 256
    .name:           _ZN7rocprim17ROCPRIM_400000_NS6detail17trampoline_kernelINS0_14default_configENS1_29binary_search_config_selectorIiiEEZNS1_14transform_implILb0ES3_S5_N6thrust23THRUST_200600_302600_NS6detail15normal_iteratorINS8_7pointerIiNS8_11hip_rocprim5par_tENS8_11use_defaultESE_EEEESG_ZNS1_13binary_searchIS3_S5_NSA_INS8_10device_ptrIiEEEESG_SG_NS1_16binary_search_opENS9_16wrapped_functionINS8_6system6detail7generic6detail18binary_search_lessEbEEEE10hipError_tPvRmT1_T2_T3_mmT4_T5_P12ihipStream_tbEUlRKiE_EEST_SX_SY_mSZ_S12_bEUlT_E_NS1_11comp_targetILNS1_3genE3ELNS1_11target_archE908ELNS1_3gpuE7ELNS1_3repE0EEENS1_30default_config_static_selectorELNS0_4arch9wavefront6targetE1EEEvSW_
    .private_segment_fixed_size: 0
    .sgpr_count:     4
    .sgpr_spill_count: 0
    .symbol:         _ZN7rocprim17ROCPRIM_400000_NS6detail17trampoline_kernelINS0_14default_configENS1_29binary_search_config_selectorIiiEEZNS1_14transform_implILb0ES3_S5_N6thrust23THRUST_200600_302600_NS6detail15normal_iteratorINS8_7pointerIiNS8_11hip_rocprim5par_tENS8_11use_defaultESE_EEEESG_ZNS1_13binary_searchIS3_S5_NSA_INS8_10device_ptrIiEEEESG_SG_NS1_16binary_search_opENS9_16wrapped_functionINS8_6system6detail7generic6detail18binary_search_lessEbEEEE10hipError_tPvRmT1_T2_T3_mmT4_T5_P12ihipStream_tbEUlRKiE_EEST_SX_SY_mSZ_S12_bEUlT_E_NS1_11comp_targetILNS1_3genE3ELNS1_11target_archE908ELNS1_3gpuE7ELNS1_3repE0EEENS1_30default_config_static_selectorELNS0_4arch9wavefront6targetE1EEEvSW_.kd
    .uniform_work_group_size: 1
    .uses_dynamic_stack: false
    .vgpr_count:     0
    .vgpr_spill_count: 0
    .wavefront_size: 64
  - .args:
      - .offset:         0
        .size:           56
        .value_kind:     by_value
      - .offset:         56
        .size:           4
        .value_kind:     hidden_block_count_x
      - .offset:         60
        .size:           4
        .value_kind:     hidden_block_count_y
      - .offset:         64
        .size:           4
        .value_kind:     hidden_block_count_z
      - .offset:         68
        .size:           2
        .value_kind:     hidden_group_size_x
      - .offset:         70
        .size:           2
        .value_kind:     hidden_group_size_y
      - .offset:         72
        .size:           2
        .value_kind:     hidden_group_size_z
      - .offset:         74
        .size:           2
        .value_kind:     hidden_remainder_x
      - .offset:         76
        .size:           2
        .value_kind:     hidden_remainder_y
      - .offset:         78
        .size:           2
        .value_kind:     hidden_remainder_z
      - .offset:         96
        .size:           8
        .value_kind:     hidden_global_offset_x
      - .offset:         104
        .size:           8
        .value_kind:     hidden_global_offset_y
      - .offset:         112
        .size:           8
        .value_kind:     hidden_global_offset_z
      - .offset:         120
        .size:           2
        .value_kind:     hidden_grid_dims
    .group_segment_fixed_size: 0
    .kernarg_segment_align: 8
    .kernarg_segment_size: 312
    .language:       OpenCL C
    .language_version:
      - 2
      - 0
    .max_flat_workgroup_size: 256
    .name:           _ZN7rocprim17ROCPRIM_400000_NS6detail17trampoline_kernelINS0_14default_configENS1_29binary_search_config_selectorIiiEEZNS1_14transform_implILb0ES3_S5_N6thrust23THRUST_200600_302600_NS6detail15normal_iteratorINS8_7pointerIiNS8_11hip_rocprim5par_tENS8_11use_defaultESE_EEEESG_ZNS1_13binary_searchIS3_S5_NSA_INS8_10device_ptrIiEEEESG_SG_NS1_16binary_search_opENS9_16wrapped_functionINS8_6system6detail7generic6detail18binary_search_lessEbEEEE10hipError_tPvRmT1_T2_T3_mmT4_T5_P12ihipStream_tbEUlRKiE_EEST_SX_SY_mSZ_S12_bEUlT_E_NS1_11comp_targetILNS1_3genE2ELNS1_11target_archE906ELNS1_3gpuE6ELNS1_3repE0EEENS1_30default_config_static_selectorELNS0_4arch9wavefront6targetE1EEEvSW_
    .private_segment_fixed_size: 0
    .sgpr_count:     24
    .sgpr_spill_count: 0
    .symbol:         _ZN7rocprim17ROCPRIM_400000_NS6detail17trampoline_kernelINS0_14default_configENS1_29binary_search_config_selectorIiiEEZNS1_14transform_implILb0ES3_S5_N6thrust23THRUST_200600_302600_NS6detail15normal_iteratorINS8_7pointerIiNS8_11hip_rocprim5par_tENS8_11use_defaultESE_EEEESG_ZNS1_13binary_searchIS3_S5_NSA_INS8_10device_ptrIiEEEESG_SG_NS1_16binary_search_opENS9_16wrapped_functionINS8_6system6detail7generic6detail18binary_search_lessEbEEEE10hipError_tPvRmT1_T2_T3_mmT4_T5_P12ihipStream_tbEUlRKiE_EEST_SX_SY_mSZ_S12_bEUlT_E_NS1_11comp_targetILNS1_3genE2ELNS1_11target_archE906ELNS1_3gpuE6ELNS1_3repE0EEENS1_30default_config_static_selectorELNS0_4arch9wavefront6targetE1EEEvSW_.kd
    .uniform_work_group_size: 1
    .uses_dynamic_stack: false
    .vgpr_count:     13
    .vgpr_spill_count: 0
    .wavefront_size: 64
  - .args:
      - .offset:         0
        .size:           56
        .value_kind:     by_value
    .group_segment_fixed_size: 0
    .kernarg_segment_align: 8
    .kernarg_segment_size: 56
    .language:       OpenCL C
    .language_version:
      - 2
      - 0
    .max_flat_workgroup_size: 128
    .name:           _ZN7rocprim17ROCPRIM_400000_NS6detail17trampoline_kernelINS0_14default_configENS1_29binary_search_config_selectorIiiEEZNS1_14transform_implILb0ES3_S5_N6thrust23THRUST_200600_302600_NS6detail15normal_iteratorINS8_7pointerIiNS8_11hip_rocprim5par_tENS8_11use_defaultESE_EEEESG_ZNS1_13binary_searchIS3_S5_NSA_INS8_10device_ptrIiEEEESG_SG_NS1_16binary_search_opENS9_16wrapped_functionINS8_6system6detail7generic6detail18binary_search_lessEbEEEE10hipError_tPvRmT1_T2_T3_mmT4_T5_P12ihipStream_tbEUlRKiE_EEST_SX_SY_mSZ_S12_bEUlT_E_NS1_11comp_targetILNS1_3genE10ELNS1_11target_archE1201ELNS1_3gpuE5ELNS1_3repE0EEENS1_30default_config_static_selectorELNS0_4arch9wavefront6targetE1EEEvSW_
    .private_segment_fixed_size: 0
    .sgpr_count:     4
    .sgpr_spill_count: 0
    .symbol:         _ZN7rocprim17ROCPRIM_400000_NS6detail17trampoline_kernelINS0_14default_configENS1_29binary_search_config_selectorIiiEEZNS1_14transform_implILb0ES3_S5_N6thrust23THRUST_200600_302600_NS6detail15normal_iteratorINS8_7pointerIiNS8_11hip_rocprim5par_tENS8_11use_defaultESE_EEEESG_ZNS1_13binary_searchIS3_S5_NSA_INS8_10device_ptrIiEEEESG_SG_NS1_16binary_search_opENS9_16wrapped_functionINS8_6system6detail7generic6detail18binary_search_lessEbEEEE10hipError_tPvRmT1_T2_T3_mmT4_T5_P12ihipStream_tbEUlRKiE_EEST_SX_SY_mSZ_S12_bEUlT_E_NS1_11comp_targetILNS1_3genE10ELNS1_11target_archE1201ELNS1_3gpuE5ELNS1_3repE0EEENS1_30default_config_static_selectorELNS0_4arch9wavefront6targetE1EEEvSW_.kd
    .uniform_work_group_size: 1
    .uses_dynamic_stack: false
    .vgpr_count:     0
    .vgpr_spill_count: 0
    .wavefront_size: 64
  - .args:
      - .offset:         0
        .size:           56
        .value_kind:     by_value
    .group_segment_fixed_size: 0
    .kernarg_segment_align: 8
    .kernarg_segment_size: 56
    .language:       OpenCL C
    .language_version:
      - 2
      - 0
    .max_flat_workgroup_size: 128
    .name:           _ZN7rocprim17ROCPRIM_400000_NS6detail17trampoline_kernelINS0_14default_configENS1_29binary_search_config_selectorIiiEEZNS1_14transform_implILb0ES3_S5_N6thrust23THRUST_200600_302600_NS6detail15normal_iteratorINS8_7pointerIiNS8_11hip_rocprim5par_tENS8_11use_defaultESE_EEEESG_ZNS1_13binary_searchIS3_S5_NSA_INS8_10device_ptrIiEEEESG_SG_NS1_16binary_search_opENS9_16wrapped_functionINS8_6system6detail7generic6detail18binary_search_lessEbEEEE10hipError_tPvRmT1_T2_T3_mmT4_T5_P12ihipStream_tbEUlRKiE_EEST_SX_SY_mSZ_S12_bEUlT_E_NS1_11comp_targetILNS1_3genE10ELNS1_11target_archE1200ELNS1_3gpuE4ELNS1_3repE0EEENS1_30default_config_static_selectorELNS0_4arch9wavefront6targetE1EEEvSW_
    .private_segment_fixed_size: 0
    .sgpr_count:     4
    .sgpr_spill_count: 0
    .symbol:         _ZN7rocprim17ROCPRIM_400000_NS6detail17trampoline_kernelINS0_14default_configENS1_29binary_search_config_selectorIiiEEZNS1_14transform_implILb0ES3_S5_N6thrust23THRUST_200600_302600_NS6detail15normal_iteratorINS8_7pointerIiNS8_11hip_rocprim5par_tENS8_11use_defaultESE_EEEESG_ZNS1_13binary_searchIS3_S5_NSA_INS8_10device_ptrIiEEEESG_SG_NS1_16binary_search_opENS9_16wrapped_functionINS8_6system6detail7generic6detail18binary_search_lessEbEEEE10hipError_tPvRmT1_T2_T3_mmT4_T5_P12ihipStream_tbEUlRKiE_EEST_SX_SY_mSZ_S12_bEUlT_E_NS1_11comp_targetILNS1_3genE10ELNS1_11target_archE1200ELNS1_3gpuE4ELNS1_3repE0EEENS1_30default_config_static_selectorELNS0_4arch9wavefront6targetE1EEEvSW_.kd
    .uniform_work_group_size: 1
    .uses_dynamic_stack: false
    .vgpr_count:     0
    .vgpr_spill_count: 0
    .wavefront_size: 64
  - .args:
      - .offset:         0
        .size:           56
        .value_kind:     by_value
    .group_segment_fixed_size: 0
    .kernarg_segment_align: 8
    .kernarg_segment_size: 56
    .language:       OpenCL C
    .language_version:
      - 2
      - 0
    .max_flat_workgroup_size: 256
    .name:           _ZN7rocprim17ROCPRIM_400000_NS6detail17trampoline_kernelINS0_14default_configENS1_29binary_search_config_selectorIiiEEZNS1_14transform_implILb0ES3_S5_N6thrust23THRUST_200600_302600_NS6detail15normal_iteratorINS8_7pointerIiNS8_11hip_rocprim5par_tENS8_11use_defaultESE_EEEESG_ZNS1_13binary_searchIS3_S5_NSA_INS8_10device_ptrIiEEEESG_SG_NS1_16binary_search_opENS9_16wrapped_functionINS8_6system6detail7generic6detail18binary_search_lessEbEEEE10hipError_tPvRmT1_T2_T3_mmT4_T5_P12ihipStream_tbEUlRKiE_EEST_SX_SY_mSZ_S12_bEUlT_E_NS1_11comp_targetILNS1_3genE9ELNS1_11target_archE1100ELNS1_3gpuE3ELNS1_3repE0EEENS1_30default_config_static_selectorELNS0_4arch9wavefront6targetE1EEEvSW_
    .private_segment_fixed_size: 0
    .sgpr_count:     4
    .sgpr_spill_count: 0
    .symbol:         _ZN7rocprim17ROCPRIM_400000_NS6detail17trampoline_kernelINS0_14default_configENS1_29binary_search_config_selectorIiiEEZNS1_14transform_implILb0ES3_S5_N6thrust23THRUST_200600_302600_NS6detail15normal_iteratorINS8_7pointerIiNS8_11hip_rocprim5par_tENS8_11use_defaultESE_EEEESG_ZNS1_13binary_searchIS3_S5_NSA_INS8_10device_ptrIiEEEESG_SG_NS1_16binary_search_opENS9_16wrapped_functionINS8_6system6detail7generic6detail18binary_search_lessEbEEEE10hipError_tPvRmT1_T2_T3_mmT4_T5_P12ihipStream_tbEUlRKiE_EEST_SX_SY_mSZ_S12_bEUlT_E_NS1_11comp_targetILNS1_3genE9ELNS1_11target_archE1100ELNS1_3gpuE3ELNS1_3repE0EEENS1_30default_config_static_selectorELNS0_4arch9wavefront6targetE1EEEvSW_.kd
    .uniform_work_group_size: 1
    .uses_dynamic_stack: false
    .vgpr_count:     0
    .vgpr_spill_count: 0
    .wavefront_size: 64
  - .args:
      - .offset:         0
        .size:           56
        .value_kind:     by_value
    .group_segment_fixed_size: 0
    .kernarg_segment_align: 8
    .kernarg_segment_size: 56
    .language:       OpenCL C
    .language_version:
      - 2
      - 0
    .max_flat_workgroup_size: 256
    .name:           _ZN7rocprim17ROCPRIM_400000_NS6detail17trampoline_kernelINS0_14default_configENS1_29binary_search_config_selectorIiiEEZNS1_14transform_implILb0ES3_S5_N6thrust23THRUST_200600_302600_NS6detail15normal_iteratorINS8_7pointerIiNS8_11hip_rocprim5par_tENS8_11use_defaultESE_EEEESG_ZNS1_13binary_searchIS3_S5_NSA_INS8_10device_ptrIiEEEESG_SG_NS1_16binary_search_opENS9_16wrapped_functionINS8_6system6detail7generic6detail18binary_search_lessEbEEEE10hipError_tPvRmT1_T2_T3_mmT4_T5_P12ihipStream_tbEUlRKiE_EEST_SX_SY_mSZ_S12_bEUlT_E_NS1_11comp_targetILNS1_3genE8ELNS1_11target_archE1030ELNS1_3gpuE2ELNS1_3repE0EEENS1_30default_config_static_selectorELNS0_4arch9wavefront6targetE1EEEvSW_
    .private_segment_fixed_size: 0
    .sgpr_count:     4
    .sgpr_spill_count: 0
    .symbol:         _ZN7rocprim17ROCPRIM_400000_NS6detail17trampoline_kernelINS0_14default_configENS1_29binary_search_config_selectorIiiEEZNS1_14transform_implILb0ES3_S5_N6thrust23THRUST_200600_302600_NS6detail15normal_iteratorINS8_7pointerIiNS8_11hip_rocprim5par_tENS8_11use_defaultESE_EEEESG_ZNS1_13binary_searchIS3_S5_NSA_INS8_10device_ptrIiEEEESG_SG_NS1_16binary_search_opENS9_16wrapped_functionINS8_6system6detail7generic6detail18binary_search_lessEbEEEE10hipError_tPvRmT1_T2_T3_mmT4_T5_P12ihipStream_tbEUlRKiE_EEST_SX_SY_mSZ_S12_bEUlT_E_NS1_11comp_targetILNS1_3genE8ELNS1_11target_archE1030ELNS1_3gpuE2ELNS1_3repE0EEENS1_30default_config_static_selectorELNS0_4arch9wavefront6targetE1EEEvSW_.kd
    .uniform_work_group_size: 1
    .uses_dynamic_stack: false
    .vgpr_count:     0
    .vgpr_spill_count: 0
    .wavefront_size: 64
  - .args:
      - .offset:         0
        .size:           56
        .value_kind:     by_value
    .group_segment_fixed_size: 0
    .kernarg_segment_align: 8
    .kernarg_segment_size: 56
    .language:       OpenCL C
    .language_version:
      - 2
      - 0
    .max_flat_workgroup_size: 128
    .name:           _ZN7rocprim17ROCPRIM_400000_NS6detail17trampoline_kernelINS0_14default_configENS1_29binary_search_config_selectorIsiEEZNS1_14transform_implILb0ES3_S5_N6thrust23THRUST_200600_302600_NS6detail15normal_iteratorINS8_7pointerIsNS8_11hip_rocprim5par_tENS8_11use_defaultESE_EEEENSA_INSB_IiSD_SE_SE_EEEEZNS1_13binary_searchIS3_S5_NSA_INS8_10device_ptrIsEEEESG_SI_NS1_16binary_search_opENS9_16wrapped_functionINS8_6system6detail7generic6detail18binary_search_lessEbEEEE10hipError_tPvRmT1_T2_T3_mmT4_T5_P12ihipStream_tbEUlRKsE_EESV_SZ_S10_mS11_S14_bEUlT_E_NS1_11comp_targetILNS1_3genE0ELNS1_11target_archE4294967295ELNS1_3gpuE0ELNS1_3repE0EEENS1_30default_config_static_selectorELNS0_4arch9wavefront6targetE1EEEvSY_
    .private_segment_fixed_size: 0
    .sgpr_count:     4
    .sgpr_spill_count: 0
    .symbol:         _ZN7rocprim17ROCPRIM_400000_NS6detail17trampoline_kernelINS0_14default_configENS1_29binary_search_config_selectorIsiEEZNS1_14transform_implILb0ES3_S5_N6thrust23THRUST_200600_302600_NS6detail15normal_iteratorINS8_7pointerIsNS8_11hip_rocprim5par_tENS8_11use_defaultESE_EEEENSA_INSB_IiSD_SE_SE_EEEEZNS1_13binary_searchIS3_S5_NSA_INS8_10device_ptrIsEEEESG_SI_NS1_16binary_search_opENS9_16wrapped_functionINS8_6system6detail7generic6detail18binary_search_lessEbEEEE10hipError_tPvRmT1_T2_T3_mmT4_T5_P12ihipStream_tbEUlRKsE_EESV_SZ_S10_mS11_S14_bEUlT_E_NS1_11comp_targetILNS1_3genE0ELNS1_11target_archE4294967295ELNS1_3gpuE0ELNS1_3repE0EEENS1_30default_config_static_selectorELNS0_4arch9wavefront6targetE1EEEvSY_.kd
    .uniform_work_group_size: 1
    .uses_dynamic_stack: false
    .vgpr_count:     0
    .vgpr_spill_count: 0
    .wavefront_size: 64
  - .args:
      - .offset:         0
        .size:           56
        .value_kind:     by_value
    .group_segment_fixed_size: 0
    .kernarg_segment_align: 8
    .kernarg_segment_size: 56
    .language:       OpenCL C
    .language_version:
      - 2
      - 0
    .max_flat_workgroup_size: 256
    .name:           _ZN7rocprim17ROCPRIM_400000_NS6detail17trampoline_kernelINS0_14default_configENS1_29binary_search_config_selectorIsiEEZNS1_14transform_implILb0ES3_S5_N6thrust23THRUST_200600_302600_NS6detail15normal_iteratorINS8_7pointerIsNS8_11hip_rocprim5par_tENS8_11use_defaultESE_EEEENSA_INSB_IiSD_SE_SE_EEEEZNS1_13binary_searchIS3_S5_NSA_INS8_10device_ptrIsEEEESG_SI_NS1_16binary_search_opENS9_16wrapped_functionINS8_6system6detail7generic6detail18binary_search_lessEbEEEE10hipError_tPvRmT1_T2_T3_mmT4_T5_P12ihipStream_tbEUlRKsE_EESV_SZ_S10_mS11_S14_bEUlT_E_NS1_11comp_targetILNS1_3genE5ELNS1_11target_archE942ELNS1_3gpuE9ELNS1_3repE0EEENS1_30default_config_static_selectorELNS0_4arch9wavefront6targetE1EEEvSY_
    .private_segment_fixed_size: 0
    .sgpr_count:     4
    .sgpr_spill_count: 0
    .symbol:         _ZN7rocprim17ROCPRIM_400000_NS6detail17trampoline_kernelINS0_14default_configENS1_29binary_search_config_selectorIsiEEZNS1_14transform_implILb0ES3_S5_N6thrust23THRUST_200600_302600_NS6detail15normal_iteratorINS8_7pointerIsNS8_11hip_rocprim5par_tENS8_11use_defaultESE_EEEENSA_INSB_IiSD_SE_SE_EEEEZNS1_13binary_searchIS3_S5_NSA_INS8_10device_ptrIsEEEESG_SI_NS1_16binary_search_opENS9_16wrapped_functionINS8_6system6detail7generic6detail18binary_search_lessEbEEEE10hipError_tPvRmT1_T2_T3_mmT4_T5_P12ihipStream_tbEUlRKsE_EESV_SZ_S10_mS11_S14_bEUlT_E_NS1_11comp_targetILNS1_3genE5ELNS1_11target_archE942ELNS1_3gpuE9ELNS1_3repE0EEENS1_30default_config_static_selectorELNS0_4arch9wavefront6targetE1EEEvSY_.kd
    .uniform_work_group_size: 1
    .uses_dynamic_stack: false
    .vgpr_count:     0
    .vgpr_spill_count: 0
    .wavefront_size: 64
  - .args:
      - .offset:         0
        .size:           56
        .value_kind:     by_value
    .group_segment_fixed_size: 0
    .kernarg_segment_align: 8
    .kernarg_segment_size: 56
    .language:       OpenCL C
    .language_version:
      - 2
      - 0
    .max_flat_workgroup_size: 256
    .name:           _ZN7rocprim17ROCPRIM_400000_NS6detail17trampoline_kernelINS0_14default_configENS1_29binary_search_config_selectorIsiEEZNS1_14transform_implILb0ES3_S5_N6thrust23THRUST_200600_302600_NS6detail15normal_iteratorINS8_7pointerIsNS8_11hip_rocprim5par_tENS8_11use_defaultESE_EEEENSA_INSB_IiSD_SE_SE_EEEEZNS1_13binary_searchIS3_S5_NSA_INS8_10device_ptrIsEEEESG_SI_NS1_16binary_search_opENS9_16wrapped_functionINS8_6system6detail7generic6detail18binary_search_lessEbEEEE10hipError_tPvRmT1_T2_T3_mmT4_T5_P12ihipStream_tbEUlRKsE_EESV_SZ_S10_mS11_S14_bEUlT_E_NS1_11comp_targetILNS1_3genE4ELNS1_11target_archE910ELNS1_3gpuE8ELNS1_3repE0EEENS1_30default_config_static_selectorELNS0_4arch9wavefront6targetE1EEEvSY_
    .private_segment_fixed_size: 0
    .sgpr_count:     4
    .sgpr_spill_count: 0
    .symbol:         _ZN7rocprim17ROCPRIM_400000_NS6detail17trampoline_kernelINS0_14default_configENS1_29binary_search_config_selectorIsiEEZNS1_14transform_implILb0ES3_S5_N6thrust23THRUST_200600_302600_NS6detail15normal_iteratorINS8_7pointerIsNS8_11hip_rocprim5par_tENS8_11use_defaultESE_EEEENSA_INSB_IiSD_SE_SE_EEEEZNS1_13binary_searchIS3_S5_NSA_INS8_10device_ptrIsEEEESG_SI_NS1_16binary_search_opENS9_16wrapped_functionINS8_6system6detail7generic6detail18binary_search_lessEbEEEE10hipError_tPvRmT1_T2_T3_mmT4_T5_P12ihipStream_tbEUlRKsE_EESV_SZ_S10_mS11_S14_bEUlT_E_NS1_11comp_targetILNS1_3genE4ELNS1_11target_archE910ELNS1_3gpuE8ELNS1_3repE0EEENS1_30default_config_static_selectorELNS0_4arch9wavefront6targetE1EEEvSY_.kd
    .uniform_work_group_size: 1
    .uses_dynamic_stack: false
    .vgpr_count:     0
    .vgpr_spill_count: 0
    .wavefront_size: 64
  - .args:
      - .offset:         0
        .size:           56
        .value_kind:     by_value
    .group_segment_fixed_size: 0
    .kernarg_segment_align: 8
    .kernarg_segment_size: 56
    .language:       OpenCL C
    .language_version:
      - 2
      - 0
    .max_flat_workgroup_size: 128
    .name:           _ZN7rocprim17ROCPRIM_400000_NS6detail17trampoline_kernelINS0_14default_configENS1_29binary_search_config_selectorIsiEEZNS1_14transform_implILb0ES3_S5_N6thrust23THRUST_200600_302600_NS6detail15normal_iteratorINS8_7pointerIsNS8_11hip_rocprim5par_tENS8_11use_defaultESE_EEEENSA_INSB_IiSD_SE_SE_EEEEZNS1_13binary_searchIS3_S5_NSA_INS8_10device_ptrIsEEEESG_SI_NS1_16binary_search_opENS9_16wrapped_functionINS8_6system6detail7generic6detail18binary_search_lessEbEEEE10hipError_tPvRmT1_T2_T3_mmT4_T5_P12ihipStream_tbEUlRKsE_EESV_SZ_S10_mS11_S14_bEUlT_E_NS1_11comp_targetILNS1_3genE3ELNS1_11target_archE908ELNS1_3gpuE7ELNS1_3repE0EEENS1_30default_config_static_selectorELNS0_4arch9wavefront6targetE1EEEvSY_
    .private_segment_fixed_size: 0
    .sgpr_count:     4
    .sgpr_spill_count: 0
    .symbol:         _ZN7rocprim17ROCPRIM_400000_NS6detail17trampoline_kernelINS0_14default_configENS1_29binary_search_config_selectorIsiEEZNS1_14transform_implILb0ES3_S5_N6thrust23THRUST_200600_302600_NS6detail15normal_iteratorINS8_7pointerIsNS8_11hip_rocprim5par_tENS8_11use_defaultESE_EEEENSA_INSB_IiSD_SE_SE_EEEEZNS1_13binary_searchIS3_S5_NSA_INS8_10device_ptrIsEEEESG_SI_NS1_16binary_search_opENS9_16wrapped_functionINS8_6system6detail7generic6detail18binary_search_lessEbEEEE10hipError_tPvRmT1_T2_T3_mmT4_T5_P12ihipStream_tbEUlRKsE_EESV_SZ_S10_mS11_S14_bEUlT_E_NS1_11comp_targetILNS1_3genE3ELNS1_11target_archE908ELNS1_3gpuE7ELNS1_3repE0EEENS1_30default_config_static_selectorELNS0_4arch9wavefront6targetE1EEEvSY_.kd
    .uniform_work_group_size: 1
    .uses_dynamic_stack: false
    .vgpr_count:     0
    .vgpr_spill_count: 0
    .wavefront_size: 64
  - .args:
      - .offset:         0
        .size:           56
        .value_kind:     by_value
      - .offset:         56
        .size:           4
        .value_kind:     hidden_block_count_x
      - .offset:         60
        .size:           4
        .value_kind:     hidden_block_count_y
      - .offset:         64
        .size:           4
        .value_kind:     hidden_block_count_z
      - .offset:         68
        .size:           2
        .value_kind:     hidden_group_size_x
      - .offset:         70
        .size:           2
        .value_kind:     hidden_group_size_y
      - .offset:         72
        .size:           2
        .value_kind:     hidden_group_size_z
      - .offset:         74
        .size:           2
        .value_kind:     hidden_remainder_x
      - .offset:         76
        .size:           2
        .value_kind:     hidden_remainder_y
      - .offset:         78
        .size:           2
        .value_kind:     hidden_remainder_z
      - .offset:         96
        .size:           8
        .value_kind:     hidden_global_offset_x
      - .offset:         104
        .size:           8
        .value_kind:     hidden_global_offset_y
      - .offset:         112
        .size:           8
        .value_kind:     hidden_global_offset_z
      - .offset:         120
        .size:           2
        .value_kind:     hidden_grid_dims
    .group_segment_fixed_size: 0
    .kernarg_segment_align: 8
    .kernarg_segment_size: 312
    .language:       OpenCL C
    .language_version:
      - 2
      - 0
    .max_flat_workgroup_size: 256
    .name:           _ZN7rocprim17ROCPRIM_400000_NS6detail17trampoline_kernelINS0_14default_configENS1_29binary_search_config_selectorIsiEEZNS1_14transform_implILb0ES3_S5_N6thrust23THRUST_200600_302600_NS6detail15normal_iteratorINS8_7pointerIsNS8_11hip_rocprim5par_tENS8_11use_defaultESE_EEEENSA_INSB_IiSD_SE_SE_EEEEZNS1_13binary_searchIS3_S5_NSA_INS8_10device_ptrIsEEEESG_SI_NS1_16binary_search_opENS9_16wrapped_functionINS8_6system6detail7generic6detail18binary_search_lessEbEEEE10hipError_tPvRmT1_T2_T3_mmT4_T5_P12ihipStream_tbEUlRKsE_EESV_SZ_S10_mS11_S14_bEUlT_E_NS1_11comp_targetILNS1_3genE2ELNS1_11target_archE906ELNS1_3gpuE6ELNS1_3repE0EEENS1_30default_config_static_selectorELNS0_4arch9wavefront6targetE1EEEvSY_
    .private_segment_fixed_size: 0
    .sgpr_count:     30
    .sgpr_spill_count: 0
    .symbol:         _ZN7rocprim17ROCPRIM_400000_NS6detail17trampoline_kernelINS0_14default_configENS1_29binary_search_config_selectorIsiEEZNS1_14transform_implILb0ES3_S5_N6thrust23THRUST_200600_302600_NS6detail15normal_iteratorINS8_7pointerIsNS8_11hip_rocprim5par_tENS8_11use_defaultESE_EEEENSA_INSB_IiSD_SE_SE_EEEEZNS1_13binary_searchIS3_S5_NSA_INS8_10device_ptrIsEEEESG_SI_NS1_16binary_search_opENS9_16wrapped_functionINS8_6system6detail7generic6detail18binary_search_lessEbEEEE10hipError_tPvRmT1_T2_T3_mmT4_T5_P12ihipStream_tbEUlRKsE_EESV_SZ_S10_mS11_S14_bEUlT_E_NS1_11comp_targetILNS1_3genE2ELNS1_11target_archE906ELNS1_3gpuE6ELNS1_3repE0EEENS1_30default_config_static_selectorELNS0_4arch9wavefront6targetE1EEEvSY_.kd
    .uniform_work_group_size: 1
    .uses_dynamic_stack: false
    .vgpr_count:     16
    .vgpr_spill_count: 0
    .wavefront_size: 64
  - .args:
      - .offset:         0
        .size:           56
        .value_kind:     by_value
    .group_segment_fixed_size: 0
    .kernarg_segment_align: 8
    .kernarg_segment_size: 56
    .language:       OpenCL C
    .language_version:
      - 2
      - 0
    .max_flat_workgroup_size: 256
    .name:           _ZN7rocprim17ROCPRIM_400000_NS6detail17trampoline_kernelINS0_14default_configENS1_29binary_search_config_selectorIsiEEZNS1_14transform_implILb0ES3_S5_N6thrust23THRUST_200600_302600_NS6detail15normal_iteratorINS8_7pointerIsNS8_11hip_rocprim5par_tENS8_11use_defaultESE_EEEENSA_INSB_IiSD_SE_SE_EEEEZNS1_13binary_searchIS3_S5_NSA_INS8_10device_ptrIsEEEESG_SI_NS1_16binary_search_opENS9_16wrapped_functionINS8_6system6detail7generic6detail18binary_search_lessEbEEEE10hipError_tPvRmT1_T2_T3_mmT4_T5_P12ihipStream_tbEUlRKsE_EESV_SZ_S10_mS11_S14_bEUlT_E_NS1_11comp_targetILNS1_3genE10ELNS1_11target_archE1201ELNS1_3gpuE5ELNS1_3repE0EEENS1_30default_config_static_selectorELNS0_4arch9wavefront6targetE1EEEvSY_
    .private_segment_fixed_size: 0
    .sgpr_count:     4
    .sgpr_spill_count: 0
    .symbol:         _ZN7rocprim17ROCPRIM_400000_NS6detail17trampoline_kernelINS0_14default_configENS1_29binary_search_config_selectorIsiEEZNS1_14transform_implILb0ES3_S5_N6thrust23THRUST_200600_302600_NS6detail15normal_iteratorINS8_7pointerIsNS8_11hip_rocprim5par_tENS8_11use_defaultESE_EEEENSA_INSB_IiSD_SE_SE_EEEEZNS1_13binary_searchIS3_S5_NSA_INS8_10device_ptrIsEEEESG_SI_NS1_16binary_search_opENS9_16wrapped_functionINS8_6system6detail7generic6detail18binary_search_lessEbEEEE10hipError_tPvRmT1_T2_T3_mmT4_T5_P12ihipStream_tbEUlRKsE_EESV_SZ_S10_mS11_S14_bEUlT_E_NS1_11comp_targetILNS1_3genE10ELNS1_11target_archE1201ELNS1_3gpuE5ELNS1_3repE0EEENS1_30default_config_static_selectorELNS0_4arch9wavefront6targetE1EEEvSY_.kd
    .uniform_work_group_size: 1
    .uses_dynamic_stack: false
    .vgpr_count:     0
    .vgpr_spill_count: 0
    .wavefront_size: 64
  - .args:
      - .offset:         0
        .size:           56
        .value_kind:     by_value
    .group_segment_fixed_size: 0
    .kernarg_segment_align: 8
    .kernarg_segment_size: 56
    .language:       OpenCL C
    .language_version:
      - 2
      - 0
    .max_flat_workgroup_size: 256
    .name:           _ZN7rocprim17ROCPRIM_400000_NS6detail17trampoline_kernelINS0_14default_configENS1_29binary_search_config_selectorIsiEEZNS1_14transform_implILb0ES3_S5_N6thrust23THRUST_200600_302600_NS6detail15normal_iteratorINS8_7pointerIsNS8_11hip_rocprim5par_tENS8_11use_defaultESE_EEEENSA_INSB_IiSD_SE_SE_EEEEZNS1_13binary_searchIS3_S5_NSA_INS8_10device_ptrIsEEEESG_SI_NS1_16binary_search_opENS9_16wrapped_functionINS8_6system6detail7generic6detail18binary_search_lessEbEEEE10hipError_tPvRmT1_T2_T3_mmT4_T5_P12ihipStream_tbEUlRKsE_EESV_SZ_S10_mS11_S14_bEUlT_E_NS1_11comp_targetILNS1_3genE10ELNS1_11target_archE1200ELNS1_3gpuE4ELNS1_3repE0EEENS1_30default_config_static_selectorELNS0_4arch9wavefront6targetE1EEEvSY_
    .private_segment_fixed_size: 0
    .sgpr_count:     4
    .sgpr_spill_count: 0
    .symbol:         _ZN7rocprim17ROCPRIM_400000_NS6detail17trampoline_kernelINS0_14default_configENS1_29binary_search_config_selectorIsiEEZNS1_14transform_implILb0ES3_S5_N6thrust23THRUST_200600_302600_NS6detail15normal_iteratorINS8_7pointerIsNS8_11hip_rocprim5par_tENS8_11use_defaultESE_EEEENSA_INSB_IiSD_SE_SE_EEEEZNS1_13binary_searchIS3_S5_NSA_INS8_10device_ptrIsEEEESG_SI_NS1_16binary_search_opENS9_16wrapped_functionINS8_6system6detail7generic6detail18binary_search_lessEbEEEE10hipError_tPvRmT1_T2_T3_mmT4_T5_P12ihipStream_tbEUlRKsE_EESV_SZ_S10_mS11_S14_bEUlT_E_NS1_11comp_targetILNS1_3genE10ELNS1_11target_archE1200ELNS1_3gpuE4ELNS1_3repE0EEENS1_30default_config_static_selectorELNS0_4arch9wavefront6targetE1EEEvSY_.kd
    .uniform_work_group_size: 1
    .uses_dynamic_stack: false
    .vgpr_count:     0
    .vgpr_spill_count: 0
    .wavefront_size: 64
  - .args:
      - .offset:         0
        .size:           56
        .value_kind:     by_value
    .group_segment_fixed_size: 0
    .kernarg_segment_align: 8
    .kernarg_segment_size: 56
    .language:       OpenCL C
    .language_version:
      - 2
      - 0
    .max_flat_workgroup_size: 64
    .name:           _ZN7rocprim17ROCPRIM_400000_NS6detail17trampoline_kernelINS0_14default_configENS1_29binary_search_config_selectorIsiEEZNS1_14transform_implILb0ES3_S5_N6thrust23THRUST_200600_302600_NS6detail15normal_iteratorINS8_7pointerIsNS8_11hip_rocprim5par_tENS8_11use_defaultESE_EEEENSA_INSB_IiSD_SE_SE_EEEEZNS1_13binary_searchIS3_S5_NSA_INS8_10device_ptrIsEEEESG_SI_NS1_16binary_search_opENS9_16wrapped_functionINS8_6system6detail7generic6detail18binary_search_lessEbEEEE10hipError_tPvRmT1_T2_T3_mmT4_T5_P12ihipStream_tbEUlRKsE_EESV_SZ_S10_mS11_S14_bEUlT_E_NS1_11comp_targetILNS1_3genE9ELNS1_11target_archE1100ELNS1_3gpuE3ELNS1_3repE0EEENS1_30default_config_static_selectorELNS0_4arch9wavefront6targetE1EEEvSY_
    .private_segment_fixed_size: 0
    .sgpr_count:     4
    .sgpr_spill_count: 0
    .symbol:         _ZN7rocprim17ROCPRIM_400000_NS6detail17trampoline_kernelINS0_14default_configENS1_29binary_search_config_selectorIsiEEZNS1_14transform_implILb0ES3_S5_N6thrust23THRUST_200600_302600_NS6detail15normal_iteratorINS8_7pointerIsNS8_11hip_rocprim5par_tENS8_11use_defaultESE_EEEENSA_INSB_IiSD_SE_SE_EEEEZNS1_13binary_searchIS3_S5_NSA_INS8_10device_ptrIsEEEESG_SI_NS1_16binary_search_opENS9_16wrapped_functionINS8_6system6detail7generic6detail18binary_search_lessEbEEEE10hipError_tPvRmT1_T2_T3_mmT4_T5_P12ihipStream_tbEUlRKsE_EESV_SZ_S10_mS11_S14_bEUlT_E_NS1_11comp_targetILNS1_3genE9ELNS1_11target_archE1100ELNS1_3gpuE3ELNS1_3repE0EEENS1_30default_config_static_selectorELNS0_4arch9wavefront6targetE1EEEvSY_.kd
    .uniform_work_group_size: 1
    .uses_dynamic_stack: false
    .vgpr_count:     0
    .vgpr_spill_count: 0
    .wavefront_size: 64
  - .args:
      - .offset:         0
        .size:           56
        .value_kind:     by_value
    .group_segment_fixed_size: 0
    .kernarg_segment_align: 8
    .kernarg_segment_size: 56
    .language:       OpenCL C
    .language_version:
      - 2
      - 0
    .max_flat_workgroup_size: 128
    .name:           _ZN7rocprim17ROCPRIM_400000_NS6detail17trampoline_kernelINS0_14default_configENS1_29binary_search_config_selectorIsiEEZNS1_14transform_implILb0ES3_S5_N6thrust23THRUST_200600_302600_NS6detail15normal_iteratorINS8_7pointerIsNS8_11hip_rocprim5par_tENS8_11use_defaultESE_EEEENSA_INSB_IiSD_SE_SE_EEEEZNS1_13binary_searchIS3_S5_NSA_INS8_10device_ptrIsEEEESG_SI_NS1_16binary_search_opENS9_16wrapped_functionINS8_6system6detail7generic6detail18binary_search_lessEbEEEE10hipError_tPvRmT1_T2_T3_mmT4_T5_P12ihipStream_tbEUlRKsE_EESV_SZ_S10_mS11_S14_bEUlT_E_NS1_11comp_targetILNS1_3genE8ELNS1_11target_archE1030ELNS1_3gpuE2ELNS1_3repE0EEENS1_30default_config_static_selectorELNS0_4arch9wavefront6targetE1EEEvSY_
    .private_segment_fixed_size: 0
    .sgpr_count:     4
    .sgpr_spill_count: 0
    .symbol:         _ZN7rocprim17ROCPRIM_400000_NS6detail17trampoline_kernelINS0_14default_configENS1_29binary_search_config_selectorIsiEEZNS1_14transform_implILb0ES3_S5_N6thrust23THRUST_200600_302600_NS6detail15normal_iteratorINS8_7pointerIsNS8_11hip_rocprim5par_tENS8_11use_defaultESE_EEEENSA_INSB_IiSD_SE_SE_EEEEZNS1_13binary_searchIS3_S5_NSA_INS8_10device_ptrIsEEEESG_SI_NS1_16binary_search_opENS9_16wrapped_functionINS8_6system6detail7generic6detail18binary_search_lessEbEEEE10hipError_tPvRmT1_T2_T3_mmT4_T5_P12ihipStream_tbEUlRKsE_EESV_SZ_S10_mS11_S14_bEUlT_E_NS1_11comp_targetILNS1_3genE8ELNS1_11target_archE1030ELNS1_3gpuE2ELNS1_3repE0EEENS1_30default_config_static_selectorELNS0_4arch9wavefront6targetE1EEEvSY_.kd
    .uniform_work_group_size: 1
    .uses_dynamic_stack: false
    .vgpr_count:     0
    .vgpr_spill_count: 0
    .wavefront_size: 64
  - .args:
      - .offset:         0
        .size:           56
        .value_kind:     by_value
    .group_segment_fixed_size: 0
    .kernarg_segment_align: 8
    .kernarg_segment_size: 56
    .language:       OpenCL C
    .language_version:
      - 2
      - 0
    .max_flat_workgroup_size: 256
    .name:           _ZN7rocprim17ROCPRIM_400000_NS6detail17trampoline_kernelINS0_14default_configENS1_29binary_search_config_selectorIN6thrust23THRUST_200600_302600_NS5tupleIiiNS6_9null_typeES8_S8_S8_S8_S8_S8_S8_EEiEEZNS1_14transform_implILb0ES3_SA_NS6_6detail15normal_iteratorINS6_7pointerIS9_NS6_11hip_rocprim5par_tENS6_11use_defaultESH_EEEENSD_INSE_IiSG_SH_SH_EEEEZNS1_13binary_searchIS3_SA_NSD_INS6_10device_ptrIS9_EEEESJ_SL_NS1_16binary_search_opENSC_16wrapped_functionINS6_6system6detail7generic6detail18binary_search_lessEbEEEE10hipError_tPvRmT1_T2_T3_mmT4_T5_P12ihipStream_tbEUlRKS9_E_EESY_S12_S13_mS14_S17_bEUlT_E_NS1_11comp_targetILNS1_3genE0ELNS1_11target_archE4294967295ELNS1_3gpuE0ELNS1_3repE0EEENS1_30default_config_static_selectorELNS0_4arch9wavefront6targetE1EEEvS11_
    .private_segment_fixed_size: 0
    .sgpr_count:     4
    .sgpr_spill_count: 0
    .symbol:         _ZN7rocprim17ROCPRIM_400000_NS6detail17trampoline_kernelINS0_14default_configENS1_29binary_search_config_selectorIN6thrust23THRUST_200600_302600_NS5tupleIiiNS6_9null_typeES8_S8_S8_S8_S8_S8_S8_EEiEEZNS1_14transform_implILb0ES3_SA_NS6_6detail15normal_iteratorINS6_7pointerIS9_NS6_11hip_rocprim5par_tENS6_11use_defaultESH_EEEENSD_INSE_IiSG_SH_SH_EEEEZNS1_13binary_searchIS3_SA_NSD_INS6_10device_ptrIS9_EEEESJ_SL_NS1_16binary_search_opENSC_16wrapped_functionINS6_6system6detail7generic6detail18binary_search_lessEbEEEE10hipError_tPvRmT1_T2_T3_mmT4_T5_P12ihipStream_tbEUlRKS9_E_EESY_S12_S13_mS14_S17_bEUlT_E_NS1_11comp_targetILNS1_3genE0ELNS1_11target_archE4294967295ELNS1_3gpuE0ELNS1_3repE0EEENS1_30default_config_static_selectorELNS0_4arch9wavefront6targetE1EEEvS11_.kd
    .uniform_work_group_size: 1
    .uses_dynamic_stack: false
    .vgpr_count:     0
    .vgpr_spill_count: 0
    .wavefront_size: 64
  - .args:
      - .offset:         0
        .size:           56
        .value_kind:     by_value
    .group_segment_fixed_size: 0
    .kernarg_segment_align: 8
    .kernarg_segment_size: 56
    .language:       OpenCL C
    .language_version:
      - 2
      - 0
    .max_flat_workgroup_size: 64
    .name:           _ZN7rocprim17ROCPRIM_400000_NS6detail17trampoline_kernelINS0_14default_configENS1_29binary_search_config_selectorIN6thrust23THRUST_200600_302600_NS5tupleIiiNS6_9null_typeES8_S8_S8_S8_S8_S8_S8_EEiEEZNS1_14transform_implILb0ES3_SA_NS6_6detail15normal_iteratorINS6_7pointerIS9_NS6_11hip_rocprim5par_tENS6_11use_defaultESH_EEEENSD_INSE_IiSG_SH_SH_EEEEZNS1_13binary_searchIS3_SA_NSD_INS6_10device_ptrIS9_EEEESJ_SL_NS1_16binary_search_opENSC_16wrapped_functionINS6_6system6detail7generic6detail18binary_search_lessEbEEEE10hipError_tPvRmT1_T2_T3_mmT4_T5_P12ihipStream_tbEUlRKS9_E_EESY_S12_S13_mS14_S17_bEUlT_E_NS1_11comp_targetILNS1_3genE5ELNS1_11target_archE942ELNS1_3gpuE9ELNS1_3repE0EEENS1_30default_config_static_selectorELNS0_4arch9wavefront6targetE1EEEvS11_
    .private_segment_fixed_size: 0
    .sgpr_count:     4
    .sgpr_spill_count: 0
    .symbol:         _ZN7rocprim17ROCPRIM_400000_NS6detail17trampoline_kernelINS0_14default_configENS1_29binary_search_config_selectorIN6thrust23THRUST_200600_302600_NS5tupleIiiNS6_9null_typeES8_S8_S8_S8_S8_S8_S8_EEiEEZNS1_14transform_implILb0ES3_SA_NS6_6detail15normal_iteratorINS6_7pointerIS9_NS6_11hip_rocprim5par_tENS6_11use_defaultESH_EEEENSD_INSE_IiSG_SH_SH_EEEEZNS1_13binary_searchIS3_SA_NSD_INS6_10device_ptrIS9_EEEESJ_SL_NS1_16binary_search_opENSC_16wrapped_functionINS6_6system6detail7generic6detail18binary_search_lessEbEEEE10hipError_tPvRmT1_T2_T3_mmT4_T5_P12ihipStream_tbEUlRKS9_E_EESY_S12_S13_mS14_S17_bEUlT_E_NS1_11comp_targetILNS1_3genE5ELNS1_11target_archE942ELNS1_3gpuE9ELNS1_3repE0EEENS1_30default_config_static_selectorELNS0_4arch9wavefront6targetE1EEEvS11_.kd
    .uniform_work_group_size: 1
    .uses_dynamic_stack: false
    .vgpr_count:     0
    .vgpr_spill_count: 0
    .wavefront_size: 64
  - .args:
      - .offset:         0
        .size:           56
        .value_kind:     by_value
    .group_segment_fixed_size: 0
    .kernarg_segment_align: 8
    .kernarg_segment_size: 56
    .language:       OpenCL C
    .language_version:
      - 2
      - 0
    .max_flat_workgroup_size: 64
    .name:           _ZN7rocprim17ROCPRIM_400000_NS6detail17trampoline_kernelINS0_14default_configENS1_29binary_search_config_selectorIN6thrust23THRUST_200600_302600_NS5tupleIiiNS6_9null_typeES8_S8_S8_S8_S8_S8_S8_EEiEEZNS1_14transform_implILb0ES3_SA_NS6_6detail15normal_iteratorINS6_7pointerIS9_NS6_11hip_rocprim5par_tENS6_11use_defaultESH_EEEENSD_INSE_IiSG_SH_SH_EEEEZNS1_13binary_searchIS3_SA_NSD_INS6_10device_ptrIS9_EEEESJ_SL_NS1_16binary_search_opENSC_16wrapped_functionINS6_6system6detail7generic6detail18binary_search_lessEbEEEE10hipError_tPvRmT1_T2_T3_mmT4_T5_P12ihipStream_tbEUlRKS9_E_EESY_S12_S13_mS14_S17_bEUlT_E_NS1_11comp_targetILNS1_3genE4ELNS1_11target_archE910ELNS1_3gpuE8ELNS1_3repE0EEENS1_30default_config_static_selectorELNS0_4arch9wavefront6targetE1EEEvS11_
    .private_segment_fixed_size: 0
    .sgpr_count:     4
    .sgpr_spill_count: 0
    .symbol:         _ZN7rocprim17ROCPRIM_400000_NS6detail17trampoline_kernelINS0_14default_configENS1_29binary_search_config_selectorIN6thrust23THRUST_200600_302600_NS5tupleIiiNS6_9null_typeES8_S8_S8_S8_S8_S8_S8_EEiEEZNS1_14transform_implILb0ES3_SA_NS6_6detail15normal_iteratorINS6_7pointerIS9_NS6_11hip_rocprim5par_tENS6_11use_defaultESH_EEEENSD_INSE_IiSG_SH_SH_EEEEZNS1_13binary_searchIS3_SA_NSD_INS6_10device_ptrIS9_EEEESJ_SL_NS1_16binary_search_opENSC_16wrapped_functionINS6_6system6detail7generic6detail18binary_search_lessEbEEEE10hipError_tPvRmT1_T2_T3_mmT4_T5_P12ihipStream_tbEUlRKS9_E_EESY_S12_S13_mS14_S17_bEUlT_E_NS1_11comp_targetILNS1_3genE4ELNS1_11target_archE910ELNS1_3gpuE8ELNS1_3repE0EEENS1_30default_config_static_selectorELNS0_4arch9wavefront6targetE1EEEvS11_.kd
    .uniform_work_group_size: 1
    .uses_dynamic_stack: false
    .vgpr_count:     0
    .vgpr_spill_count: 0
    .wavefront_size: 64
  - .args:
      - .offset:         0
        .size:           56
        .value_kind:     by_value
    .group_segment_fixed_size: 0
    .kernarg_segment_align: 8
    .kernarg_segment_size: 56
    .language:       OpenCL C
    .language_version:
      - 2
      - 0
    .max_flat_workgroup_size: 256
    .name:           _ZN7rocprim17ROCPRIM_400000_NS6detail17trampoline_kernelINS0_14default_configENS1_29binary_search_config_selectorIN6thrust23THRUST_200600_302600_NS5tupleIiiNS6_9null_typeES8_S8_S8_S8_S8_S8_S8_EEiEEZNS1_14transform_implILb0ES3_SA_NS6_6detail15normal_iteratorINS6_7pointerIS9_NS6_11hip_rocprim5par_tENS6_11use_defaultESH_EEEENSD_INSE_IiSG_SH_SH_EEEEZNS1_13binary_searchIS3_SA_NSD_INS6_10device_ptrIS9_EEEESJ_SL_NS1_16binary_search_opENSC_16wrapped_functionINS6_6system6detail7generic6detail18binary_search_lessEbEEEE10hipError_tPvRmT1_T2_T3_mmT4_T5_P12ihipStream_tbEUlRKS9_E_EESY_S12_S13_mS14_S17_bEUlT_E_NS1_11comp_targetILNS1_3genE3ELNS1_11target_archE908ELNS1_3gpuE7ELNS1_3repE0EEENS1_30default_config_static_selectorELNS0_4arch9wavefront6targetE1EEEvS11_
    .private_segment_fixed_size: 0
    .sgpr_count:     4
    .sgpr_spill_count: 0
    .symbol:         _ZN7rocprim17ROCPRIM_400000_NS6detail17trampoline_kernelINS0_14default_configENS1_29binary_search_config_selectorIN6thrust23THRUST_200600_302600_NS5tupleIiiNS6_9null_typeES8_S8_S8_S8_S8_S8_S8_EEiEEZNS1_14transform_implILb0ES3_SA_NS6_6detail15normal_iteratorINS6_7pointerIS9_NS6_11hip_rocprim5par_tENS6_11use_defaultESH_EEEENSD_INSE_IiSG_SH_SH_EEEEZNS1_13binary_searchIS3_SA_NSD_INS6_10device_ptrIS9_EEEESJ_SL_NS1_16binary_search_opENSC_16wrapped_functionINS6_6system6detail7generic6detail18binary_search_lessEbEEEE10hipError_tPvRmT1_T2_T3_mmT4_T5_P12ihipStream_tbEUlRKS9_E_EESY_S12_S13_mS14_S17_bEUlT_E_NS1_11comp_targetILNS1_3genE3ELNS1_11target_archE908ELNS1_3gpuE7ELNS1_3repE0EEENS1_30default_config_static_selectorELNS0_4arch9wavefront6targetE1EEEvS11_.kd
    .uniform_work_group_size: 1
    .uses_dynamic_stack: false
    .vgpr_count:     0
    .vgpr_spill_count: 0
    .wavefront_size: 64
  - .args:
      - .offset:         0
        .size:           56
        .value_kind:     by_value
      - .offset:         56
        .size:           4
        .value_kind:     hidden_block_count_x
      - .offset:         60
        .size:           4
        .value_kind:     hidden_block_count_y
      - .offset:         64
        .size:           4
        .value_kind:     hidden_block_count_z
      - .offset:         68
        .size:           2
        .value_kind:     hidden_group_size_x
      - .offset:         70
        .size:           2
        .value_kind:     hidden_group_size_y
      - .offset:         72
        .size:           2
        .value_kind:     hidden_group_size_z
      - .offset:         74
        .size:           2
        .value_kind:     hidden_remainder_x
      - .offset:         76
        .size:           2
        .value_kind:     hidden_remainder_y
      - .offset:         78
        .size:           2
        .value_kind:     hidden_remainder_z
      - .offset:         96
        .size:           8
        .value_kind:     hidden_global_offset_x
      - .offset:         104
        .size:           8
        .value_kind:     hidden_global_offset_y
      - .offset:         112
        .size:           8
        .value_kind:     hidden_global_offset_z
      - .offset:         120
        .size:           2
        .value_kind:     hidden_grid_dims
    .group_segment_fixed_size: 0
    .kernarg_segment_align: 8
    .kernarg_segment_size: 312
    .language:       OpenCL C
    .language_version:
      - 2
      - 0
    .max_flat_workgroup_size: 256
    .name:           _ZN7rocprim17ROCPRIM_400000_NS6detail17trampoline_kernelINS0_14default_configENS1_29binary_search_config_selectorIN6thrust23THRUST_200600_302600_NS5tupleIiiNS6_9null_typeES8_S8_S8_S8_S8_S8_S8_EEiEEZNS1_14transform_implILb0ES3_SA_NS6_6detail15normal_iteratorINS6_7pointerIS9_NS6_11hip_rocprim5par_tENS6_11use_defaultESH_EEEENSD_INSE_IiSG_SH_SH_EEEEZNS1_13binary_searchIS3_SA_NSD_INS6_10device_ptrIS9_EEEESJ_SL_NS1_16binary_search_opENSC_16wrapped_functionINS6_6system6detail7generic6detail18binary_search_lessEbEEEE10hipError_tPvRmT1_T2_T3_mmT4_T5_P12ihipStream_tbEUlRKS9_E_EESY_S12_S13_mS14_S17_bEUlT_E_NS1_11comp_targetILNS1_3genE2ELNS1_11target_archE906ELNS1_3gpuE6ELNS1_3repE0EEENS1_30default_config_static_selectorELNS0_4arch9wavefront6targetE1EEEvS11_
    .private_segment_fixed_size: 0
    .sgpr_count:     26
    .sgpr_spill_count: 0
    .symbol:         _ZN7rocprim17ROCPRIM_400000_NS6detail17trampoline_kernelINS0_14default_configENS1_29binary_search_config_selectorIN6thrust23THRUST_200600_302600_NS5tupleIiiNS6_9null_typeES8_S8_S8_S8_S8_S8_S8_EEiEEZNS1_14transform_implILb0ES3_SA_NS6_6detail15normal_iteratorINS6_7pointerIS9_NS6_11hip_rocprim5par_tENS6_11use_defaultESH_EEEENSD_INSE_IiSG_SH_SH_EEEEZNS1_13binary_searchIS3_SA_NSD_INS6_10device_ptrIS9_EEEESJ_SL_NS1_16binary_search_opENSC_16wrapped_functionINS6_6system6detail7generic6detail18binary_search_lessEbEEEE10hipError_tPvRmT1_T2_T3_mmT4_T5_P12ihipStream_tbEUlRKS9_E_EESY_S12_S13_mS14_S17_bEUlT_E_NS1_11comp_targetILNS1_3genE2ELNS1_11target_archE906ELNS1_3gpuE6ELNS1_3repE0EEENS1_30default_config_static_selectorELNS0_4arch9wavefront6targetE1EEEvS11_.kd
    .uniform_work_group_size: 1
    .uses_dynamic_stack: false
    .vgpr_count:     15
    .vgpr_spill_count: 0
    .wavefront_size: 64
  - .args:
      - .offset:         0
        .size:           56
        .value_kind:     by_value
    .group_segment_fixed_size: 0
    .kernarg_segment_align: 8
    .kernarg_segment_size: 56
    .language:       OpenCL C
    .language_version:
      - 2
      - 0
    .max_flat_workgroup_size: 128
    .name:           _ZN7rocprim17ROCPRIM_400000_NS6detail17trampoline_kernelINS0_14default_configENS1_29binary_search_config_selectorIN6thrust23THRUST_200600_302600_NS5tupleIiiNS6_9null_typeES8_S8_S8_S8_S8_S8_S8_EEiEEZNS1_14transform_implILb0ES3_SA_NS6_6detail15normal_iteratorINS6_7pointerIS9_NS6_11hip_rocprim5par_tENS6_11use_defaultESH_EEEENSD_INSE_IiSG_SH_SH_EEEEZNS1_13binary_searchIS3_SA_NSD_INS6_10device_ptrIS9_EEEESJ_SL_NS1_16binary_search_opENSC_16wrapped_functionINS6_6system6detail7generic6detail18binary_search_lessEbEEEE10hipError_tPvRmT1_T2_T3_mmT4_T5_P12ihipStream_tbEUlRKS9_E_EESY_S12_S13_mS14_S17_bEUlT_E_NS1_11comp_targetILNS1_3genE10ELNS1_11target_archE1201ELNS1_3gpuE5ELNS1_3repE0EEENS1_30default_config_static_selectorELNS0_4arch9wavefront6targetE1EEEvS11_
    .private_segment_fixed_size: 0
    .sgpr_count:     4
    .sgpr_spill_count: 0
    .symbol:         _ZN7rocprim17ROCPRIM_400000_NS6detail17trampoline_kernelINS0_14default_configENS1_29binary_search_config_selectorIN6thrust23THRUST_200600_302600_NS5tupleIiiNS6_9null_typeES8_S8_S8_S8_S8_S8_S8_EEiEEZNS1_14transform_implILb0ES3_SA_NS6_6detail15normal_iteratorINS6_7pointerIS9_NS6_11hip_rocprim5par_tENS6_11use_defaultESH_EEEENSD_INSE_IiSG_SH_SH_EEEEZNS1_13binary_searchIS3_SA_NSD_INS6_10device_ptrIS9_EEEESJ_SL_NS1_16binary_search_opENSC_16wrapped_functionINS6_6system6detail7generic6detail18binary_search_lessEbEEEE10hipError_tPvRmT1_T2_T3_mmT4_T5_P12ihipStream_tbEUlRKS9_E_EESY_S12_S13_mS14_S17_bEUlT_E_NS1_11comp_targetILNS1_3genE10ELNS1_11target_archE1201ELNS1_3gpuE5ELNS1_3repE0EEENS1_30default_config_static_selectorELNS0_4arch9wavefront6targetE1EEEvS11_.kd
    .uniform_work_group_size: 1
    .uses_dynamic_stack: false
    .vgpr_count:     0
    .vgpr_spill_count: 0
    .wavefront_size: 64
  - .args:
      - .offset:         0
        .size:           56
        .value_kind:     by_value
    .group_segment_fixed_size: 0
    .kernarg_segment_align: 8
    .kernarg_segment_size: 56
    .language:       OpenCL C
    .language_version:
      - 2
      - 0
    .max_flat_workgroup_size: 128
    .name:           _ZN7rocprim17ROCPRIM_400000_NS6detail17trampoline_kernelINS0_14default_configENS1_29binary_search_config_selectorIN6thrust23THRUST_200600_302600_NS5tupleIiiNS6_9null_typeES8_S8_S8_S8_S8_S8_S8_EEiEEZNS1_14transform_implILb0ES3_SA_NS6_6detail15normal_iteratorINS6_7pointerIS9_NS6_11hip_rocprim5par_tENS6_11use_defaultESH_EEEENSD_INSE_IiSG_SH_SH_EEEEZNS1_13binary_searchIS3_SA_NSD_INS6_10device_ptrIS9_EEEESJ_SL_NS1_16binary_search_opENSC_16wrapped_functionINS6_6system6detail7generic6detail18binary_search_lessEbEEEE10hipError_tPvRmT1_T2_T3_mmT4_T5_P12ihipStream_tbEUlRKS9_E_EESY_S12_S13_mS14_S17_bEUlT_E_NS1_11comp_targetILNS1_3genE10ELNS1_11target_archE1200ELNS1_3gpuE4ELNS1_3repE0EEENS1_30default_config_static_selectorELNS0_4arch9wavefront6targetE1EEEvS11_
    .private_segment_fixed_size: 0
    .sgpr_count:     4
    .sgpr_spill_count: 0
    .symbol:         _ZN7rocprim17ROCPRIM_400000_NS6detail17trampoline_kernelINS0_14default_configENS1_29binary_search_config_selectorIN6thrust23THRUST_200600_302600_NS5tupleIiiNS6_9null_typeES8_S8_S8_S8_S8_S8_S8_EEiEEZNS1_14transform_implILb0ES3_SA_NS6_6detail15normal_iteratorINS6_7pointerIS9_NS6_11hip_rocprim5par_tENS6_11use_defaultESH_EEEENSD_INSE_IiSG_SH_SH_EEEEZNS1_13binary_searchIS3_SA_NSD_INS6_10device_ptrIS9_EEEESJ_SL_NS1_16binary_search_opENSC_16wrapped_functionINS6_6system6detail7generic6detail18binary_search_lessEbEEEE10hipError_tPvRmT1_T2_T3_mmT4_T5_P12ihipStream_tbEUlRKS9_E_EESY_S12_S13_mS14_S17_bEUlT_E_NS1_11comp_targetILNS1_3genE10ELNS1_11target_archE1200ELNS1_3gpuE4ELNS1_3repE0EEENS1_30default_config_static_selectorELNS0_4arch9wavefront6targetE1EEEvS11_.kd
    .uniform_work_group_size: 1
    .uses_dynamic_stack: false
    .vgpr_count:     0
    .vgpr_spill_count: 0
    .wavefront_size: 64
  - .args:
      - .offset:         0
        .size:           56
        .value_kind:     by_value
    .group_segment_fixed_size: 0
    .kernarg_segment_align: 8
    .kernarg_segment_size: 56
    .language:       OpenCL C
    .language_version:
      - 2
      - 0
    .max_flat_workgroup_size: 256
    .name:           _ZN7rocprim17ROCPRIM_400000_NS6detail17trampoline_kernelINS0_14default_configENS1_29binary_search_config_selectorIN6thrust23THRUST_200600_302600_NS5tupleIiiNS6_9null_typeES8_S8_S8_S8_S8_S8_S8_EEiEEZNS1_14transform_implILb0ES3_SA_NS6_6detail15normal_iteratorINS6_7pointerIS9_NS6_11hip_rocprim5par_tENS6_11use_defaultESH_EEEENSD_INSE_IiSG_SH_SH_EEEEZNS1_13binary_searchIS3_SA_NSD_INS6_10device_ptrIS9_EEEESJ_SL_NS1_16binary_search_opENSC_16wrapped_functionINS6_6system6detail7generic6detail18binary_search_lessEbEEEE10hipError_tPvRmT1_T2_T3_mmT4_T5_P12ihipStream_tbEUlRKS9_E_EESY_S12_S13_mS14_S17_bEUlT_E_NS1_11comp_targetILNS1_3genE9ELNS1_11target_archE1100ELNS1_3gpuE3ELNS1_3repE0EEENS1_30default_config_static_selectorELNS0_4arch9wavefront6targetE1EEEvS11_
    .private_segment_fixed_size: 0
    .sgpr_count:     4
    .sgpr_spill_count: 0
    .symbol:         _ZN7rocprim17ROCPRIM_400000_NS6detail17trampoline_kernelINS0_14default_configENS1_29binary_search_config_selectorIN6thrust23THRUST_200600_302600_NS5tupleIiiNS6_9null_typeES8_S8_S8_S8_S8_S8_S8_EEiEEZNS1_14transform_implILb0ES3_SA_NS6_6detail15normal_iteratorINS6_7pointerIS9_NS6_11hip_rocprim5par_tENS6_11use_defaultESH_EEEENSD_INSE_IiSG_SH_SH_EEEEZNS1_13binary_searchIS3_SA_NSD_INS6_10device_ptrIS9_EEEESJ_SL_NS1_16binary_search_opENSC_16wrapped_functionINS6_6system6detail7generic6detail18binary_search_lessEbEEEE10hipError_tPvRmT1_T2_T3_mmT4_T5_P12ihipStream_tbEUlRKS9_E_EESY_S12_S13_mS14_S17_bEUlT_E_NS1_11comp_targetILNS1_3genE9ELNS1_11target_archE1100ELNS1_3gpuE3ELNS1_3repE0EEENS1_30default_config_static_selectorELNS0_4arch9wavefront6targetE1EEEvS11_.kd
    .uniform_work_group_size: 1
    .uses_dynamic_stack: false
    .vgpr_count:     0
    .vgpr_spill_count: 0
    .wavefront_size: 64
  - .args:
      - .offset:         0
        .size:           56
        .value_kind:     by_value
    .group_segment_fixed_size: 0
    .kernarg_segment_align: 8
    .kernarg_segment_size: 56
    .language:       OpenCL C
    .language_version:
      - 2
      - 0
    .max_flat_workgroup_size: 256
    .name:           _ZN7rocprim17ROCPRIM_400000_NS6detail17trampoline_kernelINS0_14default_configENS1_29binary_search_config_selectorIN6thrust23THRUST_200600_302600_NS5tupleIiiNS6_9null_typeES8_S8_S8_S8_S8_S8_S8_EEiEEZNS1_14transform_implILb0ES3_SA_NS6_6detail15normal_iteratorINS6_7pointerIS9_NS6_11hip_rocprim5par_tENS6_11use_defaultESH_EEEENSD_INSE_IiSG_SH_SH_EEEEZNS1_13binary_searchIS3_SA_NSD_INS6_10device_ptrIS9_EEEESJ_SL_NS1_16binary_search_opENSC_16wrapped_functionINS6_6system6detail7generic6detail18binary_search_lessEbEEEE10hipError_tPvRmT1_T2_T3_mmT4_T5_P12ihipStream_tbEUlRKS9_E_EESY_S12_S13_mS14_S17_bEUlT_E_NS1_11comp_targetILNS1_3genE8ELNS1_11target_archE1030ELNS1_3gpuE2ELNS1_3repE0EEENS1_30default_config_static_selectorELNS0_4arch9wavefront6targetE1EEEvS11_
    .private_segment_fixed_size: 0
    .sgpr_count:     4
    .sgpr_spill_count: 0
    .symbol:         _ZN7rocprim17ROCPRIM_400000_NS6detail17trampoline_kernelINS0_14default_configENS1_29binary_search_config_selectorIN6thrust23THRUST_200600_302600_NS5tupleIiiNS6_9null_typeES8_S8_S8_S8_S8_S8_S8_EEiEEZNS1_14transform_implILb0ES3_SA_NS6_6detail15normal_iteratorINS6_7pointerIS9_NS6_11hip_rocprim5par_tENS6_11use_defaultESH_EEEENSD_INSE_IiSG_SH_SH_EEEEZNS1_13binary_searchIS3_SA_NSD_INS6_10device_ptrIS9_EEEESJ_SL_NS1_16binary_search_opENSC_16wrapped_functionINS6_6system6detail7generic6detail18binary_search_lessEbEEEE10hipError_tPvRmT1_T2_T3_mmT4_T5_P12ihipStream_tbEUlRKS9_E_EESY_S12_S13_mS14_S17_bEUlT_E_NS1_11comp_targetILNS1_3genE8ELNS1_11target_archE1030ELNS1_3gpuE2ELNS1_3repE0EEENS1_30default_config_static_selectorELNS0_4arch9wavefront6targetE1EEEvS11_.kd
    .uniform_work_group_size: 1
    .uses_dynamic_stack: false
    .vgpr_count:     0
    .vgpr_spill_count: 0
    .wavefront_size: 64
  - .args:
      - .offset:         0
        .size:           56
        .value_kind:     by_value
    .group_segment_fixed_size: 0
    .kernarg_segment_align: 8
    .kernarg_segment_size: 56
    .language:       OpenCL C
    .language_version:
      - 2
      - 0
    .max_flat_workgroup_size: 256
    .name:           _ZN7rocprim17ROCPRIM_400000_NS6detail17trampoline_kernelINS0_14default_configENS1_29binary_search_config_selectorIibEEZNS1_14transform_implILb0ES3_S5_N6thrust23THRUST_200600_302600_NS6detail15normal_iteratorINS8_10device_ptrIiEEEENSA_INSB_IbEEEEZNS1_13binary_searchIS3_S5_SD_SD_SF_NS1_16binary_search_opENS9_16wrapped_functionINS0_4lessIvEEbEEEE10hipError_tPvRmT1_T2_T3_mmT4_T5_P12ihipStream_tbEUlRKiE_EESM_SQ_SR_mSS_SV_bEUlT_E_NS1_11comp_targetILNS1_3genE0ELNS1_11target_archE4294967295ELNS1_3gpuE0ELNS1_3repE0EEENS1_30default_config_static_selectorELNS0_4arch9wavefront6targetE1EEEvSP_
    .private_segment_fixed_size: 0
    .sgpr_count:     4
    .sgpr_spill_count: 0
    .symbol:         _ZN7rocprim17ROCPRIM_400000_NS6detail17trampoline_kernelINS0_14default_configENS1_29binary_search_config_selectorIibEEZNS1_14transform_implILb0ES3_S5_N6thrust23THRUST_200600_302600_NS6detail15normal_iteratorINS8_10device_ptrIiEEEENSA_INSB_IbEEEEZNS1_13binary_searchIS3_S5_SD_SD_SF_NS1_16binary_search_opENS9_16wrapped_functionINS0_4lessIvEEbEEEE10hipError_tPvRmT1_T2_T3_mmT4_T5_P12ihipStream_tbEUlRKiE_EESM_SQ_SR_mSS_SV_bEUlT_E_NS1_11comp_targetILNS1_3genE0ELNS1_11target_archE4294967295ELNS1_3gpuE0ELNS1_3repE0EEENS1_30default_config_static_selectorELNS0_4arch9wavefront6targetE1EEEvSP_.kd
    .uniform_work_group_size: 1
    .uses_dynamic_stack: false
    .vgpr_count:     0
    .vgpr_spill_count: 0
    .wavefront_size: 64
  - .args:
      - .offset:         0
        .size:           56
        .value_kind:     by_value
    .group_segment_fixed_size: 0
    .kernarg_segment_align: 8
    .kernarg_segment_size: 56
    .language:       OpenCL C
    .language_version:
      - 2
      - 0
    .max_flat_workgroup_size: 256
    .name:           _ZN7rocprim17ROCPRIM_400000_NS6detail17trampoline_kernelINS0_14default_configENS1_29binary_search_config_selectorIibEEZNS1_14transform_implILb0ES3_S5_N6thrust23THRUST_200600_302600_NS6detail15normal_iteratorINS8_10device_ptrIiEEEENSA_INSB_IbEEEEZNS1_13binary_searchIS3_S5_SD_SD_SF_NS1_16binary_search_opENS9_16wrapped_functionINS0_4lessIvEEbEEEE10hipError_tPvRmT1_T2_T3_mmT4_T5_P12ihipStream_tbEUlRKiE_EESM_SQ_SR_mSS_SV_bEUlT_E_NS1_11comp_targetILNS1_3genE5ELNS1_11target_archE942ELNS1_3gpuE9ELNS1_3repE0EEENS1_30default_config_static_selectorELNS0_4arch9wavefront6targetE1EEEvSP_
    .private_segment_fixed_size: 0
    .sgpr_count:     4
    .sgpr_spill_count: 0
    .symbol:         _ZN7rocprim17ROCPRIM_400000_NS6detail17trampoline_kernelINS0_14default_configENS1_29binary_search_config_selectorIibEEZNS1_14transform_implILb0ES3_S5_N6thrust23THRUST_200600_302600_NS6detail15normal_iteratorINS8_10device_ptrIiEEEENSA_INSB_IbEEEEZNS1_13binary_searchIS3_S5_SD_SD_SF_NS1_16binary_search_opENS9_16wrapped_functionINS0_4lessIvEEbEEEE10hipError_tPvRmT1_T2_T3_mmT4_T5_P12ihipStream_tbEUlRKiE_EESM_SQ_SR_mSS_SV_bEUlT_E_NS1_11comp_targetILNS1_3genE5ELNS1_11target_archE942ELNS1_3gpuE9ELNS1_3repE0EEENS1_30default_config_static_selectorELNS0_4arch9wavefront6targetE1EEEvSP_.kd
    .uniform_work_group_size: 1
    .uses_dynamic_stack: false
    .vgpr_count:     0
    .vgpr_spill_count: 0
    .wavefront_size: 64
  - .args:
      - .offset:         0
        .size:           56
        .value_kind:     by_value
    .group_segment_fixed_size: 0
    .kernarg_segment_align: 8
    .kernarg_segment_size: 56
    .language:       OpenCL C
    .language_version:
      - 2
      - 0
    .max_flat_workgroup_size: 256
    .name:           _ZN7rocprim17ROCPRIM_400000_NS6detail17trampoline_kernelINS0_14default_configENS1_29binary_search_config_selectorIibEEZNS1_14transform_implILb0ES3_S5_N6thrust23THRUST_200600_302600_NS6detail15normal_iteratorINS8_10device_ptrIiEEEENSA_INSB_IbEEEEZNS1_13binary_searchIS3_S5_SD_SD_SF_NS1_16binary_search_opENS9_16wrapped_functionINS0_4lessIvEEbEEEE10hipError_tPvRmT1_T2_T3_mmT4_T5_P12ihipStream_tbEUlRKiE_EESM_SQ_SR_mSS_SV_bEUlT_E_NS1_11comp_targetILNS1_3genE4ELNS1_11target_archE910ELNS1_3gpuE8ELNS1_3repE0EEENS1_30default_config_static_selectorELNS0_4arch9wavefront6targetE1EEEvSP_
    .private_segment_fixed_size: 0
    .sgpr_count:     4
    .sgpr_spill_count: 0
    .symbol:         _ZN7rocprim17ROCPRIM_400000_NS6detail17trampoline_kernelINS0_14default_configENS1_29binary_search_config_selectorIibEEZNS1_14transform_implILb0ES3_S5_N6thrust23THRUST_200600_302600_NS6detail15normal_iteratorINS8_10device_ptrIiEEEENSA_INSB_IbEEEEZNS1_13binary_searchIS3_S5_SD_SD_SF_NS1_16binary_search_opENS9_16wrapped_functionINS0_4lessIvEEbEEEE10hipError_tPvRmT1_T2_T3_mmT4_T5_P12ihipStream_tbEUlRKiE_EESM_SQ_SR_mSS_SV_bEUlT_E_NS1_11comp_targetILNS1_3genE4ELNS1_11target_archE910ELNS1_3gpuE8ELNS1_3repE0EEENS1_30default_config_static_selectorELNS0_4arch9wavefront6targetE1EEEvSP_.kd
    .uniform_work_group_size: 1
    .uses_dynamic_stack: false
    .vgpr_count:     0
    .vgpr_spill_count: 0
    .wavefront_size: 64
  - .args:
      - .offset:         0
        .size:           56
        .value_kind:     by_value
    .group_segment_fixed_size: 0
    .kernarg_segment_align: 8
    .kernarg_segment_size: 56
    .language:       OpenCL C
    .language_version:
      - 2
      - 0
    .max_flat_workgroup_size: 256
    .name:           _ZN7rocprim17ROCPRIM_400000_NS6detail17trampoline_kernelINS0_14default_configENS1_29binary_search_config_selectorIibEEZNS1_14transform_implILb0ES3_S5_N6thrust23THRUST_200600_302600_NS6detail15normal_iteratorINS8_10device_ptrIiEEEENSA_INSB_IbEEEEZNS1_13binary_searchIS3_S5_SD_SD_SF_NS1_16binary_search_opENS9_16wrapped_functionINS0_4lessIvEEbEEEE10hipError_tPvRmT1_T2_T3_mmT4_T5_P12ihipStream_tbEUlRKiE_EESM_SQ_SR_mSS_SV_bEUlT_E_NS1_11comp_targetILNS1_3genE3ELNS1_11target_archE908ELNS1_3gpuE7ELNS1_3repE0EEENS1_30default_config_static_selectorELNS0_4arch9wavefront6targetE1EEEvSP_
    .private_segment_fixed_size: 0
    .sgpr_count:     4
    .sgpr_spill_count: 0
    .symbol:         _ZN7rocprim17ROCPRIM_400000_NS6detail17trampoline_kernelINS0_14default_configENS1_29binary_search_config_selectorIibEEZNS1_14transform_implILb0ES3_S5_N6thrust23THRUST_200600_302600_NS6detail15normal_iteratorINS8_10device_ptrIiEEEENSA_INSB_IbEEEEZNS1_13binary_searchIS3_S5_SD_SD_SF_NS1_16binary_search_opENS9_16wrapped_functionINS0_4lessIvEEbEEEE10hipError_tPvRmT1_T2_T3_mmT4_T5_P12ihipStream_tbEUlRKiE_EESM_SQ_SR_mSS_SV_bEUlT_E_NS1_11comp_targetILNS1_3genE3ELNS1_11target_archE908ELNS1_3gpuE7ELNS1_3repE0EEENS1_30default_config_static_selectorELNS0_4arch9wavefront6targetE1EEEvSP_.kd
    .uniform_work_group_size: 1
    .uses_dynamic_stack: false
    .vgpr_count:     0
    .vgpr_spill_count: 0
    .wavefront_size: 64
  - .args:
      - .offset:         0
        .size:           56
        .value_kind:     by_value
      - .offset:         56
        .size:           4
        .value_kind:     hidden_block_count_x
      - .offset:         60
        .size:           4
        .value_kind:     hidden_block_count_y
      - .offset:         64
        .size:           4
        .value_kind:     hidden_block_count_z
      - .offset:         68
        .size:           2
        .value_kind:     hidden_group_size_x
      - .offset:         70
        .size:           2
        .value_kind:     hidden_group_size_y
      - .offset:         72
        .size:           2
        .value_kind:     hidden_group_size_z
      - .offset:         74
        .size:           2
        .value_kind:     hidden_remainder_x
      - .offset:         76
        .size:           2
        .value_kind:     hidden_remainder_y
      - .offset:         78
        .size:           2
        .value_kind:     hidden_remainder_z
      - .offset:         96
        .size:           8
        .value_kind:     hidden_global_offset_x
      - .offset:         104
        .size:           8
        .value_kind:     hidden_global_offset_y
      - .offset:         112
        .size:           8
        .value_kind:     hidden_global_offset_z
      - .offset:         120
        .size:           2
        .value_kind:     hidden_grid_dims
    .group_segment_fixed_size: 0
    .kernarg_segment_align: 8
    .kernarg_segment_size: 312
    .language:       OpenCL C
    .language_version:
      - 2
      - 0
    .max_flat_workgroup_size: 256
    .name:           _ZN7rocprim17ROCPRIM_400000_NS6detail17trampoline_kernelINS0_14default_configENS1_29binary_search_config_selectorIibEEZNS1_14transform_implILb0ES3_S5_N6thrust23THRUST_200600_302600_NS6detail15normal_iteratorINS8_10device_ptrIiEEEENSA_INSB_IbEEEEZNS1_13binary_searchIS3_S5_SD_SD_SF_NS1_16binary_search_opENS9_16wrapped_functionINS0_4lessIvEEbEEEE10hipError_tPvRmT1_T2_T3_mmT4_T5_P12ihipStream_tbEUlRKiE_EESM_SQ_SR_mSS_SV_bEUlT_E_NS1_11comp_targetILNS1_3genE2ELNS1_11target_archE906ELNS1_3gpuE6ELNS1_3repE0EEENS1_30default_config_static_selectorELNS0_4arch9wavefront6targetE1EEEvSP_
    .private_segment_fixed_size: 0
    .sgpr_count:     24
    .sgpr_spill_count: 0
    .symbol:         _ZN7rocprim17ROCPRIM_400000_NS6detail17trampoline_kernelINS0_14default_configENS1_29binary_search_config_selectorIibEEZNS1_14transform_implILb0ES3_S5_N6thrust23THRUST_200600_302600_NS6detail15normal_iteratorINS8_10device_ptrIiEEEENSA_INSB_IbEEEEZNS1_13binary_searchIS3_S5_SD_SD_SF_NS1_16binary_search_opENS9_16wrapped_functionINS0_4lessIvEEbEEEE10hipError_tPvRmT1_T2_T3_mmT4_T5_P12ihipStream_tbEUlRKiE_EESM_SQ_SR_mSS_SV_bEUlT_E_NS1_11comp_targetILNS1_3genE2ELNS1_11target_archE906ELNS1_3gpuE6ELNS1_3repE0EEENS1_30default_config_static_selectorELNS0_4arch9wavefront6targetE1EEEvSP_.kd
    .uniform_work_group_size: 1
    .uses_dynamic_stack: false
    .vgpr_count:     13
    .vgpr_spill_count: 0
    .wavefront_size: 64
  - .args:
      - .offset:         0
        .size:           56
        .value_kind:     by_value
    .group_segment_fixed_size: 0
    .kernarg_segment_align: 8
    .kernarg_segment_size: 56
    .language:       OpenCL C
    .language_version:
      - 2
      - 0
    .max_flat_workgroup_size: 128
    .name:           _ZN7rocprim17ROCPRIM_400000_NS6detail17trampoline_kernelINS0_14default_configENS1_29binary_search_config_selectorIibEEZNS1_14transform_implILb0ES3_S5_N6thrust23THRUST_200600_302600_NS6detail15normal_iteratorINS8_10device_ptrIiEEEENSA_INSB_IbEEEEZNS1_13binary_searchIS3_S5_SD_SD_SF_NS1_16binary_search_opENS9_16wrapped_functionINS0_4lessIvEEbEEEE10hipError_tPvRmT1_T2_T3_mmT4_T5_P12ihipStream_tbEUlRKiE_EESM_SQ_SR_mSS_SV_bEUlT_E_NS1_11comp_targetILNS1_3genE10ELNS1_11target_archE1201ELNS1_3gpuE5ELNS1_3repE0EEENS1_30default_config_static_selectorELNS0_4arch9wavefront6targetE1EEEvSP_
    .private_segment_fixed_size: 0
    .sgpr_count:     4
    .sgpr_spill_count: 0
    .symbol:         _ZN7rocprim17ROCPRIM_400000_NS6detail17trampoline_kernelINS0_14default_configENS1_29binary_search_config_selectorIibEEZNS1_14transform_implILb0ES3_S5_N6thrust23THRUST_200600_302600_NS6detail15normal_iteratorINS8_10device_ptrIiEEEENSA_INSB_IbEEEEZNS1_13binary_searchIS3_S5_SD_SD_SF_NS1_16binary_search_opENS9_16wrapped_functionINS0_4lessIvEEbEEEE10hipError_tPvRmT1_T2_T3_mmT4_T5_P12ihipStream_tbEUlRKiE_EESM_SQ_SR_mSS_SV_bEUlT_E_NS1_11comp_targetILNS1_3genE10ELNS1_11target_archE1201ELNS1_3gpuE5ELNS1_3repE0EEENS1_30default_config_static_selectorELNS0_4arch9wavefront6targetE1EEEvSP_.kd
    .uniform_work_group_size: 1
    .uses_dynamic_stack: false
    .vgpr_count:     0
    .vgpr_spill_count: 0
    .wavefront_size: 64
  - .args:
      - .offset:         0
        .size:           56
        .value_kind:     by_value
    .group_segment_fixed_size: 0
    .kernarg_segment_align: 8
    .kernarg_segment_size: 56
    .language:       OpenCL C
    .language_version:
      - 2
      - 0
    .max_flat_workgroup_size: 128
    .name:           _ZN7rocprim17ROCPRIM_400000_NS6detail17trampoline_kernelINS0_14default_configENS1_29binary_search_config_selectorIibEEZNS1_14transform_implILb0ES3_S5_N6thrust23THRUST_200600_302600_NS6detail15normal_iteratorINS8_10device_ptrIiEEEENSA_INSB_IbEEEEZNS1_13binary_searchIS3_S5_SD_SD_SF_NS1_16binary_search_opENS9_16wrapped_functionINS0_4lessIvEEbEEEE10hipError_tPvRmT1_T2_T3_mmT4_T5_P12ihipStream_tbEUlRKiE_EESM_SQ_SR_mSS_SV_bEUlT_E_NS1_11comp_targetILNS1_3genE10ELNS1_11target_archE1200ELNS1_3gpuE4ELNS1_3repE0EEENS1_30default_config_static_selectorELNS0_4arch9wavefront6targetE1EEEvSP_
    .private_segment_fixed_size: 0
    .sgpr_count:     4
    .sgpr_spill_count: 0
    .symbol:         _ZN7rocprim17ROCPRIM_400000_NS6detail17trampoline_kernelINS0_14default_configENS1_29binary_search_config_selectorIibEEZNS1_14transform_implILb0ES3_S5_N6thrust23THRUST_200600_302600_NS6detail15normal_iteratorINS8_10device_ptrIiEEEENSA_INSB_IbEEEEZNS1_13binary_searchIS3_S5_SD_SD_SF_NS1_16binary_search_opENS9_16wrapped_functionINS0_4lessIvEEbEEEE10hipError_tPvRmT1_T2_T3_mmT4_T5_P12ihipStream_tbEUlRKiE_EESM_SQ_SR_mSS_SV_bEUlT_E_NS1_11comp_targetILNS1_3genE10ELNS1_11target_archE1200ELNS1_3gpuE4ELNS1_3repE0EEENS1_30default_config_static_selectorELNS0_4arch9wavefront6targetE1EEEvSP_.kd
    .uniform_work_group_size: 1
    .uses_dynamic_stack: false
    .vgpr_count:     0
    .vgpr_spill_count: 0
    .wavefront_size: 64
  - .args:
      - .offset:         0
        .size:           56
        .value_kind:     by_value
    .group_segment_fixed_size: 0
    .kernarg_segment_align: 8
    .kernarg_segment_size: 56
    .language:       OpenCL C
    .language_version:
      - 2
      - 0
    .max_flat_workgroup_size: 256
    .name:           _ZN7rocprim17ROCPRIM_400000_NS6detail17trampoline_kernelINS0_14default_configENS1_29binary_search_config_selectorIibEEZNS1_14transform_implILb0ES3_S5_N6thrust23THRUST_200600_302600_NS6detail15normal_iteratorINS8_10device_ptrIiEEEENSA_INSB_IbEEEEZNS1_13binary_searchIS3_S5_SD_SD_SF_NS1_16binary_search_opENS9_16wrapped_functionINS0_4lessIvEEbEEEE10hipError_tPvRmT1_T2_T3_mmT4_T5_P12ihipStream_tbEUlRKiE_EESM_SQ_SR_mSS_SV_bEUlT_E_NS1_11comp_targetILNS1_3genE9ELNS1_11target_archE1100ELNS1_3gpuE3ELNS1_3repE0EEENS1_30default_config_static_selectorELNS0_4arch9wavefront6targetE1EEEvSP_
    .private_segment_fixed_size: 0
    .sgpr_count:     4
    .sgpr_spill_count: 0
    .symbol:         _ZN7rocprim17ROCPRIM_400000_NS6detail17trampoline_kernelINS0_14default_configENS1_29binary_search_config_selectorIibEEZNS1_14transform_implILb0ES3_S5_N6thrust23THRUST_200600_302600_NS6detail15normal_iteratorINS8_10device_ptrIiEEEENSA_INSB_IbEEEEZNS1_13binary_searchIS3_S5_SD_SD_SF_NS1_16binary_search_opENS9_16wrapped_functionINS0_4lessIvEEbEEEE10hipError_tPvRmT1_T2_T3_mmT4_T5_P12ihipStream_tbEUlRKiE_EESM_SQ_SR_mSS_SV_bEUlT_E_NS1_11comp_targetILNS1_3genE9ELNS1_11target_archE1100ELNS1_3gpuE3ELNS1_3repE0EEENS1_30default_config_static_selectorELNS0_4arch9wavefront6targetE1EEEvSP_.kd
    .uniform_work_group_size: 1
    .uses_dynamic_stack: false
    .vgpr_count:     0
    .vgpr_spill_count: 0
    .wavefront_size: 64
  - .args:
      - .offset:         0
        .size:           56
        .value_kind:     by_value
    .group_segment_fixed_size: 0
    .kernarg_segment_align: 8
    .kernarg_segment_size: 56
    .language:       OpenCL C
    .language_version:
      - 2
      - 0
    .max_flat_workgroup_size: 256
    .name:           _ZN7rocprim17ROCPRIM_400000_NS6detail17trampoline_kernelINS0_14default_configENS1_29binary_search_config_selectorIibEEZNS1_14transform_implILb0ES3_S5_N6thrust23THRUST_200600_302600_NS6detail15normal_iteratorINS8_10device_ptrIiEEEENSA_INSB_IbEEEEZNS1_13binary_searchIS3_S5_SD_SD_SF_NS1_16binary_search_opENS9_16wrapped_functionINS0_4lessIvEEbEEEE10hipError_tPvRmT1_T2_T3_mmT4_T5_P12ihipStream_tbEUlRKiE_EESM_SQ_SR_mSS_SV_bEUlT_E_NS1_11comp_targetILNS1_3genE8ELNS1_11target_archE1030ELNS1_3gpuE2ELNS1_3repE0EEENS1_30default_config_static_selectorELNS0_4arch9wavefront6targetE1EEEvSP_
    .private_segment_fixed_size: 0
    .sgpr_count:     4
    .sgpr_spill_count: 0
    .symbol:         _ZN7rocprim17ROCPRIM_400000_NS6detail17trampoline_kernelINS0_14default_configENS1_29binary_search_config_selectorIibEEZNS1_14transform_implILb0ES3_S5_N6thrust23THRUST_200600_302600_NS6detail15normal_iteratorINS8_10device_ptrIiEEEENSA_INSB_IbEEEEZNS1_13binary_searchIS3_S5_SD_SD_SF_NS1_16binary_search_opENS9_16wrapped_functionINS0_4lessIvEEbEEEE10hipError_tPvRmT1_T2_T3_mmT4_T5_P12ihipStream_tbEUlRKiE_EESM_SQ_SR_mSS_SV_bEUlT_E_NS1_11comp_targetILNS1_3genE8ELNS1_11target_archE1030ELNS1_3gpuE2ELNS1_3repE0EEENS1_30default_config_static_selectorELNS0_4arch9wavefront6targetE1EEEvSP_.kd
    .uniform_work_group_size: 1
    .uses_dynamic_stack: false
    .vgpr_count:     0
    .vgpr_spill_count: 0
    .wavefront_size: 64
  - .args:
      - .offset:         0
        .size:           104
        .value_kind:     by_value
    .group_segment_fixed_size: 0
    .kernarg_segment_align: 8
    .kernarg_segment_size: 104
    .language:       OpenCL C
    .language_version:
      - 2
      - 0
    .max_flat_workgroup_size: 128
    .name:           _ZN7rocprim17ROCPRIM_400000_NS6detail17trampoline_kernelINS0_14default_configENS1_22reduce_config_selectorIN6thrust23THRUST_200600_302600_NS5tupleIblNS6_9null_typeES8_S8_S8_S8_S8_S8_S8_EEEEZNS1_11reduce_implILb1ES3_NS6_12zip_iteratorINS7_INS6_11hip_rocprim26transform_input_iterator_tIbNSD_35transform_pair_of_input_iterators_tIbNS6_6detail15normal_iteratorINS6_10device_ptrIKbEEEESL_NS6_8equal_toIbEEEENSG_9not_fun_tINSD_8identityEEEEENSD_19counting_iterator_tIlEES8_S8_S8_S8_S8_S8_S8_S8_EEEEPS9_S9_NSD_9__find_if7functorIS9_EEEE10hipError_tPvRmT1_T2_T3_mT4_P12ihipStream_tbEUlT_E0_NS1_11comp_targetILNS1_3genE0ELNS1_11target_archE4294967295ELNS1_3gpuE0ELNS1_3repE0EEENS1_30default_config_static_selectorELNS0_4arch9wavefront6targetE1EEEvS14_
    .private_segment_fixed_size: 0
    .sgpr_count:     4
    .sgpr_spill_count: 0
    .symbol:         _ZN7rocprim17ROCPRIM_400000_NS6detail17trampoline_kernelINS0_14default_configENS1_22reduce_config_selectorIN6thrust23THRUST_200600_302600_NS5tupleIblNS6_9null_typeES8_S8_S8_S8_S8_S8_S8_EEEEZNS1_11reduce_implILb1ES3_NS6_12zip_iteratorINS7_INS6_11hip_rocprim26transform_input_iterator_tIbNSD_35transform_pair_of_input_iterators_tIbNS6_6detail15normal_iteratorINS6_10device_ptrIKbEEEESL_NS6_8equal_toIbEEEENSG_9not_fun_tINSD_8identityEEEEENSD_19counting_iterator_tIlEES8_S8_S8_S8_S8_S8_S8_S8_EEEEPS9_S9_NSD_9__find_if7functorIS9_EEEE10hipError_tPvRmT1_T2_T3_mT4_P12ihipStream_tbEUlT_E0_NS1_11comp_targetILNS1_3genE0ELNS1_11target_archE4294967295ELNS1_3gpuE0ELNS1_3repE0EEENS1_30default_config_static_selectorELNS0_4arch9wavefront6targetE1EEEvS14_.kd
    .uniform_work_group_size: 1
    .uses_dynamic_stack: false
    .vgpr_count:     0
    .vgpr_spill_count: 0
    .wavefront_size: 64
  - .args:
      - .offset:         0
        .size:           104
        .value_kind:     by_value
    .group_segment_fixed_size: 0
    .kernarg_segment_align: 8
    .kernarg_segment_size: 104
    .language:       OpenCL C
    .language_version:
      - 2
      - 0
    .max_flat_workgroup_size: 256
    .name:           _ZN7rocprim17ROCPRIM_400000_NS6detail17trampoline_kernelINS0_14default_configENS1_22reduce_config_selectorIN6thrust23THRUST_200600_302600_NS5tupleIblNS6_9null_typeES8_S8_S8_S8_S8_S8_S8_EEEEZNS1_11reduce_implILb1ES3_NS6_12zip_iteratorINS7_INS6_11hip_rocprim26transform_input_iterator_tIbNSD_35transform_pair_of_input_iterators_tIbNS6_6detail15normal_iteratorINS6_10device_ptrIKbEEEESL_NS6_8equal_toIbEEEENSG_9not_fun_tINSD_8identityEEEEENSD_19counting_iterator_tIlEES8_S8_S8_S8_S8_S8_S8_S8_EEEEPS9_S9_NSD_9__find_if7functorIS9_EEEE10hipError_tPvRmT1_T2_T3_mT4_P12ihipStream_tbEUlT_E0_NS1_11comp_targetILNS1_3genE5ELNS1_11target_archE942ELNS1_3gpuE9ELNS1_3repE0EEENS1_30default_config_static_selectorELNS0_4arch9wavefront6targetE1EEEvS14_
    .private_segment_fixed_size: 0
    .sgpr_count:     4
    .sgpr_spill_count: 0
    .symbol:         _ZN7rocprim17ROCPRIM_400000_NS6detail17trampoline_kernelINS0_14default_configENS1_22reduce_config_selectorIN6thrust23THRUST_200600_302600_NS5tupleIblNS6_9null_typeES8_S8_S8_S8_S8_S8_S8_EEEEZNS1_11reduce_implILb1ES3_NS6_12zip_iteratorINS7_INS6_11hip_rocprim26transform_input_iterator_tIbNSD_35transform_pair_of_input_iterators_tIbNS6_6detail15normal_iteratorINS6_10device_ptrIKbEEEESL_NS6_8equal_toIbEEEENSG_9not_fun_tINSD_8identityEEEEENSD_19counting_iterator_tIlEES8_S8_S8_S8_S8_S8_S8_S8_EEEEPS9_S9_NSD_9__find_if7functorIS9_EEEE10hipError_tPvRmT1_T2_T3_mT4_P12ihipStream_tbEUlT_E0_NS1_11comp_targetILNS1_3genE5ELNS1_11target_archE942ELNS1_3gpuE9ELNS1_3repE0EEENS1_30default_config_static_selectorELNS0_4arch9wavefront6targetE1EEEvS14_.kd
    .uniform_work_group_size: 1
    .uses_dynamic_stack: false
    .vgpr_count:     0
    .vgpr_spill_count: 0
    .wavefront_size: 64
  - .args:
      - .offset:         0
        .size:           104
        .value_kind:     by_value
    .group_segment_fixed_size: 0
    .kernarg_segment_align: 8
    .kernarg_segment_size: 104
    .language:       OpenCL C
    .language_version:
      - 2
      - 0
    .max_flat_workgroup_size: 256
    .name:           _ZN7rocprim17ROCPRIM_400000_NS6detail17trampoline_kernelINS0_14default_configENS1_22reduce_config_selectorIN6thrust23THRUST_200600_302600_NS5tupleIblNS6_9null_typeES8_S8_S8_S8_S8_S8_S8_EEEEZNS1_11reduce_implILb1ES3_NS6_12zip_iteratorINS7_INS6_11hip_rocprim26transform_input_iterator_tIbNSD_35transform_pair_of_input_iterators_tIbNS6_6detail15normal_iteratorINS6_10device_ptrIKbEEEESL_NS6_8equal_toIbEEEENSG_9not_fun_tINSD_8identityEEEEENSD_19counting_iterator_tIlEES8_S8_S8_S8_S8_S8_S8_S8_EEEEPS9_S9_NSD_9__find_if7functorIS9_EEEE10hipError_tPvRmT1_T2_T3_mT4_P12ihipStream_tbEUlT_E0_NS1_11comp_targetILNS1_3genE4ELNS1_11target_archE910ELNS1_3gpuE8ELNS1_3repE0EEENS1_30default_config_static_selectorELNS0_4arch9wavefront6targetE1EEEvS14_
    .private_segment_fixed_size: 0
    .sgpr_count:     4
    .sgpr_spill_count: 0
    .symbol:         _ZN7rocprim17ROCPRIM_400000_NS6detail17trampoline_kernelINS0_14default_configENS1_22reduce_config_selectorIN6thrust23THRUST_200600_302600_NS5tupleIblNS6_9null_typeES8_S8_S8_S8_S8_S8_S8_EEEEZNS1_11reduce_implILb1ES3_NS6_12zip_iteratorINS7_INS6_11hip_rocprim26transform_input_iterator_tIbNSD_35transform_pair_of_input_iterators_tIbNS6_6detail15normal_iteratorINS6_10device_ptrIKbEEEESL_NS6_8equal_toIbEEEENSG_9not_fun_tINSD_8identityEEEEENSD_19counting_iterator_tIlEES8_S8_S8_S8_S8_S8_S8_S8_EEEEPS9_S9_NSD_9__find_if7functorIS9_EEEE10hipError_tPvRmT1_T2_T3_mT4_P12ihipStream_tbEUlT_E0_NS1_11comp_targetILNS1_3genE4ELNS1_11target_archE910ELNS1_3gpuE8ELNS1_3repE0EEENS1_30default_config_static_selectorELNS0_4arch9wavefront6targetE1EEEvS14_.kd
    .uniform_work_group_size: 1
    .uses_dynamic_stack: false
    .vgpr_count:     0
    .vgpr_spill_count: 0
    .wavefront_size: 64
  - .args:
      - .offset:         0
        .size:           104
        .value_kind:     by_value
    .group_segment_fixed_size: 0
    .kernarg_segment_align: 8
    .kernarg_segment_size: 104
    .language:       OpenCL C
    .language_version:
      - 2
      - 0
    .max_flat_workgroup_size: 128
    .name:           _ZN7rocprim17ROCPRIM_400000_NS6detail17trampoline_kernelINS0_14default_configENS1_22reduce_config_selectorIN6thrust23THRUST_200600_302600_NS5tupleIblNS6_9null_typeES8_S8_S8_S8_S8_S8_S8_EEEEZNS1_11reduce_implILb1ES3_NS6_12zip_iteratorINS7_INS6_11hip_rocprim26transform_input_iterator_tIbNSD_35transform_pair_of_input_iterators_tIbNS6_6detail15normal_iteratorINS6_10device_ptrIKbEEEESL_NS6_8equal_toIbEEEENSG_9not_fun_tINSD_8identityEEEEENSD_19counting_iterator_tIlEES8_S8_S8_S8_S8_S8_S8_S8_EEEEPS9_S9_NSD_9__find_if7functorIS9_EEEE10hipError_tPvRmT1_T2_T3_mT4_P12ihipStream_tbEUlT_E0_NS1_11comp_targetILNS1_3genE3ELNS1_11target_archE908ELNS1_3gpuE7ELNS1_3repE0EEENS1_30default_config_static_selectorELNS0_4arch9wavefront6targetE1EEEvS14_
    .private_segment_fixed_size: 0
    .sgpr_count:     4
    .sgpr_spill_count: 0
    .symbol:         _ZN7rocprim17ROCPRIM_400000_NS6detail17trampoline_kernelINS0_14default_configENS1_22reduce_config_selectorIN6thrust23THRUST_200600_302600_NS5tupleIblNS6_9null_typeES8_S8_S8_S8_S8_S8_S8_EEEEZNS1_11reduce_implILb1ES3_NS6_12zip_iteratorINS7_INS6_11hip_rocprim26transform_input_iterator_tIbNSD_35transform_pair_of_input_iterators_tIbNS6_6detail15normal_iteratorINS6_10device_ptrIKbEEEESL_NS6_8equal_toIbEEEENSG_9not_fun_tINSD_8identityEEEEENSD_19counting_iterator_tIlEES8_S8_S8_S8_S8_S8_S8_S8_EEEEPS9_S9_NSD_9__find_if7functorIS9_EEEE10hipError_tPvRmT1_T2_T3_mT4_P12ihipStream_tbEUlT_E0_NS1_11comp_targetILNS1_3genE3ELNS1_11target_archE908ELNS1_3gpuE7ELNS1_3repE0EEENS1_30default_config_static_selectorELNS0_4arch9wavefront6targetE1EEEvS14_.kd
    .uniform_work_group_size: 1
    .uses_dynamic_stack: false
    .vgpr_count:     0
    .vgpr_spill_count: 0
    .wavefront_size: 64
  - .args:
      - .offset:         0
        .size:           104
        .value_kind:     by_value
    .group_segment_fixed_size: 64
    .kernarg_segment_align: 8
    .kernarg_segment_size: 104
    .language:       OpenCL C
    .language_version:
      - 2
      - 0
    .max_flat_workgroup_size: 128
    .name:           _ZN7rocprim17ROCPRIM_400000_NS6detail17trampoline_kernelINS0_14default_configENS1_22reduce_config_selectorIN6thrust23THRUST_200600_302600_NS5tupleIblNS6_9null_typeES8_S8_S8_S8_S8_S8_S8_EEEEZNS1_11reduce_implILb1ES3_NS6_12zip_iteratorINS7_INS6_11hip_rocprim26transform_input_iterator_tIbNSD_35transform_pair_of_input_iterators_tIbNS6_6detail15normal_iteratorINS6_10device_ptrIKbEEEESL_NS6_8equal_toIbEEEENSG_9not_fun_tINSD_8identityEEEEENSD_19counting_iterator_tIlEES8_S8_S8_S8_S8_S8_S8_S8_EEEEPS9_S9_NSD_9__find_if7functorIS9_EEEE10hipError_tPvRmT1_T2_T3_mT4_P12ihipStream_tbEUlT_E0_NS1_11comp_targetILNS1_3genE2ELNS1_11target_archE906ELNS1_3gpuE6ELNS1_3repE0EEENS1_30default_config_static_selectorELNS0_4arch9wavefront6targetE1EEEvS14_
    .private_segment_fixed_size: 0
    .sgpr_count:     30
    .sgpr_spill_count: 0
    .symbol:         _ZN7rocprim17ROCPRIM_400000_NS6detail17trampoline_kernelINS0_14default_configENS1_22reduce_config_selectorIN6thrust23THRUST_200600_302600_NS5tupleIblNS6_9null_typeES8_S8_S8_S8_S8_S8_S8_EEEEZNS1_11reduce_implILb1ES3_NS6_12zip_iteratorINS7_INS6_11hip_rocprim26transform_input_iterator_tIbNSD_35transform_pair_of_input_iterators_tIbNS6_6detail15normal_iteratorINS6_10device_ptrIKbEEEESL_NS6_8equal_toIbEEEENSG_9not_fun_tINSD_8identityEEEEENSD_19counting_iterator_tIlEES8_S8_S8_S8_S8_S8_S8_S8_EEEEPS9_S9_NSD_9__find_if7functorIS9_EEEE10hipError_tPvRmT1_T2_T3_mT4_P12ihipStream_tbEUlT_E0_NS1_11comp_targetILNS1_3genE2ELNS1_11target_archE906ELNS1_3gpuE6ELNS1_3repE0EEENS1_30default_config_static_selectorELNS0_4arch9wavefront6targetE1EEEvS14_.kd
    .uniform_work_group_size: 1
    .uses_dynamic_stack: false
    .vgpr_count:     11
    .vgpr_spill_count: 0
    .wavefront_size: 64
  - .args:
      - .offset:         0
        .size:           104
        .value_kind:     by_value
    .group_segment_fixed_size: 0
    .kernarg_segment_align: 8
    .kernarg_segment_size: 104
    .language:       OpenCL C
    .language_version:
      - 2
      - 0
    .max_flat_workgroup_size: 256
    .name:           _ZN7rocprim17ROCPRIM_400000_NS6detail17trampoline_kernelINS0_14default_configENS1_22reduce_config_selectorIN6thrust23THRUST_200600_302600_NS5tupleIblNS6_9null_typeES8_S8_S8_S8_S8_S8_S8_EEEEZNS1_11reduce_implILb1ES3_NS6_12zip_iteratorINS7_INS6_11hip_rocprim26transform_input_iterator_tIbNSD_35transform_pair_of_input_iterators_tIbNS6_6detail15normal_iteratorINS6_10device_ptrIKbEEEESL_NS6_8equal_toIbEEEENSG_9not_fun_tINSD_8identityEEEEENSD_19counting_iterator_tIlEES8_S8_S8_S8_S8_S8_S8_S8_EEEEPS9_S9_NSD_9__find_if7functorIS9_EEEE10hipError_tPvRmT1_T2_T3_mT4_P12ihipStream_tbEUlT_E0_NS1_11comp_targetILNS1_3genE10ELNS1_11target_archE1201ELNS1_3gpuE5ELNS1_3repE0EEENS1_30default_config_static_selectorELNS0_4arch9wavefront6targetE1EEEvS14_
    .private_segment_fixed_size: 0
    .sgpr_count:     4
    .sgpr_spill_count: 0
    .symbol:         _ZN7rocprim17ROCPRIM_400000_NS6detail17trampoline_kernelINS0_14default_configENS1_22reduce_config_selectorIN6thrust23THRUST_200600_302600_NS5tupleIblNS6_9null_typeES8_S8_S8_S8_S8_S8_S8_EEEEZNS1_11reduce_implILb1ES3_NS6_12zip_iteratorINS7_INS6_11hip_rocprim26transform_input_iterator_tIbNSD_35transform_pair_of_input_iterators_tIbNS6_6detail15normal_iteratorINS6_10device_ptrIKbEEEESL_NS6_8equal_toIbEEEENSG_9not_fun_tINSD_8identityEEEEENSD_19counting_iterator_tIlEES8_S8_S8_S8_S8_S8_S8_S8_EEEEPS9_S9_NSD_9__find_if7functorIS9_EEEE10hipError_tPvRmT1_T2_T3_mT4_P12ihipStream_tbEUlT_E0_NS1_11comp_targetILNS1_3genE10ELNS1_11target_archE1201ELNS1_3gpuE5ELNS1_3repE0EEENS1_30default_config_static_selectorELNS0_4arch9wavefront6targetE1EEEvS14_.kd
    .uniform_work_group_size: 1
    .uses_dynamic_stack: false
    .vgpr_count:     0
    .vgpr_spill_count: 0
    .wavefront_size: 64
  - .args:
      - .offset:         0
        .size:           104
        .value_kind:     by_value
    .group_segment_fixed_size: 0
    .kernarg_segment_align: 8
    .kernarg_segment_size: 104
    .language:       OpenCL C
    .language_version:
      - 2
      - 0
    .max_flat_workgroup_size: 256
    .name:           _ZN7rocprim17ROCPRIM_400000_NS6detail17trampoline_kernelINS0_14default_configENS1_22reduce_config_selectorIN6thrust23THRUST_200600_302600_NS5tupleIblNS6_9null_typeES8_S8_S8_S8_S8_S8_S8_EEEEZNS1_11reduce_implILb1ES3_NS6_12zip_iteratorINS7_INS6_11hip_rocprim26transform_input_iterator_tIbNSD_35transform_pair_of_input_iterators_tIbNS6_6detail15normal_iteratorINS6_10device_ptrIKbEEEESL_NS6_8equal_toIbEEEENSG_9not_fun_tINSD_8identityEEEEENSD_19counting_iterator_tIlEES8_S8_S8_S8_S8_S8_S8_S8_EEEEPS9_S9_NSD_9__find_if7functorIS9_EEEE10hipError_tPvRmT1_T2_T3_mT4_P12ihipStream_tbEUlT_E0_NS1_11comp_targetILNS1_3genE10ELNS1_11target_archE1200ELNS1_3gpuE4ELNS1_3repE0EEENS1_30default_config_static_selectorELNS0_4arch9wavefront6targetE1EEEvS14_
    .private_segment_fixed_size: 0
    .sgpr_count:     4
    .sgpr_spill_count: 0
    .symbol:         _ZN7rocprim17ROCPRIM_400000_NS6detail17trampoline_kernelINS0_14default_configENS1_22reduce_config_selectorIN6thrust23THRUST_200600_302600_NS5tupleIblNS6_9null_typeES8_S8_S8_S8_S8_S8_S8_EEEEZNS1_11reduce_implILb1ES3_NS6_12zip_iteratorINS7_INS6_11hip_rocprim26transform_input_iterator_tIbNSD_35transform_pair_of_input_iterators_tIbNS6_6detail15normal_iteratorINS6_10device_ptrIKbEEEESL_NS6_8equal_toIbEEEENSG_9not_fun_tINSD_8identityEEEEENSD_19counting_iterator_tIlEES8_S8_S8_S8_S8_S8_S8_S8_EEEEPS9_S9_NSD_9__find_if7functorIS9_EEEE10hipError_tPvRmT1_T2_T3_mT4_P12ihipStream_tbEUlT_E0_NS1_11comp_targetILNS1_3genE10ELNS1_11target_archE1200ELNS1_3gpuE4ELNS1_3repE0EEENS1_30default_config_static_selectorELNS0_4arch9wavefront6targetE1EEEvS14_.kd
    .uniform_work_group_size: 1
    .uses_dynamic_stack: false
    .vgpr_count:     0
    .vgpr_spill_count: 0
    .wavefront_size: 64
  - .args:
      - .offset:         0
        .size:           104
        .value_kind:     by_value
    .group_segment_fixed_size: 0
    .kernarg_segment_align: 8
    .kernarg_segment_size: 104
    .language:       OpenCL C
    .language_version:
      - 2
      - 0
    .max_flat_workgroup_size: 256
    .name:           _ZN7rocprim17ROCPRIM_400000_NS6detail17trampoline_kernelINS0_14default_configENS1_22reduce_config_selectorIN6thrust23THRUST_200600_302600_NS5tupleIblNS6_9null_typeES8_S8_S8_S8_S8_S8_S8_EEEEZNS1_11reduce_implILb1ES3_NS6_12zip_iteratorINS7_INS6_11hip_rocprim26transform_input_iterator_tIbNSD_35transform_pair_of_input_iterators_tIbNS6_6detail15normal_iteratorINS6_10device_ptrIKbEEEESL_NS6_8equal_toIbEEEENSG_9not_fun_tINSD_8identityEEEEENSD_19counting_iterator_tIlEES8_S8_S8_S8_S8_S8_S8_S8_EEEEPS9_S9_NSD_9__find_if7functorIS9_EEEE10hipError_tPvRmT1_T2_T3_mT4_P12ihipStream_tbEUlT_E0_NS1_11comp_targetILNS1_3genE9ELNS1_11target_archE1100ELNS1_3gpuE3ELNS1_3repE0EEENS1_30default_config_static_selectorELNS0_4arch9wavefront6targetE1EEEvS14_
    .private_segment_fixed_size: 0
    .sgpr_count:     4
    .sgpr_spill_count: 0
    .symbol:         _ZN7rocprim17ROCPRIM_400000_NS6detail17trampoline_kernelINS0_14default_configENS1_22reduce_config_selectorIN6thrust23THRUST_200600_302600_NS5tupleIblNS6_9null_typeES8_S8_S8_S8_S8_S8_S8_EEEEZNS1_11reduce_implILb1ES3_NS6_12zip_iteratorINS7_INS6_11hip_rocprim26transform_input_iterator_tIbNSD_35transform_pair_of_input_iterators_tIbNS6_6detail15normal_iteratorINS6_10device_ptrIKbEEEESL_NS6_8equal_toIbEEEENSG_9not_fun_tINSD_8identityEEEEENSD_19counting_iterator_tIlEES8_S8_S8_S8_S8_S8_S8_S8_EEEEPS9_S9_NSD_9__find_if7functorIS9_EEEE10hipError_tPvRmT1_T2_T3_mT4_P12ihipStream_tbEUlT_E0_NS1_11comp_targetILNS1_3genE9ELNS1_11target_archE1100ELNS1_3gpuE3ELNS1_3repE0EEENS1_30default_config_static_selectorELNS0_4arch9wavefront6targetE1EEEvS14_.kd
    .uniform_work_group_size: 1
    .uses_dynamic_stack: false
    .vgpr_count:     0
    .vgpr_spill_count: 0
    .wavefront_size: 64
  - .args:
      - .offset:         0
        .size:           104
        .value_kind:     by_value
    .group_segment_fixed_size: 0
    .kernarg_segment_align: 8
    .kernarg_segment_size: 104
    .language:       OpenCL C
    .language_version:
      - 2
      - 0
    .max_flat_workgroup_size: 256
    .name:           _ZN7rocprim17ROCPRIM_400000_NS6detail17trampoline_kernelINS0_14default_configENS1_22reduce_config_selectorIN6thrust23THRUST_200600_302600_NS5tupleIblNS6_9null_typeES8_S8_S8_S8_S8_S8_S8_EEEEZNS1_11reduce_implILb1ES3_NS6_12zip_iteratorINS7_INS6_11hip_rocprim26transform_input_iterator_tIbNSD_35transform_pair_of_input_iterators_tIbNS6_6detail15normal_iteratorINS6_10device_ptrIKbEEEESL_NS6_8equal_toIbEEEENSG_9not_fun_tINSD_8identityEEEEENSD_19counting_iterator_tIlEES8_S8_S8_S8_S8_S8_S8_S8_EEEEPS9_S9_NSD_9__find_if7functorIS9_EEEE10hipError_tPvRmT1_T2_T3_mT4_P12ihipStream_tbEUlT_E0_NS1_11comp_targetILNS1_3genE8ELNS1_11target_archE1030ELNS1_3gpuE2ELNS1_3repE0EEENS1_30default_config_static_selectorELNS0_4arch9wavefront6targetE1EEEvS14_
    .private_segment_fixed_size: 0
    .sgpr_count:     4
    .sgpr_spill_count: 0
    .symbol:         _ZN7rocprim17ROCPRIM_400000_NS6detail17trampoline_kernelINS0_14default_configENS1_22reduce_config_selectorIN6thrust23THRUST_200600_302600_NS5tupleIblNS6_9null_typeES8_S8_S8_S8_S8_S8_S8_EEEEZNS1_11reduce_implILb1ES3_NS6_12zip_iteratorINS7_INS6_11hip_rocprim26transform_input_iterator_tIbNSD_35transform_pair_of_input_iterators_tIbNS6_6detail15normal_iteratorINS6_10device_ptrIKbEEEESL_NS6_8equal_toIbEEEENSG_9not_fun_tINSD_8identityEEEEENSD_19counting_iterator_tIlEES8_S8_S8_S8_S8_S8_S8_S8_EEEEPS9_S9_NSD_9__find_if7functorIS9_EEEE10hipError_tPvRmT1_T2_T3_mT4_P12ihipStream_tbEUlT_E0_NS1_11comp_targetILNS1_3genE8ELNS1_11target_archE1030ELNS1_3gpuE2ELNS1_3repE0EEENS1_30default_config_static_selectorELNS0_4arch9wavefront6targetE1EEEvS14_.kd
    .uniform_work_group_size: 1
    .uses_dynamic_stack: false
    .vgpr_count:     0
    .vgpr_spill_count: 0
    .wavefront_size: 64
  - .args:
      - .offset:         0
        .size:           88
        .value_kind:     by_value
    .group_segment_fixed_size: 0
    .kernarg_segment_align: 8
    .kernarg_segment_size: 88
    .language:       OpenCL C
    .language_version:
      - 2
      - 0
    .max_flat_workgroup_size: 128
    .name:           _ZN7rocprim17ROCPRIM_400000_NS6detail17trampoline_kernelINS0_14default_configENS1_22reduce_config_selectorIN6thrust23THRUST_200600_302600_NS5tupleIblNS6_9null_typeES8_S8_S8_S8_S8_S8_S8_EEEEZNS1_11reduce_implILb1ES3_NS6_12zip_iteratorINS7_INS6_11hip_rocprim26transform_input_iterator_tIbNSD_35transform_pair_of_input_iterators_tIbNS6_6detail15normal_iteratorINS6_10device_ptrIKbEEEESL_NS6_8equal_toIbEEEENSG_9not_fun_tINSD_8identityEEEEENSD_19counting_iterator_tIlEES8_S8_S8_S8_S8_S8_S8_S8_EEEEPS9_S9_NSD_9__find_if7functorIS9_EEEE10hipError_tPvRmT1_T2_T3_mT4_P12ihipStream_tbEUlT_E1_NS1_11comp_targetILNS1_3genE0ELNS1_11target_archE4294967295ELNS1_3gpuE0ELNS1_3repE0EEENS1_30default_config_static_selectorELNS0_4arch9wavefront6targetE1EEEvS14_
    .private_segment_fixed_size: 0
    .sgpr_count:     4
    .sgpr_spill_count: 0
    .symbol:         _ZN7rocprim17ROCPRIM_400000_NS6detail17trampoline_kernelINS0_14default_configENS1_22reduce_config_selectorIN6thrust23THRUST_200600_302600_NS5tupleIblNS6_9null_typeES8_S8_S8_S8_S8_S8_S8_EEEEZNS1_11reduce_implILb1ES3_NS6_12zip_iteratorINS7_INS6_11hip_rocprim26transform_input_iterator_tIbNSD_35transform_pair_of_input_iterators_tIbNS6_6detail15normal_iteratorINS6_10device_ptrIKbEEEESL_NS6_8equal_toIbEEEENSG_9not_fun_tINSD_8identityEEEEENSD_19counting_iterator_tIlEES8_S8_S8_S8_S8_S8_S8_S8_EEEEPS9_S9_NSD_9__find_if7functorIS9_EEEE10hipError_tPvRmT1_T2_T3_mT4_P12ihipStream_tbEUlT_E1_NS1_11comp_targetILNS1_3genE0ELNS1_11target_archE4294967295ELNS1_3gpuE0ELNS1_3repE0EEENS1_30default_config_static_selectorELNS0_4arch9wavefront6targetE1EEEvS14_.kd
    .uniform_work_group_size: 1
    .uses_dynamic_stack: false
    .vgpr_count:     0
    .vgpr_spill_count: 0
    .wavefront_size: 64
  - .args:
      - .offset:         0
        .size:           88
        .value_kind:     by_value
    .group_segment_fixed_size: 0
    .kernarg_segment_align: 8
    .kernarg_segment_size: 88
    .language:       OpenCL C
    .language_version:
      - 2
      - 0
    .max_flat_workgroup_size: 256
    .name:           _ZN7rocprim17ROCPRIM_400000_NS6detail17trampoline_kernelINS0_14default_configENS1_22reduce_config_selectorIN6thrust23THRUST_200600_302600_NS5tupleIblNS6_9null_typeES8_S8_S8_S8_S8_S8_S8_EEEEZNS1_11reduce_implILb1ES3_NS6_12zip_iteratorINS7_INS6_11hip_rocprim26transform_input_iterator_tIbNSD_35transform_pair_of_input_iterators_tIbNS6_6detail15normal_iteratorINS6_10device_ptrIKbEEEESL_NS6_8equal_toIbEEEENSG_9not_fun_tINSD_8identityEEEEENSD_19counting_iterator_tIlEES8_S8_S8_S8_S8_S8_S8_S8_EEEEPS9_S9_NSD_9__find_if7functorIS9_EEEE10hipError_tPvRmT1_T2_T3_mT4_P12ihipStream_tbEUlT_E1_NS1_11comp_targetILNS1_3genE5ELNS1_11target_archE942ELNS1_3gpuE9ELNS1_3repE0EEENS1_30default_config_static_selectorELNS0_4arch9wavefront6targetE1EEEvS14_
    .private_segment_fixed_size: 0
    .sgpr_count:     4
    .sgpr_spill_count: 0
    .symbol:         _ZN7rocprim17ROCPRIM_400000_NS6detail17trampoline_kernelINS0_14default_configENS1_22reduce_config_selectorIN6thrust23THRUST_200600_302600_NS5tupleIblNS6_9null_typeES8_S8_S8_S8_S8_S8_S8_EEEEZNS1_11reduce_implILb1ES3_NS6_12zip_iteratorINS7_INS6_11hip_rocprim26transform_input_iterator_tIbNSD_35transform_pair_of_input_iterators_tIbNS6_6detail15normal_iteratorINS6_10device_ptrIKbEEEESL_NS6_8equal_toIbEEEENSG_9not_fun_tINSD_8identityEEEEENSD_19counting_iterator_tIlEES8_S8_S8_S8_S8_S8_S8_S8_EEEEPS9_S9_NSD_9__find_if7functorIS9_EEEE10hipError_tPvRmT1_T2_T3_mT4_P12ihipStream_tbEUlT_E1_NS1_11comp_targetILNS1_3genE5ELNS1_11target_archE942ELNS1_3gpuE9ELNS1_3repE0EEENS1_30default_config_static_selectorELNS0_4arch9wavefront6targetE1EEEvS14_.kd
    .uniform_work_group_size: 1
    .uses_dynamic_stack: false
    .vgpr_count:     0
    .vgpr_spill_count: 0
    .wavefront_size: 64
  - .args:
      - .offset:         0
        .size:           88
        .value_kind:     by_value
    .group_segment_fixed_size: 0
    .kernarg_segment_align: 8
    .kernarg_segment_size: 88
    .language:       OpenCL C
    .language_version:
      - 2
      - 0
    .max_flat_workgroup_size: 256
    .name:           _ZN7rocprim17ROCPRIM_400000_NS6detail17trampoline_kernelINS0_14default_configENS1_22reduce_config_selectorIN6thrust23THRUST_200600_302600_NS5tupleIblNS6_9null_typeES8_S8_S8_S8_S8_S8_S8_EEEEZNS1_11reduce_implILb1ES3_NS6_12zip_iteratorINS7_INS6_11hip_rocprim26transform_input_iterator_tIbNSD_35transform_pair_of_input_iterators_tIbNS6_6detail15normal_iteratorINS6_10device_ptrIKbEEEESL_NS6_8equal_toIbEEEENSG_9not_fun_tINSD_8identityEEEEENSD_19counting_iterator_tIlEES8_S8_S8_S8_S8_S8_S8_S8_EEEEPS9_S9_NSD_9__find_if7functorIS9_EEEE10hipError_tPvRmT1_T2_T3_mT4_P12ihipStream_tbEUlT_E1_NS1_11comp_targetILNS1_3genE4ELNS1_11target_archE910ELNS1_3gpuE8ELNS1_3repE0EEENS1_30default_config_static_selectorELNS0_4arch9wavefront6targetE1EEEvS14_
    .private_segment_fixed_size: 0
    .sgpr_count:     4
    .sgpr_spill_count: 0
    .symbol:         _ZN7rocprim17ROCPRIM_400000_NS6detail17trampoline_kernelINS0_14default_configENS1_22reduce_config_selectorIN6thrust23THRUST_200600_302600_NS5tupleIblNS6_9null_typeES8_S8_S8_S8_S8_S8_S8_EEEEZNS1_11reduce_implILb1ES3_NS6_12zip_iteratorINS7_INS6_11hip_rocprim26transform_input_iterator_tIbNSD_35transform_pair_of_input_iterators_tIbNS6_6detail15normal_iteratorINS6_10device_ptrIKbEEEESL_NS6_8equal_toIbEEEENSG_9not_fun_tINSD_8identityEEEEENSD_19counting_iterator_tIlEES8_S8_S8_S8_S8_S8_S8_S8_EEEEPS9_S9_NSD_9__find_if7functorIS9_EEEE10hipError_tPvRmT1_T2_T3_mT4_P12ihipStream_tbEUlT_E1_NS1_11comp_targetILNS1_3genE4ELNS1_11target_archE910ELNS1_3gpuE8ELNS1_3repE0EEENS1_30default_config_static_selectorELNS0_4arch9wavefront6targetE1EEEvS14_.kd
    .uniform_work_group_size: 1
    .uses_dynamic_stack: false
    .vgpr_count:     0
    .vgpr_spill_count: 0
    .wavefront_size: 64
  - .args:
      - .offset:         0
        .size:           88
        .value_kind:     by_value
    .group_segment_fixed_size: 0
    .kernarg_segment_align: 8
    .kernarg_segment_size: 88
    .language:       OpenCL C
    .language_version:
      - 2
      - 0
    .max_flat_workgroup_size: 128
    .name:           _ZN7rocprim17ROCPRIM_400000_NS6detail17trampoline_kernelINS0_14default_configENS1_22reduce_config_selectorIN6thrust23THRUST_200600_302600_NS5tupleIblNS6_9null_typeES8_S8_S8_S8_S8_S8_S8_EEEEZNS1_11reduce_implILb1ES3_NS6_12zip_iteratorINS7_INS6_11hip_rocprim26transform_input_iterator_tIbNSD_35transform_pair_of_input_iterators_tIbNS6_6detail15normal_iteratorINS6_10device_ptrIKbEEEESL_NS6_8equal_toIbEEEENSG_9not_fun_tINSD_8identityEEEEENSD_19counting_iterator_tIlEES8_S8_S8_S8_S8_S8_S8_S8_EEEEPS9_S9_NSD_9__find_if7functorIS9_EEEE10hipError_tPvRmT1_T2_T3_mT4_P12ihipStream_tbEUlT_E1_NS1_11comp_targetILNS1_3genE3ELNS1_11target_archE908ELNS1_3gpuE7ELNS1_3repE0EEENS1_30default_config_static_selectorELNS0_4arch9wavefront6targetE1EEEvS14_
    .private_segment_fixed_size: 0
    .sgpr_count:     4
    .sgpr_spill_count: 0
    .symbol:         _ZN7rocprim17ROCPRIM_400000_NS6detail17trampoline_kernelINS0_14default_configENS1_22reduce_config_selectorIN6thrust23THRUST_200600_302600_NS5tupleIblNS6_9null_typeES8_S8_S8_S8_S8_S8_S8_EEEEZNS1_11reduce_implILb1ES3_NS6_12zip_iteratorINS7_INS6_11hip_rocprim26transform_input_iterator_tIbNSD_35transform_pair_of_input_iterators_tIbNS6_6detail15normal_iteratorINS6_10device_ptrIKbEEEESL_NS6_8equal_toIbEEEENSG_9not_fun_tINSD_8identityEEEEENSD_19counting_iterator_tIlEES8_S8_S8_S8_S8_S8_S8_S8_EEEEPS9_S9_NSD_9__find_if7functorIS9_EEEE10hipError_tPvRmT1_T2_T3_mT4_P12ihipStream_tbEUlT_E1_NS1_11comp_targetILNS1_3genE3ELNS1_11target_archE908ELNS1_3gpuE7ELNS1_3repE0EEENS1_30default_config_static_selectorELNS0_4arch9wavefront6targetE1EEEvS14_.kd
    .uniform_work_group_size: 1
    .uses_dynamic_stack: false
    .vgpr_count:     0
    .vgpr_spill_count: 0
    .wavefront_size: 64
  - .args:
      - .offset:         0
        .size:           88
        .value_kind:     by_value
    .group_segment_fixed_size: 160
    .kernarg_segment_align: 8
    .kernarg_segment_size: 88
    .language:       OpenCL C
    .language_version:
      - 2
      - 0
    .max_flat_workgroup_size: 128
    .name:           _ZN7rocprim17ROCPRIM_400000_NS6detail17trampoline_kernelINS0_14default_configENS1_22reduce_config_selectorIN6thrust23THRUST_200600_302600_NS5tupleIblNS6_9null_typeES8_S8_S8_S8_S8_S8_S8_EEEEZNS1_11reduce_implILb1ES3_NS6_12zip_iteratorINS7_INS6_11hip_rocprim26transform_input_iterator_tIbNSD_35transform_pair_of_input_iterators_tIbNS6_6detail15normal_iteratorINS6_10device_ptrIKbEEEESL_NS6_8equal_toIbEEEENSG_9not_fun_tINSD_8identityEEEEENSD_19counting_iterator_tIlEES8_S8_S8_S8_S8_S8_S8_S8_EEEEPS9_S9_NSD_9__find_if7functorIS9_EEEE10hipError_tPvRmT1_T2_T3_mT4_P12ihipStream_tbEUlT_E1_NS1_11comp_targetILNS1_3genE2ELNS1_11target_archE906ELNS1_3gpuE6ELNS1_3repE0EEENS1_30default_config_static_selectorELNS0_4arch9wavefront6targetE1EEEvS14_
    .private_segment_fixed_size: 0
    .sgpr_count:     44
    .sgpr_spill_count: 0
    .symbol:         _ZN7rocprim17ROCPRIM_400000_NS6detail17trampoline_kernelINS0_14default_configENS1_22reduce_config_selectorIN6thrust23THRUST_200600_302600_NS5tupleIblNS6_9null_typeES8_S8_S8_S8_S8_S8_S8_EEEEZNS1_11reduce_implILb1ES3_NS6_12zip_iteratorINS7_INS6_11hip_rocprim26transform_input_iterator_tIbNSD_35transform_pair_of_input_iterators_tIbNS6_6detail15normal_iteratorINS6_10device_ptrIKbEEEESL_NS6_8equal_toIbEEEENSG_9not_fun_tINSD_8identityEEEEENSD_19counting_iterator_tIlEES8_S8_S8_S8_S8_S8_S8_S8_EEEEPS9_S9_NSD_9__find_if7functorIS9_EEEE10hipError_tPvRmT1_T2_T3_mT4_P12ihipStream_tbEUlT_E1_NS1_11comp_targetILNS1_3genE2ELNS1_11target_archE906ELNS1_3gpuE6ELNS1_3repE0EEENS1_30default_config_static_selectorELNS0_4arch9wavefront6targetE1EEEvS14_.kd
    .uniform_work_group_size: 1
    .uses_dynamic_stack: false
    .vgpr_count:     27
    .vgpr_spill_count: 0
    .wavefront_size: 64
  - .args:
      - .offset:         0
        .size:           88
        .value_kind:     by_value
    .group_segment_fixed_size: 0
    .kernarg_segment_align: 8
    .kernarg_segment_size: 88
    .language:       OpenCL C
    .language_version:
      - 2
      - 0
    .max_flat_workgroup_size: 256
    .name:           _ZN7rocprim17ROCPRIM_400000_NS6detail17trampoline_kernelINS0_14default_configENS1_22reduce_config_selectorIN6thrust23THRUST_200600_302600_NS5tupleIblNS6_9null_typeES8_S8_S8_S8_S8_S8_S8_EEEEZNS1_11reduce_implILb1ES3_NS6_12zip_iteratorINS7_INS6_11hip_rocprim26transform_input_iterator_tIbNSD_35transform_pair_of_input_iterators_tIbNS6_6detail15normal_iteratorINS6_10device_ptrIKbEEEESL_NS6_8equal_toIbEEEENSG_9not_fun_tINSD_8identityEEEEENSD_19counting_iterator_tIlEES8_S8_S8_S8_S8_S8_S8_S8_EEEEPS9_S9_NSD_9__find_if7functorIS9_EEEE10hipError_tPvRmT1_T2_T3_mT4_P12ihipStream_tbEUlT_E1_NS1_11comp_targetILNS1_3genE10ELNS1_11target_archE1201ELNS1_3gpuE5ELNS1_3repE0EEENS1_30default_config_static_selectorELNS0_4arch9wavefront6targetE1EEEvS14_
    .private_segment_fixed_size: 0
    .sgpr_count:     4
    .sgpr_spill_count: 0
    .symbol:         _ZN7rocprim17ROCPRIM_400000_NS6detail17trampoline_kernelINS0_14default_configENS1_22reduce_config_selectorIN6thrust23THRUST_200600_302600_NS5tupleIblNS6_9null_typeES8_S8_S8_S8_S8_S8_S8_EEEEZNS1_11reduce_implILb1ES3_NS6_12zip_iteratorINS7_INS6_11hip_rocprim26transform_input_iterator_tIbNSD_35transform_pair_of_input_iterators_tIbNS6_6detail15normal_iteratorINS6_10device_ptrIKbEEEESL_NS6_8equal_toIbEEEENSG_9not_fun_tINSD_8identityEEEEENSD_19counting_iterator_tIlEES8_S8_S8_S8_S8_S8_S8_S8_EEEEPS9_S9_NSD_9__find_if7functorIS9_EEEE10hipError_tPvRmT1_T2_T3_mT4_P12ihipStream_tbEUlT_E1_NS1_11comp_targetILNS1_3genE10ELNS1_11target_archE1201ELNS1_3gpuE5ELNS1_3repE0EEENS1_30default_config_static_selectorELNS0_4arch9wavefront6targetE1EEEvS14_.kd
    .uniform_work_group_size: 1
    .uses_dynamic_stack: false
    .vgpr_count:     0
    .vgpr_spill_count: 0
    .wavefront_size: 64
  - .args:
      - .offset:         0
        .size:           88
        .value_kind:     by_value
    .group_segment_fixed_size: 0
    .kernarg_segment_align: 8
    .kernarg_segment_size: 88
    .language:       OpenCL C
    .language_version:
      - 2
      - 0
    .max_flat_workgroup_size: 256
    .name:           _ZN7rocprim17ROCPRIM_400000_NS6detail17trampoline_kernelINS0_14default_configENS1_22reduce_config_selectorIN6thrust23THRUST_200600_302600_NS5tupleIblNS6_9null_typeES8_S8_S8_S8_S8_S8_S8_EEEEZNS1_11reduce_implILb1ES3_NS6_12zip_iteratorINS7_INS6_11hip_rocprim26transform_input_iterator_tIbNSD_35transform_pair_of_input_iterators_tIbNS6_6detail15normal_iteratorINS6_10device_ptrIKbEEEESL_NS6_8equal_toIbEEEENSG_9not_fun_tINSD_8identityEEEEENSD_19counting_iterator_tIlEES8_S8_S8_S8_S8_S8_S8_S8_EEEEPS9_S9_NSD_9__find_if7functorIS9_EEEE10hipError_tPvRmT1_T2_T3_mT4_P12ihipStream_tbEUlT_E1_NS1_11comp_targetILNS1_3genE10ELNS1_11target_archE1200ELNS1_3gpuE4ELNS1_3repE0EEENS1_30default_config_static_selectorELNS0_4arch9wavefront6targetE1EEEvS14_
    .private_segment_fixed_size: 0
    .sgpr_count:     4
    .sgpr_spill_count: 0
    .symbol:         _ZN7rocprim17ROCPRIM_400000_NS6detail17trampoline_kernelINS0_14default_configENS1_22reduce_config_selectorIN6thrust23THRUST_200600_302600_NS5tupleIblNS6_9null_typeES8_S8_S8_S8_S8_S8_S8_EEEEZNS1_11reduce_implILb1ES3_NS6_12zip_iteratorINS7_INS6_11hip_rocprim26transform_input_iterator_tIbNSD_35transform_pair_of_input_iterators_tIbNS6_6detail15normal_iteratorINS6_10device_ptrIKbEEEESL_NS6_8equal_toIbEEEENSG_9not_fun_tINSD_8identityEEEEENSD_19counting_iterator_tIlEES8_S8_S8_S8_S8_S8_S8_S8_EEEEPS9_S9_NSD_9__find_if7functorIS9_EEEE10hipError_tPvRmT1_T2_T3_mT4_P12ihipStream_tbEUlT_E1_NS1_11comp_targetILNS1_3genE10ELNS1_11target_archE1200ELNS1_3gpuE4ELNS1_3repE0EEENS1_30default_config_static_selectorELNS0_4arch9wavefront6targetE1EEEvS14_.kd
    .uniform_work_group_size: 1
    .uses_dynamic_stack: false
    .vgpr_count:     0
    .vgpr_spill_count: 0
    .wavefront_size: 64
  - .args:
      - .offset:         0
        .size:           88
        .value_kind:     by_value
    .group_segment_fixed_size: 0
    .kernarg_segment_align: 8
    .kernarg_segment_size: 88
    .language:       OpenCL C
    .language_version:
      - 2
      - 0
    .max_flat_workgroup_size: 256
    .name:           _ZN7rocprim17ROCPRIM_400000_NS6detail17trampoline_kernelINS0_14default_configENS1_22reduce_config_selectorIN6thrust23THRUST_200600_302600_NS5tupleIblNS6_9null_typeES8_S8_S8_S8_S8_S8_S8_EEEEZNS1_11reduce_implILb1ES3_NS6_12zip_iteratorINS7_INS6_11hip_rocprim26transform_input_iterator_tIbNSD_35transform_pair_of_input_iterators_tIbNS6_6detail15normal_iteratorINS6_10device_ptrIKbEEEESL_NS6_8equal_toIbEEEENSG_9not_fun_tINSD_8identityEEEEENSD_19counting_iterator_tIlEES8_S8_S8_S8_S8_S8_S8_S8_EEEEPS9_S9_NSD_9__find_if7functorIS9_EEEE10hipError_tPvRmT1_T2_T3_mT4_P12ihipStream_tbEUlT_E1_NS1_11comp_targetILNS1_3genE9ELNS1_11target_archE1100ELNS1_3gpuE3ELNS1_3repE0EEENS1_30default_config_static_selectorELNS0_4arch9wavefront6targetE1EEEvS14_
    .private_segment_fixed_size: 0
    .sgpr_count:     4
    .sgpr_spill_count: 0
    .symbol:         _ZN7rocprim17ROCPRIM_400000_NS6detail17trampoline_kernelINS0_14default_configENS1_22reduce_config_selectorIN6thrust23THRUST_200600_302600_NS5tupleIblNS6_9null_typeES8_S8_S8_S8_S8_S8_S8_EEEEZNS1_11reduce_implILb1ES3_NS6_12zip_iteratorINS7_INS6_11hip_rocprim26transform_input_iterator_tIbNSD_35transform_pair_of_input_iterators_tIbNS6_6detail15normal_iteratorINS6_10device_ptrIKbEEEESL_NS6_8equal_toIbEEEENSG_9not_fun_tINSD_8identityEEEEENSD_19counting_iterator_tIlEES8_S8_S8_S8_S8_S8_S8_S8_EEEEPS9_S9_NSD_9__find_if7functorIS9_EEEE10hipError_tPvRmT1_T2_T3_mT4_P12ihipStream_tbEUlT_E1_NS1_11comp_targetILNS1_3genE9ELNS1_11target_archE1100ELNS1_3gpuE3ELNS1_3repE0EEENS1_30default_config_static_selectorELNS0_4arch9wavefront6targetE1EEEvS14_.kd
    .uniform_work_group_size: 1
    .uses_dynamic_stack: false
    .vgpr_count:     0
    .vgpr_spill_count: 0
    .wavefront_size: 64
  - .args:
      - .offset:         0
        .size:           88
        .value_kind:     by_value
    .group_segment_fixed_size: 0
    .kernarg_segment_align: 8
    .kernarg_segment_size: 88
    .language:       OpenCL C
    .language_version:
      - 2
      - 0
    .max_flat_workgroup_size: 256
    .name:           _ZN7rocprim17ROCPRIM_400000_NS6detail17trampoline_kernelINS0_14default_configENS1_22reduce_config_selectorIN6thrust23THRUST_200600_302600_NS5tupleIblNS6_9null_typeES8_S8_S8_S8_S8_S8_S8_EEEEZNS1_11reduce_implILb1ES3_NS6_12zip_iteratorINS7_INS6_11hip_rocprim26transform_input_iterator_tIbNSD_35transform_pair_of_input_iterators_tIbNS6_6detail15normal_iteratorINS6_10device_ptrIKbEEEESL_NS6_8equal_toIbEEEENSG_9not_fun_tINSD_8identityEEEEENSD_19counting_iterator_tIlEES8_S8_S8_S8_S8_S8_S8_S8_EEEEPS9_S9_NSD_9__find_if7functorIS9_EEEE10hipError_tPvRmT1_T2_T3_mT4_P12ihipStream_tbEUlT_E1_NS1_11comp_targetILNS1_3genE8ELNS1_11target_archE1030ELNS1_3gpuE2ELNS1_3repE0EEENS1_30default_config_static_selectorELNS0_4arch9wavefront6targetE1EEEvS14_
    .private_segment_fixed_size: 0
    .sgpr_count:     4
    .sgpr_spill_count: 0
    .symbol:         _ZN7rocprim17ROCPRIM_400000_NS6detail17trampoline_kernelINS0_14default_configENS1_22reduce_config_selectorIN6thrust23THRUST_200600_302600_NS5tupleIblNS6_9null_typeES8_S8_S8_S8_S8_S8_S8_EEEEZNS1_11reduce_implILb1ES3_NS6_12zip_iteratorINS7_INS6_11hip_rocprim26transform_input_iterator_tIbNSD_35transform_pair_of_input_iterators_tIbNS6_6detail15normal_iteratorINS6_10device_ptrIKbEEEESL_NS6_8equal_toIbEEEENSG_9not_fun_tINSD_8identityEEEEENSD_19counting_iterator_tIlEES8_S8_S8_S8_S8_S8_S8_S8_EEEEPS9_S9_NSD_9__find_if7functorIS9_EEEE10hipError_tPvRmT1_T2_T3_mT4_P12ihipStream_tbEUlT_E1_NS1_11comp_targetILNS1_3genE8ELNS1_11target_archE1030ELNS1_3gpuE2ELNS1_3repE0EEENS1_30default_config_static_selectorELNS0_4arch9wavefront6targetE1EEEvS14_.kd
    .uniform_work_group_size: 1
    .uses_dynamic_stack: false
    .vgpr_count:     0
    .vgpr_spill_count: 0
    .wavefront_size: 64
  - .args:
      - .offset:         0
        .size:           56
        .value_kind:     by_value
    .group_segment_fixed_size: 0
    .kernarg_segment_align: 8
    .kernarg_segment_size: 56
    .language:       OpenCL C
    .language_version:
      - 2
      - 0
    .max_flat_workgroup_size: 256
    .name:           _ZN7rocprim17ROCPRIM_400000_NS6detail17trampoline_kernelINS0_14default_configENS1_29binary_search_config_selectorIN6thrust23THRUST_200600_302600_NS5tupleIiiNS6_9null_typeES8_S8_S8_S8_S8_S8_S8_EEbEEZNS1_14transform_implILb0ES3_SA_NS6_6detail15normal_iteratorINS6_10device_ptrIS9_EEEENSD_INSE_IbEEEEZNS1_13binary_searchIS3_SA_SG_SG_SI_NS1_16binary_search_opENSC_16wrapped_functionINS0_4lessIvEEbEEEE10hipError_tPvRmT1_T2_T3_mmT4_T5_P12ihipStream_tbEUlRKS9_E_EESP_ST_SU_mSV_SY_bEUlT_E_NS1_11comp_targetILNS1_3genE0ELNS1_11target_archE4294967295ELNS1_3gpuE0ELNS1_3repE0EEENS1_30default_config_static_selectorELNS0_4arch9wavefront6targetE1EEEvSS_
    .private_segment_fixed_size: 0
    .sgpr_count:     4
    .sgpr_spill_count: 0
    .symbol:         _ZN7rocprim17ROCPRIM_400000_NS6detail17trampoline_kernelINS0_14default_configENS1_29binary_search_config_selectorIN6thrust23THRUST_200600_302600_NS5tupleIiiNS6_9null_typeES8_S8_S8_S8_S8_S8_S8_EEbEEZNS1_14transform_implILb0ES3_SA_NS6_6detail15normal_iteratorINS6_10device_ptrIS9_EEEENSD_INSE_IbEEEEZNS1_13binary_searchIS3_SA_SG_SG_SI_NS1_16binary_search_opENSC_16wrapped_functionINS0_4lessIvEEbEEEE10hipError_tPvRmT1_T2_T3_mmT4_T5_P12ihipStream_tbEUlRKS9_E_EESP_ST_SU_mSV_SY_bEUlT_E_NS1_11comp_targetILNS1_3genE0ELNS1_11target_archE4294967295ELNS1_3gpuE0ELNS1_3repE0EEENS1_30default_config_static_selectorELNS0_4arch9wavefront6targetE1EEEvSS_.kd
    .uniform_work_group_size: 1
    .uses_dynamic_stack: false
    .vgpr_count:     0
    .vgpr_spill_count: 0
    .wavefront_size: 64
  - .args:
      - .offset:         0
        .size:           56
        .value_kind:     by_value
    .group_segment_fixed_size: 0
    .kernarg_segment_align: 8
    .kernarg_segment_size: 56
    .language:       OpenCL C
    .language_version:
      - 2
      - 0
    .max_flat_workgroup_size: 64
    .name:           _ZN7rocprim17ROCPRIM_400000_NS6detail17trampoline_kernelINS0_14default_configENS1_29binary_search_config_selectorIN6thrust23THRUST_200600_302600_NS5tupleIiiNS6_9null_typeES8_S8_S8_S8_S8_S8_S8_EEbEEZNS1_14transform_implILb0ES3_SA_NS6_6detail15normal_iteratorINS6_10device_ptrIS9_EEEENSD_INSE_IbEEEEZNS1_13binary_searchIS3_SA_SG_SG_SI_NS1_16binary_search_opENSC_16wrapped_functionINS0_4lessIvEEbEEEE10hipError_tPvRmT1_T2_T3_mmT4_T5_P12ihipStream_tbEUlRKS9_E_EESP_ST_SU_mSV_SY_bEUlT_E_NS1_11comp_targetILNS1_3genE5ELNS1_11target_archE942ELNS1_3gpuE9ELNS1_3repE0EEENS1_30default_config_static_selectorELNS0_4arch9wavefront6targetE1EEEvSS_
    .private_segment_fixed_size: 0
    .sgpr_count:     4
    .sgpr_spill_count: 0
    .symbol:         _ZN7rocprim17ROCPRIM_400000_NS6detail17trampoline_kernelINS0_14default_configENS1_29binary_search_config_selectorIN6thrust23THRUST_200600_302600_NS5tupleIiiNS6_9null_typeES8_S8_S8_S8_S8_S8_S8_EEbEEZNS1_14transform_implILb0ES3_SA_NS6_6detail15normal_iteratorINS6_10device_ptrIS9_EEEENSD_INSE_IbEEEEZNS1_13binary_searchIS3_SA_SG_SG_SI_NS1_16binary_search_opENSC_16wrapped_functionINS0_4lessIvEEbEEEE10hipError_tPvRmT1_T2_T3_mmT4_T5_P12ihipStream_tbEUlRKS9_E_EESP_ST_SU_mSV_SY_bEUlT_E_NS1_11comp_targetILNS1_3genE5ELNS1_11target_archE942ELNS1_3gpuE9ELNS1_3repE0EEENS1_30default_config_static_selectorELNS0_4arch9wavefront6targetE1EEEvSS_.kd
    .uniform_work_group_size: 1
    .uses_dynamic_stack: false
    .vgpr_count:     0
    .vgpr_spill_count: 0
    .wavefront_size: 64
  - .args:
      - .offset:         0
        .size:           56
        .value_kind:     by_value
    .group_segment_fixed_size: 0
    .kernarg_segment_align: 8
    .kernarg_segment_size: 56
    .language:       OpenCL C
    .language_version:
      - 2
      - 0
    .max_flat_workgroup_size: 64
    .name:           _ZN7rocprim17ROCPRIM_400000_NS6detail17trampoline_kernelINS0_14default_configENS1_29binary_search_config_selectorIN6thrust23THRUST_200600_302600_NS5tupleIiiNS6_9null_typeES8_S8_S8_S8_S8_S8_S8_EEbEEZNS1_14transform_implILb0ES3_SA_NS6_6detail15normal_iteratorINS6_10device_ptrIS9_EEEENSD_INSE_IbEEEEZNS1_13binary_searchIS3_SA_SG_SG_SI_NS1_16binary_search_opENSC_16wrapped_functionINS0_4lessIvEEbEEEE10hipError_tPvRmT1_T2_T3_mmT4_T5_P12ihipStream_tbEUlRKS9_E_EESP_ST_SU_mSV_SY_bEUlT_E_NS1_11comp_targetILNS1_3genE4ELNS1_11target_archE910ELNS1_3gpuE8ELNS1_3repE0EEENS1_30default_config_static_selectorELNS0_4arch9wavefront6targetE1EEEvSS_
    .private_segment_fixed_size: 0
    .sgpr_count:     4
    .sgpr_spill_count: 0
    .symbol:         _ZN7rocprim17ROCPRIM_400000_NS6detail17trampoline_kernelINS0_14default_configENS1_29binary_search_config_selectorIN6thrust23THRUST_200600_302600_NS5tupleIiiNS6_9null_typeES8_S8_S8_S8_S8_S8_S8_EEbEEZNS1_14transform_implILb0ES3_SA_NS6_6detail15normal_iteratorINS6_10device_ptrIS9_EEEENSD_INSE_IbEEEEZNS1_13binary_searchIS3_SA_SG_SG_SI_NS1_16binary_search_opENSC_16wrapped_functionINS0_4lessIvEEbEEEE10hipError_tPvRmT1_T2_T3_mmT4_T5_P12ihipStream_tbEUlRKS9_E_EESP_ST_SU_mSV_SY_bEUlT_E_NS1_11comp_targetILNS1_3genE4ELNS1_11target_archE910ELNS1_3gpuE8ELNS1_3repE0EEENS1_30default_config_static_selectorELNS0_4arch9wavefront6targetE1EEEvSS_.kd
    .uniform_work_group_size: 1
    .uses_dynamic_stack: false
    .vgpr_count:     0
    .vgpr_spill_count: 0
    .wavefront_size: 64
  - .args:
      - .offset:         0
        .size:           56
        .value_kind:     by_value
    .group_segment_fixed_size: 0
    .kernarg_segment_align: 8
    .kernarg_segment_size: 56
    .language:       OpenCL C
    .language_version:
      - 2
      - 0
    .max_flat_workgroup_size: 256
    .name:           _ZN7rocprim17ROCPRIM_400000_NS6detail17trampoline_kernelINS0_14default_configENS1_29binary_search_config_selectorIN6thrust23THRUST_200600_302600_NS5tupleIiiNS6_9null_typeES8_S8_S8_S8_S8_S8_S8_EEbEEZNS1_14transform_implILb0ES3_SA_NS6_6detail15normal_iteratorINS6_10device_ptrIS9_EEEENSD_INSE_IbEEEEZNS1_13binary_searchIS3_SA_SG_SG_SI_NS1_16binary_search_opENSC_16wrapped_functionINS0_4lessIvEEbEEEE10hipError_tPvRmT1_T2_T3_mmT4_T5_P12ihipStream_tbEUlRKS9_E_EESP_ST_SU_mSV_SY_bEUlT_E_NS1_11comp_targetILNS1_3genE3ELNS1_11target_archE908ELNS1_3gpuE7ELNS1_3repE0EEENS1_30default_config_static_selectorELNS0_4arch9wavefront6targetE1EEEvSS_
    .private_segment_fixed_size: 0
    .sgpr_count:     4
    .sgpr_spill_count: 0
    .symbol:         _ZN7rocprim17ROCPRIM_400000_NS6detail17trampoline_kernelINS0_14default_configENS1_29binary_search_config_selectorIN6thrust23THRUST_200600_302600_NS5tupleIiiNS6_9null_typeES8_S8_S8_S8_S8_S8_S8_EEbEEZNS1_14transform_implILb0ES3_SA_NS6_6detail15normal_iteratorINS6_10device_ptrIS9_EEEENSD_INSE_IbEEEEZNS1_13binary_searchIS3_SA_SG_SG_SI_NS1_16binary_search_opENSC_16wrapped_functionINS0_4lessIvEEbEEEE10hipError_tPvRmT1_T2_T3_mmT4_T5_P12ihipStream_tbEUlRKS9_E_EESP_ST_SU_mSV_SY_bEUlT_E_NS1_11comp_targetILNS1_3genE3ELNS1_11target_archE908ELNS1_3gpuE7ELNS1_3repE0EEENS1_30default_config_static_selectorELNS0_4arch9wavefront6targetE1EEEvSS_.kd
    .uniform_work_group_size: 1
    .uses_dynamic_stack: false
    .vgpr_count:     0
    .vgpr_spill_count: 0
    .wavefront_size: 64
  - .args:
      - .offset:         0
        .size:           56
        .value_kind:     by_value
      - .offset:         56
        .size:           4
        .value_kind:     hidden_block_count_x
      - .offset:         60
        .size:           4
        .value_kind:     hidden_block_count_y
      - .offset:         64
        .size:           4
        .value_kind:     hidden_block_count_z
      - .offset:         68
        .size:           2
        .value_kind:     hidden_group_size_x
      - .offset:         70
        .size:           2
        .value_kind:     hidden_group_size_y
      - .offset:         72
        .size:           2
        .value_kind:     hidden_group_size_z
      - .offset:         74
        .size:           2
        .value_kind:     hidden_remainder_x
      - .offset:         76
        .size:           2
        .value_kind:     hidden_remainder_y
      - .offset:         78
        .size:           2
        .value_kind:     hidden_remainder_z
      - .offset:         96
        .size:           8
        .value_kind:     hidden_global_offset_x
      - .offset:         104
        .size:           8
        .value_kind:     hidden_global_offset_y
      - .offset:         112
        .size:           8
        .value_kind:     hidden_global_offset_z
      - .offset:         120
        .size:           2
        .value_kind:     hidden_grid_dims
    .group_segment_fixed_size: 0
    .kernarg_segment_align: 8
    .kernarg_segment_size: 312
    .language:       OpenCL C
    .language_version:
      - 2
      - 0
    .max_flat_workgroup_size: 256
    .name:           _ZN7rocprim17ROCPRIM_400000_NS6detail17trampoline_kernelINS0_14default_configENS1_29binary_search_config_selectorIN6thrust23THRUST_200600_302600_NS5tupleIiiNS6_9null_typeES8_S8_S8_S8_S8_S8_S8_EEbEEZNS1_14transform_implILb0ES3_SA_NS6_6detail15normal_iteratorINS6_10device_ptrIS9_EEEENSD_INSE_IbEEEEZNS1_13binary_searchIS3_SA_SG_SG_SI_NS1_16binary_search_opENSC_16wrapped_functionINS0_4lessIvEEbEEEE10hipError_tPvRmT1_T2_T3_mmT4_T5_P12ihipStream_tbEUlRKS9_E_EESP_ST_SU_mSV_SY_bEUlT_E_NS1_11comp_targetILNS1_3genE2ELNS1_11target_archE906ELNS1_3gpuE6ELNS1_3repE0EEENS1_30default_config_static_selectorELNS0_4arch9wavefront6targetE1EEEvSS_
    .private_segment_fixed_size: 0
    .sgpr_count:     26
    .sgpr_spill_count: 0
    .symbol:         _ZN7rocprim17ROCPRIM_400000_NS6detail17trampoline_kernelINS0_14default_configENS1_29binary_search_config_selectorIN6thrust23THRUST_200600_302600_NS5tupleIiiNS6_9null_typeES8_S8_S8_S8_S8_S8_S8_EEbEEZNS1_14transform_implILb0ES3_SA_NS6_6detail15normal_iteratorINS6_10device_ptrIS9_EEEENSD_INSE_IbEEEEZNS1_13binary_searchIS3_SA_SG_SG_SI_NS1_16binary_search_opENSC_16wrapped_functionINS0_4lessIvEEbEEEE10hipError_tPvRmT1_T2_T3_mmT4_T5_P12ihipStream_tbEUlRKS9_E_EESP_ST_SU_mSV_SY_bEUlT_E_NS1_11comp_targetILNS1_3genE2ELNS1_11target_archE906ELNS1_3gpuE6ELNS1_3repE0EEENS1_30default_config_static_selectorELNS0_4arch9wavefront6targetE1EEEvSS_.kd
    .uniform_work_group_size: 1
    .uses_dynamic_stack: false
    .vgpr_count:     15
    .vgpr_spill_count: 0
    .wavefront_size: 64
  - .args:
      - .offset:         0
        .size:           56
        .value_kind:     by_value
    .group_segment_fixed_size: 0
    .kernarg_segment_align: 8
    .kernarg_segment_size: 56
    .language:       OpenCL C
    .language_version:
      - 2
      - 0
    .max_flat_workgroup_size: 256
    .name:           _ZN7rocprim17ROCPRIM_400000_NS6detail17trampoline_kernelINS0_14default_configENS1_29binary_search_config_selectorIN6thrust23THRUST_200600_302600_NS5tupleIiiNS6_9null_typeES8_S8_S8_S8_S8_S8_S8_EEbEEZNS1_14transform_implILb0ES3_SA_NS6_6detail15normal_iteratorINS6_10device_ptrIS9_EEEENSD_INSE_IbEEEEZNS1_13binary_searchIS3_SA_SG_SG_SI_NS1_16binary_search_opENSC_16wrapped_functionINS0_4lessIvEEbEEEE10hipError_tPvRmT1_T2_T3_mmT4_T5_P12ihipStream_tbEUlRKS9_E_EESP_ST_SU_mSV_SY_bEUlT_E_NS1_11comp_targetILNS1_3genE10ELNS1_11target_archE1201ELNS1_3gpuE5ELNS1_3repE0EEENS1_30default_config_static_selectorELNS0_4arch9wavefront6targetE1EEEvSS_
    .private_segment_fixed_size: 0
    .sgpr_count:     4
    .sgpr_spill_count: 0
    .symbol:         _ZN7rocprim17ROCPRIM_400000_NS6detail17trampoline_kernelINS0_14default_configENS1_29binary_search_config_selectorIN6thrust23THRUST_200600_302600_NS5tupleIiiNS6_9null_typeES8_S8_S8_S8_S8_S8_S8_EEbEEZNS1_14transform_implILb0ES3_SA_NS6_6detail15normal_iteratorINS6_10device_ptrIS9_EEEENSD_INSE_IbEEEEZNS1_13binary_searchIS3_SA_SG_SG_SI_NS1_16binary_search_opENSC_16wrapped_functionINS0_4lessIvEEbEEEE10hipError_tPvRmT1_T2_T3_mmT4_T5_P12ihipStream_tbEUlRKS9_E_EESP_ST_SU_mSV_SY_bEUlT_E_NS1_11comp_targetILNS1_3genE10ELNS1_11target_archE1201ELNS1_3gpuE5ELNS1_3repE0EEENS1_30default_config_static_selectorELNS0_4arch9wavefront6targetE1EEEvSS_.kd
    .uniform_work_group_size: 1
    .uses_dynamic_stack: false
    .vgpr_count:     0
    .vgpr_spill_count: 0
    .wavefront_size: 64
  - .args:
      - .offset:         0
        .size:           56
        .value_kind:     by_value
    .group_segment_fixed_size: 0
    .kernarg_segment_align: 8
    .kernarg_segment_size: 56
    .language:       OpenCL C
    .language_version:
      - 2
      - 0
    .max_flat_workgroup_size: 128
    .name:           _ZN7rocprim17ROCPRIM_400000_NS6detail17trampoline_kernelINS0_14default_configENS1_29binary_search_config_selectorIN6thrust23THRUST_200600_302600_NS5tupleIiiNS6_9null_typeES8_S8_S8_S8_S8_S8_S8_EEbEEZNS1_14transform_implILb0ES3_SA_NS6_6detail15normal_iteratorINS6_10device_ptrIS9_EEEENSD_INSE_IbEEEEZNS1_13binary_searchIS3_SA_SG_SG_SI_NS1_16binary_search_opENSC_16wrapped_functionINS0_4lessIvEEbEEEE10hipError_tPvRmT1_T2_T3_mmT4_T5_P12ihipStream_tbEUlRKS9_E_EESP_ST_SU_mSV_SY_bEUlT_E_NS1_11comp_targetILNS1_3genE10ELNS1_11target_archE1200ELNS1_3gpuE4ELNS1_3repE0EEENS1_30default_config_static_selectorELNS0_4arch9wavefront6targetE1EEEvSS_
    .private_segment_fixed_size: 0
    .sgpr_count:     4
    .sgpr_spill_count: 0
    .symbol:         _ZN7rocprim17ROCPRIM_400000_NS6detail17trampoline_kernelINS0_14default_configENS1_29binary_search_config_selectorIN6thrust23THRUST_200600_302600_NS5tupleIiiNS6_9null_typeES8_S8_S8_S8_S8_S8_S8_EEbEEZNS1_14transform_implILb0ES3_SA_NS6_6detail15normal_iteratorINS6_10device_ptrIS9_EEEENSD_INSE_IbEEEEZNS1_13binary_searchIS3_SA_SG_SG_SI_NS1_16binary_search_opENSC_16wrapped_functionINS0_4lessIvEEbEEEE10hipError_tPvRmT1_T2_T3_mmT4_T5_P12ihipStream_tbEUlRKS9_E_EESP_ST_SU_mSV_SY_bEUlT_E_NS1_11comp_targetILNS1_3genE10ELNS1_11target_archE1200ELNS1_3gpuE4ELNS1_3repE0EEENS1_30default_config_static_selectorELNS0_4arch9wavefront6targetE1EEEvSS_.kd
    .uniform_work_group_size: 1
    .uses_dynamic_stack: false
    .vgpr_count:     0
    .vgpr_spill_count: 0
    .wavefront_size: 64
  - .args:
      - .offset:         0
        .size:           56
        .value_kind:     by_value
    .group_segment_fixed_size: 0
    .kernarg_segment_align: 8
    .kernarg_segment_size: 56
    .language:       OpenCL C
    .language_version:
      - 2
      - 0
    .max_flat_workgroup_size: 64
    .name:           _ZN7rocprim17ROCPRIM_400000_NS6detail17trampoline_kernelINS0_14default_configENS1_29binary_search_config_selectorIN6thrust23THRUST_200600_302600_NS5tupleIiiNS6_9null_typeES8_S8_S8_S8_S8_S8_S8_EEbEEZNS1_14transform_implILb0ES3_SA_NS6_6detail15normal_iteratorINS6_10device_ptrIS9_EEEENSD_INSE_IbEEEEZNS1_13binary_searchIS3_SA_SG_SG_SI_NS1_16binary_search_opENSC_16wrapped_functionINS0_4lessIvEEbEEEE10hipError_tPvRmT1_T2_T3_mmT4_T5_P12ihipStream_tbEUlRKS9_E_EESP_ST_SU_mSV_SY_bEUlT_E_NS1_11comp_targetILNS1_3genE9ELNS1_11target_archE1100ELNS1_3gpuE3ELNS1_3repE0EEENS1_30default_config_static_selectorELNS0_4arch9wavefront6targetE1EEEvSS_
    .private_segment_fixed_size: 0
    .sgpr_count:     4
    .sgpr_spill_count: 0
    .symbol:         _ZN7rocprim17ROCPRIM_400000_NS6detail17trampoline_kernelINS0_14default_configENS1_29binary_search_config_selectorIN6thrust23THRUST_200600_302600_NS5tupleIiiNS6_9null_typeES8_S8_S8_S8_S8_S8_S8_EEbEEZNS1_14transform_implILb0ES3_SA_NS6_6detail15normal_iteratorINS6_10device_ptrIS9_EEEENSD_INSE_IbEEEEZNS1_13binary_searchIS3_SA_SG_SG_SI_NS1_16binary_search_opENSC_16wrapped_functionINS0_4lessIvEEbEEEE10hipError_tPvRmT1_T2_T3_mmT4_T5_P12ihipStream_tbEUlRKS9_E_EESP_ST_SU_mSV_SY_bEUlT_E_NS1_11comp_targetILNS1_3genE9ELNS1_11target_archE1100ELNS1_3gpuE3ELNS1_3repE0EEENS1_30default_config_static_selectorELNS0_4arch9wavefront6targetE1EEEvSS_.kd
    .uniform_work_group_size: 1
    .uses_dynamic_stack: false
    .vgpr_count:     0
    .vgpr_spill_count: 0
    .wavefront_size: 64
  - .args:
      - .offset:         0
        .size:           56
        .value_kind:     by_value
    .group_segment_fixed_size: 0
    .kernarg_segment_align: 8
    .kernarg_segment_size: 56
    .language:       OpenCL C
    .language_version:
      - 2
      - 0
    .max_flat_workgroup_size: 256
    .name:           _ZN7rocprim17ROCPRIM_400000_NS6detail17trampoline_kernelINS0_14default_configENS1_29binary_search_config_selectorIN6thrust23THRUST_200600_302600_NS5tupleIiiNS6_9null_typeES8_S8_S8_S8_S8_S8_S8_EEbEEZNS1_14transform_implILb0ES3_SA_NS6_6detail15normal_iteratorINS6_10device_ptrIS9_EEEENSD_INSE_IbEEEEZNS1_13binary_searchIS3_SA_SG_SG_SI_NS1_16binary_search_opENSC_16wrapped_functionINS0_4lessIvEEbEEEE10hipError_tPvRmT1_T2_T3_mmT4_T5_P12ihipStream_tbEUlRKS9_E_EESP_ST_SU_mSV_SY_bEUlT_E_NS1_11comp_targetILNS1_3genE8ELNS1_11target_archE1030ELNS1_3gpuE2ELNS1_3repE0EEENS1_30default_config_static_selectorELNS0_4arch9wavefront6targetE1EEEvSS_
    .private_segment_fixed_size: 0
    .sgpr_count:     4
    .sgpr_spill_count: 0
    .symbol:         _ZN7rocprim17ROCPRIM_400000_NS6detail17trampoline_kernelINS0_14default_configENS1_29binary_search_config_selectorIN6thrust23THRUST_200600_302600_NS5tupleIiiNS6_9null_typeES8_S8_S8_S8_S8_S8_S8_EEbEEZNS1_14transform_implILb0ES3_SA_NS6_6detail15normal_iteratorINS6_10device_ptrIS9_EEEENSD_INSE_IbEEEEZNS1_13binary_searchIS3_SA_SG_SG_SI_NS1_16binary_search_opENSC_16wrapped_functionINS0_4lessIvEEbEEEE10hipError_tPvRmT1_T2_T3_mmT4_T5_P12ihipStream_tbEUlRKS9_E_EESP_ST_SU_mSV_SY_bEUlT_E_NS1_11comp_targetILNS1_3genE8ELNS1_11target_archE1030ELNS1_3gpuE2ELNS1_3repE0EEENS1_30default_config_static_selectorELNS0_4arch9wavefront6targetE1EEEvSS_.kd
    .uniform_work_group_size: 1
    .uses_dynamic_stack: false
    .vgpr_count:     0
    .vgpr_spill_count: 0
    .wavefront_size: 64
  - .args:
      - .offset:         0
        .size:           56
        .value_kind:     by_value
    .group_segment_fixed_size: 0
    .kernarg_segment_align: 8
    .kernarg_segment_size: 56
    .language:       OpenCL C
    .language_version:
      - 2
      - 0
    .max_flat_workgroup_size: 256
    .name:           _ZN7rocprim17ROCPRIM_400000_NS6detail17trampoline_kernelINS0_14default_configENS1_27lower_bound_config_selectorIilEEZNS1_14transform_implILb0ES3_S5_N6thrust23THRUST_200600_302600_NS6detail15normal_iteratorINS8_7pointerIiNS9_22execute_with_allocatorINS8_16device_allocatorIcEENS8_11hip_rocprim22execute_on_stream_baseEEENS8_11use_defaultESI_EEEENSA_INSB_IlSH_SI_SI_EEEEZNS1_13binary_searchIS3_S5_NSA_INS8_10device_ptrIiEEEESK_SM_NS1_21lower_bound_search_opENS9_16wrapped_functionINS8_6system6detail7generic6detail18binary_search_lessEbEEEE10hipError_tPvRmT1_T2_T3_mmT4_T5_P12ihipStream_tbEUlRKiE_EESZ_S13_S14_mS15_S18_bEUlT_E_NS1_11comp_targetILNS1_3genE0ELNS1_11target_archE4294967295ELNS1_3gpuE0ELNS1_3repE0EEENS1_30default_config_static_selectorELNS0_4arch9wavefront6targetE1EEEvS12_
    .private_segment_fixed_size: 0
    .sgpr_count:     4
    .sgpr_spill_count: 0
    .symbol:         _ZN7rocprim17ROCPRIM_400000_NS6detail17trampoline_kernelINS0_14default_configENS1_27lower_bound_config_selectorIilEEZNS1_14transform_implILb0ES3_S5_N6thrust23THRUST_200600_302600_NS6detail15normal_iteratorINS8_7pointerIiNS9_22execute_with_allocatorINS8_16device_allocatorIcEENS8_11hip_rocprim22execute_on_stream_baseEEENS8_11use_defaultESI_EEEENSA_INSB_IlSH_SI_SI_EEEEZNS1_13binary_searchIS3_S5_NSA_INS8_10device_ptrIiEEEESK_SM_NS1_21lower_bound_search_opENS9_16wrapped_functionINS8_6system6detail7generic6detail18binary_search_lessEbEEEE10hipError_tPvRmT1_T2_T3_mmT4_T5_P12ihipStream_tbEUlRKiE_EESZ_S13_S14_mS15_S18_bEUlT_E_NS1_11comp_targetILNS1_3genE0ELNS1_11target_archE4294967295ELNS1_3gpuE0ELNS1_3repE0EEENS1_30default_config_static_selectorELNS0_4arch9wavefront6targetE1EEEvS12_.kd
    .uniform_work_group_size: 1
    .uses_dynamic_stack: false
    .vgpr_count:     0
    .vgpr_spill_count: 0
    .wavefront_size: 64
  - .args:
      - .offset:         0
        .size:           56
        .value_kind:     by_value
    .group_segment_fixed_size: 0
    .kernarg_segment_align: 8
    .kernarg_segment_size: 56
    .language:       OpenCL C
    .language_version:
      - 2
      - 0
    .max_flat_workgroup_size: 256
    .name:           _ZN7rocprim17ROCPRIM_400000_NS6detail17trampoline_kernelINS0_14default_configENS1_27lower_bound_config_selectorIilEEZNS1_14transform_implILb0ES3_S5_N6thrust23THRUST_200600_302600_NS6detail15normal_iteratorINS8_7pointerIiNS9_22execute_with_allocatorINS8_16device_allocatorIcEENS8_11hip_rocprim22execute_on_stream_baseEEENS8_11use_defaultESI_EEEENSA_INSB_IlSH_SI_SI_EEEEZNS1_13binary_searchIS3_S5_NSA_INS8_10device_ptrIiEEEESK_SM_NS1_21lower_bound_search_opENS9_16wrapped_functionINS8_6system6detail7generic6detail18binary_search_lessEbEEEE10hipError_tPvRmT1_T2_T3_mmT4_T5_P12ihipStream_tbEUlRKiE_EESZ_S13_S14_mS15_S18_bEUlT_E_NS1_11comp_targetILNS1_3genE5ELNS1_11target_archE942ELNS1_3gpuE9ELNS1_3repE0EEENS1_30default_config_static_selectorELNS0_4arch9wavefront6targetE1EEEvS12_
    .private_segment_fixed_size: 0
    .sgpr_count:     4
    .sgpr_spill_count: 0
    .symbol:         _ZN7rocprim17ROCPRIM_400000_NS6detail17trampoline_kernelINS0_14default_configENS1_27lower_bound_config_selectorIilEEZNS1_14transform_implILb0ES3_S5_N6thrust23THRUST_200600_302600_NS6detail15normal_iteratorINS8_7pointerIiNS9_22execute_with_allocatorINS8_16device_allocatorIcEENS8_11hip_rocprim22execute_on_stream_baseEEENS8_11use_defaultESI_EEEENSA_INSB_IlSH_SI_SI_EEEEZNS1_13binary_searchIS3_S5_NSA_INS8_10device_ptrIiEEEESK_SM_NS1_21lower_bound_search_opENS9_16wrapped_functionINS8_6system6detail7generic6detail18binary_search_lessEbEEEE10hipError_tPvRmT1_T2_T3_mmT4_T5_P12ihipStream_tbEUlRKiE_EESZ_S13_S14_mS15_S18_bEUlT_E_NS1_11comp_targetILNS1_3genE5ELNS1_11target_archE942ELNS1_3gpuE9ELNS1_3repE0EEENS1_30default_config_static_selectorELNS0_4arch9wavefront6targetE1EEEvS12_.kd
    .uniform_work_group_size: 1
    .uses_dynamic_stack: false
    .vgpr_count:     0
    .vgpr_spill_count: 0
    .wavefront_size: 64
  - .args:
      - .offset:         0
        .size:           56
        .value_kind:     by_value
    .group_segment_fixed_size: 0
    .kernarg_segment_align: 8
    .kernarg_segment_size: 56
    .language:       OpenCL C
    .language_version:
      - 2
      - 0
    .max_flat_workgroup_size: 256
    .name:           _ZN7rocprim17ROCPRIM_400000_NS6detail17trampoline_kernelINS0_14default_configENS1_27lower_bound_config_selectorIilEEZNS1_14transform_implILb0ES3_S5_N6thrust23THRUST_200600_302600_NS6detail15normal_iteratorINS8_7pointerIiNS9_22execute_with_allocatorINS8_16device_allocatorIcEENS8_11hip_rocprim22execute_on_stream_baseEEENS8_11use_defaultESI_EEEENSA_INSB_IlSH_SI_SI_EEEEZNS1_13binary_searchIS3_S5_NSA_INS8_10device_ptrIiEEEESK_SM_NS1_21lower_bound_search_opENS9_16wrapped_functionINS8_6system6detail7generic6detail18binary_search_lessEbEEEE10hipError_tPvRmT1_T2_T3_mmT4_T5_P12ihipStream_tbEUlRKiE_EESZ_S13_S14_mS15_S18_bEUlT_E_NS1_11comp_targetILNS1_3genE4ELNS1_11target_archE910ELNS1_3gpuE8ELNS1_3repE0EEENS1_30default_config_static_selectorELNS0_4arch9wavefront6targetE1EEEvS12_
    .private_segment_fixed_size: 0
    .sgpr_count:     4
    .sgpr_spill_count: 0
    .symbol:         _ZN7rocprim17ROCPRIM_400000_NS6detail17trampoline_kernelINS0_14default_configENS1_27lower_bound_config_selectorIilEEZNS1_14transform_implILb0ES3_S5_N6thrust23THRUST_200600_302600_NS6detail15normal_iteratorINS8_7pointerIiNS9_22execute_with_allocatorINS8_16device_allocatorIcEENS8_11hip_rocprim22execute_on_stream_baseEEENS8_11use_defaultESI_EEEENSA_INSB_IlSH_SI_SI_EEEEZNS1_13binary_searchIS3_S5_NSA_INS8_10device_ptrIiEEEESK_SM_NS1_21lower_bound_search_opENS9_16wrapped_functionINS8_6system6detail7generic6detail18binary_search_lessEbEEEE10hipError_tPvRmT1_T2_T3_mmT4_T5_P12ihipStream_tbEUlRKiE_EESZ_S13_S14_mS15_S18_bEUlT_E_NS1_11comp_targetILNS1_3genE4ELNS1_11target_archE910ELNS1_3gpuE8ELNS1_3repE0EEENS1_30default_config_static_selectorELNS0_4arch9wavefront6targetE1EEEvS12_.kd
    .uniform_work_group_size: 1
    .uses_dynamic_stack: false
    .vgpr_count:     0
    .vgpr_spill_count: 0
    .wavefront_size: 64
  - .args:
      - .offset:         0
        .size:           56
        .value_kind:     by_value
    .group_segment_fixed_size: 0
    .kernarg_segment_align: 8
    .kernarg_segment_size: 56
    .language:       OpenCL C
    .language_version:
      - 2
      - 0
    .max_flat_workgroup_size: 256
    .name:           _ZN7rocprim17ROCPRIM_400000_NS6detail17trampoline_kernelINS0_14default_configENS1_27lower_bound_config_selectorIilEEZNS1_14transform_implILb0ES3_S5_N6thrust23THRUST_200600_302600_NS6detail15normal_iteratorINS8_7pointerIiNS9_22execute_with_allocatorINS8_16device_allocatorIcEENS8_11hip_rocprim22execute_on_stream_baseEEENS8_11use_defaultESI_EEEENSA_INSB_IlSH_SI_SI_EEEEZNS1_13binary_searchIS3_S5_NSA_INS8_10device_ptrIiEEEESK_SM_NS1_21lower_bound_search_opENS9_16wrapped_functionINS8_6system6detail7generic6detail18binary_search_lessEbEEEE10hipError_tPvRmT1_T2_T3_mmT4_T5_P12ihipStream_tbEUlRKiE_EESZ_S13_S14_mS15_S18_bEUlT_E_NS1_11comp_targetILNS1_3genE3ELNS1_11target_archE908ELNS1_3gpuE7ELNS1_3repE0EEENS1_30default_config_static_selectorELNS0_4arch9wavefront6targetE1EEEvS12_
    .private_segment_fixed_size: 0
    .sgpr_count:     4
    .sgpr_spill_count: 0
    .symbol:         _ZN7rocprim17ROCPRIM_400000_NS6detail17trampoline_kernelINS0_14default_configENS1_27lower_bound_config_selectorIilEEZNS1_14transform_implILb0ES3_S5_N6thrust23THRUST_200600_302600_NS6detail15normal_iteratorINS8_7pointerIiNS9_22execute_with_allocatorINS8_16device_allocatorIcEENS8_11hip_rocprim22execute_on_stream_baseEEENS8_11use_defaultESI_EEEENSA_INSB_IlSH_SI_SI_EEEEZNS1_13binary_searchIS3_S5_NSA_INS8_10device_ptrIiEEEESK_SM_NS1_21lower_bound_search_opENS9_16wrapped_functionINS8_6system6detail7generic6detail18binary_search_lessEbEEEE10hipError_tPvRmT1_T2_T3_mmT4_T5_P12ihipStream_tbEUlRKiE_EESZ_S13_S14_mS15_S18_bEUlT_E_NS1_11comp_targetILNS1_3genE3ELNS1_11target_archE908ELNS1_3gpuE7ELNS1_3repE0EEENS1_30default_config_static_selectorELNS0_4arch9wavefront6targetE1EEEvS12_.kd
    .uniform_work_group_size: 1
    .uses_dynamic_stack: false
    .vgpr_count:     0
    .vgpr_spill_count: 0
    .wavefront_size: 64
  - .args:
      - .offset:         0
        .size:           56
        .value_kind:     by_value
      - .offset:         56
        .size:           4
        .value_kind:     hidden_block_count_x
      - .offset:         60
        .size:           4
        .value_kind:     hidden_block_count_y
      - .offset:         64
        .size:           4
        .value_kind:     hidden_block_count_z
      - .offset:         68
        .size:           2
        .value_kind:     hidden_group_size_x
      - .offset:         70
        .size:           2
        .value_kind:     hidden_group_size_y
      - .offset:         72
        .size:           2
        .value_kind:     hidden_group_size_z
      - .offset:         74
        .size:           2
        .value_kind:     hidden_remainder_x
      - .offset:         76
        .size:           2
        .value_kind:     hidden_remainder_y
      - .offset:         78
        .size:           2
        .value_kind:     hidden_remainder_z
      - .offset:         96
        .size:           8
        .value_kind:     hidden_global_offset_x
      - .offset:         104
        .size:           8
        .value_kind:     hidden_global_offset_y
      - .offset:         112
        .size:           8
        .value_kind:     hidden_global_offset_z
      - .offset:         120
        .size:           2
        .value_kind:     hidden_grid_dims
    .group_segment_fixed_size: 0
    .kernarg_segment_align: 8
    .kernarg_segment_size: 312
    .language:       OpenCL C
    .language_version:
      - 2
      - 0
    .max_flat_workgroup_size: 256
    .name:           _ZN7rocprim17ROCPRIM_400000_NS6detail17trampoline_kernelINS0_14default_configENS1_27lower_bound_config_selectorIilEEZNS1_14transform_implILb0ES3_S5_N6thrust23THRUST_200600_302600_NS6detail15normal_iteratorINS8_7pointerIiNS9_22execute_with_allocatorINS8_16device_allocatorIcEENS8_11hip_rocprim22execute_on_stream_baseEEENS8_11use_defaultESI_EEEENSA_INSB_IlSH_SI_SI_EEEEZNS1_13binary_searchIS3_S5_NSA_INS8_10device_ptrIiEEEESK_SM_NS1_21lower_bound_search_opENS9_16wrapped_functionINS8_6system6detail7generic6detail18binary_search_lessEbEEEE10hipError_tPvRmT1_T2_T3_mmT4_T5_P12ihipStream_tbEUlRKiE_EESZ_S13_S14_mS15_S18_bEUlT_E_NS1_11comp_targetILNS1_3genE2ELNS1_11target_archE906ELNS1_3gpuE6ELNS1_3repE0EEENS1_30default_config_static_selectorELNS0_4arch9wavefront6targetE1EEEvS12_
    .private_segment_fixed_size: 0
    .sgpr_count:     24
    .sgpr_spill_count: 0
    .symbol:         _ZN7rocprim17ROCPRIM_400000_NS6detail17trampoline_kernelINS0_14default_configENS1_27lower_bound_config_selectorIilEEZNS1_14transform_implILb0ES3_S5_N6thrust23THRUST_200600_302600_NS6detail15normal_iteratorINS8_7pointerIiNS9_22execute_with_allocatorINS8_16device_allocatorIcEENS8_11hip_rocprim22execute_on_stream_baseEEENS8_11use_defaultESI_EEEENSA_INSB_IlSH_SI_SI_EEEEZNS1_13binary_searchIS3_S5_NSA_INS8_10device_ptrIiEEEESK_SM_NS1_21lower_bound_search_opENS9_16wrapped_functionINS8_6system6detail7generic6detail18binary_search_lessEbEEEE10hipError_tPvRmT1_T2_T3_mmT4_T5_P12ihipStream_tbEUlRKiE_EESZ_S13_S14_mS15_S18_bEUlT_E_NS1_11comp_targetILNS1_3genE2ELNS1_11target_archE906ELNS1_3gpuE6ELNS1_3repE0EEENS1_30default_config_static_selectorELNS0_4arch9wavefront6targetE1EEEvS12_.kd
    .uniform_work_group_size: 1
    .uses_dynamic_stack: false
    .vgpr_count:     12
    .vgpr_spill_count: 0
    .wavefront_size: 64
  - .args:
      - .offset:         0
        .size:           56
        .value_kind:     by_value
    .group_segment_fixed_size: 0
    .kernarg_segment_align: 8
    .kernarg_segment_size: 56
    .language:       OpenCL C
    .language_version:
      - 2
      - 0
    .max_flat_workgroup_size: 128
    .name:           _ZN7rocprim17ROCPRIM_400000_NS6detail17trampoline_kernelINS0_14default_configENS1_27lower_bound_config_selectorIilEEZNS1_14transform_implILb0ES3_S5_N6thrust23THRUST_200600_302600_NS6detail15normal_iteratorINS8_7pointerIiNS9_22execute_with_allocatorINS8_16device_allocatorIcEENS8_11hip_rocprim22execute_on_stream_baseEEENS8_11use_defaultESI_EEEENSA_INSB_IlSH_SI_SI_EEEEZNS1_13binary_searchIS3_S5_NSA_INS8_10device_ptrIiEEEESK_SM_NS1_21lower_bound_search_opENS9_16wrapped_functionINS8_6system6detail7generic6detail18binary_search_lessEbEEEE10hipError_tPvRmT1_T2_T3_mmT4_T5_P12ihipStream_tbEUlRKiE_EESZ_S13_S14_mS15_S18_bEUlT_E_NS1_11comp_targetILNS1_3genE10ELNS1_11target_archE1201ELNS1_3gpuE5ELNS1_3repE0EEENS1_30default_config_static_selectorELNS0_4arch9wavefront6targetE1EEEvS12_
    .private_segment_fixed_size: 0
    .sgpr_count:     4
    .sgpr_spill_count: 0
    .symbol:         _ZN7rocprim17ROCPRIM_400000_NS6detail17trampoline_kernelINS0_14default_configENS1_27lower_bound_config_selectorIilEEZNS1_14transform_implILb0ES3_S5_N6thrust23THRUST_200600_302600_NS6detail15normal_iteratorINS8_7pointerIiNS9_22execute_with_allocatorINS8_16device_allocatorIcEENS8_11hip_rocprim22execute_on_stream_baseEEENS8_11use_defaultESI_EEEENSA_INSB_IlSH_SI_SI_EEEEZNS1_13binary_searchIS3_S5_NSA_INS8_10device_ptrIiEEEESK_SM_NS1_21lower_bound_search_opENS9_16wrapped_functionINS8_6system6detail7generic6detail18binary_search_lessEbEEEE10hipError_tPvRmT1_T2_T3_mmT4_T5_P12ihipStream_tbEUlRKiE_EESZ_S13_S14_mS15_S18_bEUlT_E_NS1_11comp_targetILNS1_3genE10ELNS1_11target_archE1201ELNS1_3gpuE5ELNS1_3repE0EEENS1_30default_config_static_selectorELNS0_4arch9wavefront6targetE1EEEvS12_.kd
    .uniform_work_group_size: 1
    .uses_dynamic_stack: false
    .vgpr_count:     0
    .vgpr_spill_count: 0
    .wavefront_size: 64
  - .args:
      - .offset:         0
        .size:           56
        .value_kind:     by_value
    .group_segment_fixed_size: 0
    .kernarg_segment_align: 8
    .kernarg_segment_size: 56
    .language:       OpenCL C
    .language_version:
      - 2
      - 0
    .max_flat_workgroup_size: 128
    .name:           _ZN7rocprim17ROCPRIM_400000_NS6detail17trampoline_kernelINS0_14default_configENS1_27lower_bound_config_selectorIilEEZNS1_14transform_implILb0ES3_S5_N6thrust23THRUST_200600_302600_NS6detail15normal_iteratorINS8_7pointerIiNS9_22execute_with_allocatorINS8_16device_allocatorIcEENS8_11hip_rocprim22execute_on_stream_baseEEENS8_11use_defaultESI_EEEENSA_INSB_IlSH_SI_SI_EEEEZNS1_13binary_searchIS3_S5_NSA_INS8_10device_ptrIiEEEESK_SM_NS1_21lower_bound_search_opENS9_16wrapped_functionINS8_6system6detail7generic6detail18binary_search_lessEbEEEE10hipError_tPvRmT1_T2_T3_mmT4_T5_P12ihipStream_tbEUlRKiE_EESZ_S13_S14_mS15_S18_bEUlT_E_NS1_11comp_targetILNS1_3genE10ELNS1_11target_archE1200ELNS1_3gpuE4ELNS1_3repE0EEENS1_30default_config_static_selectorELNS0_4arch9wavefront6targetE1EEEvS12_
    .private_segment_fixed_size: 0
    .sgpr_count:     4
    .sgpr_spill_count: 0
    .symbol:         _ZN7rocprim17ROCPRIM_400000_NS6detail17trampoline_kernelINS0_14default_configENS1_27lower_bound_config_selectorIilEEZNS1_14transform_implILb0ES3_S5_N6thrust23THRUST_200600_302600_NS6detail15normal_iteratorINS8_7pointerIiNS9_22execute_with_allocatorINS8_16device_allocatorIcEENS8_11hip_rocprim22execute_on_stream_baseEEENS8_11use_defaultESI_EEEENSA_INSB_IlSH_SI_SI_EEEEZNS1_13binary_searchIS3_S5_NSA_INS8_10device_ptrIiEEEESK_SM_NS1_21lower_bound_search_opENS9_16wrapped_functionINS8_6system6detail7generic6detail18binary_search_lessEbEEEE10hipError_tPvRmT1_T2_T3_mmT4_T5_P12ihipStream_tbEUlRKiE_EESZ_S13_S14_mS15_S18_bEUlT_E_NS1_11comp_targetILNS1_3genE10ELNS1_11target_archE1200ELNS1_3gpuE4ELNS1_3repE0EEENS1_30default_config_static_selectorELNS0_4arch9wavefront6targetE1EEEvS12_.kd
    .uniform_work_group_size: 1
    .uses_dynamic_stack: false
    .vgpr_count:     0
    .vgpr_spill_count: 0
    .wavefront_size: 64
  - .args:
      - .offset:         0
        .size:           56
        .value_kind:     by_value
    .group_segment_fixed_size: 0
    .kernarg_segment_align: 8
    .kernarg_segment_size: 56
    .language:       OpenCL C
    .language_version:
      - 2
      - 0
    .max_flat_workgroup_size: 256
    .name:           _ZN7rocprim17ROCPRIM_400000_NS6detail17trampoline_kernelINS0_14default_configENS1_27lower_bound_config_selectorIilEEZNS1_14transform_implILb0ES3_S5_N6thrust23THRUST_200600_302600_NS6detail15normal_iteratorINS8_7pointerIiNS9_22execute_with_allocatorINS8_16device_allocatorIcEENS8_11hip_rocprim22execute_on_stream_baseEEENS8_11use_defaultESI_EEEENSA_INSB_IlSH_SI_SI_EEEEZNS1_13binary_searchIS3_S5_NSA_INS8_10device_ptrIiEEEESK_SM_NS1_21lower_bound_search_opENS9_16wrapped_functionINS8_6system6detail7generic6detail18binary_search_lessEbEEEE10hipError_tPvRmT1_T2_T3_mmT4_T5_P12ihipStream_tbEUlRKiE_EESZ_S13_S14_mS15_S18_bEUlT_E_NS1_11comp_targetILNS1_3genE9ELNS1_11target_archE1100ELNS1_3gpuE3ELNS1_3repE0EEENS1_30default_config_static_selectorELNS0_4arch9wavefront6targetE1EEEvS12_
    .private_segment_fixed_size: 0
    .sgpr_count:     4
    .sgpr_spill_count: 0
    .symbol:         _ZN7rocprim17ROCPRIM_400000_NS6detail17trampoline_kernelINS0_14default_configENS1_27lower_bound_config_selectorIilEEZNS1_14transform_implILb0ES3_S5_N6thrust23THRUST_200600_302600_NS6detail15normal_iteratorINS8_7pointerIiNS9_22execute_with_allocatorINS8_16device_allocatorIcEENS8_11hip_rocprim22execute_on_stream_baseEEENS8_11use_defaultESI_EEEENSA_INSB_IlSH_SI_SI_EEEEZNS1_13binary_searchIS3_S5_NSA_INS8_10device_ptrIiEEEESK_SM_NS1_21lower_bound_search_opENS9_16wrapped_functionINS8_6system6detail7generic6detail18binary_search_lessEbEEEE10hipError_tPvRmT1_T2_T3_mmT4_T5_P12ihipStream_tbEUlRKiE_EESZ_S13_S14_mS15_S18_bEUlT_E_NS1_11comp_targetILNS1_3genE9ELNS1_11target_archE1100ELNS1_3gpuE3ELNS1_3repE0EEENS1_30default_config_static_selectorELNS0_4arch9wavefront6targetE1EEEvS12_.kd
    .uniform_work_group_size: 1
    .uses_dynamic_stack: false
    .vgpr_count:     0
    .vgpr_spill_count: 0
    .wavefront_size: 64
  - .args:
      - .offset:         0
        .size:           56
        .value_kind:     by_value
    .group_segment_fixed_size: 0
    .kernarg_segment_align: 8
    .kernarg_segment_size: 56
    .language:       OpenCL C
    .language_version:
      - 2
      - 0
    .max_flat_workgroup_size: 256
    .name:           _ZN7rocprim17ROCPRIM_400000_NS6detail17trampoline_kernelINS0_14default_configENS1_27lower_bound_config_selectorIilEEZNS1_14transform_implILb0ES3_S5_N6thrust23THRUST_200600_302600_NS6detail15normal_iteratorINS8_7pointerIiNS9_22execute_with_allocatorINS8_16device_allocatorIcEENS8_11hip_rocprim22execute_on_stream_baseEEENS8_11use_defaultESI_EEEENSA_INSB_IlSH_SI_SI_EEEEZNS1_13binary_searchIS3_S5_NSA_INS8_10device_ptrIiEEEESK_SM_NS1_21lower_bound_search_opENS9_16wrapped_functionINS8_6system6detail7generic6detail18binary_search_lessEbEEEE10hipError_tPvRmT1_T2_T3_mmT4_T5_P12ihipStream_tbEUlRKiE_EESZ_S13_S14_mS15_S18_bEUlT_E_NS1_11comp_targetILNS1_3genE8ELNS1_11target_archE1030ELNS1_3gpuE2ELNS1_3repE0EEENS1_30default_config_static_selectorELNS0_4arch9wavefront6targetE1EEEvS12_
    .private_segment_fixed_size: 0
    .sgpr_count:     4
    .sgpr_spill_count: 0
    .symbol:         _ZN7rocprim17ROCPRIM_400000_NS6detail17trampoline_kernelINS0_14default_configENS1_27lower_bound_config_selectorIilEEZNS1_14transform_implILb0ES3_S5_N6thrust23THRUST_200600_302600_NS6detail15normal_iteratorINS8_7pointerIiNS9_22execute_with_allocatorINS8_16device_allocatorIcEENS8_11hip_rocprim22execute_on_stream_baseEEENS8_11use_defaultESI_EEEENSA_INSB_IlSH_SI_SI_EEEEZNS1_13binary_searchIS3_S5_NSA_INS8_10device_ptrIiEEEESK_SM_NS1_21lower_bound_search_opENS9_16wrapped_functionINS8_6system6detail7generic6detail18binary_search_lessEbEEEE10hipError_tPvRmT1_T2_T3_mmT4_T5_P12ihipStream_tbEUlRKiE_EESZ_S13_S14_mS15_S18_bEUlT_E_NS1_11comp_targetILNS1_3genE8ELNS1_11target_archE1030ELNS1_3gpuE2ELNS1_3repE0EEENS1_30default_config_static_selectorELNS0_4arch9wavefront6targetE1EEEvS12_.kd
    .uniform_work_group_size: 1
    .uses_dynamic_stack: false
    .vgpr_count:     0
    .vgpr_spill_count: 0
    .wavefront_size: 64
  - .args:
      - .offset:         0
        .size:           56
        .value_kind:     by_value
    .group_segment_fixed_size: 0
    .kernarg_segment_align: 8
    .kernarg_segment_size: 56
    .language:       OpenCL C
    .language_version:
      - 2
      - 0
    .max_flat_workgroup_size: 256
    .name:           _ZN7rocprim17ROCPRIM_400000_NS6detail17trampoline_kernelINS0_14default_configENS1_27upper_bound_config_selectorIilEEZNS1_14transform_implILb0ES3_S5_N6thrust23THRUST_200600_302600_NS6detail15normal_iteratorINS8_7pointerIiNS9_22execute_with_allocatorINS8_16device_allocatorIcEENS8_11hip_rocprim22execute_on_stream_baseEEENS8_11use_defaultESI_EEEENSA_INSB_IlSH_SI_SI_EEEEZNS1_13binary_searchIS3_S5_NSA_INS8_10device_ptrIiEEEESK_SM_NS1_21upper_bound_search_opENS9_16wrapped_functionINS8_6system6detail7generic6detail18binary_search_lessEbEEEE10hipError_tPvRmT1_T2_T3_mmT4_T5_P12ihipStream_tbEUlRKiE_EESZ_S13_S14_mS15_S18_bEUlT_E_NS1_11comp_targetILNS1_3genE0ELNS1_11target_archE4294967295ELNS1_3gpuE0ELNS1_3repE0EEENS1_30default_config_static_selectorELNS0_4arch9wavefront6targetE1EEEvS12_
    .private_segment_fixed_size: 0
    .sgpr_count:     4
    .sgpr_spill_count: 0
    .symbol:         _ZN7rocprim17ROCPRIM_400000_NS6detail17trampoline_kernelINS0_14default_configENS1_27upper_bound_config_selectorIilEEZNS1_14transform_implILb0ES3_S5_N6thrust23THRUST_200600_302600_NS6detail15normal_iteratorINS8_7pointerIiNS9_22execute_with_allocatorINS8_16device_allocatorIcEENS8_11hip_rocprim22execute_on_stream_baseEEENS8_11use_defaultESI_EEEENSA_INSB_IlSH_SI_SI_EEEEZNS1_13binary_searchIS3_S5_NSA_INS8_10device_ptrIiEEEESK_SM_NS1_21upper_bound_search_opENS9_16wrapped_functionINS8_6system6detail7generic6detail18binary_search_lessEbEEEE10hipError_tPvRmT1_T2_T3_mmT4_T5_P12ihipStream_tbEUlRKiE_EESZ_S13_S14_mS15_S18_bEUlT_E_NS1_11comp_targetILNS1_3genE0ELNS1_11target_archE4294967295ELNS1_3gpuE0ELNS1_3repE0EEENS1_30default_config_static_selectorELNS0_4arch9wavefront6targetE1EEEvS12_.kd
    .uniform_work_group_size: 1
    .uses_dynamic_stack: false
    .vgpr_count:     0
    .vgpr_spill_count: 0
    .wavefront_size: 64
  - .args:
      - .offset:         0
        .size:           56
        .value_kind:     by_value
    .group_segment_fixed_size: 0
    .kernarg_segment_align: 8
    .kernarg_segment_size: 56
    .language:       OpenCL C
    .language_version:
      - 2
      - 0
    .max_flat_workgroup_size: 256
    .name:           _ZN7rocprim17ROCPRIM_400000_NS6detail17trampoline_kernelINS0_14default_configENS1_27upper_bound_config_selectorIilEEZNS1_14transform_implILb0ES3_S5_N6thrust23THRUST_200600_302600_NS6detail15normal_iteratorINS8_7pointerIiNS9_22execute_with_allocatorINS8_16device_allocatorIcEENS8_11hip_rocprim22execute_on_stream_baseEEENS8_11use_defaultESI_EEEENSA_INSB_IlSH_SI_SI_EEEEZNS1_13binary_searchIS3_S5_NSA_INS8_10device_ptrIiEEEESK_SM_NS1_21upper_bound_search_opENS9_16wrapped_functionINS8_6system6detail7generic6detail18binary_search_lessEbEEEE10hipError_tPvRmT1_T2_T3_mmT4_T5_P12ihipStream_tbEUlRKiE_EESZ_S13_S14_mS15_S18_bEUlT_E_NS1_11comp_targetILNS1_3genE5ELNS1_11target_archE942ELNS1_3gpuE9ELNS1_3repE0EEENS1_30default_config_static_selectorELNS0_4arch9wavefront6targetE1EEEvS12_
    .private_segment_fixed_size: 0
    .sgpr_count:     4
    .sgpr_spill_count: 0
    .symbol:         _ZN7rocprim17ROCPRIM_400000_NS6detail17trampoline_kernelINS0_14default_configENS1_27upper_bound_config_selectorIilEEZNS1_14transform_implILb0ES3_S5_N6thrust23THRUST_200600_302600_NS6detail15normal_iteratorINS8_7pointerIiNS9_22execute_with_allocatorINS8_16device_allocatorIcEENS8_11hip_rocprim22execute_on_stream_baseEEENS8_11use_defaultESI_EEEENSA_INSB_IlSH_SI_SI_EEEEZNS1_13binary_searchIS3_S5_NSA_INS8_10device_ptrIiEEEESK_SM_NS1_21upper_bound_search_opENS9_16wrapped_functionINS8_6system6detail7generic6detail18binary_search_lessEbEEEE10hipError_tPvRmT1_T2_T3_mmT4_T5_P12ihipStream_tbEUlRKiE_EESZ_S13_S14_mS15_S18_bEUlT_E_NS1_11comp_targetILNS1_3genE5ELNS1_11target_archE942ELNS1_3gpuE9ELNS1_3repE0EEENS1_30default_config_static_selectorELNS0_4arch9wavefront6targetE1EEEvS12_.kd
    .uniform_work_group_size: 1
    .uses_dynamic_stack: false
    .vgpr_count:     0
    .vgpr_spill_count: 0
    .wavefront_size: 64
  - .args:
      - .offset:         0
        .size:           56
        .value_kind:     by_value
    .group_segment_fixed_size: 0
    .kernarg_segment_align: 8
    .kernarg_segment_size: 56
    .language:       OpenCL C
    .language_version:
      - 2
      - 0
    .max_flat_workgroup_size: 256
    .name:           _ZN7rocprim17ROCPRIM_400000_NS6detail17trampoline_kernelINS0_14default_configENS1_27upper_bound_config_selectorIilEEZNS1_14transform_implILb0ES3_S5_N6thrust23THRUST_200600_302600_NS6detail15normal_iteratorINS8_7pointerIiNS9_22execute_with_allocatorINS8_16device_allocatorIcEENS8_11hip_rocprim22execute_on_stream_baseEEENS8_11use_defaultESI_EEEENSA_INSB_IlSH_SI_SI_EEEEZNS1_13binary_searchIS3_S5_NSA_INS8_10device_ptrIiEEEESK_SM_NS1_21upper_bound_search_opENS9_16wrapped_functionINS8_6system6detail7generic6detail18binary_search_lessEbEEEE10hipError_tPvRmT1_T2_T3_mmT4_T5_P12ihipStream_tbEUlRKiE_EESZ_S13_S14_mS15_S18_bEUlT_E_NS1_11comp_targetILNS1_3genE4ELNS1_11target_archE910ELNS1_3gpuE8ELNS1_3repE0EEENS1_30default_config_static_selectorELNS0_4arch9wavefront6targetE1EEEvS12_
    .private_segment_fixed_size: 0
    .sgpr_count:     4
    .sgpr_spill_count: 0
    .symbol:         _ZN7rocprim17ROCPRIM_400000_NS6detail17trampoline_kernelINS0_14default_configENS1_27upper_bound_config_selectorIilEEZNS1_14transform_implILb0ES3_S5_N6thrust23THRUST_200600_302600_NS6detail15normal_iteratorINS8_7pointerIiNS9_22execute_with_allocatorINS8_16device_allocatorIcEENS8_11hip_rocprim22execute_on_stream_baseEEENS8_11use_defaultESI_EEEENSA_INSB_IlSH_SI_SI_EEEEZNS1_13binary_searchIS3_S5_NSA_INS8_10device_ptrIiEEEESK_SM_NS1_21upper_bound_search_opENS9_16wrapped_functionINS8_6system6detail7generic6detail18binary_search_lessEbEEEE10hipError_tPvRmT1_T2_T3_mmT4_T5_P12ihipStream_tbEUlRKiE_EESZ_S13_S14_mS15_S18_bEUlT_E_NS1_11comp_targetILNS1_3genE4ELNS1_11target_archE910ELNS1_3gpuE8ELNS1_3repE0EEENS1_30default_config_static_selectorELNS0_4arch9wavefront6targetE1EEEvS12_.kd
    .uniform_work_group_size: 1
    .uses_dynamic_stack: false
    .vgpr_count:     0
    .vgpr_spill_count: 0
    .wavefront_size: 64
  - .args:
      - .offset:         0
        .size:           56
        .value_kind:     by_value
    .group_segment_fixed_size: 0
    .kernarg_segment_align: 8
    .kernarg_segment_size: 56
    .language:       OpenCL C
    .language_version:
      - 2
      - 0
    .max_flat_workgroup_size: 256
    .name:           _ZN7rocprim17ROCPRIM_400000_NS6detail17trampoline_kernelINS0_14default_configENS1_27upper_bound_config_selectorIilEEZNS1_14transform_implILb0ES3_S5_N6thrust23THRUST_200600_302600_NS6detail15normal_iteratorINS8_7pointerIiNS9_22execute_with_allocatorINS8_16device_allocatorIcEENS8_11hip_rocprim22execute_on_stream_baseEEENS8_11use_defaultESI_EEEENSA_INSB_IlSH_SI_SI_EEEEZNS1_13binary_searchIS3_S5_NSA_INS8_10device_ptrIiEEEESK_SM_NS1_21upper_bound_search_opENS9_16wrapped_functionINS8_6system6detail7generic6detail18binary_search_lessEbEEEE10hipError_tPvRmT1_T2_T3_mmT4_T5_P12ihipStream_tbEUlRKiE_EESZ_S13_S14_mS15_S18_bEUlT_E_NS1_11comp_targetILNS1_3genE3ELNS1_11target_archE908ELNS1_3gpuE7ELNS1_3repE0EEENS1_30default_config_static_selectorELNS0_4arch9wavefront6targetE1EEEvS12_
    .private_segment_fixed_size: 0
    .sgpr_count:     4
    .sgpr_spill_count: 0
    .symbol:         _ZN7rocprim17ROCPRIM_400000_NS6detail17trampoline_kernelINS0_14default_configENS1_27upper_bound_config_selectorIilEEZNS1_14transform_implILb0ES3_S5_N6thrust23THRUST_200600_302600_NS6detail15normal_iteratorINS8_7pointerIiNS9_22execute_with_allocatorINS8_16device_allocatorIcEENS8_11hip_rocprim22execute_on_stream_baseEEENS8_11use_defaultESI_EEEENSA_INSB_IlSH_SI_SI_EEEEZNS1_13binary_searchIS3_S5_NSA_INS8_10device_ptrIiEEEESK_SM_NS1_21upper_bound_search_opENS9_16wrapped_functionINS8_6system6detail7generic6detail18binary_search_lessEbEEEE10hipError_tPvRmT1_T2_T3_mmT4_T5_P12ihipStream_tbEUlRKiE_EESZ_S13_S14_mS15_S18_bEUlT_E_NS1_11comp_targetILNS1_3genE3ELNS1_11target_archE908ELNS1_3gpuE7ELNS1_3repE0EEENS1_30default_config_static_selectorELNS0_4arch9wavefront6targetE1EEEvS12_.kd
    .uniform_work_group_size: 1
    .uses_dynamic_stack: false
    .vgpr_count:     0
    .vgpr_spill_count: 0
    .wavefront_size: 64
  - .args:
      - .offset:         0
        .size:           56
        .value_kind:     by_value
      - .offset:         56
        .size:           4
        .value_kind:     hidden_block_count_x
      - .offset:         60
        .size:           4
        .value_kind:     hidden_block_count_y
      - .offset:         64
        .size:           4
        .value_kind:     hidden_block_count_z
      - .offset:         68
        .size:           2
        .value_kind:     hidden_group_size_x
      - .offset:         70
        .size:           2
        .value_kind:     hidden_group_size_y
      - .offset:         72
        .size:           2
        .value_kind:     hidden_group_size_z
      - .offset:         74
        .size:           2
        .value_kind:     hidden_remainder_x
      - .offset:         76
        .size:           2
        .value_kind:     hidden_remainder_y
      - .offset:         78
        .size:           2
        .value_kind:     hidden_remainder_z
      - .offset:         96
        .size:           8
        .value_kind:     hidden_global_offset_x
      - .offset:         104
        .size:           8
        .value_kind:     hidden_global_offset_y
      - .offset:         112
        .size:           8
        .value_kind:     hidden_global_offset_z
      - .offset:         120
        .size:           2
        .value_kind:     hidden_grid_dims
    .group_segment_fixed_size: 0
    .kernarg_segment_align: 8
    .kernarg_segment_size: 312
    .language:       OpenCL C
    .language_version:
      - 2
      - 0
    .max_flat_workgroup_size: 256
    .name:           _ZN7rocprim17ROCPRIM_400000_NS6detail17trampoline_kernelINS0_14default_configENS1_27upper_bound_config_selectorIilEEZNS1_14transform_implILb0ES3_S5_N6thrust23THRUST_200600_302600_NS6detail15normal_iteratorINS8_7pointerIiNS9_22execute_with_allocatorINS8_16device_allocatorIcEENS8_11hip_rocprim22execute_on_stream_baseEEENS8_11use_defaultESI_EEEENSA_INSB_IlSH_SI_SI_EEEEZNS1_13binary_searchIS3_S5_NSA_INS8_10device_ptrIiEEEESK_SM_NS1_21upper_bound_search_opENS9_16wrapped_functionINS8_6system6detail7generic6detail18binary_search_lessEbEEEE10hipError_tPvRmT1_T2_T3_mmT4_T5_P12ihipStream_tbEUlRKiE_EESZ_S13_S14_mS15_S18_bEUlT_E_NS1_11comp_targetILNS1_3genE2ELNS1_11target_archE906ELNS1_3gpuE6ELNS1_3repE0EEENS1_30default_config_static_selectorELNS0_4arch9wavefront6targetE1EEEvS12_
    .private_segment_fixed_size: 0
    .sgpr_count:     24
    .sgpr_spill_count: 0
    .symbol:         _ZN7rocprim17ROCPRIM_400000_NS6detail17trampoline_kernelINS0_14default_configENS1_27upper_bound_config_selectorIilEEZNS1_14transform_implILb0ES3_S5_N6thrust23THRUST_200600_302600_NS6detail15normal_iteratorINS8_7pointerIiNS9_22execute_with_allocatorINS8_16device_allocatorIcEENS8_11hip_rocprim22execute_on_stream_baseEEENS8_11use_defaultESI_EEEENSA_INSB_IlSH_SI_SI_EEEEZNS1_13binary_searchIS3_S5_NSA_INS8_10device_ptrIiEEEESK_SM_NS1_21upper_bound_search_opENS9_16wrapped_functionINS8_6system6detail7generic6detail18binary_search_lessEbEEEE10hipError_tPvRmT1_T2_T3_mmT4_T5_P12ihipStream_tbEUlRKiE_EESZ_S13_S14_mS15_S18_bEUlT_E_NS1_11comp_targetILNS1_3genE2ELNS1_11target_archE906ELNS1_3gpuE6ELNS1_3repE0EEENS1_30default_config_static_selectorELNS0_4arch9wavefront6targetE1EEEvS12_.kd
    .uniform_work_group_size: 1
    .uses_dynamic_stack: false
    .vgpr_count:     12
    .vgpr_spill_count: 0
    .wavefront_size: 64
  - .args:
      - .offset:         0
        .size:           56
        .value_kind:     by_value
    .group_segment_fixed_size: 0
    .kernarg_segment_align: 8
    .kernarg_segment_size: 56
    .language:       OpenCL C
    .language_version:
      - 2
      - 0
    .max_flat_workgroup_size: 128
    .name:           _ZN7rocprim17ROCPRIM_400000_NS6detail17trampoline_kernelINS0_14default_configENS1_27upper_bound_config_selectorIilEEZNS1_14transform_implILb0ES3_S5_N6thrust23THRUST_200600_302600_NS6detail15normal_iteratorINS8_7pointerIiNS9_22execute_with_allocatorINS8_16device_allocatorIcEENS8_11hip_rocprim22execute_on_stream_baseEEENS8_11use_defaultESI_EEEENSA_INSB_IlSH_SI_SI_EEEEZNS1_13binary_searchIS3_S5_NSA_INS8_10device_ptrIiEEEESK_SM_NS1_21upper_bound_search_opENS9_16wrapped_functionINS8_6system6detail7generic6detail18binary_search_lessEbEEEE10hipError_tPvRmT1_T2_T3_mmT4_T5_P12ihipStream_tbEUlRKiE_EESZ_S13_S14_mS15_S18_bEUlT_E_NS1_11comp_targetILNS1_3genE10ELNS1_11target_archE1201ELNS1_3gpuE5ELNS1_3repE0EEENS1_30default_config_static_selectorELNS0_4arch9wavefront6targetE1EEEvS12_
    .private_segment_fixed_size: 0
    .sgpr_count:     4
    .sgpr_spill_count: 0
    .symbol:         _ZN7rocprim17ROCPRIM_400000_NS6detail17trampoline_kernelINS0_14default_configENS1_27upper_bound_config_selectorIilEEZNS1_14transform_implILb0ES3_S5_N6thrust23THRUST_200600_302600_NS6detail15normal_iteratorINS8_7pointerIiNS9_22execute_with_allocatorINS8_16device_allocatorIcEENS8_11hip_rocprim22execute_on_stream_baseEEENS8_11use_defaultESI_EEEENSA_INSB_IlSH_SI_SI_EEEEZNS1_13binary_searchIS3_S5_NSA_INS8_10device_ptrIiEEEESK_SM_NS1_21upper_bound_search_opENS9_16wrapped_functionINS8_6system6detail7generic6detail18binary_search_lessEbEEEE10hipError_tPvRmT1_T2_T3_mmT4_T5_P12ihipStream_tbEUlRKiE_EESZ_S13_S14_mS15_S18_bEUlT_E_NS1_11comp_targetILNS1_3genE10ELNS1_11target_archE1201ELNS1_3gpuE5ELNS1_3repE0EEENS1_30default_config_static_selectorELNS0_4arch9wavefront6targetE1EEEvS12_.kd
    .uniform_work_group_size: 1
    .uses_dynamic_stack: false
    .vgpr_count:     0
    .vgpr_spill_count: 0
    .wavefront_size: 64
  - .args:
      - .offset:         0
        .size:           56
        .value_kind:     by_value
    .group_segment_fixed_size: 0
    .kernarg_segment_align: 8
    .kernarg_segment_size: 56
    .language:       OpenCL C
    .language_version:
      - 2
      - 0
    .max_flat_workgroup_size: 128
    .name:           _ZN7rocprim17ROCPRIM_400000_NS6detail17trampoline_kernelINS0_14default_configENS1_27upper_bound_config_selectorIilEEZNS1_14transform_implILb0ES3_S5_N6thrust23THRUST_200600_302600_NS6detail15normal_iteratorINS8_7pointerIiNS9_22execute_with_allocatorINS8_16device_allocatorIcEENS8_11hip_rocprim22execute_on_stream_baseEEENS8_11use_defaultESI_EEEENSA_INSB_IlSH_SI_SI_EEEEZNS1_13binary_searchIS3_S5_NSA_INS8_10device_ptrIiEEEESK_SM_NS1_21upper_bound_search_opENS9_16wrapped_functionINS8_6system6detail7generic6detail18binary_search_lessEbEEEE10hipError_tPvRmT1_T2_T3_mmT4_T5_P12ihipStream_tbEUlRKiE_EESZ_S13_S14_mS15_S18_bEUlT_E_NS1_11comp_targetILNS1_3genE10ELNS1_11target_archE1200ELNS1_3gpuE4ELNS1_3repE0EEENS1_30default_config_static_selectorELNS0_4arch9wavefront6targetE1EEEvS12_
    .private_segment_fixed_size: 0
    .sgpr_count:     4
    .sgpr_spill_count: 0
    .symbol:         _ZN7rocprim17ROCPRIM_400000_NS6detail17trampoline_kernelINS0_14default_configENS1_27upper_bound_config_selectorIilEEZNS1_14transform_implILb0ES3_S5_N6thrust23THRUST_200600_302600_NS6detail15normal_iteratorINS8_7pointerIiNS9_22execute_with_allocatorINS8_16device_allocatorIcEENS8_11hip_rocprim22execute_on_stream_baseEEENS8_11use_defaultESI_EEEENSA_INSB_IlSH_SI_SI_EEEEZNS1_13binary_searchIS3_S5_NSA_INS8_10device_ptrIiEEEESK_SM_NS1_21upper_bound_search_opENS9_16wrapped_functionINS8_6system6detail7generic6detail18binary_search_lessEbEEEE10hipError_tPvRmT1_T2_T3_mmT4_T5_P12ihipStream_tbEUlRKiE_EESZ_S13_S14_mS15_S18_bEUlT_E_NS1_11comp_targetILNS1_3genE10ELNS1_11target_archE1200ELNS1_3gpuE4ELNS1_3repE0EEENS1_30default_config_static_selectorELNS0_4arch9wavefront6targetE1EEEvS12_.kd
    .uniform_work_group_size: 1
    .uses_dynamic_stack: false
    .vgpr_count:     0
    .vgpr_spill_count: 0
    .wavefront_size: 64
  - .args:
      - .offset:         0
        .size:           56
        .value_kind:     by_value
    .group_segment_fixed_size: 0
    .kernarg_segment_align: 8
    .kernarg_segment_size: 56
    .language:       OpenCL C
    .language_version:
      - 2
      - 0
    .max_flat_workgroup_size: 256
    .name:           _ZN7rocprim17ROCPRIM_400000_NS6detail17trampoline_kernelINS0_14default_configENS1_27upper_bound_config_selectorIilEEZNS1_14transform_implILb0ES3_S5_N6thrust23THRUST_200600_302600_NS6detail15normal_iteratorINS8_7pointerIiNS9_22execute_with_allocatorINS8_16device_allocatorIcEENS8_11hip_rocprim22execute_on_stream_baseEEENS8_11use_defaultESI_EEEENSA_INSB_IlSH_SI_SI_EEEEZNS1_13binary_searchIS3_S5_NSA_INS8_10device_ptrIiEEEESK_SM_NS1_21upper_bound_search_opENS9_16wrapped_functionINS8_6system6detail7generic6detail18binary_search_lessEbEEEE10hipError_tPvRmT1_T2_T3_mmT4_T5_P12ihipStream_tbEUlRKiE_EESZ_S13_S14_mS15_S18_bEUlT_E_NS1_11comp_targetILNS1_3genE9ELNS1_11target_archE1100ELNS1_3gpuE3ELNS1_3repE0EEENS1_30default_config_static_selectorELNS0_4arch9wavefront6targetE1EEEvS12_
    .private_segment_fixed_size: 0
    .sgpr_count:     4
    .sgpr_spill_count: 0
    .symbol:         _ZN7rocprim17ROCPRIM_400000_NS6detail17trampoline_kernelINS0_14default_configENS1_27upper_bound_config_selectorIilEEZNS1_14transform_implILb0ES3_S5_N6thrust23THRUST_200600_302600_NS6detail15normal_iteratorINS8_7pointerIiNS9_22execute_with_allocatorINS8_16device_allocatorIcEENS8_11hip_rocprim22execute_on_stream_baseEEENS8_11use_defaultESI_EEEENSA_INSB_IlSH_SI_SI_EEEEZNS1_13binary_searchIS3_S5_NSA_INS8_10device_ptrIiEEEESK_SM_NS1_21upper_bound_search_opENS9_16wrapped_functionINS8_6system6detail7generic6detail18binary_search_lessEbEEEE10hipError_tPvRmT1_T2_T3_mmT4_T5_P12ihipStream_tbEUlRKiE_EESZ_S13_S14_mS15_S18_bEUlT_E_NS1_11comp_targetILNS1_3genE9ELNS1_11target_archE1100ELNS1_3gpuE3ELNS1_3repE0EEENS1_30default_config_static_selectorELNS0_4arch9wavefront6targetE1EEEvS12_.kd
    .uniform_work_group_size: 1
    .uses_dynamic_stack: false
    .vgpr_count:     0
    .vgpr_spill_count: 0
    .wavefront_size: 64
  - .args:
      - .offset:         0
        .size:           56
        .value_kind:     by_value
    .group_segment_fixed_size: 0
    .kernarg_segment_align: 8
    .kernarg_segment_size: 56
    .language:       OpenCL C
    .language_version:
      - 2
      - 0
    .max_flat_workgroup_size: 256
    .name:           _ZN7rocprim17ROCPRIM_400000_NS6detail17trampoline_kernelINS0_14default_configENS1_27upper_bound_config_selectorIilEEZNS1_14transform_implILb0ES3_S5_N6thrust23THRUST_200600_302600_NS6detail15normal_iteratorINS8_7pointerIiNS9_22execute_with_allocatorINS8_16device_allocatorIcEENS8_11hip_rocprim22execute_on_stream_baseEEENS8_11use_defaultESI_EEEENSA_INSB_IlSH_SI_SI_EEEEZNS1_13binary_searchIS3_S5_NSA_INS8_10device_ptrIiEEEESK_SM_NS1_21upper_bound_search_opENS9_16wrapped_functionINS8_6system6detail7generic6detail18binary_search_lessEbEEEE10hipError_tPvRmT1_T2_T3_mmT4_T5_P12ihipStream_tbEUlRKiE_EESZ_S13_S14_mS15_S18_bEUlT_E_NS1_11comp_targetILNS1_3genE8ELNS1_11target_archE1030ELNS1_3gpuE2ELNS1_3repE0EEENS1_30default_config_static_selectorELNS0_4arch9wavefront6targetE1EEEvS12_
    .private_segment_fixed_size: 0
    .sgpr_count:     4
    .sgpr_spill_count: 0
    .symbol:         _ZN7rocprim17ROCPRIM_400000_NS6detail17trampoline_kernelINS0_14default_configENS1_27upper_bound_config_selectorIilEEZNS1_14transform_implILb0ES3_S5_N6thrust23THRUST_200600_302600_NS6detail15normal_iteratorINS8_7pointerIiNS9_22execute_with_allocatorINS8_16device_allocatorIcEENS8_11hip_rocprim22execute_on_stream_baseEEENS8_11use_defaultESI_EEEENSA_INSB_IlSH_SI_SI_EEEEZNS1_13binary_searchIS3_S5_NSA_INS8_10device_ptrIiEEEESK_SM_NS1_21upper_bound_search_opENS9_16wrapped_functionINS8_6system6detail7generic6detail18binary_search_lessEbEEEE10hipError_tPvRmT1_T2_T3_mmT4_T5_P12ihipStream_tbEUlRKiE_EESZ_S13_S14_mS15_S18_bEUlT_E_NS1_11comp_targetILNS1_3genE8ELNS1_11target_archE1030ELNS1_3gpuE2ELNS1_3repE0EEENS1_30default_config_static_selectorELNS0_4arch9wavefront6targetE1EEEvS12_.kd
    .uniform_work_group_size: 1
    .uses_dynamic_stack: false
    .vgpr_count:     0
    .vgpr_spill_count: 0
    .wavefront_size: 64
  - .args:
      - .offset:         0
        .size:           56
        .value_kind:     by_value
    .group_segment_fixed_size: 0
    .kernarg_segment_align: 8
    .kernarg_segment_size: 56
    .language:       OpenCL C
    .language_version:
      - 2
      - 0
    .max_flat_workgroup_size: 256
    .name:           _ZN7rocprim17ROCPRIM_400000_NS6detail17trampoline_kernelINS0_14default_configENS1_29binary_search_config_selectorIiiEEZNS1_14transform_implILb0ES3_S5_N6thrust23THRUST_200600_302600_NS6detail15normal_iteratorINS8_7pointerIiNS8_11hip_rocprim5par_tENS8_11use_defaultESE_EEEESG_ZNS1_13binary_searchIS3_S5_NS8_10device_ptrIiEESG_SG_NS1_16binary_search_opENS9_16wrapped_functionINS8_6system6detail7generic6detail18binary_search_lessEbEEEE10hipError_tPvRmT1_T2_T3_mmT4_T5_P12ihipStream_tbEUlRKiE_EESS_SW_SX_mSY_S11_bEUlT_E_NS1_11comp_targetILNS1_3genE0ELNS1_11target_archE4294967295ELNS1_3gpuE0ELNS1_3repE0EEENS1_30default_config_static_selectorELNS0_4arch9wavefront6targetE1EEEvSV_
    .private_segment_fixed_size: 0
    .sgpr_count:     4
    .sgpr_spill_count: 0
    .symbol:         _ZN7rocprim17ROCPRIM_400000_NS6detail17trampoline_kernelINS0_14default_configENS1_29binary_search_config_selectorIiiEEZNS1_14transform_implILb0ES3_S5_N6thrust23THRUST_200600_302600_NS6detail15normal_iteratorINS8_7pointerIiNS8_11hip_rocprim5par_tENS8_11use_defaultESE_EEEESG_ZNS1_13binary_searchIS3_S5_NS8_10device_ptrIiEESG_SG_NS1_16binary_search_opENS9_16wrapped_functionINS8_6system6detail7generic6detail18binary_search_lessEbEEEE10hipError_tPvRmT1_T2_T3_mmT4_T5_P12ihipStream_tbEUlRKiE_EESS_SW_SX_mSY_S11_bEUlT_E_NS1_11comp_targetILNS1_3genE0ELNS1_11target_archE4294967295ELNS1_3gpuE0ELNS1_3repE0EEENS1_30default_config_static_selectorELNS0_4arch9wavefront6targetE1EEEvSV_.kd
    .uniform_work_group_size: 1
    .uses_dynamic_stack: false
    .vgpr_count:     0
    .vgpr_spill_count: 0
    .wavefront_size: 64
  - .args:
      - .offset:         0
        .size:           56
        .value_kind:     by_value
    .group_segment_fixed_size: 0
    .kernarg_segment_align: 8
    .kernarg_segment_size: 56
    .language:       OpenCL C
    .language_version:
      - 2
      - 0
    .max_flat_workgroup_size: 256
    .name:           _ZN7rocprim17ROCPRIM_400000_NS6detail17trampoline_kernelINS0_14default_configENS1_29binary_search_config_selectorIiiEEZNS1_14transform_implILb0ES3_S5_N6thrust23THRUST_200600_302600_NS6detail15normal_iteratorINS8_7pointerIiNS8_11hip_rocprim5par_tENS8_11use_defaultESE_EEEESG_ZNS1_13binary_searchIS3_S5_NS8_10device_ptrIiEESG_SG_NS1_16binary_search_opENS9_16wrapped_functionINS8_6system6detail7generic6detail18binary_search_lessEbEEEE10hipError_tPvRmT1_T2_T3_mmT4_T5_P12ihipStream_tbEUlRKiE_EESS_SW_SX_mSY_S11_bEUlT_E_NS1_11comp_targetILNS1_3genE5ELNS1_11target_archE942ELNS1_3gpuE9ELNS1_3repE0EEENS1_30default_config_static_selectorELNS0_4arch9wavefront6targetE1EEEvSV_
    .private_segment_fixed_size: 0
    .sgpr_count:     4
    .sgpr_spill_count: 0
    .symbol:         _ZN7rocprim17ROCPRIM_400000_NS6detail17trampoline_kernelINS0_14default_configENS1_29binary_search_config_selectorIiiEEZNS1_14transform_implILb0ES3_S5_N6thrust23THRUST_200600_302600_NS6detail15normal_iteratorINS8_7pointerIiNS8_11hip_rocprim5par_tENS8_11use_defaultESE_EEEESG_ZNS1_13binary_searchIS3_S5_NS8_10device_ptrIiEESG_SG_NS1_16binary_search_opENS9_16wrapped_functionINS8_6system6detail7generic6detail18binary_search_lessEbEEEE10hipError_tPvRmT1_T2_T3_mmT4_T5_P12ihipStream_tbEUlRKiE_EESS_SW_SX_mSY_S11_bEUlT_E_NS1_11comp_targetILNS1_3genE5ELNS1_11target_archE942ELNS1_3gpuE9ELNS1_3repE0EEENS1_30default_config_static_selectorELNS0_4arch9wavefront6targetE1EEEvSV_.kd
    .uniform_work_group_size: 1
    .uses_dynamic_stack: false
    .vgpr_count:     0
    .vgpr_spill_count: 0
    .wavefront_size: 64
  - .args:
      - .offset:         0
        .size:           56
        .value_kind:     by_value
    .group_segment_fixed_size: 0
    .kernarg_segment_align: 8
    .kernarg_segment_size: 56
    .language:       OpenCL C
    .language_version:
      - 2
      - 0
    .max_flat_workgroup_size: 256
    .name:           _ZN7rocprim17ROCPRIM_400000_NS6detail17trampoline_kernelINS0_14default_configENS1_29binary_search_config_selectorIiiEEZNS1_14transform_implILb0ES3_S5_N6thrust23THRUST_200600_302600_NS6detail15normal_iteratorINS8_7pointerIiNS8_11hip_rocprim5par_tENS8_11use_defaultESE_EEEESG_ZNS1_13binary_searchIS3_S5_NS8_10device_ptrIiEESG_SG_NS1_16binary_search_opENS9_16wrapped_functionINS8_6system6detail7generic6detail18binary_search_lessEbEEEE10hipError_tPvRmT1_T2_T3_mmT4_T5_P12ihipStream_tbEUlRKiE_EESS_SW_SX_mSY_S11_bEUlT_E_NS1_11comp_targetILNS1_3genE4ELNS1_11target_archE910ELNS1_3gpuE8ELNS1_3repE0EEENS1_30default_config_static_selectorELNS0_4arch9wavefront6targetE1EEEvSV_
    .private_segment_fixed_size: 0
    .sgpr_count:     4
    .sgpr_spill_count: 0
    .symbol:         _ZN7rocprim17ROCPRIM_400000_NS6detail17trampoline_kernelINS0_14default_configENS1_29binary_search_config_selectorIiiEEZNS1_14transform_implILb0ES3_S5_N6thrust23THRUST_200600_302600_NS6detail15normal_iteratorINS8_7pointerIiNS8_11hip_rocprim5par_tENS8_11use_defaultESE_EEEESG_ZNS1_13binary_searchIS3_S5_NS8_10device_ptrIiEESG_SG_NS1_16binary_search_opENS9_16wrapped_functionINS8_6system6detail7generic6detail18binary_search_lessEbEEEE10hipError_tPvRmT1_T2_T3_mmT4_T5_P12ihipStream_tbEUlRKiE_EESS_SW_SX_mSY_S11_bEUlT_E_NS1_11comp_targetILNS1_3genE4ELNS1_11target_archE910ELNS1_3gpuE8ELNS1_3repE0EEENS1_30default_config_static_selectorELNS0_4arch9wavefront6targetE1EEEvSV_.kd
    .uniform_work_group_size: 1
    .uses_dynamic_stack: false
    .vgpr_count:     0
    .vgpr_spill_count: 0
    .wavefront_size: 64
  - .args:
      - .offset:         0
        .size:           56
        .value_kind:     by_value
    .group_segment_fixed_size: 0
    .kernarg_segment_align: 8
    .kernarg_segment_size: 56
    .language:       OpenCL C
    .language_version:
      - 2
      - 0
    .max_flat_workgroup_size: 256
    .name:           _ZN7rocprim17ROCPRIM_400000_NS6detail17trampoline_kernelINS0_14default_configENS1_29binary_search_config_selectorIiiEEZNS1_14transform_implILb0ES3_S5_N6thrust23THRUST_200600_302600_NS6detail15normal_iteratorINS8_7pointerIiNS8_11hip_rocprim5par_tENS8_11use_defaultESE_EEEESG_ZNS1_13binary_searchIS3_S5_NS8_10device_ptrIiEESG_SG_NS1_16binary_search_opENS9_16wrapped_functionINS8_6system6detail7generic6detail18binary_search_lessEbEEEE10hipError_tPvRmT1_T2_T3_mmT4_T5_P12ihipStream_tbEUlRKiE_EESS_SW_SX_mSY_S11_bEUlT_E_NS1_11comp_targetILNS1_3genE3ELNS1_11target_archE908ELNS1_3gpuE7ELNS1_3repE0EEENS1_30default_config_static_selectorELNS0_4arch9wavefront6targetE1EEEvSV_
    .private_segment_fixed_size: 0
    .sgpr_count:     4
    .sgpr_spill_count: 0
    .symbol:         _ZN7rocprim17ROCPRIM_400000_NS6detail17trampoline_kernelINS0_14default_configENS1_29binary_search_config_selectorIiiEEZNS1_14transform_implILb0ES3_S5_N6thrust23THRUST_200600_302600_NS6detail15normal_iteratorINS8_7pointerIiNS8_11hip_rocprim5par_tENS8_11use_defaultESE_EEEESG_ZNS1_13binary_searchIS3_S5_NS8_10device_ptrIiEESG_SG_NS1_16binary_search_opENS9_16wrapped_functionINS8_6system6detail7generic6detail18binary_search_lessEbEEEE10hipError_tPvRmT1_T2_T3_mmT4_T5_P12ihipStream_tbEUlRKiE_EESS_SW_SX_mSY_S11_bEUlT_E_NS1_11comp_targetILNS1_3genE3ELNS1_11target_archE908ELNS1_3gpuE7ELNS1_3repE0EEENS1_30default_config_static_selectorELNS0_4arch9wavefront6targetE1EEEvSV_.kd
    .uniform_work_group_size: 1
    .uses_dynamic_stack: false
    .vgpr_count:     0
    .vgpr_spill_count: 0
    .wavefront_size: 64
  - .args:
      - .offset:         0
        .size:           56
        .value_kind:     by_value
      - .offset:         56
        .size:           4
        .value_kind:     hidden_block_count_x
      - .offset:         60
        .size:           4
        .value_kind:     hidden_block_count_y
      - .offset:         64
        .size:           4
        .value_kind:     hidden_block_count_z
      - .offset:         68
        .size:           2
        .value_kind:     hidden_group_size_x
      - .offset:         70
        .size:           2
        .value_kind:     hidden_group_size_y
      - .offset:         72
        .size:           2
        .value_kind:     hidden_group_size_z
      - .offset:         74
        .size:           2
        .value_kind:     hidden_remainder_x
      - .offset:         76
        .size:           2
        .value_kind:     hidden_remainder_y
      - .offset:         78
        .size:           2
        .value_kind:     hidden_remainder_z
      - .offset:         96
        .size:           8
        .value_kind:     hidden_global_offset_x
      - .offset:         104
        .size:           8
        .value_kind:     hidden_global_offset_y
      - .offset:         112
        .size:           8
        .value_kind:     hidden_global_offset_z
      - .offset:         120
        .size:           2
        .value_kind:     hidden_grid_dims
    .group_segment_fixed_size: 0
    .kernarg_segment_align: 8
    .kernarg_segment_size: 312
    .language:       OpenCL C
    .language_version:
      - 2
      - 0
    .max_flat_workgroup_size: 256
    .name:           _ZN7rocprim17ROCPRIM_400000_NS6detail17trampoline_kernelINS0_14default_configENS1_29binary_search_config_selectorIiiEEZNS1_14transform_implILb0ES3_S5_N6thrust23THRUST_200600_302600_NS6detail15normal_iteratorINS8_7pointerIiNS8_11hip_rocprim5par_tENS8_11use_defaultESE_EEEESG_ZNS1_13binary_searchIS3_S5_NS8_10device_ptrIiEESG_SG_NS1_16binary_search_opENS9_16wrapped_functionINS8_6system6detail7generic6detail18binary_search_lessEbEEEE10hipError_tPvRmT1_T2_T3_mmT4_T5_P12ihipStream_tbEUlRKiE_EESS_SW_SX_mSY_S11_bEUlT_E_NS1_11comp_targetILNS1_3genE2ELNS1_11target_archE906ELNS1_3gpuE6ELNS1_3repE0EEENS1_30default_config_static_selectorELNS0_4arch9wavefront6targetE1EEEvSV_
    .private_segment_fixed_size: 0
    .sgpr_count:     24
    .sgpr_spill_count: 0
    .symbol:         _ZN7rocprim17ROCPRIM_400000_NS6detail17trampoline_kernelINS0_14default_configENS1_29binary_search_config_selectorIiiEEZNS1_14transform_implILb0ES3_S5_N6thrust23THRUST_200600_302600_NS6detail15normal_iteratorINS8_7pointerIiNS8_11hip_rocprim5par_tENS8_11use_defaultESE_EEEESG_ZNS1_13binary_searchIS3_S5_NS8_10device_ptrIiEESG_SG_NS1_16binary_search_opENS9_16wrapped_functionINS8_6system6detail7generic6detail18binary_search_lessEbEEEE10hipError_tPvRmT1_T2_T3_mmT4_T5_P12ihipStream_tbEUlRKiE_EESS_SW_SX_mSY_S11_bEUlT_E_NS1_11comp_targetILNS1_3genE2ELNS1_11target_archE906ELNS1_3gpuE6ELNS1_3repE0EEENS1_30default_config_static_selectorELNS0_4arch9wavefront6targetE1EEEvSV_.kd
    .uniform_work_group_size: 1
    .uses_dynamic_stack: false
    .vgpr_count:     13
    .vgpr_spill_count: 0
    .wavefront_size: 64
  - .args:
      - .offset:         0
        .size:           56
        .value_kind:     by_value
    .group_segment_fixed_size: 0
    .kernarg_segment_align: 8
    .kernarg_segment_size: 56
    .language:       OpenCL C
    .language_version:
      - 2
      - 0
    .max_flat_workgroup_size: 128
    .name:           _ZN7rocprim17ROCPRIM_400000_NS6detail17trampoline_kernelINS0_14default_configENS1_29binary_search_config_selectorIiiEEZNS1_14transform_implILb0ES3_S5_N6thrust23THRUST_200600_302600_NS6detail15normal_iteratorINS8_7pointerIiNS8_11hip_rocprim5par_tENS8_11use_defaultESE_EEEESG_ZNS1_13binary_searchIS3_S5_NS8_10device_ptrIiEESG_SG_NS1_16binary_search_opENS9_16wrapped_functionINS8_6system6detail7generic6detail18binary_search_lessEbEEEE10hipError_tPvRmT1_T2_T3_mmT4_T5_P12ihipStream_tbEUlRKiE_EESS_SW_SX_mSY_S11_bEUlT_E_NS1_11comp_targetILNS1_3genE10ELNS1_11target_archE1201ELNS1_3gpuE5ELNS1_3repE0EEENS1_30default_config_static_selectorELNS0_4arch9wavefront6targetE1EEEvSV_
    .private_segment_fixed_size: 0
    .sgpr_count:     4
    .sgpr_spill_count: 0
    .symbol:         _ZN7rocprim17ROCPRIM_400000_NS6detail17trampoline_kernelINS0_14default_configENS1_29binary_search_config_selectorIiiEEZNS1_14transform_implILb0ES3_S5_N6thrust23THRUST_200600_302600_NS6detail15normal_iteratorINS8_7pointerIiNS8_11hip_rocprim5par_tENS8_11use_defaultESE_EEEESG_ZNS1_13binary_searchIS3_S5_NS8_10device_ptrIiEESG_SG_NS1_16binary_search_opENS9_16wrapped_functionINS8_6system6detail7generic6detail18binary_search_lessEbEEEE10hipError_tPvRmT1_T2_T3_mmT4_T5_P12ihipStream_tbEUlRKiE_EESS_SW_SX_mSY_S11_bEUlT_E_NS1_11comp_targetILNS1_3genE10ELNS1_11target_archE1201ELNS1_3gpuE5ELNS1_3repE0EEENS1_30default_config_static_selectorELNS0_4arch9wavefront6targetE1EEEvSV_.kd
    .uniform_work_group_size: 1
    .uses_dynamic_stack: false
    .vgpr_count:     0
    .vgpr_spill_count: 0
    .wavefront_size: 64
  - .args:
      - .offset:         0
        .size:           56
        .value_kind:     by_value
    .group_segment_fixed_size: 0
    .kernarg_segment_align: 8
    .kernarg_segment_size: 56
    .language:       OpenCL C
    .language_version:
      - 2
      - 0
    .max_flat_workgroup_size: 128
    .name:           _ZN7rocprim17ROCPRIM_400000_NS6detail17trampoline_kernelINS0_14default_configENS1_29binary_search_config_selectorIiiEEZNS1_14transform_implILb0ES3_S5_N6thrust23THRUST_200600_302600_NS6detail15normal_iteratorINS8_7pointerIiNS8_11hip_rocprim5par_tENS8_11use_defaultESE_EEEESG_ZNS1_13binary_searchIS3_S5_NS8_10device_ptrIiEESG_SG_NS1_16binary_search_opENS9_16wrapped_functionINS8_6system6detail7generic6detail18binary_search_lessEbEEEE10hipError_tPvRmT1_T2_T3_mmT4_T5_P12ihipStream_tbEUlRKiE_EESS_SW_SX_mSY_S11_bEUlT_E_NS1_11comp_targetILNS1_3genE10ELNS1_11target_archE1200ELNS1_3gpuE4ELNS1_3repE0EEENS1_30default_config_static_selectorELNS0_4arch9wavefront6targetE1EEEvSV_
    .private_segment_fixed_size: 0
    .sgpr_count:     4
    .sgpr_spill_count: 0
    .symbol:         _ZN7rocprim17ROCPRIM_400000_NS6detail17trampoline_kernelINS0_14default_configENS1_29binary_search_config_selectorIiiEEZNS1_14transform_implILb0ES3_S5_N6thrust23THRUST_200600_302600_NS6detail15normal_iteratorINS8_7pointerIiNS8_11hip_rocprim5par_tENS8_11use_defaultESE_EEEESG_ZNS1_13binary_searchIS3_S5_NS8_10device_ptrIiEESG_SG_NS1_16binary_search_opENS9_16wrapped_functionINS8_6system6detail7generic6detail18binary_search_lessEbEEEE10hipError_tPvRmT1_T2_T3_mmT4_T5_P12ihipStream_tbEUlRKiE_EESS_SW_SX_mSY_S11_bEUlT_E_NS1_11comp_targetILNS1_3genE10ELNS1_11target_archE1200ELNS1_3gpuE4ELNS1_3repE0EEENS1_30default_config_static_selectorELNS0_4arch9wavefront6targetE1EEEvSV_.kd
    .uniform_work_group_size: 1
    .uses_dynamic_stack: false
    .vgpr_count:     0
    .vgpr_spill_count: 0
    .wavefront_size: 64
  - .args:
      - .offset:         0
        .size:           56
        .value_kind:     by_value
    .group_segment_fixed_size: 0
    .kernarg_segment_align: 8
    .kernarg_segment_size: 56
    .language:       OpenCL C
    .language_version:
      - 2
      - 0
    .max_flat_workgroup_size: 256
    .name:           _ZN7rocprim17ROCPRIM_400000_NS6detail17trampoline_kernelINS0_14default_configENS1_29binary_search_config_selectorIiiEEZNS1_14transform_implILb0ES3_S5_N6thrust23THRUST_200600_302600_NS6detail15normal_iteratorINS8_7pointerIiNS8_11hip_rocprim5par_tENS8_11use_defaultESE_EEEESG_ZNS1_13binary_searchIS3_S5_NS8_10device_ptrIiEESG_SG_NS1_16binary_search_opENS9_16wrapped_functionINS8_6system6detail7generic6detail18binary_search_lessEbEEEE10hipError_tPvRmT1_T2_T3_mmT4_T5_P12ihipStream_tbEUlRKiE_EESS_SW_SX_mSY_S11_bEUlT_E_NS1_11comp_targetILNS1_3genE9ELNS1_11target_archE1100ELNS1_3gpuE3ELNS1_3repE0EEENS1_30default_config_static_selectorELNS0_4arch9wavefront6targetE1EEEvSV_
    .private_segment_fixed_size: 0
    .sgpr_count:     4
    .sgpr_spill_count: 0
    .symbol:         _ZN7rocprim17ROCPRIM_400000_NS6detail17trampoline_kernelINS0_14default_configENS1_29binary_search_config_selectorIiiEEZNS1_14transform_implILb0ES3_S5_N6thrust23THRUST_200600_302600_NS6detail15normal_iteratorINS8_7pointerIiNS8_11hip_rocprim5par_tENS8_11use_defaultESE_EEEESG_ZNS1_13binary_searchIS3_S5_NS8_10device_ptrIiEESG_SG_NS1_16binary_search_opENS9_16wrapped_functionINS8_6system6detail7generic6detail18binary_search_lessEbEEEE10hipError_tPvRmT1_T2_T3_mmT4_T5_P12ihipStream_tbEUlRKiE_EESS_SW_SX_mSY_S11_bEUlT_E_NS1_11comp_targetILNS1_3genE9ELNS1_11target_archE1100ELNS1_3gpuE3ELNS1_3repE0EEENS1_30default_config_static_selectorELNS0_4arch9wavefront6targetE1EEEvSV_.kd
    .uniform_work_group_size: 1
    .uses_dynamic_stack: false
    .vgpr_count:     0
    .vgpr_spill_count: 0
    .wavefront_size: 64
  - .args:
      - .offset:         0
        .size:           56
        .value_kind:     by_value
    .group_segment_fixed_size: 0
    .kernarg_segment_align: 8
    .kernarg_segment_size: 56
    .language:       OpenCL C
    .language_version:
      - 2
      - 0
    .max_flat_workgroup_size: 256
    .name:           _ZN7rocprim17ROCPRIM_400000_NS6detail17trampoline_kernelINS0_14default_configENS1_29binary_search_config_selectorIiiEEZNS1_14transform_implILb0ES3_S5_N6thrust23THRUST_200600_302600_NS6detail15normal_iteratorINS8_7pointerIiNS8_11hip_rocprim5par_tENS8_11use_defaultESE_EEEESG_ZNS1_13binary_searchIS3_S5_NS8_10device_ptrIiEESG_SG_NS1_16binary_search_opENS9_16wrapped_functionINS8_6system6detail7generic6detail18binary_search_lessEbEEEE10hipError_tPvRmT1_T2_T3_mmT4_T5_P12ihipStream_tbEUlRKiE_EESS_SW_SX_mSY_S11_bEUlT_E_NS1_11comp_targetILNS1_3genE8ELNS1_11target_archE1030ELNS1_3gpuE2ELNS1_3repE0EEENS1_30default_config_static_selectorELNS0_4arch9wavefront6targetE1EEEvSV_
    .private_segment_fixed_size: 0
    .sgpr_count:     4
    .sgpr_spill_count: 0
    .symbol:         _ZN7rocprim17ROCPRIM_400000_NS6detail17trampoline_kernelINS0_14default_configENS1_29binary_search_config_selectorIiiEEZNS1_14transform_implILb0ES3_S5_N6thrust23THRUST_200600_302600_NS6detail15normal_iteratorINS8_7pointerIiNS8_11hip_rocprim5par_tENS8_11use_defaultESE_EEEESG_ZNS1_13binary_searchIS3_S5_NS8_10device_ptrIiEESG_SG_NS1_16binary_search_opENS9_16wrapped_functionINS8_6system6detail7generic6detail18binary_search_lessEbEEEE10hipError_tPvRmT1_T2_T3_mmT4_T5_P12ihipStream_tbEUlRKiE_EESS_SW_SX_mSY_S11_bEUlT_E_NS1_11comp_targetILNS1_3genE8ELNS1_11target_archE1030ELNS1_3gpuE2ELNS1_3repE0EEENS1_30default_config_static_selectorELNS0_4arch9wavefront6targetE1EEEvSV_.kd
    .uniform_work_group_size: 1
    .uses_dynamic_stack: false
    .vgpr_count:     0
    .vgpr_spill_count: 0
    .wavefront_size: 64
amdhsa.target:   amdgcn-amd-amdhsa--gfx906
amdhsa.version:
  - 1
  - 2
...

	.end_amdgpu_metadata
